;; amdgpu-corpus repo=pytorch/pytorch kind=compiled arch=gfx90a opt=O3
	.text
	.amdgcn_target "amdgcn-amd-amdhsa--gfx90a"
	.amdhsa_code_object_version 6
	.section	.text._ZN7rocprim17ROCPRIM_400000_NS6detail31init_lookback_scan_state_kernelINS1_19lookback_scan_stateIdLb0ELb1EEENS1_16block_id_wrapperIjLb0EEEEEvT_jT0_jPNS7_10value_typeE,"axG",@progbits,_ZN7rocprim17ROCPRIM_400000_NS6detail31init_lookback_scan_state_kernelINS1_19lookback_scan_stateIdLb0ELb1EEENS1_16block_id_wrapperIjLb0EEEEEvT_jT0_jPNS7_10value_typeE,comdat
	.protected	_ZN7rocprim17ROCPRIM_400000_NS6detail31init_lookback_scan_state_kernelINS1_19lookback_scan_stateIdLb0ELb1EEENS1_16block_id_wrapperIjLb0EEEEEvT_jT0_jPNS7_10value_typeE ; -- Begin function _ZN7rocprim17ROCPRIM_400000_NS6detail31init_lookback_scan_state_kernelINS1_19lookback_scan_stateIdLb0ELb1EEENS1_16block_id_wrapperIjLb0EEEEEvT_jT0_jPNS7_10value_typeE
	.globl	_ZN7rocprim17ROCPRIM_400000_NS6detail31init_lookback_scan_state_kernelINS1_19lookback_scan_stateIdLb0ELb1EEENS1_16block_id_wrapperIjLb0EEEEEvT_jT0_jPNS7_10value_typeE
	.p2align	8
	.type	_ZN7rocprim17ROCPRIM_400000_NS6detail31init_lookback_scan_state_kernelINS1_19lookback_scan_stateIdLb0ELb1EEENS1_16block_id_wrapperIjLb0EEEEEvT_jT0_jPNS7_10value_typeE,@function
_ZN7rocprim17ROCPRIM_400000_NS6detail31init_lookback_scan_state_kernelINS1_19lookback_scan_stateIdLb0ELb1EEENS1_16block_id_wrapperIjLb0EEEEEvT_jT0_jPNS7_10value_typeE: ; @_ZN7rocprim17ROCPRIM_400000_NS6detail31init_lookback_scan_state_kernelINS1_19lookback_scan_stateIdLb0ELb1EEENS1_16block_id_wrapperIjLb0EEEEEvT_jT0_jPNS7_10value_typeE
; %bb.0:
	s_load_dword s7, s[4:5], 0x2c
	s_load_dwordx2 s[2:3], s[4:5], 0x18
	s_load_dwordx2 s[0:1], s[4:5], 0x0
	s_load_dword s12, s[4:5], 0x8
	s_waitcnt lgkmcnt(0)
	s_and_b32 s7, s7, 0xffff
	s_mul_i32 s6, s6, s7
	s_cmp_eq_u64 s[2:3], 0
	v_add_u32_e32 v0, s6, v0
	s_cbranch_scc1 .LBB0_8
; %bb.1:
	s_load_dword s6, s[4:5], 0x10
	s_mov_b32 s7, 0
	s_waitcnt lgkmcnt(0)
	s_cmp_lt_u32 s6, s12
	s_cselect_b32 s4, s6, 0
	v_cmp_eq_u32_e32 vcc, s4, v0
	s_and_saveexec_b64 s[4:5], vcc
	s_cbranch_execz .LBB0_7
; %bb.2:
	s_add_i32 s6, s6, 64
	s_lshl_b64 s[6:7], s[6:7], 4
	s_add_u32 s10, s0, s6
	s_addc_u32 s11, s1, s7
	v_pk_mov_b32 v[2:3], s[10:11], s[10:11] op_sel:[0,1]
	;;#ASMSTART
	global_load_dwordx4 v[2:5], v[2:3] off glc	
s_waitcnt vmcnt(0)
	;;#ASMEND
	v_mov_b32_e32 v7, 0
	v_and_b32_e32 v6, 0xff, v4
	s_mov_b64 s[8:9], 0
	v_cmp_eq_u64_e32 vcc, 0, v[6:7]
	s_and_saveexec_b64 s[6:7], vcc
	s_cbranch_execz .LBB0_6
; %bb.3:
	v_pk_mov_b32 v[8:9], s[10:11], s[10:11] op_sel:[0,1]
.LBB0_4:                                ; =>This Inner Loop Header: Depth=1
	;;#ASMSTART
	global_load_dwordx4 v[2:5], v[8:9] off glc	
s_waitcnt vmcnt(0)
	;;#ASMEND
	v_and_b32_e32 v6, 0xff, v4
	v_cmp_ne_u64_e32 vcc, 0, v[6:7]
	s_or_b64 s[8:9], vcc, s[8:9]
	s_andn2_b64 exec, exec, s[8:9]
	s_cbranch_execnz .LBB0_4
; %bb.5:
	s_or_b64 exec, exec, s[8:9]
.LBB0_6:
	s_or_b64 exec, exec, s[6:7]
	v_mov_b32_e32 v1, 0
	global_store_dwordx2 v1, v[2:3], s[2:3]
.LBB0_7:
	s_or_b64 exec, exec, s[4:5]
.LBB0_8:
	v_cmp_gt_u32_e32 vcc, s12, v0
	s_and_saveexec_b64 s[2:3], vcc
	s_cbranch_execnz .LBB0_11
; %bb.9:
	s_or_b64 exec, exec, s[2:3]
	v_cmp_gt_u32_e32 vcc, 64, v0
	s_and_saveexec_b64 s[2:3], vcc
	s_cbranch_execnz .LBB0_12
.LBB0_10:
	s_endpgm
.LBB0_11:
	v_add_u32_e32 v2, 64, v0
	v_mov_b32_e32 v3, 0
	v_lshlrev_b64 v[4:5], 4, v[2:3]
	v_mov_b32_e32 v1, s1
	v_add_co_u32_e32 v6, vcc, s0, v4
	v_addc_co_u32_e32 v7, vcc, v1, v5, vcc
	v_mov_b32_e32 v2, v3
	v_mov_b32_e32 v4, v3
	;; [unrolled: 1-line block ×3, first 2 shown]
	global_store_dwordx4 v[6:7], v[2:5], off
	s_or_b64 exec, exec, s[2:3]
	v_cmp_gt_u32_e32 vcc, 64, v0
	s_and_saveexec_b64 s[2:3], vcc
	s_cbranch_execz .LBB0_10
.LBB0_12:
	v_mov_b32_e32 v1, 0
	v_lshlrev_b64 v[2:3], 4, v[0:1]
	v_mov_b32_e32 v0, s1
	v_add_co_u32_e32 v4, vcc, s0, v2
	v_addc_co_u32_e32 v5, vcc, v0, v3, vcc
	v_mov_b32_e32 v2, 0xff
	v_mov_b32_e32 v0, v1
	;; [unrolled: 1-line block ×3, first 2 shown]
	global_store_dwordx4 v[4:5], v[0:3], off
	s_endpgm
	.section	.rodata,"a",@progbits
	.p2align	6, 0x0
	.amdhsa_kernel _ZN7rocprim17ROCPRIM_400000_NS6detail31init_lookback_scan_state_kernelINS1_19lookback_scan_stateIdLb0ELb1EEENS1_16block_id_wrapperIjLb0EEEEEvT_jT0_jPNS7_10value_typeE
		.amdhsa_group_segment_fixed_size 0
		.amdhsa_private_segment_fixed_size 0
		.amdhsa_kernarg_size 288
		.amdhsa_user_sgpr_count 6
		.amdhsa_user_sgpr_private_segment_buffer 1
		.amdhsa_user_sgpr_dispatch_ptr 0
		.amdhsa_user_sgpr_queue_ptr 0
		.amdhsa_user_sgpr_kernarg_segment_ptr 1
		.amdhsa_user_sgpr_dispatch_id 0
		.amdhsa_user_sgpr_flat_scratch_init 0
		.amdhsa_user_sgpr_kernarg_preload_length 0
		.amdhsa_user_sgpr_kernarg_preload_offset 0
		.amdhsa_user_sgpr_private_segment_size 0
		.amdhsa_uses_dynamic_stack 0
		.amdhsa_system_sgpr_private_segment_wavefront_offset 0
		.amdhsa_system_sgpr_workgroup_id_x 1
		.amdhsa_system_sgpr_workgroup_id_y 0
		.amdhsa_system_sgpr_workgroup_id_z 0
		.amdhsa_system_sgpr_workgroup_info 0
		.amdhsa_system_vgpr_workitem_id 0
		.amdhsa_next_free_vgpr 10
		.amdhsa_next_free_sgpr 13
		.amdhsa_accum_offset 12
		.amdhsa_reserve_vcc 1
		.amdhsa_reserve_flat_scratch 0
		.amdhsa_float_round_mode_32 0
		.amdhsa_float_round_mode_16_64 0
		.amdhsa_float_denorm_mode_32 3
		.amdhsa_float_denorm_mode_16_64 3
		.amdhsa_dx10_clamp 1
		.amdhsa_ieee_mode 1
		.amdhsa_fp16_overflow 0
		.amdhsa_tg_split 0
		.amdhsa_exception_fp_ieee_invalid_op 0
		.amdhsa_exception_fp_denorm_src 0
		.amdhsa_exception_fp_ieee_div_zero 0
		.amdhsa_exception_fp_ieee_overflow 0
		.amdhsa_exception_fp_ieee_underflow 0
		.amdhsa_exception_fp_ieee_inexact 0
		.amdhsa_exception_int_div_zero 0
	.end_amdhsa_kernel
	.section	.text._ZN7rocprim17ROCPRIM_400000_NS6detail31init_lookback_scan_state_kernelINS1_19lookback_scan_stateIdLb0ELb1EEENS1_16block_id_wrapperIjLb0EEEEEvT_jT0_jPNS7_10value_typeE,"axG",@progbits,_ZN7rocprim17ROCPRIM_400000_NS6detail31init_lookback_scan_state_kernelINS1_19lookback_scan_stateIdLb0ELb1EEENS1_16block_id_wrapperIjLb0EEEEEvT_jT0_jPNS7_10value_typeE,comdat
.Lfunc_end0:
	.size	_ZN7rocprim17ROCPRIM_400000_NS6detail31init_lookback_scan_state_kernelINS1_19lookback_scan_stateIdLb0ELb1EEENS1_16block_id_wrapperIjLb0EEEEEvT_jT0_jPNS7_10value_typeE, .Lfunc_end0-_ZN7rocprim17ROCPRIM_400000_NS6detail31init_lookback_scan_state_kernelINS1_19lookback_scan_stateIdLb0ELb1EEENS1_16block_id_wrapperIjLb0EEEEEvT_jT0_jPNS7_10value_typeE
                                        ; -- End function
	.section	.AMDGPU.csdata,"",@progbits
; Kernel info:
; codeLenInByte = 384
; NumSgprs: 17
; NumVgprs: 10
; NumAgprs: 0
; TotalNumVgprs: 10
; ScratchSize: 0
; MemoryBound: 0
; FloatMode: 240
; IeeeMode: 1
; LDSByteSize: 0 bytes/workgroup (compile time only)
; SGPRBlocks: 2
; VGPRBlocks: 1
; NumSGPRsForWavesPerEU: 17
; NumVGPRsForWavesPerEU: 10
; AccumOffset: 12
; Occupancy: 8
; WaveLimiterHint : 0
; COMPUTE_PGM_RSRC2:SCRATCH_EN: 0
; COMPUTE_PGM_RSRC2:USER_SGPR: 6
; COMPUTE_PGM_RSRC2:TRAP_HANDLER: 0
; COMPUTE_PGM_RSRC2:TGID_X_EN: 1
; COMPUTE_PGM_RSRC2:TGID_Y_EN: 0
; COMPUTE_PGM_RSRC2:TGID_Z_EN: 0
; COMPUTE_PGM_RSRC2:TIDIG_COMP_CNT: 0
; COMPUTE_PGM_RSRC3_GFX90A:ACCUM_OFFSET: 2
; COMPUTE_PGM_RSRC3_GFX90A:TG_SPLIT: 0
	.section	.text._ZN7rocprim17ROCPRIM_400000_NS6detail17trampoline_kernelINS0_14default_configENS1_20scan_config_selectorIdEEZZNS1_9scan_implILNS1_25lookback_scan_determinismE0ELb0ELb0ES3_PKdPddZZZN2at6native31launch_logcumsumexp_cuda_kernelERKNSB_10TensorBaseESF_lENKUlvE_clEvENKUlvE_clEvEUlddE_dEEDaPvRmT3_T4_T5_mT6_P12ihipStream_tbENKUlT_T0_E_clISt17integral_constantIbLb0EESW_EEDaSR_SS_EUlSR_E_NS1_11comp_targetILNS1_3genE0ELNS1_11target_archE4294967295ELNS1_3gpuE0ELNS1_3repE0EEENS1_30default_config_static_selectorELNS0_4arch9wavefront6targetE1EEEvT1_,"axG",@progbits,_ZN7rocprim17ROCPRIM_400000_NS6detail17trampoline_kernelINS0_14default_configENS1_20scan_config_selectorIdEEZZNS1_9scan_implILNS1_25lookback_scan_determinismE0ELb0ELb0ES3_PKdPddZZZN2at6native31launch_logcumsumexp_cuda_kernelERKNSB_10TensorBaseESF_lENKUlvE_clEvENKUlvE_clEvEUlddE_dEEDaPvRmT3_T4_T5_mT6_P12ihipStream_tbENKUlT_T0_E_clISt17integral_constantIbLb0EESW_EEDaSR_SS_EUlSR_E_NS1_11comp_targetILNS1_3genE0ELNS1_11target_archE4294967295ELNS1_3gpuE0ELNS1_3repE0EEENS1_30default_config_static_selectorELNS0_4arch9wavefront6targetE1EEEvT1_,comdat
	.globl	_ZN7rocprim17ROCPRIM_400000_NS6detail17trampoline_kernelINS0_14default_configENS1_20scan_config_selectorIdEEZZNS1_9scan_implILNS1_25lookback_scan_determinismE0ELb0ELb0ES3_PKdPddZZZN2at6native31launch_logcumsumexp_cuda_kernelERKNSB_10TensorBaseESF_lENKUlvE_clEvENKUlvE_clEvEUlddE_dEEDaPvRmT3_T4_T5_mT6_P12ihipStream_tbENKUlT_T0_E_clISt17integral_constantIbLb0EESW_EEDaSR_SS_EUlSR_E_NS1_11comp_targetILNS1_3genE0ELNS1_11target_archE4294967295ELNS1_3gpuE0ELNS1_3repE0EEENS1_30default_config_static_selectorELNS0_4arch9wavefront6targetE1EEEvT1_ ; -- Begin function _ZN7rocprim17ROCPRIM_400000_NS6detail17trampoline_kernelINS0_14default_configENS1_20scan_config_selectorIdEEZZNS1_9scan_implILNS1_25lookback_scan_determinismE0ELb0ELb0ES3_PKdPddZZZN2at6native31launch_logcumsumexp_cuda_kernelERKNSB_10TensorBaseESF_lENKUlvE_clEvENKUlvE_clEvEUlddE_dEEDaPvRmT3_T4_T5_mT6_P12ihipStream_tbENKUlT_T0_E_clISt17integral_constantIbLb0EESW_EEDaSR_SS_EUlSR_E_NS1_11comp_targetILNS1_3genE0ELNS1_11target_archE4294967295ELNS1_3gpuE0ELNS1_3repE0EEENS1_30default_config_static_selectorELNS0_4arch9wavefront6targetE1EEEvT1_
	.p2align	8
	.type	_ZN7rocprim17ROCPRIM_400000_NS6detail17trampoline_kernelINS0_14default_configENS1_20scan_config_selectorIdEEZZNS1_9scan_implILNS1_25lookback_scan_determinismE0ELb0ELb0ES3_PKdPddZZZN2at6native31launch_logcumsumexp_cuda_kernelERKNSB_10TensorBaseESF_lENKUlvE_clEvENKUlvE_clEvEUlddE_dEEDaPvRmT3_T4_T5_mT6_P12ihipStream_tbENKUlT_T0_E_clISt17integral_constantIbLb0EESW_EEDaSR_SS_EUlSR_E_NS1_11comp_targetILNS1_3genE0ELNS1_11target_archE4294967295ELNS1_3gpuE0ELNS1_3repE0EEENS1_30default_config_static_selectorELNS0_4arch9wavefront6targetE1EEEvT1_,@function
_ZN7rocprim17ROCPRIM_400000_NS6detail17trampoline_kernelINS0_14default_configENS1_20scan_config_selectorIdEEZZNS1_9scan_implILNS1_25lookback_scan_determinismE0ELb0ELb0ES3_PKdPddZZZN2at6native31launch_logcumsumexp_cuda_kernelERKNSB_10TensorBaseESF_lENKUlvE_clEvENKUlvE_clEvEUlddE_dEEDaPvRmT3_T4_T5_mT6_P12ihipStream_tbENKUlT_T0_E_clISt17integral_constantIbLb0EESW_EEDaSR_SS_EUlSR_E_NS1_11comp_targetILNS1_3genE0ELNS1_11target_archE4294967295ELNS1_3gpuE0ELNS1_3repE0EEENS1_30default_config_static_selectorELNS0_4arch9wavefront6targetE1EEEvT1_: ; @_ZN7rocprim17ROCPRIM_400000_NS6detail17trampoline_kernelINS0_14default_configENS1_20scan_config_selectorIdEEZZNS1_9scan_implILNS1_25lookback_scan_determinismE0ELb0ELb0ES3_PKdPddZZZN2at6native31launch_logcumsumexp_cuda_kernelERKNSB_10TensorBaseESF_lENKUlvE_clEvENKUlvE_clEvEUlddE_dEEDaPvRmT3_T4_T5_mT6_P12ihipStream_tbENKUlT_T0_E_clISt17integral_constantIbLb0EESW_EEDaSR_SS_EUlSR_E_NS1_11comp_targetILNS1_3genE0ELNS1_11target_archE4294967295ELNS1_3gpuE0ELNS1_3repE0EEENS1_30default_config_static_selectorELNS0_4arch9wavefront6targetE1EEEvT1_
; %bb.0:
	.section	.rodata,"a",@progbits
	.p2align	6, 0x0
	.amdhsa_kernel _ZN7rocprim17ROCPRIM_400000_NS6detail17trampoline_kernelINS0_14default_configENS1_20scan_config_selectorIdEEZZNS1_9scan_implILNS1_25lookback_scan_determinismE0ELb0ELb0ES3_PKdPddZZZN2at6native31launch_logcumsumexp_cuda_kernelERKNSB_10TensorBaseESF_lENKUlvE_clEvENKUlvE_clEvEUlddE_dEEDaPvRmT3_T4_T5_mT6_P12ihipStream_tbENKUlT_T0_E_clISt17integral_constantIbLb0EESW_EEDaSR_SS_EUlSR_E_NS1_11comp_targetILNS1_3genE0ELNS1_11target_archE4294967295ELNS1_3gpuE0ELNS1_3repE0EEENS1_30default_config_static_selectorELNS0_4arch9wavefront6targetE1EEEvT1_
		.amdhsa_group_segment_fixed_size 0
		.amdhsa_private_segment_fixed_size 0
		.amdhsa_kernarg_size 104
		.amdhsa_user_sgpr_count 6
		.amdhsa_user_sgpr_private_segment_buffer 1
		.amdhsa_user_sgpr_dispatch_ptr 0
		.amdhsa_user_sgpr_queue_ptr 0
		.amdhsa_user_sgpr_kernarg_segment_ptr 1
		.amdhsa_user_sgpr_dispatch_id 0
		.amdhsa_user_sgpr_flat_scratch_init 0
		.amdhsa_user_sgpr_kernarg_preload_length 0
		.amdhsa_user_sgpr_kernarg_preload_offset 0
		.amdhsa_user_sgpr_private_segment_size 0
		.amdhsa_uses_dynamic_stack 0
		.amdhsa_system_sgpr_private_segment_wavefront_offset 0
		.amdhsa_system_sgpr_workgroup_id_x 1
		.amdhsa_system_sgpr_workgroup_id_y 0
		.amdhsa_system_sgpr_workgroup_id_z 0
		.amdhsa_system_sgpr_workgroup_info 0
		.amdhsa_system_vgpr_workitem_id 0
		.amdhsa_next_free_vgpr 1
		.amdhsa_next_free_sgpr 0
		.amdhsa_accum_offset 4
		.amdhsa_reserve_vcc 0
		.amdhsa_reserve_flat_scratch 0
		.amdhsa_float_round_mode_32 0
		.amdhsa_float_round_mode_16_64 0
		.amdhsa_float_denorm_mode_32 3
		.amdhsa_float_denorm_mode_16_64 3
		.amdhsa_dx10_clamp 1
		.amdhsa_ieee_mode 1
		.amdhsa_fp16_overflow 0
		.amdhsa_tg_split 0
		.amdhsa_exception_fp_ieee_invalid_op 0
		.amdhsa_exception_fp_denorm_src 0
		.amdhsa_exception_fp_ieee_div_zero 0
		.amdhsa_exception_fp_ieee_overflow 0
		.amdhsa_exception_fp_ieee_underflow 0
		.amdhsa_exception_fp_ieee_inexact 0
		.amdhsa_exception_int_div_zero 0
	.end_amdhsa_kernel
	.section	.text._ZN7rocprim17ROCPRIM_400000_NS6detail17trampoline_kernelINS0_14default_configENS1_20scan_config_selectorIdEEZZNS1_9scan_implILNS1_25lookback_scan_determinismE0ELb0ELb0ES3_PKdPddZZZN2at6native31launch_logcumsumexp_cuda_kernelERKNSB_10TensorBaseESF_lENKUlvE_clEvENKUlvE_clEvEUlddE_dEEDaPvRmT3_T4_T5_mT6_P12ihipStream_tbENKUlT_T0_E_clISt17integral_constantIbLb0EESW_EEDaSR_SS_EUlSR_E_NS1_11comp_targetILNS1_3genE0ELNS1_11target_archE4294967295ELNS1_3gpuE0ELNS1_3repE0EEENS1_30default_config_static_selectorELNS0_4arch9wavefront6targetE1EEEvT1_,"axG",@progbits,_ZN7rocprim17ROCPRIM_400000_NS6detail17trampoline_kernelINS0_14default_configENS1_20scan_config_selectorIdEEZZNS1_9scan_implILNS1_25lookback_scan_determinismE0ELb0ELb0ES3_PKdPddZZZN2at6native31launch_logcumsumexp_cuda_kernelERKNSB_10TensorBaseESF_lENKUlvE_clEvENKUlvE_clEvEUlddE_dEEDaPvRmT3_T4_T5_mT6_P12ihipStream_tbENKUlT_T0_E_clISt17integral_constantIbLb0EESW_EEDaSR_SS_EUlSR_E_NS1_11comp_targetILNS1_3genE0ELNS1_11target_archE4294967295ELNS1_3gpuE0ELNS1_3repE0EEENS1_30default_config_static_selectorELNS0_4arch9wavefront6targetE1EEEvT1_,comdat
.Lfunc_end1:
	.size	_ZN7rocprim17ROCPRIM_400000_NS6detail17trampoline_kernelINS0_14default_configENS1_20scan_config_selectorIdEEZZNS1_9scan_implILNS1_25lookback_scan_determinismE0ELb0ELb0ES3_PKdPddZZZN2at6native31launch_logcumsumexp_cuda_kernelERKNSB_10TensorBaseESF_lENKUlvE_clEvENKUlvE_clEvEUlddE_dEEDaPvRmT3_T4_T5_mT6_P12ihipStream_tbENKUlT_T0_E_clISt17integral_constantIbLb0EESW_EEDaSR_SS_EUlSR_E_NS1_11comp_targetILNS1_3genE0ELNS1_11target_archE4294967295ELNS1_3gpuE0ELNS1_3repE0EEENS1_30default_config_static_selectorELNS0_4arch9wavefront6targetE1EEEvT1_, .Lfunc_end1-_ZN7rocprim17ROCPRIM_400000_NS6detail17trampoline_kernelINS0_14default_configENS1_20scan_config_selectorIdEEZZNS1_9scan_implILNS1_25lookback_scan_determinismE0ELb0ELb0ES3_PKdPddZZZN2at6native31launch_logcumsumexp_cuda_kernelERKNSB_10TensorBaseESF_lENKUlvE_clEvENKUlvE_clEvEUlddE_dEEDaPvRmT3_T4_T5_mT6_P12ihipStream_tbENKUlT_T0_E_clISt17integral_constantIbLb0EESW_EEDaSR_SS_EUlSR_E_NS1_11comp_targetILNS1_3genE0ELNS1_11target_archE4294967295ELNS1_3gpuE0ELNS1_3repE0EEENS1_30default_config_static_selectorELNS0_4arch9wavefront6targetE1EEEvT1_
                                        ; -- End function
	.section	.AMDGPU.csdata,"",@progbits
; Kernel info:
; codeLenInByte = 0
; NumSgprs: 4
; NumVgprs: 0
; NumAgprs: 0
; TotalNumVgprs: 0
; ScratchSize: 0
; MemoryBound: 0
; FloatMode: 240
; IeeeMode: 1
; LDSByteSize: 0 bytes/workgroup (compile time only)
; SGPRBlocks: 0
; VGPRBlocks: 0
; NumSGPRsForWavesPerEU: 4
; NumVGPRsForWavesPerEU: 1
; AccumOffset: 4
; Occupancy: 8
; WaveLimiterHint : 0
; COMPUTE_PGM_RSRC2:SCRATCH_EN: 0
; COMPUTE_PGM_RSRC2:USER_SGPR: 6
; COMPUTE_PGM_RSRC2:TRAP_HANDLER: 0
; COMPUTE_PGM_RSRC2:TGID_X_EN: 1
; COMPUTE_PGM_RSRC2:TGID_Y_EN: 0
; COMPUTE_PGM_RSRC2:TGID_Z_EN: 0
; COMPUTE_PGM_RSRC2:TIDIG_COMP_CNT: 0
; COMPUTE_PGM_RSRC3_GFX90A:ACCUM_OFFSET: 0
; COMPUTE_PGM_RSRC3_GFX90A:TG_SPLIT: 0
	.section	.text._ZN7rocprim17ROCPRIM_400000_NS6detail17trampoline_kernelINS0_14default_configENS1_20scan_config_selectorIdEEZZNS1_9scan_implILNS1_25lookback_scan_determinismE0ELb0ELb0ES3_PKdPddZZZN2at6native31launch_logcumsumexp_cuda_kernelERKNSB_10TensorBaseESF_lENKUlvE_clEvENKUlvE_clEvEUlddE_dEEDaPvRmT3_T4_T5_mT6_P12ihipStream_tbENKUlT_T0_E_clISt17integral_constantIbLb0EESW_EEDaSR_SS_EUlSR_E_NS1_11comp_targetILNS1_3genE5ELNS1_11target_archE942ELNS1_3gpuE9ELNS1_3repE0EEENS1_30default_config_static_selectorELNS0_4arch9wavefront6targetE1EEEvT1_,"axG",@progbits,_ZN7rocprim17ROCPRIM_400000_NS6detail17trampoline_kernelINS0_14default_configENS1_20scan_config_selectorIdEEZZNS1_9scan_implILNS1_25lookback_scan_determinismE0ELb0ELb0ES3_PKdPddZZZN2at6native31launch_logcumsumexp_cuda_kernelERKNSB_10TensorBaseESF_lENKUlvE_clEvENKUlvE_clEvEUlddE_dEEDaPvRmT3_T4_T5_mT6_P12ihipStream_tbENKUlT_T0_E_clISt17integral_constantIbLb0EESW_EEDaSR_SS_EUlSR_E_NS1_11comp_targetILNS1_3genE5ELNS1_11target_archE942ELNS1_3gpuE9ELNS1_3repE0EEENS1_30default_config_static_selectorELNS0_4arch9wavefront6targetE1EEEvT1_,comdat
	.globl	_ZN7rocprim17ROCPRIM_400000_NS6detail17trampoline_kernelINS0_14default_configENS1_20scan_config_selectorIdEEZZNS1_9scan_implILNS1_25lookback_scan_determinismE0ELb0ELb0ES3_PKdPddZZZN2at6native31launch_logcumsumexp_cuda_kernelERKNSB_10TensorBaseESF_lENKUlvE_clEvENKUlvE_clEvEUlddE_dEEDaPvRmT3_T4_T5_mT6_P12ihipStream_tbENKUlT_T0_E_clISt17integral_constantIbLb0EESW_EEDaSR_SS_EUlSR_E_NS1_11comp_targetILNS1_3genE5ELNS1_11target_archE942ELNS1_3gpuE9ELNS1_3repE0EEENS1_30default_config_static_selectorELNS0_4arch9wavefront6targetE1EEEvT1_ ; -- Begin function _ZN7rocprim17ROCPRIM_400000_NS6detail17trampoline_kernelINS0_14default_configENS1_20scan_config_selectorIdEEZZNS1_9scan_implILNS1_25lookback_scan_determinismE0ELb0ELb0ES3_PKdPddZZZN2at6native31launch_logcumsumexp_cuda_kernelERKNSB_10TensorBaseESF_lENKUlvE_clEvENKUlvE_clEvEUlddE_dEEDaPvRmT3_T4_T5_mT6_P12ihipStream_tbENKUlT_T0_E_clISt17integral_constantIbLb0EESW_EEDaSR_SS_EUlSR_E_NS1_11comp_targetILNS1_3genE5ELNS1_11target_archE942ELNS1_3gpuE9ELNS1_3repE0EEENS1_30default_config_static_selectorELNS0_4arch9wavefront6targetE1EEEvT1_
	.p2align	8
	.type	_ZN7rocprim17ROCPRIM_400000_NS6detail17trampoline_kernelINS0_14default_configENS1_20scan_config_selectorIdEEZZNS1_9scan_implILNS1_25lookback_scan_determinismE0ELb0ELb0ES3_PKdPddZZZN2at6native31launch_logcumsumexp_cuda_kernelERKNSB_10TensorBaseESF_lENKUlvE_clEvENKUlvE_clEvEUlddE_dEEDaPvRmT3_T4_T5_mT6_P12ihipStream_tbENKUlT_T0_E_clISt17integral_constantIbLb0EESW_EEDaSR_SS_EUlSR_E_NS1_11comp_targetILNS1_3genE5ELNS1_11target_archE942ELNS1_3gpuE9ELNS1_3repE0EEENS1_30default_config_static_selectorELNS0_4arch9wavefront6targetE1EEEvT1_,@function
_ZN7rocprim17ROCPRIM_400000_NS6detail17trampoline_kernelINS0_14default_configENS1_20scan_config_selectorIdEEZZNS1_9scan_implILNS1_25lookback_scan_determinismE0ELb0ELb0ES3_PKdPddZZZN2at6native31launch_logcumsumexp_cuda_kernelERKNSB_10TensorBaseESF_lENKUlvE_clEvENKUlvE_clEvEUlddE_dEEDaPvRmT3_T4_T5_mT6_P12ihipStream_tbENKUlT_T0_E_clISt17integral_constantIbLb0EESW_EEDaSR_SS_EUlSR_E_NS1_11comp_targetILNS1_3genE5ELNS1_11target_archE942ELNS1_3gpuE9ELNS1_3repE0EEENS1_30default_config_static_selectorELNS0_4arch9wavefront6targetE1EEEvT1_: ; @_ZN7rocprim17ROCPRIM_400000_NS6detail17trampoline_kernelINS0_14default_configENS1_20scan_config_selectorIdEEZZNS1_9scan_implILNS1_25lookback_scan_determinismE0ELb0ELb0ES3_PKdPddZZZN2at6native31launch_logcumsumexp_cuda_kernelERKNSB_10TensorBaseESF_lENKUlvE_clEvENKUlvE_clEvEUlddE_dEEDaPvRmT3_T4_T5_mT6_P12ihipStream_tbENKUlT_T0_E_clISt17integral_constantIbLb0EESW_EEDaSR_SS_EUlSR_E_NS1_11comp_targetILNS1_3genE5ELNS1_11target_archE942ELNS1_3gpuE9ELNS1_3repE0EEENS1_30default_config_static_selectorELNS0_4arch9wavefront6targetE1EEEvT1_
; %bb.0:
	.section	.rodata,"a",@progbits
	.p2align	6, 0x0
	.amdhsa_kernel _ZN7rocprim17ROCPRIM_400000_NS6detail17trampoline_kernelINS0_14default_configENS1_20scan_config_selectorIdEEZZNS1_9scan_implILNS1_25lookback_scan_determinismE0ELb0ELb0ES3_PKdPddZZZN2at6native31launch_logcumsumexp_cuda_kernelERKNSB_10TensorBaseESF_lENKUlvE_clEvENKUlvE_clEvEUlddE_dEEDaPvRmT3_T4_T5_mT6_P12ihipStream_tbENKUlT_T0_E_clISt17integral_constantIbLb0EESW_EEDaSR_SS_EUlSR_E_NS1_11comp_targetILNS1_3genE5ELNS1_11target_archE942ELNS1_3gpuE9ELNS1_3repE0EEENS1_30default_config_static_selectorELNS0_4arch9wavefront6targetE1EEEvT1_
		.amdhsa_group_segment_fixed_size 0
		.amdhsa_private_segment_fixed_size 0
		.amdhsa_kernarg_size 104
		.amdhsa_user_sgpr_count 6
		.amdhsa_user_sgpr_private_segment_buffer 1
		.amdhsa_user_sgpr_dispatch_ptr 0
		.amdhsa_user_sgpr_queue_ptr 0
		.amdhsa_user_sgpr_kernarg_segment_ptr 1
		.amdhsa_user_sgpr_dispatch_id 0
		.amdhsa_user_sgpr_flat_scratch_init 0
		.amdhsa_user_sgpr_kernarg_preload_length 0
		.amdhsa_user_sgpr_kernarg_preload_offset 0
		.amdhsa_user_sgpr_private_segment_size 0
		.amdhsa_uses_dynamic_stack 0
		.amdhsa_system_sgpr_private_segment_wavefront_offset 0
		.amdhsa_system_sgpr_workgroup_id_x 1
		.amdhsa_system_sgpr_workgroup_id_y 0
		.amdhsa_system_sgpr_workgroup_id_z 0
		.amdhsa_system_sgpr_workgroup_info 0
		.amdhsa_system_vgpr_workitem_id 0
		.amdhsa_next_free_vgpr 1
		.amdhsa_next_free_sgpr 0
		.amdhsa_accum_offset 4
		.amdhsa_reserve_vcc 0
		.amdhsa_reserve_flat_scratch 0
		.amdhsa_float_round_mode_32 0
		.amdhsa_float_round_mode_16_64 0
		.amdhsa_float_denorm_mode_32 3
		.amdhsa_float_denorm_mode_16_64 3
		.amdhsa_dx10_clamp 1
		.amdhsa_ieee_mode 1
		.amdhsa_fp16_overflow 0
		.amdhsa_tg_split 0
		.amdhsa_exception_fp_ieee_invalid_op 0
		.amdhsa_exception_fp_denorm_src 0
		.amdhsa_exception_fp_ieee_div_zero 0
		.amdhsa_exception_fp_ieee_overflow 0
		.amdhsa_exception_fp_ieee_underflow 0
		.amdhsa_exception_fp_ieee_inexact 0
		.amdhsa_exception_int_div_zero 0
	.end_amdhsa_kernel
	.section	.text._ZN7rocprim17ROCPRIM_400000_NS6detail17trampoline_kernelINS0_14default_configENS1_20scan_config_selectorIdEEZZNS1_9scan_implILNS1_25lookback_scan_determinismE0ELb0ELb0ES3_PKdPddZZZN2at6native31launch_logcumsumexp_cuda_kernelERKNSB_10TensorBaseESF_lENKUlvE_clEvENKUlvE_clEvEUlddE_dEEDaPvRmT3_T4_T5_mT6_P12ihipStream_tbENKUlT_T0_E_clISt17integral_constantIbLb0EESW_EEDaSR_SS_EUlSR_E_NS1_11comp_targetILNS1_3genE5ELNS1_11target_archE942ELNS1_3gpuE9ELNS1_3repE0EEENS1_30default_config_static_selectorELNS0_4arch9wavefront6targetE1EEEvT1_,"axG",@progbits,_ZN7rocprim17ROCPRIM_400000_NS6detail17trampoline_kernelINS0_14default_configENS1_20scan_config_selectorIdEEZZNS1_9scan_implILNS1_25lookback_scan_determinismE0ELb0ELb0ES3_PKdPddZZZN2at6native31launch_logcumsumexp_cuda_kernelERKNSB_10TensorBaseESF_lENKUlvE_clEvENKUlvE_clEvEUlddE_dEEDaPvRmT3_T4_T5_mT6_P12ihipStream_tbENKUlT_T0_E_clISt17integral_constantIbLb0EESW_EEDaSR_SS_EUlSR_E_NS1_11comp_targetILNS1_3genE5ELNS1_11target_archE942ELNS1_3gpuE9ELNS1_3repE0EEENS1_30default_config_static_selectorELNS0_4arch9wavefront6targetE1EEEvT1_,comdat
.Lfunc_end2:
	.size	_ZN7rocprim17ROCPRIM_400000_NS6detail17trampoline_kernelINS0_14default_configENS1_20scan_config_selectorIdEEZZNS1_9scan_implILNS1_25lookback_scan_determinismE0ELb0ELb0ES3_PKdPddZZZN2at6native31launch_logcumsumexp_cuda_kernelERKNSB_10TensorBaseESF_lENKUlvE_clEvENKUlvE_clEvEUlddE_dEEDaPvRmT3_T4_T5_mT6_P12ihipStream_tbENKUlT_T0_E_clISt17integral_constantIbLb0EESW_EEDaSR_SS_EUlSR_E_NS1_11comp_targetILNS1_3genE5ELNS1_11target_archE942ELNS1_3gpuE9ELNS1_3repE0EEENS1_30default_config_static_selectorELNS0_4arch9wavefront6targetE1EEEvT1_, .Lfunc_end2-_ZN7rocprim17ROCPRIM_400000_NS6detail17trampoline_kernelINS0_14default_configENS1_20scan_config_selectorIdEEZZNS1_9scan_implILNS1_25lookback_scan_determinismE0ELb0ELb0ES3_PKdPddZZZN2at6native31launch_logcumsumexp_cuda_kernelERKNSB_10TensorBaseESF_lENKUlvE_clEvENKUlvE_clEvEUlddE_dEEDaPvRmT3_T4_T5_mT6_P12ihipStream_tbENKUlT_T0_E_clISt17integral_constantIbLb0EESW_EEDaSR_SS_EUlSR_E_NS1_11comp_targetILNS1_3genE5ELNS1_11target_archE942ELNS1_3gpuE9ELNS1_3repE0EEENS1_30default_config_static_selectorELNS0_4arch9wavefront6targetE1EEEvT1_
                                        ; -- End function
	.section	.AMDGPU.csdata,"",@progbits
; Kernel info:
; codeLenInByte = 0
; NumSgprs: 4
; NumVgprs: 0
; NumAgprs: 0
; TotalNumVgprs: 0
; ScratchSize: 0
; MemoryBound: 0
; FloatMode: 240
; IeeeMode: 1
; LDSByteSize: 0 bytes/workgroup (compile time only)
; SGPRBlocks: 0
; VGPRBlocks: 0
; NumSGPRsForWavesPerEU: 4
; NumVGPRsForWavesPerEU: 1
; AccumOffset: 4
; Occupancy: 8
; WaveLimiterHint : 0
; COMPUTE_PGM_RSRC2:SCRATCH_EN: 0
; COMPUTE_PGM_RSRC2:USER_SGPR: 6
; COMPUTE_PGM_RSRC2:TRAP_HANDLER: 0
; COMPUTE_PGM_RSRC2:TGID_X_EN: 1
; COMPUTE_PGM_RSRC2:TGID_Y_EN: 0
; COMPUTE_PGM_RSRC2:TGID_Z_EN: 0
; COMPUTE_PGM_RSRC2:TIDIG_COMP_CNT: 0
; COMPUTE_PGM_RSRC3_GFX90A:ACCUM_OFFSET: 0
; COMPUTE_PGM_RSRC3_GFX90A:TG_SPLIT: 0
	.section	.text._ZN7rocprim17ROCPRIM_400000_NS6detail17trampoline_kernelINS0_14default_configENS1_20scan_config_selectorIdEEZZNS1_9scan_implILNS1_25lookback_scan_determinismE0ELb0ELb0ES3_PKdPddZZZN2at6native31launch_logcumsumexp_cuda_kernelERKNSB_10TensorBaseESF_lENKUlvE_clEvENKUlvE_clEvEUlddE_dEEDaPvRmT3_T4_T5_mT6_P12ihipStream_tbENKUlT_T0_E_clISt17integral_constantIbLb0EESW_EEDaSR_SS_EUlSR_E_NS1_11comp_targetILNS1_3genE4ELNS1_11target_archE910ELNS1_3gpuE8ELNS1_3repE0EEENS1_30default_config_static_selectorELNS0_4arch9wavefront6targetE1EEEvT1_,"axG",@progbits,_ZN7rocprim17ROCPRIM_400000_NS6detail17trampoline_kernelINS0_14default_configENS1_20scan_config_selectorIdEEZZNS1_9scan_implILNS1_25lookback_scan_determinismE0ELb0ELb0ES3_PKdPddZZZN2at6native31launch_logcumsumexp_cuda_kernelERKNSB_10TensorBaseESF_lENKUlvE_clEvENKUlvE_clEvEUlddE_dEEDaPvRmT3_T4_T5_mT6_P12ihipStream_tbENKUlT_T0_E_clISt17integral_constantIbLb0EESW_EEDaSR_SS_EUlSR_E_NS1_11comp_targetILNS1_3genE4ELNS1_11target_archE910ELNS1_3gpuE8ELNS1_3repE0EEENS1_30default_config_static_selectorELNS0_4arch9wavefront6targetE1EEEvT1_,comdat
	.globl	_ZN7rocprim17ROCPRIM_400000_NS6detail17trampoline_kernelINS0_14default_configENS1_20scan_config_selectorIdEEZZNS1_9scan_implILNS1_25lookback_scan_determinismE0ELb0ELb0ES3_PKdPddZZZN2at6native31launch_logcumsumexp_cuda_kernelERKNSB_10TensorBaseESF_lENKUlvE_clEvENKUlvE_clEvEUlddE_dEEDaPvRmT3_T4_T5_mT6_P12ihipStream_tbENKUlT_T0_E_clISt17integral_constantIbLb0EESW_EEDaSR_SS_EUlSR_E_NS1_11comp_targetILNS1_3genE4ELNS1_11target_archE910ELNS1_3gpuE8ELNS1_3repE0EEENS1_30default_config_static_selectorELNS0_4arch9wavefront6targetE1EEEvT1_ ; -- Begin function _ZN7rocprim17ROCPRIM_400000_NS6detail17trampoline_kernelINS0_14default_configENS1_20scan_config_selectorIdEEZZNS1_9scan_implILNS1_25lookback_scan_determinismE0ELb0ELb0ES3_PKdPddZZZN2at6native31launch_logcumsumexp_cuda_kernelERKNSB_10TensorBaseESF_lENKUlvE_clEvENKUlvE_clEvEUlddE_dEEDaPvRmT3_T4_T5_mT6_P12ihipStream_tbENKUlT_T0_E_clISt17integral_constantIbLb0EESW_EEDaSR_SS_EUlSR_E_NS1_11comp_targetILNS1_3genE4ELNS1_11target_archE910ELNS1_3gpuE8ELNS1_3repE0EEENS1_30default_config_static_selectorELNS0_4arch9wavefront6targetE1EEEvT1_
	.p2align	8
	.type	_ZN7rocprim17ROCPRIM_400000_NS6detail17trampoline_kernelINS0_14default_configENS1_20scan_config_selectorIdEEZZNS1_9scan_implILNS1_25lookback_scan_determinismE0ELb0ELb0ES3_PKdPddZZZN2at6native31launch_logcumsumexp_cuda_kernelERKNSB_10TensorBaseESF_lENKUlvE_clEvENKUlvE_clEvEUlddE_dEEDaPvRmT3_T4_T5_mT6_P12ihipStream_tbENKUlT_T0_E_clISt17integral_constantIbLb0EESW_EEDaSR_SS_EUlSR_E_NS1_11comp_targetILNS1_3genE4ELNS1_11target_archE910ELNS1_3gpuE8ELNS1_3repE0EEENS1_30default_config_static_selectorELNS0_4arch9wavefront6targetE1EEEvT1_,@function
_ZN7rocprim17ROCPRIM_400000_NS6detail17trampoline_kernelINS0_14default_configENS1_20scan_config_selectorIdEEZZNS1_9scan_implILNS1_25lookback_scan_determinismE0ELb0ELb0ES3_PKdPddZZZN2at6native31launch_logcumsumexp_cuda_kernelERKNSB_10TensorBaseESF_lENKUlvE_clEvENKUlvE_clEvEUlddE_dEEDaPvRmT3_T4_T5_mT6_P12ihipStream_tbENKUlT_T0_E_clISt17integral_constantIbLb0EESW_EEDaSR_SS_EUlSR_E_NS1_11comp_targetILNS1_3genE4ELNS1_11target_archE910ELNS1_3gpuE8ELNS1_3repE0EEENS1_30default_config_static_selectorELNS0_4arch9wavefront6targetE1EEEvT1_: ; @_ZN7rocprim17ROCPRIM_400000_NS6detail17trampoline_kernelINS0_14default_configENS1_20scan_config_selectorIdEEZZNS1_9scan_implILNS1_25lookback_scan_determinismE0ELb0ELb0ES3_PKdPddZZZN2at6native31launch_logcumsumexp_cuda_kernelERKNSB_10TensorBaseESF_lENKUlvE_clEvENKUlvE_clEvEUlddE_dEEDaPvRmT3_T4_T5_mT6_P12ihipStream_tbENKUlT_T0_E_clISt17integral_constantIbLb0EESW_EEDaSR_SS_EUlSR_E_NS1_11comp_targetILNS1_3genE4ELNS1_11target_archE910ELNS1_3gpuE8ELNS1_3repE0EEENS1_30default_config_static_selectorELNS0_4arch9wavefront6targetE1EEEvT1_
; %bb.0:
	s_load_dwordx8 s[24:31], s[4:5], 0x0
	s_load_dword s1, s[4:5], 0x38
	s_mul_i32 s0, s6, 0x500
	v_lshlrev_b32_e32 v92, 3, v0
	s_waitcnt lgkmcnt(0)
	s_lshl_b64 s[34:35], s[26:27], 3
	s_add_u32 s2, s24, s34
	s_addc_u32 s3, s25, s35
	s_add_i32 s7, s1, -1
	s_mul_i32 s8, s7, 0x500
	s_sub_u32 s33, s30, s8
	s_subb_u32 s68, s31, 0
	s_mov_b32 s1, 0
	s_cmp_lg_u32 s6, s7
	s_cselect_b64 s[30:31], -1, 0
	s_lshl_b64 s[56:57], s[0:1], 3
	s_add_u32 s2, s2, s56
	s_addc_u32 s3, s3, s57
	s_mov_b64 s[0:1], -1
	s_and_b64 vcc, exec, s[30:31]
	s_cbranch_vccz .LBB3_2
; %bb.1:
	v_mov_b32_e32 v1, s3
	v_add_co_u32_e32 v20, vcc, s2, v92
	v_addc_co_u32_e32 v1, vcc, 0, v1, vcc
	v_add_co_u32_e32 v10, vcc, 0x1000, v20
	v_addc_co_u32_e32 v11, vcc, 0, v1, vcc
	global_load_dwordx2 v[2:3], v92, s[2:3]
	global_load_dwordx2 v[4:5], v92, s[2:3] offset:1024
	global_load_dwordx2 v[6:7], v92, s[2:3] offset:2048
	;; [unrolled: 1-line block ×3, first 2 shown]
	global_load_dwordx2 v[12:13], v[10:11], off
	global_load_dwordx2 v[14:15], v[10:11], off offset:1024
	global_load_dwordx2 v[16:17], v[10:11], off offset:2048
	;; [unrolled: 1-line block ×3, first 2 shown]
	v_add_co_u32_e32 v10, vcc, 0x2000, v20
	v_addc_co_u32_e32 v11, vcc, 0, v1, vcc
	global_load_dwordx2 v[20:21], v[10:11], off
	global_load_dwordx2 v[22:23], v[10:11], off offset:1024
	s_mov_b64 s[0:1], 0
	s_waitcnt vmcnt(8)
	ds_write2st64_b64 v92, v[2:3], v[4:5] offset1:2
	s_waitcnt vmcnt(6)
	ds_write2st64_b64 v92, v[6:7], v[8:9] offset0:4 offset1:6
	s_waitcnt vmcnt(4)
	ds_write2st64_b64 v92, v[12:13], v[14:15] offset0:8 offset1:10
	;; [unrolled: 2-line block ×4, first 2 shown]
	s_waitcnt lgkmcnt(0)
	s_barrier
.LBB3_2:
	s_load_dwordx2 s[58:59], s[4:5], 0x30
	s_andn2_b64 vcc, exec, s[0:1]
	v_cmp_gt_u32_e64 s[0:1], s33, v0
	s_cbranch_vccnz .LBB3_24
; %bb.3:
	s_load_dwordx2 s[36:37], s[2:3], 0x0
	s_waitcnt lgkmcnt(0)
	s_mov_b32 s38, s36
	s_mov_b32 s39, s37
	;; [unrolled: 1-line block ×18, first 2 shown]
	v_pk_mov_b32 v[2:3], s[36:37], s[36:37] op_sel:[0,1]
	v_pk_mov_b32 v[4:5], s[38:39], s[38:39] op_sel:[0,1]
	;; [unrolled: 1-line block ×16, first 2 shown]
	s_and_saveexec_b64 s[8:9], s[0:1]
	s_cbranch_execz .LBB3_5
; %bb.4:
	global_load_dwordx2 v[2:3], v92, s[2:3]
	v_mov_b32_e32 v4, s36
	v_mov_b32_e32 v5, s37
	;; [unrolled: 1-line block ×18, first 2 shown]
.LBB3_5:
	s_or_b64 exec, exec, s[8:9]
	v_or_b32_e32 v1, 0x80, v0
	v_cmp_gt_u32_e32 vcc, s33, v1
	s_and_saveexec_b64 s[0:1], vcc
	s_cbranch_execz .LBB3_7
; %bb.6:
	global_load_dwordx2 v[4:5], v92, s[2:3] offset:1024
.LBB3_7:
	s_or_b64 exec, exec, s[0:1]
	v_or_b32_e32 v1, 0x100, v0
	v_cmp_gt_u32_e32 vcc, s33, v1
	s_and_saveexec_b64 s[0:1], vcc
	s_cbranch_execz .LBB3_9
; %bb.8:
	global_load_dwordx2 v[6:7], v92, s[2:3] offset:2048
.LBB3_9:
	;; [unrolled: 8-line block ×3, first 2 shown]
	s_or_b64 exec, exec, s[0:1]
	v_or_b32_e32 v1, 0x200, v0
	v_cmp_gt_u32_e32 vcc, s33, v1
	s_and_saveexec_b64 s[0:1], vcc
	s_cbranch_execz .LBB3_13
; %bb.12:
	v_lshlrev_b32_e32 v1, 3, v1
	global_load_dwordx2 v[10:11], v1, s[2:3]
.LBB3_13:
	s_or_b64 exec, exec, s[0:1]
	v_or_b32_e32 v1, 0x280, v0
	v_cmp_gt_u32_e32 vcc, s33, v1
	s_and_saveexec_b64 s[0:1], vcc
	s_cbranch_execz .LBB3_15
; %bb.14:
	v_lshlrev_b32_e32 v1, 3, v1
	global_load_dwordx2 v[12:13], v1, s[2:3]
.LBB3_15:
	;; [unrolled: 9-line block ×6, first 2 shown]
	s_or_b64 exec, exec, s[0:1]
	s_waitcnt vmcnt(0)
	ds_write2st64_b64 v92, v[2:3], v[4:5] offset1:2
	ds_write2st64_b64 v92, v[6:7], v[8:9] offset0:4 offset1:6
	ds_write2st64_b64 v92, v[10:11], v[12:13] offset0:8 offset1:10
	;; [unrolled: 1-line block ×4, first 2 shown]
	s_waitcnt lgkmcnt(0)
	s_barrier
.LBB3_24:
	v_mul_u32_u24_e32 v93, 10, v0
	v_lshlrev_b32_e32 v1, 3, v93
	s_waitcnt lgkmcnt(0)
	ds_read_b128 v[2:5], v1
	ds_read_b128 v[18:21], v1 offset:16
	ds_read_b128 v[14:17], v1 offset:32
	;; [unrolled: 1-line block ×4, first 2 shown]
	s_cmp_lg_u32 s6, 0
	s_waitcnt lgkmcnt(4)
	v_cmp_u_f64_e64 s[0:1], v[4:5], v[4:5]
	v_max_f64 v[42:43], v[4:5], v[4:5]
	s_waitcnt lgkmcnt(0)
	s_barrier
	s_cbranch_scc0 .LBB3_175
; %bb.25:
	v_max_f64 v[48:49], v[2:3], v[2:3]
	v_min_f64 v[22:23], v[48:49], v[42:43]
	v_cmp_u_f64_e64 s[20:21], v[2:3], v[2:3]
	v_cndmask_b32_e64 v22, v22, v2, s[20:21]
	v_cndmask_b32_e64 v23, v23, v3, s[20:21]
	;; [unrolled: 1-line block ×4, first 2 shown]
	v_max_f64 v[22:23], v[48:49], v[42:43]
	v_cndmask_b32_e64 v22, v22, v2, s[20:21]
	v_cndmask_b32_e64 v23, v23, v3, s[20:21]
	;; [unrolled: 1-line block ×4, first 2 shown]
	s_movk_i32 s7, 0x1f8
	v_cmp_neq_f64_e32 vcc, v[26:27], v[24:25]
	v_cmp_class_f64_e64 s[2:3], v[26:27], s7
	s_or_b64 s[2:3], vcc, s[2:3]
	v_pk_mov_b32 v[22:23], v[2:3], v[2:3] op_sel:[0,1]
	s_and_saveexec_b64 s[8:9], s[2:3]
	s_cbranch_execz .LBB3_27
; %bb.26:
	s_mov_b32 s2, 0x652b82fe
	v_add_f64 v[22:23], v[26:27], -v[24:25]
	s_mov_b32 s3, 0x3ff71547
	v_mul_f64 v[26:27], v[22:23], s[2:3]
	v_rndne_f64_e32 v[26:27], v[26:27]
	s_mov_b32 s11, 0xbfe62e42
	s_mov_b32 s10, 0xfefa39ef
	v_fma_f64 v[28:29], s[10:11], v[26:27], v[22:23]
	s_mov_b32 s13, 0xbc7abc9e
	s_mov_b32 s12, 0x3b39803f
	;; [unrolled: 1-line block ×3, first 2 shown]
	v_fmac_f64_e32 v[28:29], s[12:13], v[26:27]
	v_mov_b32_e32 v30, 0xfca7ab0c
	v_mov_b32_e32 v31, 0x3e928af3
	s_mov_b32 s3, 0x3e5ade15
	v_fmac_f64_e32 v[30:31], s[2:3], v[28:29]
	v_mov_b32_e32 v32, 0x623fde64
	v_mov_b32_e32 v33, 0x3ec71dee
	v_fmac_f64_e32 v[32:33], v[28:29], v[30:31]
	v_mov_b32_e32 v30, 0x7c89e6b0
	v_mov_b32_e32 v31, 0x3efa0199
	;; [unrolled: 3-line block ×8, first 2 shown]
	s_mov_b32 s2, 0
	v_fmac_f64_e32 v[30:31], v[28:29], v[32:33]
	s_mov_b32 s3, 0x40900000
	v_fma_f64 v[30:31], v[28:29], v[30:31], 1.0
	v_cmp_nlt_f64_e32 vcc, s[2:3], v[22:23]
	s_mov_b32 s2, 0
	v_fma_f64 v[28:29], v[28:29], v[30:31], 1.0
	v_cvt_i32_f64_e32 v26, v[26:27]
	s_mov_b32 s3, 0xc090cc00
	v_ldexp_f64 v[26:27], v[28:29], v26
	v_mov_b32_e32 v28, 0x7ff00000
	v_cmp_ngt_f64_e64 s[2:3], s[2:3], v[22:23]
	v_cndmask_b32_e32 v27, v28, v27, vcc
	s_and_b64 vcc, s[2:3], vcc
	v_cndmask_b32_e64 v23, 0, v27, s[2:3]
	v_cndmask_b32_e32 v22, 0, v26, vcc
	v_add_f64 v[26:27], v[22:23], 1.0
	v_add_f64 v[28:29], v[26:27], -1.0
	v_add_f64 v[30:31], v[28:29], -v[26:27]
	v_add_f64 v[30:31], v[30:31], 1.0
	v_add_f64 v[28:29], v[22:23], -v[28:29]
	s_mov_b32 s2, 0x55555555
	v_add_f64 v[28:29], v[28:29], v[30:31]
	v_frexp_mant_f64_e32 v[30:31], v[26:27]
	s_mov_b32 s3, 0x3fe55555
	v_frexp_exp_i32_f64_e32 v32, v[26:27]
	v_cmp_gt_f64_e32 vcc, s[2:3], v[30:31]
	v_subbrev_co_u32_e32 v50, vcc, 0, v32, vcc
	v_sub_u32_e32 v30, 0, v50
	v_ldexp_f64 v[26:27], v[26:27], v30
	v_ldexp_f64 v[28:29], v[28:29], v30
	v_add_f64 v[30:31], v[26:27], -1.0
	v_add_f64 v[36:37], v[26:27], 1.0
	v_add_f64 v[32:33], v[30:31], 1.0
	v_add_f64 v[38:39], v[36:37], -1.0
	v_add_f64 v[32:33], v[26:27], -v[32:33]
	v_add_f64 v[26:27], v[26:27], -v[38:39]
	v_add_f64 v[26:27], v[28:29], v[26:27]
	v_add_f64 v[32:33], v[28:29], v[32:33]
	;; [unrolled: 1-line block ×3, first 2 shown]
	v_rcp_f64_e32 v[38:39], v[28:29]
	v_add_f64 v[34:35], v[30:31], v[32:33]
	v_add_f64 v[30:31], v[34:35], -v[30:31]
	v_add_f64 v[30:31], v[32:33], -v[30:31]
	;; [unrolled: 1-line block ×4, first 2 shown]
	v_fma_f64 v[32:33], -v[28:29], v[38:39], 1.0
	v_fmac_f64_e32 v[38:39], v[32:33], v[38:39]
	v_fma_f64 v[32:33], -v[28:29], v[38:39], 1.0
	v_fmac_f64_e32 v[38:39], v[32:33], v[38:39]
	v_mul_f64 v[32:33], v[34:35], v[38:39]
	v_mul_f64 v[36:37], v[28:29], v[32:33]
	v_fma_f64 v[40:41], v[32:33], v[28:29], -v[36:37]
	v_fmac_f64_e32 v[40:41], v[32:33], v[26:27]
	v_add_f64 v[44:45], v[36:37], v[40:41]
	v_add_f64 v[46:47], v[34:35], -v[44:45]
	v_add_f64 v[34:35], v[34:35], -v[46:47]
	;; [unrolled: 1-line block ×4, first 2 shown]
	v_add_f64 v[30:31], v[30:31], v[34:35]
	v_add_f64 v[34:35], v[36:37], -v[40:41]
	v_add_f64 v[30:31], v[34:35], v[30:31]
	v_add_f64 v[34:35], v[46:47], v[30:31]
	v_add_f64 v[36:37], v[46:47], -v[34:35]
	v_add_f64 v[30:31], v[30:31], v[36:37]
	v_mul_f64 v[36:37], v[38:39], v[34:35]
	v_mul_f64 v[40:41], v[28:29], v[36:37]
	v_fma_f64 v[28:29], v[36:37], v[28:29], -v[40:41]
	v_fmac_f64_e32 v[28:29], v[36:37], v[26:27]
	v_add_f64 v[26:27], v[40:41], v[28:29]
	v_add_f64 v[44:45], v[34:35], -v[26:27]
	v_add_f64 v[34:35], v[34:35], -v[44:45]
	;; [unrolled: 1-line block ×4, first 2 shown]
	v_add_f64 v[26:27], v[30:31], v[26:27]
	v_add_f64 v[28:29], v[40:41], -v[28:29]
	v_add_f64 v[26:27], v[28:29], v[26:27]
	v_add_f64 v[28:29], v[32:33], v[36:37]
	;; [unrolled: 1-line block ×3, first 2 shown]
	v_add_f64 v[30:31], v[28:29], -v[32:33]
	v_mul_f64 v[26:27], v[38:39], v[26:27]
	v_add_f64 v[30:31], v[36:37], -v[30:31]
	v_add_f64 v[26:27], v[30:31], v[26:27]
	v_add_f64 v[30:31], v[28:29], v[26:27]
	v_add_f64 v[28:29], v[30:31], -v[28:29]
	s_mov_b32 s2, 0xbf559e2b
	v_add_f64 v[26:27], v[26:27], -v[28:29]
	v_mul_f64 v[28:29], v[30:31], v[30:31]
	v_mov_b32_e32 v32, 0x6b47b09a
	v_mov_b32_e32 v33, 0x3fc38538
	s_mov_b32 s3, 0x3fc3ab76
	v_fmac_f64_e32 v[32:33], s[2:3], v[28:29]
	v_mov_b32_e32 v34, 0xd7f4df2e
	v_mov_b32_e32 v35, 0x3fc7474d
	v_fmac_f64_e32 v[34:35], v[28:29], v[32:33]
	v_mov_b32_e32 v32, 0x16291751
	v_mov_b32_e32 v33, 0x3fcc71c0
	;; [unrolled: 3-line block ×5, first 2 shown]
	v_fmac_f64_e32 v[34:35], v[28:29], v[32:33]
	v_cvt_f64_i32_e32 v[32:33], v50
	s_mov_b32 s11, 0x3fe62e42
	v_mul_f64 v[36:37], v[32:33], s[10:11]
	v_fma_f64 v[38:39], v[32:33], s[10:11], -v[36:37]
	s_mov_b32 s13, 0x3c7abc9e
	v_fmac_f64_e32 v[38:39], s[12:13], v[32:33]
	v_add_f64 v[32:33], v[36:37], v[38:39]
	v_add_f64 v[36:37], v[32:33], -v[36:37]
	v_mul_f64 v[28:29], v[30:31], v[28:29]
	v_add_f64 v[36:37], v[38:39], -v[36:37]
	v_ldexp_f64 v[38:39], v[30:31], 1
	v_mul_f64 v[28:29], v[28:29], v[34:35]
	v_add_f64 v[30:31], v[38:39], v[28:29]
	v_add_f64 v[34:35], v[30:31], -v[38:39]
	v_ldexp_f64 v[26:27], v[26:27], 1
	v_add_f64 v[28:29], v[28:29], -v[34:35]
	v_add_f64 v[26:27], v[26:27], v[28:29]
	v_add_f64 v[28:29], v[30:31], v[26:27]
	v_add_f64 v[30:31], v[28:29], -v[30:31]
	v_add_f64 v[26:27], v[26:27], -v[30:31]
	v_add_f64 v[30:31], v[32:33], v[28:29]
	v_add_f64 v[34:35], v[30:31], -v[32:33]
	v_add_f64 v[38:39], v[30:31], -v[34:35]
	;; [unrolled: 1-line block ×4, first 2 shown]
	v_add_f64 v[28:29], v[28:29], v[32:33]
	v_add_f64 v[32:33], v[36:37], v[26:27]
	v_add_f64 v[34:35], v[32:33], -v[36:37]
	v_add_f64 v[28:29], v[32:33], v[28:29]
	v_add_f64 v[38:39], v[32:33], -v[34:35]
	;; [unrolled: 2-line block ×3, first 2 shown]
	v_add_f64 v[26:27], v[26:27], -v[34:35]
	v_add_f64 v[30:31], v[32:33], -v[30:31]
	v_add_f64 v[26:27], v[26:27], v[36:37]
	v_add_f64 v[28:29], v[28:29], -v[30:31]
	s_mov_b32 s2, 0
	v_add_f64 v[26:27], v[26:27], v[28:29]
	s_mov_b32 s3, 0x7ff00000
	v_add_f64 v[26:27], v[32:33], v[26:27]
	v_cmp_eq_f64_e32 vcc, s[2:3], v[22:23]
	v_cndmask_b32_e32 v26, v26, v22, vcc
	v_cndmask_b32_e32 v27, v27, v23, vcc
	v_mov_b32_e32 v28, 0x7ff80000
	v_cmp_ngt_f64_e32 vcc, -1.0, v[22:23]
	v_cndmask_b32_e32 v27, v28, v27, vcc
	v_cmp_nge_f64_e32 vcc, -1.0, v[22:23]
	v_cndmask_b32_e32 v26, 0, v26, vcc
	v_mov_b32_e32 v28, 0xfff00000
	v_cmp_neq_f64_e32 vcc, -1.0, v[22:23]
	v_cndmask_b32_e32 v27, v28, v27, vcc
	v_add_f64 v[22:23], v[24:25], v[26:27]
.LBB3_27:
	s_or_b64 exec, exec, s[8:9]
	v_max_f64 v[30:31], v[18:19], v[18:19]
	v_max_f64 v[24:25], v[22:23], v[22:23]
	v_min_f64 v[26:27], v[24:25], v[30:31]
	v_cmp_u_f64_e32 vcc, v[22:23], v[22:23]
	v_max_f64 v[24:25], v[24:25], v[30:31]
	v_cndmask_b32_e32 v26, v26, v22, vcc
	v_cndmask_b32_e32 v27, v27, v23, vcc
	v_cmp_u_f64_e64 s[2:3], v[18:19], v[18:19]
	v_cndmask_b32_e32 v24, v24, v22, vcc
	v_cndmask_b32_e32 v25, v25, v23, vcc
	v_cndmask_b32_e64 v27, v27, v19, s[2:3]
	v_cndmask_b32_e64 v26, v26, v18, s[2:3]
	;; [unrolled: 1-line block ×4, first 2 shown]
	v_cmp_neq_f64_e32 vcc, v[26:27], v[24:25]
	v_cmp_class_f64_e64 s[8:9], v[26:27], s7
	s_or_b64 s[8:9], vcc, s[8:9]
	s_and_saveexec_b64 s[10:11], s[8:9]
	s_cbranch_execz .LBB3_29
; %bb.28:
	s_mov_b32 s8, 0x652b82fe
	v_add_f64 v[22:23], v[26:27], -v[24:25]
	s_mov_b32 s9, 0x3ff71547
	v_mul_f64 v[26:27], v[22:23], s[8:9]
	v_rndne_f64_e32 v[26:27], v[26:27]
	s_mov_b32 s13, 0xbfe62e42
	s_mov_b32 s12, 0xfefa39ef
	v_fma_f64 v[28:29], s[12:13], v[26:27], v[22:23]
	s_mov_b32 s15, 0xbc7abc9e
	s_mov_b32 s14, 0x3b39803f
	;; [unrolled: 1-line block ×3, first 2 shown]
	v_fmac_f64_e32 v[28:29], s[14:15], v[26:27]
	v_mov_b32_e32 v32, 0xfca7ab0c
	v_mov_b32_e32 v33, 0x3e928af3
	s_mov_b32 s9, 0x3e5ade15
	v_fmac_f64_e32 v[32:33], s[8:9], v[28:29]
	v_mov_b32_e32 v34, 0x623fde64
	v_mov_b32_e32 v35, 0x3ec71dee
	v_fmac_f64_e32 v[34:35], v[28:29], v[32:33]
	v_mov_b32_e32 v32, 0x7c89e6b0
	v_mov_b32_e32 v33, 0x3efa0199
	;; [unrolled: 3-line block ×8, first 2 shown]
	s_mov_b32 s8, 0
	v_fmac_f64_e32 v[32:33], v[28:29], v[34:35]
	s_mov_b32 s9, 0x40900000
	v_fma_f64 v[32:33], v[28:29], v[32:33], 1.0
	v_cmp_nlt_f64_e32 vcc, s[8:9], v[22:23]
	s_mov_b32 s8, 0
	v_fma_f64 v[28:29], v[28:29], v[32:33], 1.0
	v_cvt_i32_f64_e32 v26, v[26:27]
	s_mov_b32 s9, 0xc090cc00
	v_ldexp_f64 v[26:27], v[28:29], v26
	v_mov_b32_e32 v28, 0x7ff00000
	v_cmp_ngt_f64_e64 s[8:9], s[8:9], v[22:23]
	v_cndmask_b32_e32 v27, v28, v27, vcc
	s_and_b64 vcc, s[8:9], vcc
	v_cndmask_b32_e64 v23, 0, v27, s[8:9]
	v_cndmask_b32_e32 v22, 0, v26, vcc
	v_add_f64 v[26:27], v[22:23], 1.0
	v_add_f64 v[28:29], v[26:27], -1.0
	v_add_f64 v[32:33], v[28:29], -v[26:27]
	v_add_f64 v[32:33], v[32:33], 1.0
	v_add_f64 v[28:29], v[22:23], -v[28:29]
	s_mov_b32 s8, 0x55555555
	v_add_f64 v[28:29], v[28:29], v[32:33]
	v_frexp_mant_f64_e32 v[32:33], v[26:27]
	s_mov_b32 s9, 0x3fe55555
	v_frexp_exp_i32_f64_e32 v34, v[26:27]
	v_cmp_gt_f64_e32 vcc, s[8:9], v[32:33]
	v_subbrev_co_u32_e32 v52, vcc, 0, v34, vcc
	v_sub_u32_e32 v32, 0, v52
	v_ldexp_f64 v[26:27], v[26:27], v32
	v_ldexp_f64 v[28:29], v[28:29], v32
	v_add_f64 v[32:33], v[26:27], -1.0
	v_add_f64 v[38:39], v[26:27], 1.0
	v_add_f64 v[34:35], v[32:33], 1.0
	v_add_f64 v[40:41], v[38:39], -1.0
	v_add_f64 v[34:35], v[26:27], -v[34:35]
	v_add_f64 v[26:27], v[26:27], -v[40:41]
	v_add_f64 v[26:27], v[28:29], v[26:27]
	v_add_f64 v[34:35], v[28:29], v[34:35]
	;; [unrolled: 1-line block ×3, first 2 shown]
	v_rcp_f64_e32 v[40:41], v[28:29]
	v_add_f64 v[36:37], v[32:33], v[34:35]
	v_add_f64 v[32:33], v[36:37], -v[32:33]
	v_add_f64 v[32:33], v[34:35], -v[32:33]
	;; [unrolled: 1-line block ×4, first 2 shown]
	v_fma_f64 v[34:35], -v[28:29], v[40:41], 1.0
	v_fmac_f64_e32 v[40:41], v[34:35], v[40:41]
	v_fma_f64 v[34:35], -v[28:29], v[40:41], 1.0
	v_fmac_f64_e32 v[40:41], v[34:35], v[40:41]
	v_mul_f64 v[34:35], v[36:37], v[40:41]
	v_mul_f64 v[38:39], v[28:29], v[34:35]
	v_fma_f64 v[44:45], v[34:35], v[28:29], -v[38:39]
	v_fmac_f64_e32 v[44:45], v[34:35], v[26:27]
	v_add_f64 v[46:47], v[38:39], v[44:45]
	v_add_f64 v[50:51], v[36:37], -v[46:47]
	v_add_f64 v[36:37], v[36:37], -v[50:51]
	;; [unrolled: 1-line block ×4, first 2 shown]
	v_add_f64 v[32:33], v[32:33], v[36:37]
	v_add_f64 v[36:37], v[38:39], -v[44:45]
	v_add_f64 v[32:33], v[36:37], v[32:33]
	v_add_f64 v[36:37], v[50:51], v[32:33]
	v_add_f64 v[38:39], v[50:51], -v[36:37]
	v_add_f64 v[32:33], v[32:33], v[38:39]
	v_mul_f64 v[38:39], v[40:41], v[36:37]
	v_mul_f64 v[44:45], v[28:29], v[38:39]
	v_fma_f64 v[28:29], v[38:39], v[28:29], -v[44:45]
	v_fmac_f64_e32 v[28:29], v[38:39], v[26:27]
	v_add_f64 v[26:27], v[44:45], v[28:29]
	v_add_f64 v[46:47], v[36:37], -v[26:27]
	v_add_f64 v[36:37], v[36:37], -v[46:47]
	v_add_f64 v[44:45], v[26:27], -v[44:45]
	v_add_f64 v[26:27], v[36:37], -v[26:27]
	v_add_f64 v[26:27], v[32:33], v[26:27]
	v_add_f64 v[28:29], v[44:45], -v[28:29]
	v_add_f64 v[26:27], v[28:29], v[26:27]
	v_add_f64 v[28:29], v[34:35], v[38:39]
	;; [unrolled: 1-line block ×3, first 2 shown]
	v_add_f64 v[32:33], v[28:29], -v[34:35]
	v_mul_f64 v[26:27], v[40:41], v[26:27]
	v_add_f64 v[32:33], v[38:39], -v[32:33]
	v_add_f64 v[26:27], v[32:33], v[26:27]
	v_add_f64 v[32:33], v[28:29], v[26:27]
	v_add_f64 v[28:29], v[32:33], -v[28:29]
	s_mov_b32 s8, 0xbf559e2b
	v_add_f64 v[26:27], v[26:27], -v[28:29]
	v_mul_f64 v[28:29], v[32:33], v[32:33]
	v_mov_b32_e32 v34, 0x6b47b09a
	v_mov_b32_e32 v35, 0x3fc38538
	s_mov_b32 s9, 0x3fc3ab76
	v_fmac_f64_e32 v[34:35], s[8:9], v[28:29]
	v_mov_b32_e32 v36, 0xd7f4df2e
	v_mov_b32_e32 v37, 0x3fc7474d
	v_fmac_f64_e32 v[36:37], v[28:29], v[34:35]
	v_mov_b32_e32 v34, 0x16291751
	v_mov_b32_e32 v35, 0x3fcc71c0
	v_fmac_f64_e32 v[34:35], v[28:29], v[36:37]
	v_mov_b32_e32 v36, 0x9b27acf1
	v_mov_b32_e32 v37, 0x3fd24924
	v_fmac_f64_e32 v[36:37], v[28:29], v[34:35]
	v_mov_b32_e32 v34, 0x998ef7b6
	v_mov_b32_e32 v35, 0x3fd99999
	v_fmac_f64_e32 v[34:35], v[28:29], v[36:37]
	v_mov_b32_e32 v36, 0x55555780
	v_mov_b32_e32 v37, 0x3fe55555
	v_fmac_f64_e32 v[36:37], v[28:29], v[34:35]
	v_cvt_f64_i32_e32 v[34:35], v52
	s_mov_b32 s13, 0x3fe62e42
	v_mul_f64 v[38:39], v[34:35], s[12:13]
	v_fma_f64 v[40:41], v[34:35], s[12:13], -v[38:39]
	s_mov_b32 s15, 0x3c7abc9e
	v_fmac_f64_e32 v[40:41], s[14:15], v[34:35]
	v_add_f64 v[34:35], v[38:39], v[40:41]
	v_add_f64 v[38:39], v[34:35], -v[38:39]
	v_mul_f64 v[28:29], v[32:33], v[28:29]
	v_add_f64 v[38:39], v[40:41], -v[38:39]
	v_ldexp_f64 v[40:41], v[32:33], 1
	v_mul_f64 v[28:29], v[28:29], v[36:37]
	v_add_f64 v[32:33], v[40:41], v[28:29]
	v_add_f64 v[36:37], v[32:33], -v[40:41]
	v_ldexp_f64 v[26:27], v[26:27], 1
	v_add_f64 v[28:29], v[28:29], -v[36:37]
	v_add_f64 v[26:27], v[26:27], v[28:29]
	v_add_f64 v[28:29], v[32:33], v[26:27]
	v_add_f64 v[32:33], v[28:29], -v[32:33]
	v_add_f64 v[26:27], v[26:27], -v[32:33]
	v_add_f64 v[32:33], v[34:35], v[28:29]
	v_add_f64 v[36:37], v[32:33], -v[34:35]
	v_add_f64 v[40:41], v[32:33], -v[36:37]
	;; [unrolled: 1-line block ×4, first 2 shown]
	v_add_f64 v[28:29], v[28:29], v[34:35]
	v_add_f64 v[34:35], v[38:39], v[26:27]
	v_add_f64 v[36:37], v[34:35], -v[38:39]
	v_add_f64 v[28:29], v[34:35], v[28:29]
	v_add_f64 v[40:41], v[34:35], -v[36:37]
	;; [unrolled: 2-line block ×3, first 2 shown]
	v_add_f64 v[26:27], v[26:27], -v[36:37]
	v_add_f64 v[32:33], v[34:35], -v[32:33]
	v_add_f64 v[26:27], v[26:27], v[38:39]
	v_add_f64 v[28:29], v[28:29], -v[32:33]
	s_mov_b32 s8, 0
	v_add_f64 v[26:27], v[26:27], v[28:29]
	s_mov_b32 s9, 0x7ff00000
	v_add_f64 v[26:27], v[34:35], v[26:27]
	v_cmp_eq_f64_e32 vcc, s[8:9], v[22:23]
	v_cndmask_b32_e32 v26, v26, v22, vcc
	v_cndmask_b32_e32 v27, v27, v23, vcc
	v_mov_b32_e32 v28, 0x7ff80000
	v_cmp_ngt_f64_e32 vcc, -1.0, v[22:23]
	v_cndmask_b32_e32 v27, v28, v27, vcc
	v_cmp_nge_f64_e32 vcc, -1.0, v[22:23]
	v_cndmask_b32_e32 v26, 0, v26, vcc
	v_mov_b32_e32 v28, 0xfff00000
	v_cmp_neq_f64_e32 vcc, -1.0, v[22:23]
	v_cndmask_b32_e32 v27, v28, v27, vcc
	v_add_f64 v[22:23], v[24:25], v[26:27]
.LBB3_29:
	s_or_b64 exec, exec, s[10:11]
	v_max_f64 v[32:33], v[20:21], v[20:21]
	v_max_f64 v[24:25], v[22:23], v[22:23]
	v_min_f64 v[26:27], v[24:25], v[32:33]
	v_cmp_u_f64_e32 vcc, v[22:23], v[22:23]
	v_max_f64 v[24:25], v[24:25], v[32:33]
	v_cndmask_b32_e32 v26, v26, v22, vcc
	v_cndmask_b32_e32 v27, v27, v23, vcc
	v_cmp_u_f64_e64 s[24:25], v[20:21], v[20:21]
	v_cndmask_b32_e32 v24, v24, v22, vcc
	v_cndmask_b32_e32 v25, v25, v23, vcc
	v_cndmask_b32_e64 v27, v27, v21, s[24:25]
	v_cndmask_b32_e64 v26, v26, v20, s[24:25]
	;; [unrolled: 1-line block ×4, first 2 shown]
	v_cmp_neq_f64_e32 vcc, v[26:27], v[24:25]
	v_cmp_class_f64_e64 s[8:9], v[26:27], s7
	s_or_b64 s[8:9], vcc, s[8:9]
	s_and_saveexec_b64 s[10:11], s[8:9]
	s_cbranch_execz .LBB3_31
; %bb.30:
	s_mov_b32 s8, 0x652b82fe
	v_add_f64 v[22:23], v[26:27], -v[24:25]
	s_mov_b32 s9, 0x3ff71547
	v_mul_f64 v[26:27], v[22:23], s[8:9]
	v_rndne_f64_e32 v[26:27], v[26:27]
	s_mov_b32 s13, 0xbfe62e42
	s_mov_b32 s12, 0xfefa39ef
	v_fma_f64 v[28:29], s[12:13], v[26:27], v[22:23]
	s_mov_b32 s15, 0xbc7abc9e
	s_mov_b32 s14, 0x3b39803f
	;; [unrolled: 1-line block ×3, first 2 shown]
	v_fmac_f64_e32 v[28:29], s[14:15], v[26:27]
	v_mov_b32_e32 v34, 0xfca7ab0c
	v_mov_b32_e32 v35, 0x3e928af3
	s_mov_b32 s9, 0x3e5ade15
	v_fmac_f64_e32 v[34:35], s[8:9], v[28:29]
	v_mov_b32_e32 v36, 0x623fde64
	v_mov_b32_e32 v37, 0x3ec71dee
	v_fmac_f64_e32 v[36:37], v[28:29], v[34:35]
	v_mov_b32_e32 v34, 0x7c89e6b0
	v_mov_b32_e32 v35, 0x3efa0199
	;; [unrolled: 3-line block ×8, first 2 shown]
	s_mov_b32 s8, 0
	v_fmac_f64_e32 v[34:35], v[28:29], v[36:37]
	s_mov_b32 s9, 0x40900000
	v_fma_f64 v[34:35], v[28:29], v[34:35], 1.0
	v_cmp_nlt_f64_e32 vcc, s[8:9], v[22:23]
	s_mov_b32 s8, 0
	v_fma_f64 v[28:29], v[28:29], v[34:35], 1.0
	v_cvt_i32_f64_e32 v26, v[26:27]
	s_mov_b32 s9, 0xc090cc00
	v_ldexp_f64 v[26:27], v[28:29], v26
	v_mov_b32_e32 v28, 0x7ff00000
	v_cmp_ngt_f64_e64 s[8:9], s[8:9], v[22:23]
	v_cndmask_b32_e32 v27, v28, v27, vcc
	s_and_b64 vcc, s[8:9], vcc
	v_cndmask_b32_e64 v23, 0, v27, s[8:9]
	v_cndmask_b32_e32 v22, 0, v26, vcc
	v_add_f64 v[26:27], v[22:23], 1.0
	v_add_f64 v[28:29], v[26:27], -1.0
	v_add_f64 v[34:35], v[28:29], -v[26:27]
	v_add_f64 v[34:35], v[34:35], 1.0
	v_add_f64 v[28:29], v[22:23], -v[28:29]
	s_mov_b32 s8, 0x55555555
	v_add_f64 v[28:29], v[28:29], v[34:35]
	v_frexp_mant_f64_e32 v[34:35], v[26:27]
	s_mov_b32 s9, 0x3fe55555
	v_frexp_exp_i32_f64_e32 v36, v[26:27]
	v_cmp_gt_f64_e32 vcc, s[8:9], v[34:35]
	v_subbrev_co_u32_e32 v54, vcc, 0, v36, vcc
	v_sub_u32_e32 v34, 0, v54
	v_ldexp_f64 v[26:27], v[26:27], v34
	v_ldexp_f64 v[28:29], v[28:29], v34
	v_add_f64 v[34:35], v[26:27], -1.0
	v_add_f64 v[40:41], v[26:27], 1.0
	v_add_f64 v[36:37], v[34:35], 1.0
	v_add_f64 v[44:45], v[40:41], -1.0
	v_add_f64 v[36:37], v[26:27], -v[36:37]
	v_add_f64 v[26:27], v[26:27], -v[44:45]
	v_add_f64 v[26:27], v[28:29], v[26:27]
	v_add_f64 v[36:37], v[28:29], v[36:37]
	v_add_f64 v[28:29], v[40:41], v[26:27]
	v_rcp_f64_e32 v[44:45], v[28:29]
	v_add_f64 v[38:39], v[34:35], v[36:37]
	v_add_f64 v[34:35], v[38:39], -v[34:35]
	v_add_f64 v[34:35], v[36:37], -v[34:35]
	;; [unrolled: 1-line block ×4, first 2 shown]
	v_fma_f64 v[36:37], -v[28:29], v[44:45], 1.0
	v_fmac_f64_e32 v[44:45], v[36:37], v[44:45]
	v_fma_f64 v[36:37], -v[28:29], v[44:45], 1.0
	v_fmac_f64_e32 v[44:45], v[36:37], v[44:45]
	v_mul_f64 v[36:37], v[38:39], v[44:45]
	v_mul_f64 v[40:41], v[28:29], v[36:37]
	v_fma_f64 v[46:47], v[36:37], v[28:29], -v[40:41]
	v_fmac_f64_e32 v[46:47], v[36:37], v[26:27]
	v_add_f64 v[50:51], v[40:41], v[46:47]
	v_add_f64 v[52:53], v[38:39], -v[50:51]
	v_add_f64 v[38:39], v[38:39], -v[52:53]
	;; [unrolled: 1-line block ×4, first 2 shown]
	v_add_f64 v[34:35], v[34:35], v[38:39]
	v_add_f64 v[38:39], v[40:41], -v[46:47]
	v_add_f64 v[34:35], v[38:39], v[34:35]
	v_add_f64 v[38:39], v[52:53], v[34:35]
	v_add_f64 v[40:41], v[52:53], -v[38:39]
	v_add_f64 v[34:35], v[34:35], v[40:41]
	v_mul_f64 v[40:41], v[44:45], v[38:39]
	v_mul_f64 v[46:47], v[28:29], v[40:41]
	v_fma_f64 v[28:29], v[40:41], v[28:29], -v[46:47]
	v_fmac_f64_e32 v[28:29], v[40:41], v[26:27]
	v_add_f64 v[26:27], v[46:47], v[28:29]
	v_add_f64 v[50:51], v[38:39], -v[26:27]
	v_add_f64 v[38:39], v[38:39], -v[50:51]
	;; [unrolled: 1-line block ×4, first 2 shown]
	v_add_f64 v[26:27], v[34:35], v[26:27]
	v_add_f64 v[28:29], v[46:47], -v[28:29]
	v_add_f64 v[26:27], v[28:29], v[26:27]
	v_add_f64 v[28:29], v[36:37], v[40:41]
	;; [unrolled: 1-line block ×3, first 2 shown]
	v_add_f64 v[34:35], v[28:29], -v[36:37]
	v_mul_f64 v[26:27], v[44:45], v[26:27]
	v_add_f64 v[34:35], v[40:41], -v[34:35]
	v_add_f64 v[26:27], v[34:35], v[26:27]
	v_add_f64 v[34:35], v[28:29], v[26:27]
	v_add_f64 v[28:29], v[34:35], -v[28:29]
	s_mov_b32 s8, 0xbf559e2b
	v_add_f64 v[26:27], v[26:27], -v[28:29]
	v_mul_f64 v[28:29], v[34:35], v[34:35]
	v_mov_b32_e32 v36, 0x6b47b09a
	v_mov_b32_e32 v37, 0x3fc38538
	s_mov_b32 s9, 0x3fc3ab76
	v_fmac_f64_e32 v[36:37], s[8:9], v[28:29]
	v_mov_b32_e32 v38, 0xd7f4df2e
	v_mov_b32_e32 v39, 0x3fc7474d
	v_fmac_f64_e32 v[38:39], v[28:29], v[36:37]
	v_mov_b32_e32 v36, 0x16291751
	v_mov_b32_e32 v37, 0x3fcc71c0
	;; [unrolled: 3-line block ×5, first 2 shown]
	v_fmac_f64_e32 v[38:39], v[28:29], v[36:37]
	v_cvt_f64_i32_e32 v[36:37], v54
	s_mov_b32 s13, 0x3fe62e42
	v_mul_f64 v[40:41], v[36:37], s[12:13]
	v_fma_f64 v[44:45], v[36:37], s[12:13], -v[40:41]
	s_mov_b32 s15, 0x3c7abc9e
	v_fmac_f64_e32 v[44:45], s[14:15], v[36:37]
	v_add_f64 v[36:37], v[40:41], v[44:45]
	v_add_f64 v[40:41], v[36:37], -v[40:41]
	v_mul_f64 v[28:29], v[34:35], v[28:29]
	v_add_f64 v[40:41], v[44:45], -v[40:41]
	v_ldexp_f64 v[44:45], v[34:35], 1
	v_mul_f64 v[28:29], v[28:29], v[38:39]
	v_add_f64 v[34:35], v[44:45], v[28:29]
	v_add_f64 v[38:39], v[34:35], -v[44:45]
	v_ldexp_f64 v[26:27], v[26:27], 1
	v_add_f64 v[28:29], v[28:29], -v[38:39]
	v_add_f64 v[26:27], v[26:27], v[28:29]
	v_add_f64 v[28:29], v[34:35], v[26:27]
	v_add_f64 v[34:35], v[28:29], -v[34:35]
	v_add_f64 v[26:27], v[26:27], -v[34:35]
	v_add_f64 v[34:35], v[36:37], v[28:29]
	v_add_f64 v[38:39], v[34:35], -v[36:37]
	v_add_f64 v[44:45], v[34:35], -v[38:39]
	;; [unrolled: 1-line block ×4, first 2 shown]
	v_add_f64 v[28:29], v[28:29], v[36:37]
	v_add_f64 v[36:37], v[40:41], v[26:27]
	v_add_f64 v[38:39], v[36:37], -v[40:41]
	v_add_f64 v[28:29], v[36:37], v[28:29]
	v_add_f64 v[44:45], v[36:37], -v[38:39]
	;; [unrolled: 2-line block ×3, first 2 shown]
	v_add_f64 v[26:27], v[26:27], -v[38:39]
	v_add_f64 v[34:35], v[36:37], -v[34:35]
	v_add_f64 v[26:27], v[26:27], v[40:41]
	v_add_f64 v[28:29], v[28:29], -v[34:35]
	s_mov_b32 s8, 0
	v_add_f64 v[26:27], v[26:27], v[28:29]
	s_mov_b32 s9, 0x7ff00000
	v_add_f64 v[26:27], v[36:37], v[26:27]
	v_cmp_eq_f64_e32 vcc, s[8:9], v[22:23]
	v_cndmask_b32_e32 v26, v26, v22, vcc
	v_cndmask_b32_e32 v27, v27, v23, vcc
	v_mov_b32_e32 v28, 0x7ff80000
	v_cmp_ngt_f64_e32 vcc, -1.0, v[22:23]
	v_cndmask_b32_e32 v27, v28, v27, vcc
	v_cmp_nge_f64_e32 vcc, -1.0, v[22:23]
	v_cndmask_b32_e32 v26, 0, v26, vcc
	v_mov_b32_e32 v28, 0xfff00000
	v_cmp_neq_f64_e32 vcc, -1.0, v[22:23]
	v_cndmask_b32_e32 v27, v28, v27, vcc
	v_add_f64 v[22:23], v[24:25], v[26:27]
.LBB3_31:
	s_or_b64 exec, exec, s[10:11]
	v_max_f64 v[34:35], v[14:15], v[14:15]
	v_max_f64 v[24:25], v[22:23], v[22:23]
	v_min_f64 v[26:27], v[24:25], v[34:35]
	v_cmp_u_f64_e32 vcc, v[22:23], v[22:23]
	v_max_f64 v[24:25], v[24:25], v[34:35]
	v_cndmask_b32_e32 v26, v26, v22, vcc
	v_cndmask_b32_e32 v27, v27, v23, vcc
	v_cmp_u_f64_e64 s[8:9], v[14:15], v[14:15]
	v_cndmask_b32_e32 v24, v24, v22, vcc
	v_cndmask_b32_e32 v25, v25, v23, vcc
	v_cndmask_b32_e64 v27, v27, v15, s[8:9]
	v_cndmask_b32_e64 v26, v26, v14, s[8:9]
	;; [unrolled: 1-line block ×4, first 2 shown]
	v_cmp_neq_f64_e32 vcc, v[26:27], v[24:25]
	v_cmp_class_f64_e64 s[10:11], v[26:27], s7
	s_or_b64 s[10:11], vcc, s[10:11]
	s_and_saveexec_b64 s[12:13], s[10:11]
	s_cbranch_execz .LBB3_33
; %bb.32:
	s_mov_b32 s10, 0x652b82fe
	v_add_f64 v[22:23], v[26:27], -v[24:25]
	s_mov_b32 s11, 0x3ff71547
	v_mul_f64 v[26:27], v[22:23], s[10:11]
	v_rndne_f64_e32 v[26:27], v[26:27]
	s_mov_b32 s15, 0xbfe62e42
	s_mov_b32 s14, 0xfefa39ef
	v_fma_f64 v[28:29], s[14:15], v[26:27], v[22:23]
	s_mov_b32 s17, 0xbc7abc9e
	s_mov_b32 s16, 0x3b39803f
	;; [unrolled: 1-line block ×3, first 2 shown]
	v_fmac_f64_e32 v[28:29], s[16:17], v[26:27]
	v_mov_b32_e32 v36, 0xfca7ab0c
	v_mov_b32_e32 v37, 0x3e928af3
	s_mov_b32 s11, 0x3e5ade15
	v_fmac_f64_e32 v[36:37], s[10:11], v[28:29]
	v_mov_b32_e32 v38, 0x623fde64
	v_mov_b32_e32 v39, 0x3ec71dee
	v_fmac_f64_e32 v[38:39], v[28:29], v[36:37]
	v_mov_b32_e32 v36, 0x7c89e6b0
	v_mov_b32_e32 v37, 0x3efa0199
	;; [unrolled: 3-line block ×8, first 2 shown]
	s_mov_b32 s10, 0
	v_fmac_f64_e32 v[36:37], v[28:29], v[38:39]
	s_mov_b32 s11, 0x40900000
	v_fma_f64 v[36:37], v[28:29], v[36:37], 1.0
	v_cmp_nlt_f64_e32 vcc, s[10:11], v[22:23]
	s_mov_b32 s10, 0
	v_fma_f64 v[28:29], v[28:29], v[36:37], 1.0
	v_cvt_i32_f64_e32 v26, v[26:27]
	s_mov_b32 s11, 0xc090cc00
	v_ldexp_f64 v[26:27], v[28:29], v26
	v_mov_b32_e32 v28, 0x7ff00000
	v_cmp_ngt_f64_e64 s[10:11], s[10:11], v[22:23]
	v_cndmask_b32_e32 v27, v28, v27, vcc
	s_and_b64 vcc, s[10:11], vcc
	v_cndmask_b32_e64 v23, 0, v27, s[10:11]
	v_cndmask_b32_e32 v22, 0, v26, vcc
	v_add_f64 v[26:27], v[22:23], 1.0
	v_add_f64 v[28:29], v[26:27], -1.0
	v_add_f64 v[36:37], v[28:29], -v[26:27]
	v_add_f64 v[36:37], v[36:37], 1.0
	v_add_f64 v[28:29], v[22:23], -v[28:29]
	s_mov_b32 s10, 0x55555555
	v_add_f64 v[28:29], v[28:29], v[36:37]
	v_frexp_mant_f64_e32 v[36:37], v[26:27]
	s_mov_b32 s11, 0x3fe55555
	v_frexp_exp_i32_f64_e32 v38, v[26:27]
	v_cmp_gt_f64_e32 vcc, s[10:11], v[36:37]
	v_subbrev_co_u32_e32 v56, vcc, 0, v38, vcc
	v_sub_u32_e32 v36, 0, v56
	v_ldexp_f64 v[26:27], v[26:27], v36
	v_ldexp_f64 v[28:29], v[28:29], v36
	v_add_f64 v[36:37], v[26:27], -1.0
	v_add_f64 v[44:45], v[26:27], 1.0
	v_add_f64 v[38:39], v[36:37], 1.0
	v_add_f64 v[46:47], v[44:45], -1.0
	v_add_f64 v[38:39], v[26:27], -v[38:39]
	v_add_f64 v[26:27], v[26:27], -v[46:47]
	v_add_f64 v[26:27], v[28:29], v[26:27]
	v_add_f64 v[38:39], v[28:29], v[38:39]
	;; [unrolled: 1-line block ×3, first 2 shown]
	v_rcp_f64_e32 v[46:47], v[28:29]
	v_add_f64 v[40:41], v[36:37], v[38:39]
	v_add_f64 v[36:37], v[40:41], -v[36:37]
	v_add_f64 v[36:37], v[38:39], -v[36:37]
	;; [unrolled: 1-line block ×4, first 2 shown]
	v_fma_f64 v[38:39], -v[28:29], v[46:47], 1.0
	v_fmac_f64_e32 v[46:47], v[38:39], v[46:47]
	v_fma_f64 v[38:39], -v[28:29], v[46:47], 1.0
	v_fmac_f64_e32 v[46:47], v[38:39], v[46:47]
	v_mul_f64 v[38:39], v[40:41], v[46:47]
	v_mul_f64 v[44:45], v[28:29], v[38:39]
	v_fma_f64 v[50:51], v[38:39], v[28:29], -v[44:45]
	v_fmac_f64_e32 v[50:51], v[38:39], v[26:27]
	v_add_f64 v[52:53], v[44:45], v[50:51]
	v_add_f64 v[54:55], v[40:41], -v[52:53]
	v_add_f64 v[40:41], v[40:41], -v[54:55]
	v_add_f64 v[44:45], v[52:53], -v[44:45]
	v_add_f64 v[40:41], v[40:41], -v[52:53]
	v_add_f64 v[36:37], v[36:37], v[40:41]
	v_add_f64 v[40:41], v[44:45], -v[50:51]
	v_add_f64 v[36:37], v[40:41], v[36:37]
	v_add_f64 v[40:41], v[54:55], v[36:37]
	v_add_f64 v[44:45], v[54:55], -v[40:41]
	v_add_f64 v[36:37], v[36:37], v[44:45]
	v_mul_f64 v[44:45], v[46:47], v[40:41]
	v_mul_f64 v[50:51], v[28:29], v[44:45]
	v_fma_f64 v[28:29], v[44:45], v[28:29], -v[50:51]
	v_fmac_f64_e32 v[28:29], v[44:45], v[26:27]
	v_add_f64 v[26:27], v[50:51], v[28:29]
	v_add_f64 v[52:53], v[40:41], -v[26:27]
	v_add_f64 v[40:41], v[40:41], -v[52:53]
	;; [unrolled: 1-line block ×4, first 2 shown]
	v_add_f64 v[26:27], v[36:37], v[26:27]
	v_add_f64 v[28:29], v[50:51], -v[28:29]
	v_add_f64 v[26:27], v[28:29], v[26:27]
	v_add_f64 v[28:29], v[38:39], v[44:45]
	;; [unrolled: 1-line block ×3, first 2 shown]
	v_add_f64 v[36:37], v[28:29], -v[38:39]
	v_mul_f64 v[26:27], v[46:47], v[26:27]
	v_add_f64 v[36:37], v[44:45], -v[36:37]
	v_add_f64 v[26:27], v[36:37], v[26:27]
	v_add_f64 v[36:37], v[28:29], v[26:27]
	v_add_f64 v[28:29], v[36:37], -v[28:29]
	s_mov_b32 s10, 0xbf559e2b
	v_add_f64 v[26:27], v[26:27], -v[28:29]
	v_mul_f64 v[28:29], v[36:37], v[36:37]
	v_mov_b32_e32 v38, 0x6b47b09a
	v_mov_b32_e32 v39, 0x3fc38538
	s_mov_b32 s11, 0x3fc3ab76
	v_fmac_f64_e32 v[38:39], s[10:11], v[28:29]
	v_mov_b32_e32 v40, 0xd7f4df2e
	v_mov_b32_e32 v41, 0x3fc7474d
	v_fmac_f64_e32 v[40:41], v[28:29], v[38:39]
	v_mov_b32_e32 v38, 0x16291751
	v_mov_b32_e32 v39, 0x3fcc71c0
	;; [unrolled: 3-line block ×5, first 2 shown]
	v_fmac_f64_e32 v[40:41], v[28:29], v[38:39]
	v_cvt_f64_i32_e32 v[38:39], v56
	s_mov_b32 s15, 0x3fe62e42
	v_mul_f64 v[44:45], v[38:39], s[14:15]
	v_fma_f64 v[46:47], v[38:39], s[14:15], -v[44:45]
	s_mov_b32 s17, 0x3c7abc9e
	v_fmac_f64_e32 v[46:47], s[16:17], v[38:39]
	v_add_f64 v[38:39], v[44:45], v[46:47]
	v_add_f64 v[44:45], v[38:39], -v[44:45]
	v_mul_f64 v[28:29], v[36:37], v[28:29]
	v_add_f64 v[44:45], v[46:47], -v[44:45]
	v_ldexp_f64 v[46:47], v[36:37], 1
	v_mul_f64 v[28:29], v[28:29], v[40:41]
	v_add_f64 v[36:37], v[46:47], v[28:29]
	v_add_f64 v[40:41], v[36:37], -v[46:47]
	v_ldexp_f64 v[26:27], v[26:27], 1
	v_add_f64 v[28:29], v[28:29], -v[40:41]
	v_add_f64 v[26:27], v[26:27], v[28:29]
	v_add_f64 v[28:29], v[36:37], v[26:27]
	v_add_f64 v[36:37], v[28:29], -v[36:37]
	v_add_f64 v[26:27], v[26:27], -v[36:37]
	v_add_f64 v[36:37], v[38:39], v[28:29]
	v_add_f64 v[40:41], v[36:37], -v[38:39]
	v_add_f64 v[46:47], v[36:37], -v[40:41]
	;; [unrolled: 1-line block ×4, first 2 shown]
	v_add_f64 v[28:29], v[28:29], v[38:39]
	v_add_f64 v[38:39], v[44:45], v[26:27]
	v_add_f64 v[40:41], v[38:39], -v[44:45]
	v_add_f64 v[28:29], v[38:39], v[28:29]
	v_add_f64 v[46:47], v[38:39], -v[40:41]
	v_add_f64 v[38:39], v[36:37], v[28:29]
	v_add_f64 v[44:45], v[44:45], -v[46:47]
	v_add_f64 v[26:27], v[26:27], -v[40:41]
	v_add_f64 v[36:37], v[38:39], -v[36:37]
	v_add_f64 v[26:27], v[26:27], v[44:45]
	v_add_f64 v[28:29], v[28:29], -v[36:37]
	s_mov_b32 s10, 0
	v_add_f64 v[26:27], v[26:27], v[28:29]
	s_mov_b32 s11, 0x7ff00000
	v_add_f64 v[26:27], v[38:39], v[26:27]
	v_cmp_eq_f64_e32 vcc, s[10:11], v[22:23]
	v_cndmask_b32_e32 v26, v26, v22, vcc
	v_cndmask_b32_e32 v27, v27, v23, vcc
	v_mov_b32_e32 v28, 0x7ff80000
	v_cmp_ngt_f64_e32 vcc, -1.0, v[22:23]
	v_cndmask_b32_e32 v27, v28, v27, vcc
	v_cmp_nge_f64_e32 vcc, -1.0, v[22:23]
	v_cndmask_b32_e32 v26, 0, v26, vcc
	v_mov_b32_e32 v28, 0xfff00000
	v_cmp_neq_f64_e32 vcc, -1.0, v[22:23]
	v_cndmask_b32_e32 v27, v28, v27, vcc
	v_add_f64 v[22:23], v[24:25], v[26:27]
.LBB3_33:
	s_or_b64 exec, exec, s[12:13]
	v_max_f64 v[36:37], v[16:17], v[16:17]
	v_max_f64 v[24:25], v[22:23], v[22:23]
	v_min_f64 v[26:27], v[24:25], v[36:37]
	v_cmp_u_f64_e32 vcc, v[22:23], v[22:23]
	v_max_f64 v[24:25], v[24:25], v[36:37]
	v_cndmask_b32_e32 v26, v26, v22, vcc
	v_cndmask_b32_e32 v27, v27, v23, vcc
	v_cmp_u_f64_e64 s[10:11], v[16:17], v[16:17]
	v_cndmask_b32_e32 v24, v24, v22, vcc
	v_cndmask_b32_e32 v25, v25, v23, vcc
	v_cndmask_b32_e64 v27, v27, v17, s[10:11]
	v_cndmask_b32_e64 v26, v26, v16, s[10:11]
	;; [unrolled: 1-line block ×4, first 2 shown]
	v_cmp_neq_f64_e32 vcc, v[26:27], v[24:25]
	v_cmp_class_f64_e64 s[12:13], v[26:27], s7
	s_or_b64 s[12:13], vcc, s[12:13]
	s_and_saveexec_b64 s[14:15], s[12:13]
	s_cbranch_execz .LBB3_35
; %bb.34:
	s_mov_b32 s12, 0x652b82fe
	v_add_f64 v[22:23], v[26:27], -v[24:25]
	s_mov_b32 s13, 0x3ff71547
	v_mul_f64 v[26:27], v[22:23], s[12:13]
	v_rndne_f64_e32 v[26:27], v[26:27]
	s_mov_b32 s17, 0xbfe62e42
	s_mov_b32 s16, 0xfefa39ef
	v_fma_f64 v[28:29], s[16:17], v[26:27], v[22:23]
	s_mov_b32 s19, 0xbc7abc9e
	s_mov_b32 s18, 0x3b39803f
	;; [unrolled: 1-line block ×3, first 2 shown]
	v_fmac_f64_e32 v[28:29], s[18:19], v[26:27]
	v_mov_b32_e32 v38, 0xfca7ab0c
	v_mov_b32_e32 v39, 0x3e928af3
	s_mov_b32 s13, 0x3e5ade15
	v_fmac_f64_e32 v[38:39], s[12:13], v[28:29]
	v_mov_b32_e32 v40, 0x623fde64
	v_mov_b32_e32 v41, 0x3ec71dee
	v_fmac_f64_e32 v[40:41], v[28:29], v[38:39]
	v_mov_b32_e32 v38, 0x7c89e6b0
	v_mov_b32_e32 v39, 0x3efa0199
	;; [unrolled: 3-line block ×8, first 2 shown]
	s_mov_b32 s12, 0
	v_fmac_f64_e32 v[38:39], v[28:29], v[40:41]
	s_mov_b32 s13, 0x40900000
	v_fma_f64 v[38:39], v[28:29], v[38:39], 1.0
	v_cmp_nlt_f64_e32 vcc, s[12:13], v[22:23]
	s_mov_b32 s12, 0
	v_fma_f64 v[28:29], v[28:29], v[38:39], 1.0
	v_cvt_i32_f64_e32 v26, v[26:27]
	s_mov_b32 s13, 0xc090cc00
	v_ldexp_f64 v[26:27], v[28:29], v26
	v_mov_b32_e32 v28, 0x7ff00000
	v_cmp_ngt_f64_e64 s[12:13], s[12:13], v[22:23]
	v_cndmask_b32_e32 v27, v28, v27, vcc
	s_and_b64 vcc, s[12:13], vcc
	v_cndmask_b32_e64 v23, 0, v27, s[12:13]
	v_cndmask_b32_e32 v22, 0, v26, vcc
	v_add_f64 v[26:27], v[22:23], 1.0
	v_add_f64 v[28:29], v[26:27], -1.0
	v_add_f64 v[38:39], v[28:29], -v[26:27]
	v_add_f64 v[38:39], v[38:39], 1.0
	v_add_f64 v[28:29], v[22:23], -v[28:29]
	s_mov_b32 s12, 0x55555555
	v_add_f64 v[28:29], v[28:29], v[38:39]
	v_frexp_mant_f64_e32 v[38:39], v[26:27]
	s_mov_b32 s13, 0x3fe55555
	v_frexp_exp_i32_f64_e32 v40, v[26:27]
	v_cmp_gt_f64_e32 vcc, s[12:13], v[38:39]
	v_subbrev_co_u32_e32 v58, vcc, 0, v40, vcc
	v_sub_u32_e32 v38, 0, v58
	v_ldexp_f64 v[26:27], v[26:27], v38
	v_ldexp_f64 v[28:29], v[28:29], v38
	v_add_f64 v[38:39], v[26:27], -1.0
	v_add_f64 v[46:47], v[26:27], 1.0
	v_add_f64 v[40:41], v[38:39], 1.0
	v_add_f64 v[50:51], v[46:47], -1.0
	v_add_f64 v[40:41], v[26:27], -v[40:41]
	v_add_f64 v[26:27], v[26:27], -v[50:51]
	v_add_f64 v[26:27], v[28:29], v[26:27]
	v_add_f64 v[40:41], v[28:29], v[40:41]
	;; [unrolled: 1-line block ×3, first 2 shown]
	v_rcp_f64_e32 v[50:51], v[28:29]
	v_add_f64 v[44:45], v[38:39], v[40:41]
	v_add_f64 v[38:39], v[44:45], -v[38:39]
	v_add_f64 v[38:39], v[40:41], -v[38:39]
	v_add_f64 v[40:41], v[28:29], -v[46:47]
	v_add_f64 v[26:27], v[26:27], -v[40:41]
	v_fma_f64 v[40:41], -v[28:29], v[50:51], 1.0
	v_fmac_f64_e32 v[50:51], v[40:41], v[50:51]
	v_fma_f64 v[40:41], -v[28:29], v[50:51], 1.0
	v_fmac_f64_e32 v[50:51], v[40:41], v[50:51]
	v_mul_f64 v[40:41], v[44:45], v[50:51]
	v_mul_f64 v[46:47], v[28:29], v[40:41]
	v_fma_f64 v[52:53], v[40:41], v[28:29], -v[46:47]
	v_fmac_f64_e32 v[52:53], v[40:41], v[26:27]
	v_add_f64 v[54:55], v[46:47], v[52:53]
	v_add_f64 v[56:57], v[44:45], -v[54:55]
	v_add_f64 v[44:45], v[44:45], -v[56:57]
	v_add_f64 v[46:47], v[54:55], -v[46:47]
	v_add_f64 v[44:45], v[44:45], -v[54:55]
	v_add_f64 v[38:39], v[38:39], v[44:45]
	v_add_f64 v[44:45], v[46:47], -v[52:53]
	v_add_f64 v[38:39], v[44:45], v[38:39]
	v_add_f64 v[44:45], v[56:57], v[38:39]
	v_add_f64 v[46:47], v[56:57], -v[44:45]
	v_add_f64 v[38:39], v[38:39], v[46:47]
	v_mul_f64 v[46:47], v[50:51], v[44:45]
	v_mul_f64 v[52:53], v[28:29], v[46:47]
	v_fma_f64 v[28:29], v[46:47], v[28:29], -v[52:53]
	v_fmac_f64_e32 v[28:29], v[46:47], v[26:27]
	v_add_f64 v[26:27], v[52:53], v[28:29]
	v_add_f64 v[54:55], v[44:45], -v[26:27]
	v_add_f64 v[44:45], v[44:45], -v[54:55]
	;; [unrolled: 1-line block ×4, first 2 shown]
	v_add_f64 v[26:27], v[38:39], v[26:27]
	v_add_f64 v[28:29], v[52:53], -v[28:29]
	v_add_f64 v[26:27], v[28:29], v[26:27]
	v_add_f64 v[28:29], v[40:41], v[46:47]
	;; [unrolled: 1-line block ×3, first 2 shown]
	v_add_f64 v[38:39], v[28:29], -v[40:41]
	v_mul_f64 v[26:27], v[50:51], v[26:27]
	v_add_f64 v[38:39], v[46:47], -v[38:39]
	v_add_f64 v[26:27], v[38:39], v[26:27]
	v_add_f64 v[38:39], v[28:29], v[26:27]
	v_add_f64 v[28:29], v[38:39], -v[28:29]
	s_mov_b32 s12, 0xbf559e2b
	v_add_f64 v[26:27], v[26:27], -v[28:29]
	v_mul_f64 v[28:29], v[38:39], v[38:39]
	v_mov_b32_e32 v40, 0x6b47b09a
	v_mov_b32_e32 v41, 0x3fc38538
	s_mov_b32 s13, 0x3fc3ab76
	v_fmac_f64_e32 v[40:41], s[12:13], v[28:29]
	v_mov_b32_e32 v44, 0xd7f4df2e
	v_mov_b32_e32 v45, 0x3fc7474d
	v_fmac_f64_e32 v[44:45], v[28:29], v[40:41]
	v_mov_b32_e32 v40, 0x16291751
	v_mov_b32_e32 v41, 0x3fcc71c0
	;; [unrolled: 3-line block ×5, first 2 shown]
	v_fmac_f64_e32 v[44:45], v[28:29], v[40:41]
	v_cvt_f64_i32_e32 v[40:41], v58
	s_mov_b32 s17, 0x3fe62e42
	v_mul_f64 v[46:47], v[40:41], s[16:17]
	v_fma_f64 v[50:51], v[40:41], s[16:17], -v[46:47]
	s_mov_b32 s19, 0x3c7abc9e
	v_fmac_f64_e32 v[50:51], s[18:19], v[40:41]
	v_add_f64 v[40:41], v[46:47], v[50:51]
	v_add_f64 v[46:47], v[40:41], -v[46:47]
	v_mul_f64 v[28:29], v[38:39], v[28:29]
	v_add_f64 v[46:47], v[50:51], -v[46:47]
	v_ldexp_f64 v[50:51], v[38:39], 1
	v_mul_f64 v[28:29], v[28:29], v[44:45]
	v_add_f64 v[38:39], v[50:51], v[28:29]
	v_add_f64 v[44:45], v[38:39], -v[50:51]
	v_ldexp_f64 v[26:27], v[26:27], 1
	v_add_f64 v[28:29], v[28:29], -v[44:45]
	v_add_f64 v[26:27], v[26:27], v[28:29]
	v_add_f64 v[28:29], v[38:39], v[26:27]
	v_add_f64 v[38:39], v[28:29], -v[38:39]
	v_add_f64 v[26:27], v[26:27], -v[38:39]
	v_add_f64 v[38:39], v[40:41], v[28:29]
	v_add_f64 v[44:45], v[38:39], -v[40:41]
	v_add_f64 v[50:51], v[38:39], -v[44:45]
	;; [unrolled: 1-line block ×4, first 2 shown]
	v_add_f64 v[28:29], v[28:29], v[40:41]
	v_add_f64 v[40:41], v[46:47], v[26:27]
	v_add_f64 v[44:45], v[40:41], -v[46:47]
	v_add_f64 v[28:29], v[40:41], v[28:29]
	v_add_f64 v[50:51], v[40:41], -v[44:45]
	;; [unrolled: 2-line block ×3, first 2 shown]
	v_add_f64 v[26:27], v[26:27], -v[44:45]
	v_add_f64 v[38:39], v[40:41], -v[38:39]
	v_add_f64 v[26:27], v[26:27], v[46:47]
	v_add_f64 v[28:29], v[28:29], -v[38:39]
	s_mov_b32 s12, 0
	v_add_f64 v[26:27], v[26:27], v[28:29]
	s_mov_b32 s13, 0x7ff00000
	v_add_f64 v[26:27], v[40:41], v[26:27]
	v_cmp_eq_f64_e32 vcc, s[12:13], v[22:23]
	v_cndmask_b32_e32 v26, v26, v22, vcc
	v_cndmask_b32_e32 v27, v27, v23, vcc
	v_mov_b32_e32 v28, 0x7ff80000
	v_cmp_ngt_f64_e32 vcc, -1.0, v[22:23]
	v_cndmask_b32_e32 v27, v28, v27, vcc
	v_cmp_nge_f64_e32 vcc, -1.0, v[22:23]
	v_cndmask_b32_e32 v26, 0, v26, vcc
	v_mov_b32_e32 v28, 0xfff00000
	v_cmp_neq_f64_e32 vcc, -1.0, v[22:23]
	v_cndmask_b32_e32 v27, v28, v27, vcc
	v_add_f64 v[22:23], v[24:25], v[26:27]
.LBB3_35:
	s_or_b64 exec, exec, s[14:15]
	v_max_f64 v[38:39], v[10:11], v[10:11]
	v_max_f64 v[24:25], v[22:23], v[22:23]
	v_min_f64 v[26:27], v[24:25], v[38:39]
	v_cmp_u_f64_e32 vcc, v[22:23], v[22:23]
	v_max_f64 v[24:25], v[24:25], v[38:39]
	v_cndmask_b32_e32 v26, v26, v22, vcc
	v_cndmask_b32_e32 v27, v27, v23, vcc
	v_cmp_u_f64_e64 s[12:13], v[10:11], v[10:11]
	v_cndmask_b32_e32 v24, v24, v22, vcc
	v_cndmask_b32_e32 v25, v25, v23, vcc
	v_cndmask_b32_e64 v27, v27, v11, s[12:13]
	v_cndmask_b32_e64 v26, v26, v10, s[12:13]
	;; [unrolled: 1-line block ×4, first 2 shown]
	v_cmp_neq_f64_e32 vcc, v[26:27], v[24:25]
	v_cmp_class_f64_e64 s[14:15], v[26:27], s7
	s_or_b64 s[14:15], vcc, s[14:15]
	s_and_saveexec_b64 s[16:17], s[14:15]
	s_cbranch_execz .LBB3_37
; %bb.36:
	s_mov_b32 s14, 0x652b82fe
	v_add_f64 v[22:23], v[26:27], -v[24:25]
	s_mov_b32 s15, 0x3ff71547
	v_mul_f64 v[26:27], v[22:23], s[14:15]
	v_rndne_f64_e32 v[26:27], v[26:27]
	s_mov_b32 s19, 0xbfe62e42
	s_mov_b32 s18, 0xfefa39ef
	v_fma_f64 v[28:29], s[18:19], v[26:27], v[22:23]
	s_mov_b32 s23, 0xbc7abc9e
	s_mov_b32 s22, 0x3b39803f
	;; [unrolled: 1-line block ×3, first 2 shown]
	v_fmac_f64_e32 v[28:29], s[22:23], v[26:27]
	v_mov_b32_e32 v40, 0xfca7ab0c
	v_mov_b32_e32 v41, 0x3e928af3
	s_mov_b32 s15, 0x3e5ade15
	v_fmac_f64_e32 v[40:41], s[14:15], v[28:29]
	v_mov_b32_e32 v44, 0x623fde64
	v_mov_b32_e32 v45, 0x3ec71dee
	v_fmac_f64_e32 v[44:45], v[28:29], v[40:41]
	v_mov_b32_e32 v40, 0x7c89e6b0
	v_mov_b32_e32 v41, 0x3efa0199
	v_fmac_f64_e32 v[40:41], v[28:29], v[44:45]
	v_mov_b32_e32 v44, 0x14761f6e
	v_mov_b32_e32 v45, 0x3f2a01a0
	v_fmac_f64_e32 v[44:45], v[28:29], v[40:41]
	v_mov_b32_e32 v40, 0x1852b7b0
	v_mov_b32_e32 v41, 0x3f56c16c
	v_fmac_f64_e32 v[40:41], v[28:29], v[44:45]
	v_mov_b32_e32 v44, 0x11122322
	v_mov_b32_e32 v45, 0x3f811111
	v_fmac_f64_e32 v[44:45], v[28:29], v[40:41]
	v_mov_b32_e32 v40, 0x555502a1
	v_mov_b32_e32 v41, 0x3fa55555
	v_fmac_f64_e32 v[40:41], v[28:29], v[44:45]
	v_mov_b32_e32 v44, 0x55555511
	v_mov_b32_e32 v45, 0x3fc55555
	v_fmac_f64_e32 v[44:45], v[28:29], v[40:41]
	v_mov_b32_e32 v40, 11
	v_mov_b32_e32 v41, 0x3fe00000
	s_mov_b32 s14, 0
	v_fmac_f64_e32 v[40:41], v[28:29], v[44:45]
	s_mov_b32 s15, 0x40900000
	v_fma_f64 v[40:41], v[28:29], v[40:41], 1.0
	v_cmp_nlt_f64_e32 vcc, s[14:15], v[22:23]
	s_mov_b32 s14, 0
	v_fma_f64 v[28:29], v[28:29], v[40:41], 1.0
	v_cvt_i32_f64_e32 v26, v[26:27]
	s_mov_b32 s15, 0xc090cc00
	v_ldexp_f64 v[26:27], v[28:29], v26
	v_mov_b32_e32 v28, 0x7ff00000
	v_cmp_ngt_f64_e64 s[14:15], s[14:15], v[22:23]
	v_cndmask_b32_e32 v27, v28, v27, vcc
	s_and_b64 vcc, s[14:15], vcc
	v_cndmask_b32_e64 v23, 0, v27, s[14:15]
	v_cndmask_b32_e32 v22, 0, v26, vcc
	v_add_f64 v[26:27], v[22:23], 1.0
	v_add_f64 v[28:29], v[26:27], -1.0
	v_add_f64 v[40:41], v[28:29], -v[26:27]
	v_add_f64 v[40:41], v[40:41], 1.0
	v_add_f64 v[28:29], v[22:23], -v[28:29]
	s_mov_b32 s14, 0x55555555
	v_add_f64 v[28:29], v[28:29], v[40:41]
	v_frexp_mant_f64_e32 v[40:41], v[26:27]
	s_mov_b32 s15, 0x3fe55555
	v_frexp_exp_i32_f64_e32 v44, v[26:27]
	v_cmp_gt_f64_e32 vcc, s[14:15], v[40:41]
	v_subbrev_co_u32_e32 v60, vcc, 0, v44, vcc
	v_sub_u32_e32 v40, 0, v60
	v_ldexp_f64 v[26:27], v[26:27], v40
	v_ldexp_f64 v[28:29], v[28:29], v40
	v_add_f64 v[40:41], v[26:27], -1.0
	v_add_f64 v[50:51], v[26:27], 1.0
	v_add_f64 v[44:45], v[40:41], 1.0
	v_add_f64 v[52:53], v[50:51], -1.0
	v_add_f64 v[44:45], v[26:27], -v[44:45]
	v_add_f64 v[26:27], v[26:27], -v[52:53]
	v_add_f64 v[26:27], v[28:29], v[26:27]
	v_add_f64 v[44:45], v[28:29], v[44:45]
	;; [unrolled: 1-line block ×3, first 2 shown]
	v_rcp_f64_e32 v[52:53], v[28:29]
	v_add_f64 v[46:47], v[40:41], v[44:45]
	v_add_f64 v[40:41], v[46:47], -v[40:41]
	v_add_f64 v[40:41], v[44:45], -v[40:41]
	;; [unrolled: 1-line block ×4, first 2 shown]
	v_fma_f64 v[44:45], -v[28:29], v[52:53], 1.0
	v_fmac_f64_e32 v[52:53], v[44:45], v[52:53]
	v_fma_f64 v[44:45], -v[28:29], v[52:53], 1.0
	v_fmac_f64_e32 v[52:53], v[44:45], v[52:53]
	v_mul_f64 v[44:45], v[46:47], v[52:53]
	v_mul_f64 v[50:51], v[28:29], v[44:45]
	v_fma_f64 v[54:55], v[44:45], v[28:29], -v[50:51]
	v_fmac_f64_e32 v[54:55], v[44:45], v[26:27]
	v_add_f64 v[56:57], v[50:51], v[54:55]
	v_add_f64 v[58:59], v[46:47], -v[56:57]
	v_add_f64 v[46:47], v[46:47], -v[58:59]
	;; [unrolled: 1-line block ×4, first 2 shown]
	v_add_f64 v[40:41], v[40:41], v[46:47]
	v_add_f64 v[46:47], v[50:51], -v[54:55]
	v_add_f64 v[40:41], v[46:47], v[40:41]
	v_add_f64 v[46:47], v[58:59], v[40:41]
	v_add_f64 v[50:51], v[58:59], -v[46:47]
	v_add_f64 v[40:41], v[40:41], v[50:51]
	v_mul_f64 v[50:51], v[52:53], v[46:47]
	v_mul_f64 v[54:55], v[28:29], v[50:51]
	v_fma_f64 v[28:29], v[50:51], v[28:29], -v[54:55]
	v_fmac_f64_e32 v[28:29], v[50:51], v[26:27]
	v_add_f64 v[26:27], v[54:55], v[28:29]
	v_add_f64 v[56:57], v[46:47], -v[26:27]
	v_add_f64 v[46:47], v[46:47], -v[56:57]
	;; [unrolled: 1-line block ×4, first 2 shown]
	v_add_f64 v[26:27], v[40:41], v[26:27]
	v_add_f64 v[28:29], v[54:55], -v[28:29]
	v_add_f64 v[26:27], v[28:29], v[26:27]
	v_add_f64 v[28:29], v[44:45], v[50:51]
	;; [unrolled: 1-line block ×3, first 2 shown]
	v_add_f64 v[40:41], v[28:29], -v[44:45]
	v_mul_f64 v[26:27], v[52:53], v[26:27]
	v_add_f64 v[40:41], v[50:51], -v[40:41]
	v_add_f64 v[26:27], v[40:41], v[26:27]
	v_add_f64 v[40:41], v[28:29], v[26:27]
	v_add_f64 v[28:29], v[40:41], -v[28:29]
	s_mov_b32 s14, 0xbf559e2b
	v_add_f64 v[26:27], v[26:27], -v[28:29]
	v_mul_f64 v[28:29], v[40:41], v[40:41]
	v_mov_b32_e32 v44, 0x6b47b09a
	v_mov_b32_e32 v45, 0x3fc38538
	s_mov_b32 s15, 0x3fc3ab76
	v_fmac_f64_e32 v[44:45], s[14:15], v[28:29]
	v_mov_b32_e32 v46, 0xd7f4df2e
	v_mov_b32_e32 v47, 0x3fc7474d
	v_fmac_f64_e32 v[46:47], v[28:29], v[44:45]
	v_mov_b32_e32 v44, 0x16291751
	v_mov_b32_e32 v45, 0x3fcc71c0
	;; [unrolled: 3-line block ×5, first 2 shown]
	v_fmac_f64_e32 v[46:47], v[28:29], v[44:45]
	v_cvt_f64_i32_e32 v[44:45], v60
	s_mov_b32 s19, 0x3fe62e42
	v_mul_f64 v[50:51], v[44:45], s[18:19]
	v_fma_f64 v[52:53], v[44:45], s[18:19], -v[50:51]
	s_mov_b32 s23, 0x3c7abc9e
	v_fmac_f64_e32 v[52:53], s[22:23], v[44:45]
	v_add_f64 v[44:45], v[50:51], v[52:53]
	v_add_f64 v[50:51], v[44:45], -v[50:51]
	v_mul_f64 v[28:29], v[40:41], v[28:29]
	v_add_f64 v[50:51], v[52:53], -v[50:51]
	v_ldexp_f64 v[52:53], v[40:41], 1
	v_mul_f64 v[28:29], v[28:29], v[46:47]
	v_add_f64 v[40:41], v[52:53], v[28:29]
	v_add_f64 v[46:47], v[40:41], -v[52:53]
	v_ldexp_f64 v[26:27], v[26:27], 1
	v_add_f64 v[28:29], v[28:29], -v[46:47]
	v_add_f64 v[26:27], v[26:27], v[28:29]
	v_add_f64 v[28:29], v[40:41], v[26:27]
	v_add_f64 v[40:41], v[28:29], -v[40:41]
	v_add_f64 v[26:27], v[26:27], -v[40:41]
	v_add_f64 v[40:41], v[44:45], v[28:29]
	v_add_f64 v[46:47], v[40:41], -v[44:45]
	v_add_f64 v[52:53], v[40:41], -v[46:47]
	;; [unrolled: 1-line block ×4, first 2 shown]
	v_add_f64 v[28:29], v[28:29], v[44:45]
	v_add_f64 v[44:45], v[50:51], v[26:27]
	v_add_f64 v[46:47], v[44:45], -v[50:51]
	v_add_f64 v[28:29], v[44:45], v[28:29]
	v_add_f64 v[52:53], v[44:45], -v[46:47]
	;; [unrolled: 2-line block ×3, first 2 shown]
	v_add_f64 v[26:27], v[26:27], -v[46:47]
	v_add_f64 v[40:41], v[44:45], -v[40:41]
	v_add_f64 v[26:27], v[26:27], v[50:51]
	v_add_f64 v[28:29], v[28:29], -v[40:41]
	s_mov_b32 s14, 0
	v_add_f64 v[26:27], v[26:27], v[28:29]
	s_mov_b32 s15, 0x7ff00000
	v_add_f64 v[26:27], v[44:45], v[26:27]
	v_cmp_eq_f64_e32 vcc, s[14:15], v[22:23]
	v_cndmask_b32_e32 v26, v26, v22, vcc
	v_cndmask_b32_e32 v27, v27, v23, vcc
	v_mov_b32_e32 v28, 0x7ff80000
	v_cmp_ngt_f64_e32 vcc, -1.0, v[22:23]
	v_cndmask_b32_e32 v27, v28, v27, vcc
	v_cmp_nge_f64_e32 vcc, -1.0, v[22:23]
	v_cndmask_b32_e32 v26, 0, v26, vcc
	v_mov_b32_e32 v28, 0xfff00000
	v_cmp_neq_f64_e32 vcc, -1.0, v[22:23]
	v_cndmask_b32_e32 v27, v28, v27, vcc
	v_add_f64 v[22:23], v[24:25], v[26:27]
.LBB3_37:
	s_or_b64 exec, exec, s[16:17]
	v_max_f64 v[40:41], v[12:13], v[12:13]
	v_max_f64 v[24:25], v[22:23], v[22:23]
	v_min_f64 v[26:27], v[24:25], v[40:41]
	v_cmp_u_f64_e32 vcc, v[22:23], v[22:23]
	v_max_f64 v[24:25], v[24:25], v[40:41]
	v_cndmask_b32_e32 v26, v26, v22, vcc
	v_cndmask_b32_e32 v27, v27, v23, vcc
	v_cmp_u_f64_e64 s[14:15], v[12:13], v[12:13]
	v_cndmask_b32_e32 v24, v24, v22, vcc
	v_cndmask_b32_e32 v25, v25, v23, vcc
	v_cndmask_b32_e64 v27, v27, v13, s[14:15]
	v_cndmask_b32_e64 v26, v26, v12, s[14:15]
	;; [unrolled: 1-line block ×4, first 2 shown]
	v_cmp_neq_f64_e32 vcc, v[26:27], v[24:25]
	v_cmp_class_f64_e64 s[16:17], v[26:27], s7
	s_or_b64 s[16:17], vcc, s[16:17]
	s_and_saveexec_b64 s[18:19], s[16:17]
	s_cbranch_execz .LBB3_39
; %bb.38:
	s_mov_b32 s16, 0x652b82fe
	v_add_f64 v[22:23], v[26:27], -v[24:25]
	s_mov_b32 s17, 0x3ff71547
	v_mul_f64 v[26:27], v[22:23], s[16:17]
	v_rndne_f64_e32 v[26:27], v[26:27]
	s_mov_b32 s23, 0xbfe62e42
	s_mov_b32 s22, 0xfefa39ef
	v_fma_f64 v[28:29], s[22:23], v[26:27], v[22:23]
	s_mov_b32 s27, 0xbc7abc9e
	s_mov_b32 s26, 0x3b39803f
	;; [unrolled: 1-line block ×3, first 2 shown]
	v_fmac_f64_e32 v[28:29], s[26:27], v[26:27]
	v_mov_b32_e32 v44, 0xfca7ab0c
	v_mov_b32_e32 v45, 0x3e928af3
	s_mov_b32 s17, 0x3e5ade15
	v_fmac_f64_e32 v[44:45], s[16:17], v[28:29]
	v_mov_b32_e32 v46, 0x623fde64
	v_mov_b32_e32 v47, 0x3ec71dee
	v_fmac_f64_e32 v[46:47], v[28:29], v[44:45]
	v_mov_b32_e32 v44, 0x7c89e6b0
	v_mov_b32_e32 v45, 0x3efa0199
	;; [unrolled: 3-line block ×8, first 2 shown]
	s_mov_b32 s16, 0
	v_fmac_f64_e32 v[44:45], v[28:29], v[46:47]
	s_mov_b32 s17, 0x40900000
	v_fma_f64 v[44:45], v[28:29], v[44:45], 1.0
	v_cmp_nlt_f64_e32 vcc, s[16:17], v[22:23]
	s_mov_b32 s16, 0
	v_fma_f64 v[28:29], v[28:29], v[44:45], 1.0
	v_cvt_i32_f64_e32 v26, v[26:27]
	s_mov_b32 s17, 0xc090cc00
	v_ldexp_f64 v[26:27], v[28:29], v26
	v_mov_b32_e32 v28, 0x7ff00000
	v_cmp_ngt_f64_e64 s[16:17], s[16:17], v[22:23]
	v_cndmask_b32_e32 v27, v28, v27, vcc
	s_and_b64 vcc, s[16:17], vcc
	v_cndmask_b32_e64 v23, 0, v27, s[16:17]
	v_cndmask_b32_e32 v22, 0, v26, vcc
	v_add_f64 v[26:27], v[22:23], 1.0
	v_add_f64 v[28:29], v[26:27], -1.0
	v_add_f64 v[44:45], v[28:29], -v[26:27]
	v_add_f64 v[44:45], v[44:45], 1.0
	v_add_f64 v[28:29], v[22:23], -v[28:29]
	s_mov_b32 s16, 0x55555555
	v_add_f64 v[28:29], v[28:29], v[44:45]
	v_frexp_mant_f64_e32 v[44:45], v[26:27]
	s_mov_b32 s17, 0x3fe55555
	v_frexp_exp_i32_f64_e32 v46, v[26:27]
	v_cmp_gt_f64_e32 vcc, s[16:17], v[44:45]
	v_subbrev_co_u32_e32 v62, vcc, 0, v46, vcc
	v_sub_u32_e32 v44, 0, v62
	v_ldexp_f64 v[26:27], v[26:27], v44
	v_ldexp_f64 v[28:29], v[28:29], v44
	v_add_f64 v[44:45], v[26:27], -1.0
	v_add_f64 v[52:53], v[26:27], 1.0
	v_add_f64 v[46:47], v[44:45], 1.0
	v_add_f64 v[54:55], v[52:53], -1.0
	v_add_f64 v[46:47], v[26:27], -v[46:47]
	v_add_f64 v[26:27], v[26:27], -v[54:55]
	v_add_f64 v[26:27], v[28:29], v[26:27]
	v_add_f64 v[46:47], v[28:29], v[46:47]
	;; [unrolled: 1-line block ×3, first 2 shown]
	v_rcp_f64_e32 v[54:55], v[28:29]
	v_add_f64 v[50:51], v[44:45], v[46:47]
	v_add_f64 v[44:45], v[50:51], -v[44:45]
	v_add_f64 v[44:45], v[46:47], -v[44:45]
	;; [unrolled: 1-line block ×4, first 2 shown]
	v_fma_f64 v[46:47], -v[28:29], v[54:55], 1.0
	v_fmac_f64_e32 v[54:55], v[46:47], v[54:55]
	v_fma_f64 v[46:47], -v[28:29], v[54:55], 1.0
	v_fmac_f64_e32 v[54:55], v[46:47], v[54:55]
	v_mul_f64 v[46:47], v[50:51], v[54:55]
	v_mul_f64 v[52:53], v[28:29], v[46:47]
	v_fma_f64 v[56:57], v[46:47], v[28:29], -v[52:53]
	v_fmac_f64_e32 v[56:57], v[46:47], v[26:27]
	v_add_f64 v[58:59], v[52:53], v[56:57]
	v_add_f64 v[60:61], v[50:51], -v[58:59]
	v_add_f64 v[50:51], v[50:51], -v[60:61]
	;; [unrolled: 1-line block ×4, first 2 shown]
	v_add_f64 v[44:45], v[44:45], v[50:51]
	v_add_f64 v[50:51], v[52:53], -v[56:57]
	v_add_f64 v[44:45], v[50:51], v[44:45]
	v_add_f64 v[50:51], v[60:61], v[44:45]
	v_add_f64 v[52:53], v[60:61], -v[50:51]
	v_add_f64 v[44:45], v[44:45], v[52:53]
	v_mul_f64 v[52:53], v[54:55], v[50:51]
	v_mul_f64 v[56:57], v[28:29], v[52:53]
	v_fma_f64 v[28:29], v[52:53], v[28:29], -v[56:57]
	v_fmac_f64_e32 v[28:29], v[52:53], v[26:27]
	v_add_f64 v[26:27], v[56:57], v[28:29]
	v_add_f64 v[58:59], v[50:51], -v[26:27]
	v_add_f64 v[50:51], v[50:51], -v[58:59]
	;; [unrolled: 1-line block ×4, first 2 shown]
	v_add_f64 v[26:27], v[44:45], v[26:27]
	v_add_f64 v[28:29], v[56:57], -v[28:29]
	v_add_f64 v[26:27], v[28:29], v[26:27]
	v_add_f64 v[28:29], v[46:47], v[52:53]
	;; [unrolled: 1-line block ×3, first 2 shown]
	v_add_f64 v[44:45], v[28:29], -v[46:47]
	v_mul_f64 v[26:27], v[54:55], v[26:27]
	v_add_f64 v[44:45], v[52:53], -v[44:45]
	v_add_f64 v[26:27], v[44:45], v[26:27]
	v_add_f64 v[44:45], v[28:29], v[26:27]
	v_add_f64 v[28:29], v[44:45], -v[28:29]
	s_mov_b32 s16, 0xbf559e2b
	v_add_f64 v[26:27], v[26:27], -v[28:29]
	v_mul_f64 v[28:29], v[44:45], v[44:45]
	v_mov_b32_e32 v46, 0x6b47b09a
	v_mov_b32_e32 v47, 0x3fc38538
	s_mov_b32 s17, 0x3fc3ab76
	v_fmac_f64_e32 v[46:47], s[16:17], v[28:29]
	v_mov_b32_e32 v50, 0xd7f4df2e
	v_mov_b32_e32 v51, 0x3fc7474d
	v_fmac_f64_e32 v[50:51], v[28:29], v[46:47]
	v_mov_b32_e32 v46, 0x16291751
	v_mov_b32_e32 v47, 0x3fcc71c0
	v_fmac_f64_e32 v[46:47], v[28:29], v[50:51]
	v_mov_b32_e32 v50, 0x9b27acf1
	v_mov_b32_e32 v51, 0x3fd24924
	v_fmac_f64_e32 v[50:51], v[28:29], v[46:47]
	v_mov_b32_e32 v46, 0x998ef7b6
	v_mov_b32_e32 v47, 0x3fd99999
	v_fmac_f64_e32 v[46:47], v[28:29], v[50:51]
	v_mov_b32_e32 v50, 0x55555780
	v_mov_b32_e32 v51, 0x3fe55555
	v_fmac_f64_e32 v[50:51], v[28:29], v[46:47]
	v_cvt_f64_i32_e32 v[46:47], v62
	s_mov_b32 s23, 0x3fe62e42
	v_mul_f64 v[52:53], v[46:47], s[22:23]
	v_fma_f64 v[54:55], v[46:47], s[22:23], -v[52:53]
	s_mov_b32 s27, 0x3c7abc9e
	v_fmac_f64_e32 v[54:55], s[26:27], v[46:47]
	v_add_f64 v[46:47], v[52:53], v[54:55]
	v_add_f64 v[52:53], v[46:47], -v[52:53]
	v_mul_f64 v[28:29], v[44:45], v[28:29]
	v_add_f64 v[52:53], v[54:55], -v[52:53]
	v_ldexp_f64 v[54:55], v[44:45], 1
	v_mul_f64 v[28:29], v[28:29], v[50:51]
	v_add_f64 v[44:45], v[54:55], v[28:29]
	v_add_f64 v[50:51], v[44:45], -v[54:55]
	v_ldexp_f64 v[26:27], v[26:27], 1
	v_add_f64 v[28:29], v[28:29], -v[50:51]
	v_add_f64 v[26:27], v[26:27], v[28:29]
	v_add_f64 v[28:29], v[44:45], v[26:27]
	v_add_f64 v[44:45], v[28:29], -v[44:45]
	v_add_f64 v[26:27], v[26:27], -v[44:45]
	v_add_f64 v[44:45], v[46:47], v[28:29]
	v_add_f64 v[50:51], v[44:45], -v[46:47]
	v_add_f64 v[54:55], v[44:45], -v[50:51]
	;; [unrolled: 1-line block ×4, first 2 shown]
	v_add_f64 v[28:29], v[28:29], v[46:47]
	v_add_f64 v[46:47], v[52:53], v[26:27]
	v_add_f64 v[50:51], v[46:47], -v[52:53]
	v_add_f64 v[28:29], v[46:47], v[28:29]
	v_add_f64 v[54:55], v[46:47], -v[50:51]
	;; [unrolled: 2-line block ×3, first 2 shown]
	v_add_f64 v[26:27], v[26:27], -v[50:51]
	v_add_f64 v[44:45], v[46:47], -v[44:45]
	v_add_f64 v[26:27], v[26:27], v[52:53]
	v_add_f64 v[28:29], v[28:29], -v[44:45]
	s_mov_b32 s16, 0
	v_add_f64 v[26:27], v[26:27], v[28:29]
	s_mov_b32 s17, 0x7ff00000
	v_add_f64 v[26:27], v[46:47], v[26:27]
	v_cmp_eq_f64_e32 vcc, s[16:17], v[22:23]
	v_cndmask_b32_e32 v26, v26, v22, vcc
	v_cndmask_b32_e32 v27, v27, v23, vcc
	v_mov_b32_e32 v28, 0x7ff80000
	v_cmp_ngt_f64_e32 vcc, -1.0, v[22:23]
	v_cndmask_b32_e32 v27, v28, v27, vcc
	v_cmp_nge_f64_e32 vcc, -1.0, v[22:23]
	v_cndmask_b32_e32 v26, 0, v26, vcc
	v_mov_b32_e32 v28, 0xfff00000
	v_cmp_neq_f64_e32 vcc, -1.0, v[22:23]
	v_cndmask_b32_e32 v27, v28, v27, vcc
	v_add_f64 v[22:23], v[24:25], v[26:27]
.LBB3_39:
	s_or_b64 exec, exec, s[18:19]
	v_max_f64 v[44:45], v[6:7], v[6:7]
	v_max_f64 v[24:25], v[22:23], v[22:23]
	v_min_f64 v[26:27], v[24:25], v[44:45]
	v_cmp_u_f64_e32 vcc, v[22:23], v[22:23]
	v_max_f64 v[24:25], v[24:25], v[44:45]
	v_cndmask_b32_e32 v26, v26, v22, vcc
	v_cndmask_b32_e32 v27, v27, v23, vcc
	v_cmp_u_f64_e64 s[16:17], v[6:7], v[6:7]
	v_cndmask_b32_e32 v24, v24, v22, vcc
	v_cndmask_b32_e32 v25, v25, v23, vcc
	v_cndmask_b32_e64 v27, v27, v7, s[16:17]
	v_cndmask_b32_e64 v26, v26, v6, s[16:17]
	;; [unrolled: 1-line block ×4, first 2 shown]
	v_cmp_neq_f64_e32 vcc, v[26:27], v[24:25]
	v_cmp_class_f64_e64 s[18:19], v[26:27], s7
	s_or_b64 s[18:19], vcc, s[18:19]
	s_and_saveexec_b64 s[22:23], s[18:19]
	s_cbranch_execz .LBB3_41
; %bb.40:
	s_mov_b32 s18, 0x652b82fe
	v_add_f64 v[22:23], v[26:27], -v[24:25]
	s_mov_b32 s19, 0x3ff71547
	v_mul_f64 v[26:27], v[22:23], s[18:19]
	v_rndne_f64_e32 v[26:27], v[26:27]
	s_mov_b32 s27, 0xbfe62e42
	s_mov_b32 s26, 0xfefa39ef
	v_fma_f64 v[28:29], s[26:27], v[26:27], v[22:23]
	s_mov_b32 s37, 0xbc7abc9e
	s_mov_b32 s36, 0x3b39803f
	s_mov_b32 s18, 0x6a5dcb37
	v_fmac_f64_e32 v[28:29], s[36:37], v[26:27]
	v_mov_b32_e32 v46, 0xfca7ab0c
	v_mov_b32_e32 v47, 0x3e928af3
	s_mov_b32 s19, 0x3e5ade15
	v_fmac_f64_e32 v[46:47], s[18:19], v[28:29]
	v_mov_b32_e32 v50, 0x623fde64
	v_mov_b32_e32 v51, 0x3ec71dee
	v_fmac_f64_e32 v[50:51], v[28:29], v[46:47]
	v_mov_b32_e32 v46, 0x7c89e6b0
	v_mov_b32_e32 v47, 0x3efa0199
	;; [unrolled: 3-line block ×8, first 2 shown]
	s_mov_b32 s18, 0
	v_fmac_f64_e32 v[46:47], v[28:29], v[50:51]
	s_mov_b32 s19, 0x40900000
	v_fma_f64 v[46:47], v[28:29], v[46:47], 1.0
	v_cmp_nlt_f64_e32 vcc, s[18:19], v[22:23]
	s_mov_b32 s18, 0
	v_fma_f64 v[28:29], v[28:29], v[46:47], 1.0
	v_cvt_i32_f64_e32 v26, v[26:27]
	s_mov_b32 s19, 0xc090cc00
	v_ldexp_f64 v[26:27], v[28:29], v26
	v_mov_b32_e32 v28, 0x7ff00000
	v_cmp_ngt_f64_e64 s[18:19], s[18:19], v[22:23]
	v_cndmask_b32_e32 v27, v28, v27, vcc
	s_and_b64 vcc, s[18:19], vcc
	v_cndmask_b32_e64 v23, 0, v27, s[18:19]
	v_cndmask_b32_e32 v22, 0, v26, vcc
	v_add_f64 v[26:27], v[22:23], 1.0
	v_add_f64 v[28:29], v[26:27], -1.0
	v_add_f64 v[46:47], v[28:29], -v[26:27]
	v_add_f64 v[46:47], v[46:47], 1.0
	v_add_f64 v[28:29], v[22:23], -v[28:29]
	s_mov_b32 s18, 0x55555555
	v_add_f64 v[28:29], v[28:29], v[46:47]
	v_frexp_mant_f64_e32 v[46:47], v[26:27]
	s_mov_b32 s19, 0x3fe55555
	v_frexp_exp_i32_f64_e32 v50, v[26:27]
	v_cmp_gt_f64_e32 vcc, s[18:19], v[46:47]
	v_subbrev_co_u32_e32 v64, vcc, 0, v50, vcc
	v_sub_u32_e32 v46, 0, v64
	v_ldexp_f64 v[26:27], v[26:27], v46
	v_ldexp_f64 v[28:29], v[28:29], v46
	v_add_f64 v[46:47], v[26:27], -1.0
	v_add_f64 v[54:55], v[26:27], 1.0
	v_add_f64 v[50:51], v[46:47], 1.0
	v_add_f64 v[56:57], v[54:55], -1.0
	v_add_f64 v[50:51], v[26:27], -v[50:51]
	v_add_f64 v[26:27], v[26:27], -v[56:57]
	v_add_f64 v[26:27], v[28:29], v[26:27]
	v_add_f64 v[50:51], v[28:29], v[50:51]
	;; [unrolled: 1-line block ×3, first 2 shown]
	v_rcp_f64_e32 v[56:57], v[28:29]
	v_add_f64 v[52:53], v[46:47], v[50:51]
	v_add_f64 v[46:47], v[52:53], -v[46:47]
	v_add_f64 v[46:47], v[50:51], -v[46:47]
	;; [unrolled: 1-line block ×4, first 2 shown]
	v_fma_f64 v[50:51], -v[28:29], v[56:57], 1.0
	v_fmac_f64_e32 v[56:57], v[50:51], v[56:57]
	v_fma_f64 v[50:51], -v[28:29], v[56:57], 1.0
	v_fmac_f64_e32 v[56:57], v[50:51], v[56:57]
	v_mul_f64 v[50:51], v[52:53], v[56:57]
	v_mul_f64 v[54:55], v[28:29], v[50:51]
	v_fma_f64 v[58:59], v[50:51], v[28:29], -v[54:55]
	v_fmac_f64_e32 v[58:59], v[50:51], v[26:27]
	v_add_f64 v[60:61], v[54:55], v[58:59]
	v_add_f64 v[62:63], v[52:53], -v[60:61]
	v_add_f64 v[52:53], v[52:53], -v[62:63]
	;; [unrolled: 1-line block ×4, first 2 shown]
	v_add_f64 v[46:47], v[46:47], v[52:53]
	v_add_f64 v[52:53], v[54:55], -v[58:59]
	v_add_f64 v[46:47], v[52:53], v[46:47]
	v_add_f64 v[52:53], v[62:63], v[46:47]
	v_add_f64 v[54:55], v[62:63], -v[52:53]
	v_add_f64 v[46:47], v[46:47], v[54:55]
	v_mul_f64 v[54:55], v[56:57], v[52:53]
	v_mul_f64 v[58:59], v[28:29], v[54:55]
	v_fma_f64 v[28:29], v[54:55], v[28:29], -v[58:59]
	v_fmac_f64_e32 v[28:29], v[54:55], v[26:27]
	v_add_f64 v[26:27], v[58:59], v[28:29]
	v_add_f64 v[60:61], v[52:53], -v[26:27]
	v_add_f64 v[52:53], v[52:53], -v[60:61]
	;; [unrolled: 1-line block ×4, first 2 shown]
	v_add_f64 v[26:27], v[46:47], v[26:27]
	v_add_f64 v[28:29], v[58:59], -v[28:29]
	v_add_f64 v[26:27], v[28:29], v[26:27]
	v_add_f64 v[28:29], v[50:51], v[54:55]
	;; [unrolled: 1-line block ×3, first 2 shown]
	v_add_f64 v[46:47], v[28:29], -v[50:51]
	v_mul_f64 v[26:27], v[56:57], v[26:27]
	v_add_f64 v[46:47], v[54:55], -v[46:47]
	v_add_f64 v[26:27], v[46:47], v[26:27]
	v_add_f64 v[46:47], v[28:29], v[26:27]
	v_add_f64 v[28:29], v[46:47], -v[28:29]
	s_mov_b32 s18, 0xbf559e2b
	v_add_f64 v[26:27], v[26:27], -v[28:29]
	v_mul_f64 v[28:29], v[46:47], v[46:47]
	v_mov_b32_e32 v50, 0x6b47b09a
	v_mov_b32_e32 v51, 0x3fc38538
	s_mov_b32 s19, 0x3fc3ab76
	v_fmac_f64_e32 v[50:51], s[18:19], v[28:29]
	v_mov_b32_e32 v52, 0xd7f4df2e
	v_mov_b32_e32 v53, 0x3fc7474d
	v_fmac_f64_e32 v[52:53], v[28:29], v[50:51]
	v_mov_b32_e32 v50, 0x16291751
	v_mov_b32_e32 v51, 0x3fcc71c0
	;; [unrolled: 3-line block ×5, first 2 shown]
	v_fmac_f64_e32 v[52:53], v[28:29], v[50:51]
	v_cvt_f64_i32_e32 v[50:51], v64
	s_mov_b32 s27, 0x3fe62e42
	v_mul_f64 v[54:55], v[50:51], s[26:27]
	v_fma_f64 v[56:57], v[50:51], s[26:27], -v[54:55]
	s_mov_b32 s37, 0x3c7abc9e
	v_fmac_f64_e32 v[56:57], s[36:37], v[50:51]
	v_add_f64 v[50:51], v[54:55], v[56:57]
	v_add_f64 v[54:55], v[50:51], -v[54:55]
	v_mul_f64 v[28:29], v[46:47], v[28:29]
	v_add_f64 v[54:55], v[56:57], -v[54:55]
	v_ldexp_f64 v[56:57], v[46:47], 1
	v_mul_f64 v[28:29], v[28:29], v[52:53]
	v_add_f64 v[46:47], v[56:57], v[28:29]
	v_add_f64 v[52:53], v[46:47], -v[56:57]
	v_ldexp_f64 v[26:27], v[26:27], 1
	v_add_f64 v[28:29], v[28:29], -v[52:53]
	v_add_f64 v[26:27], v[26:27], v[28:29]
	v_add_f64 v[28:29], v[46:47], v[26:27]
	v_add_f64 v[46:47], v[28:29], -v[46:47]
	v_add_f64 v[26:27], v[26:27], -v[46:47]
	v_add_f64 v[46:47], v[50:51], v[28:29]
	v_add_f64 v[52:53], v[46:47], -v[50:51]
	v_add_f64 v[56:57], v[46:47], -v[52:53]
	;; [unrolled: 1-line block ×4, first 2 shown]
	v_add_f64 v[28:29], v[28:29], v[50:51]
	v_add_f64 v[50:51], v[54:55], v[26:27]
	v_add_f64 v[52:53], v[50:51], -v[54:55]
	v_add_f64 v[28:29], v[50:51], v[28:29]
	v_add_f64 v[56:57], v[50:51], -v[52:53]
	;; [unrolled: 2-line block ×3, first 2 shown]
	v_add_f64 v[26:27], v[26:27], -v[52:53]
	v_add_f64 v[46:47], v[50:51], -v[46:47]
	v_add_f64 v[26:27], v[26:27], v[54:55]
	v_add_f64 v[28:29], v[28:29], -v[46:47]
	s_mov_b32 s18, 0
	v_add_f64 v[26:27], v[26:27], v[28:29]
	s_mov_b32 s19, 0x7ff00000
	v_add_f64 v[26:27], v[50:51], v[26:27]
	v_cmp_eq_f64_e32 vcc, s[18:19], v[22:23]
	v_cndmask_b32_e32 v26, v26, v22, vcc
	v_cndmask_b32_e32 v27, v27, v23, vcc
	v_mov_b32_e32 v28, 0x7ff80000
	v_cmp_ngt_f64_e32 vcc, -1.0, v[22:23]
	v_cndmask_b32_e32 v27, v28, v27, vcc
	v_cmp_nge_f64_e32 vcc, -1.0, v[22:23]
	v_cndmask_b32_e32 v26, 0, v26, vcc
	v_mov_b32_e32 v28, 0xfff00000
	v_cmp_neq_f64_e32 vcc, -1.0, v[22:23]
	v_cndmask_b32_e32 v27, v28, v27, vcc
	v_add_f64 v[22:23], v[24:25], v[26:27]
.LBB3_41:
	s_or_b64 exec, exec, s[22:23]
	v_max_f64 v[46:47], v[8:9], v[8:9]
	v_max_f64 v[24:25], v[22:23], v[22:23]
	v_min_f64 v[26:27], v[24:25], v[46:47]
	v_cmp_u_f64_e32 vcc, v[22:23], v[22:23]
	v_max_f64 v[24:25], v[24:25], v[46:47]
	v_cndmask_b32_e32 v26, v26, v22, vcc
	v_cndmask_b32_e32 v27, v27, v23, vcc
	v_cmp_u_f64_e64 s[18:19], v[8:9], v[8:9]
	v_cndmask_b32_e32 v24, v24, v22, vcc
	v_cndmask_b32_e32 v25, v25, v23, vcc
	v_cndmask_b32_e64 v27, v27, v9, s[18:19]
	v_cndmask_b32_e64 v26, v26, v8, s[18:19]
	;; [unrolled: 1-line block ×4, first 2 shown]
	v_cmp_neq_f64_e32 vcc, v[26:27], v[24:25]
	v_cmp_class_f64_e64 s[22:23], v[26:27], s7
	s_or_b64 s[22:23], vcc, s[22:23]
	s_and_saveexec_b64 s[26:27], s[22:23]
	s_cbranch_execz .LBB3_43
; %bb.42:
	s_mov_b32 s22, 0x652b82fe
	v_add_f64 v[22:23], v[26:27], -v[24:25]
	s_mov_b32 s23, 0x3ff71547
	v_mul_f64 v[26:27], v[22:23], s[22:23]
	v_rndne_f64_e32 v[26:27], v[26:27]
	s_mov_b32 s37, 0xbfe62e42
	s_mov_b32 s36, 0xfefa39ef
	v_fma_f64 v[28:29], s[36:37], v[26:27], v[22:23]
	s_mov_b32 s39, 0xbc7abc9e
	s_mov_b32 s38, 0x3b39803f
	s_mov_b32 s22, 0x6a5dcb37
	v_fmac_f64_e32 v[28:29], s[38:39], v[26:27]
	v_mov_b32_e32 v50, 0xfca7ab0c
	v_mov_b32_e32 v51, 0x3e928af3
	s_mov_b32 s23, 0x3e5ade15
	v_fmac_f64_e32 v[50:51], s[22:23], v[28:29]
	v_mov_b32_e32 v52, 0x623fde64
	v_mov_b32_e32 v53, 0x3ec71dee
	v_fmac_f64_e32 v[52:53], v[28:29], v[50:51]
	v_mov_b32_e32 v50, 0x7c89e6b0
	v_mov_b32_e32 v51, 0x3efa0199
	;; [unrolled: 3-line block ×8, first 2 shown]
	s_mov_b32 s22, 0
	v_fmac_f64_e32 v[50:51], v[28:29], v[52:53]
	s_mov_b32 s23, 0x40900000
	v_fma_f64 v[50:51], v[28:29], v[50:51], 1.0
	v_cmp_nlt_f64_e32 vcc, s[22:23], v[22:23]
	s_mov_b32 s22, 0
	v_fma_f64 v[28:29], v[28:29], v[50:51], 1.0
	v_cvt_i32_f64_e32 v26, v[26:27]
	s_mov_b32 s23, 0xc090cc00
	v_ldexp_f64 v[26:27], v[28:29], v26
	v_mov_b32_e32 v28, 0x7ff00000
	v_cmp_ngt_f64_e64 s[22:23], s[22:23], v[22:23]
	v_cndmask_b32_e32 v27, v28, v27, vcc
	s_and_b64 vcc, s[22:23], vcc
	v_cndmask_b32_e64 v23, 0, v27, s[22:23]
	v_cndmask_b32_e32 v22, 0, v26, vcc
	v_add_f64 v[26:27], v[22:23], 1.0
	v_add_f64 v[28:29], v[26:27], -1.0
	v_add_f64 v[50:51], v[28:29], -v[26:27]
	v_add_f64 v[50:51], v[50:51], 1.0
	v_add_f64 v[28:29], v[22:23], -v[28:29]
	s_mov_b32 s22, 0x55555555
	v_add_f64 v[28:29], v[28:29], v[50:51]
	v_frexp_mant_f64_e32 v[50:51], v[26:27]
	s_mov_b32 s23, 0x3fe55555
	v_frexp_exp_i32_f64_e32 v52, v[26:27]
	v_cmp_gt_f64_e32 vcc, s[22:23], v[50:51]
	v_subbrev_co_u32_e32 v66, vcc, 0, v52, vcc
	v_sub_u32_e32 v50, 0, v66
	v_ldexp_f64 v[26:27], v[26:27], v50
	v_ldexp_f64 v[28:29], v[28:29], v50
	v_add_f64 v[50:51], v[26:27], -1.0
	v_add_f64 v[56:57], v[26:27], 1.0
	v_add_f64 v[52:53], v[50:51], 1.0
	v_add_f64 v[58:59], v[56:57], -1.0
	v_add_f64 v[52:53], v[26:27], -v[52:53]
	v_add_f64 v[26:27], v[26:27], -v[58:59]
	v_add_f64 v[26:27], v[28:29], v[26:27]
	v_add_f64 v[52:53], v[28:29], v[52:53]
	;; [unrolled: 1-line block ×3, first 2 shown]
	v_rcp_f64_e32 v[58:59], v[28:29]
	v_add_f64 v[54:55], v[50:51], v[52:53]
	v_add_f64 v[50:51], v[54:55], -v[50:51]
	v_add_f64 v[50:51], v[52:53], -v[50:51]
	;; [unrolled: 1-line block ×4, first 2 shown]
	v_fma_f64 v[52:53], -v[28:29], v[58:59], 1.0
	v_fmac_f64_e32 v[58:59], v[52:53], v[58:59]
	v_fma_f64 v[52:53], -v[28:29], v[58:59], 1.0
	v_fmac_f64_e32 v[58:59], v[52:53], v[58:59]
	v_mul_f64 v[52:53], v[54:55], v[58:59]
	v_mul_f64 v[56:57], v[28:29], v[52:53]
	v_fma_f64 v[60:61], v[52:53], v[28:29], -v[56:57]
	v_fmac_f64_e32 v[60:61], v[52:53], v[26:27]
	v_add_f64 v[62:63], v[56:57], v[60:61]
	v_add_f64 v[64:65], v[54:55], -v[62:63]
	v_add_f64 v[54:55], v[54:55], -v[64:65]
	;; [unrolled: 1-line block ×4, first 2 shown]
	v_add_f64 v[50:51], v[50:51], v[54:55]
	v_add_f64 v[54:55], v[56:57], -v[60:61]
	v_add_f64 v[50:51], v[54:55], v[50:51]
	v_add_f64 v[54:55], v[64:65], v[50:51]
	v_add_f64 v[56:57], v[64:65], -v[54:55]
	v_add_f64 v[50:51], v[50:51], v[56:57]
	v_mul_f64 v[56:57], v[58:59], v[54:55]
	v_mul_f64 v[60:61], v[28:29], v[56:57]
	v_fma_f64 v[28:29], v[56:57], v[28:29], -v[60:61]
	v_fmac_f64_e32 v[28:29], v[56:57], v[26:27]
	v_add_f64 v[26:27], v[60:61], v[28:29]
	v_add_f64 v[62:63], v[54:55], -v[26:27]
	v_add_f64 v[54:55], v[54:55], -v[62:63]
	;; [unrolled: 1-line block ×4, first 2 shown]
	v_add_f64 v[26:27], v[50:51], v[26:27]
	v_add_f64 v[28:29], v[60:61], -v[28:29]
	v_add_f64 v[26:27], v[28:29], v[26:27]
	v_add_f64 v[28:29], v[52:53], v[56:57]
	;; [unrolled: 1-line block ×3, first 2 shown]
	v_add_f64 v[50:51], v[28:29], -v[52:53]
	v_mul_f64 v[26:27], v[58:59], v[26:27]
	v_add_f64 v[50:51], v[56:57], -v[50:51]
	v_add_f64 v[26:27], v[50:51], v[26:27]
	v_add_f64 v[50:51], v[28:29], v[26:27]
	v_add_f64 v[28:29], v[50:51], -v[28:29]
	s_mov_b32 s22, 0xbf559e2b
	v_add_f64 v[26:27], v[26:27], -v[28:29]
	v_mul_f64 v[28:29], v[50:51], v[50:51]
	v_mov_b32_e32 v52, 0x6b47b09a
	v_mov_b32_e32 v53, 0x3fc38538
	s_mov_b32 s23, 0x3fc3ab76
	v_fmac_f64_e32 v[52:53], s[22:23], v[28:29]
	v_mov_b32_e32 v54, 0xd7f4df2e
	v_mov_b32_e32 v55, 0x3fc7474d
	v_fmac_f64_e32 v[54:55], v[28:29], v[52:53]
	v_mov_b32_e32 v52, 0x16291751
	v_mov_b32_e32 v53, 0x3fcc71c0
	;; [unrolled: 3-line block ×5, first 2 shown]
	v_fmac_f64_e32 v[54:55], v[28:29], v[52:53]
	v_cvt_f64_i32_e32 v[52:53], v66
	s_mov_b32 s37, 0x3fe62e42
	v_mul_f64 v[56:57], v[52:53], s[36:37]
	v_fma_f64 v[58:59], v[52:53], s[36:37], -v[56:57]
	s_mov_b32 s39, 0x3c7abc9e
	v_fmac_f64_e32 v[58:59], s[38:39], v[52:53]
	v_add_f64 v[52:53], v[56:57], v[58:59]
	v_add_f64 v[56:57], v[52:53], -v[56:57]
	v_mul_f64 v[28:29], v[50:51], v[28:29]
	v_add_f64 v[56:57], v[58:59], -v[56:57]
	v_ldexp_f64 v[58:59], v[50:51], 1
	v_mul_f64 v[28:29], v[28:29], v[54:55]
	v_add_f64 v[50:51], v[58:59], v[28:29]
	v_add_f64 v[54:55], v[50:51], -v[58:59]
	v_ldexp_f64 v[26:27], v[26:27], 1
	v_add_f64 v[28:29], v[28:29], -v[54:55]
	v_add_f64 v[26:27], v[26:27], v[28:29]
	v_add_f64 v[28:29], v[50:51], v[26:27]
	v_add_f64 v[50:51], v[28:29], -v[50:51]
	v_add_f64 v[26:27], v[26:27], -v[50:51]
	v_add_f64 v[50:51], v[52:53], v[28:29]
	v_add_f64 v[54:55], v[50:51], -v[52:53]
	v_add_f64 v[58:59], v[50:51], -v[54:55]
	;; [unrolled: 1-line block ×4, first 2 shown]
	v_add_f64 v[28:29], v[28:29], v[52:53]
	v_add_f64 v[52:53], v[56:57], v[26:27]
	v_add_f64 v[54:55], v[52:53], -v[56:57]
	v_add_f64 v[28:29], v[52:53], v[28:29]
	v_add_f64 v[58:59], v[52:53], -v[54:55]
	v_add_f64 v[52:53], v[50:51], v[28:29]
	v_add_f64 v[56:57], v[56:57], -v[58:59]
	v_add_f64 v[26:27], v[26:27], -v[54:55]
	v_add_f64 v[50:51], v[52:53], -v[50:51]
	v_add_f64 v[26:27], v[26:27], v[56:57]
	v_add_f64 v[28:29], v[28:29], -v[50:51]
	s_mov_b32 s22, 0
	v_add_f64 v[26:27], v[26:27], v[28:29]
	s_mov_b32 s23, 0x7ff00000
	v_add_f64 v[26:27], v[52:53], v[26:27]
	v_cmp_eq_f64_e32 vcc, s[22:23], v[22:23]
	v_cndmask_b32_e32 v26, v26, v22, vcc
	v_cndmask_b32_e32 v27, v27, v23, vcc
	v_mov_b32_e32 v28, 0x7ff80000
	v_cmp_ngt_f64_e32 vcc, -1.0, v[22:23]
	v_cndmask_b32_e32 v27, v28, v27, vcc
	v_cmp_nge_f64_e32 vcc, -1.0, v[22:23]
	v_cndmask_b32_e32 v26, 0, v26, vcc
	v_mov_b32_e32 v28, 0xfff00000
	v_cmp_neq_f64_e32 vcc, -1.0, v[22:23]
	v_cndmask_b32_e32 v27, v28, v27, vcc
	v_add_f64 v[22:23], v[24:25], v[26:27]
.LBB3_43:
	s_or_b64 exec, exec, s[26:27]
	v_mbcnt_lo_u32_b32 v24, -1, 0
	v_mbcnt_hi_u32_b32 v53, -1, v24
	v_and_b32_e32 v28, 15, v53
	v_mov_b32_dpp v24, v22 row_shr:1 row_mask:0xf bank_mask:0xf
	v_mov_b32_dpp v25, v23 row_shr:1 row_mask:0xf bank_mask:0xf
	v_cmp_ne_u32_e32 vcc, 0, v28
	v_mov_b32_e32 v26, v22
	v_mov_b32_e32 v27, v23
	s_and_saveexec_b64 s[26:27], vcc
	s_cbranch_execz .LBB3_47
; %bb.44:
	v_max_f64 v[50:51], v[24:25], v[24:25]
	v_max_f64 v[54:55], v[22:23], v[22:23]
	v_min_f64 v[26:27], v[50:51], v[54:55]
	v_cmp_u_f64_e32 vcc, v[24:25], v[24:25]
	v_max_f64 v[50:51], v[50:51], v[54:55]
	v_cndmask_b32_e32 v26, v26, v24, vcc
	v_cndmask_b32_e32 v27, v27, v25, vcc
	v_cmp_u_f64_e64 s[22:23], v[22:23], v[22:23]
	v_cndmask_b32_e32 v29, v50, v24, vcc
	v_cndmask_b32_e32 v50, v51, v25, vcc
	v_cndmask_b32_e64 v27, v27, v23, s[22:23]
	v_cndmask_b32_e64 v26, v26, v22, s[22:23]
	;; [unrolled: 1-line block ×4, first 2 shown]
	v_cmp_neq_f64_e32 vcc, v[26:27], v[22:23]
	v_cmp_class_f64_e64 s[22:23], v[26:27], s7
	s_or_b64 s[22:23], vcc, s[22:23]
	s_and_saveexec_b64 s[36:37], s[22:23]
	s_cbranch_execz .LBB3_46
; %bb.45:
	s_mov_b32 s22, 0x652b82fe
	v_add_f64 v[24:25], v[26:27], -v[22:23]
	s_mov_b32 s23, 0x3ff71547
	v_mul_f64 v[26:27], v[24:25], s[22:23]
	v_rndne_f64_e32 v[26:27], v[26:27]
	s_mov_b32 s39, 0xbfe62e42
	s_mov_b32 s38, 0xfefa39ef
	v_fma_f64 v[50:51], s[38:39], v[26:27], v[24:25]
	s_mov_b32 s41, 0xbc7abc9e
	s_mov_b32 s40, 0x3b39803f
	;; [unrolled: 1-line block ×3, first 2 shown]
	v_fmac_f64_e32 v[50:51], s[40:41], v[26:27]
	v_mov_b32_e32 v54, 0xfca7ab0c
	v_mov_b32_e32 v55, 0x3e928af3
	s_mov_b32 s23, 0x3e5ade15
	v_fmac_f64_e32 v[54:55], s[22:23], v[50:51]
	v_mov_b32_e32 v56, 0x623fde64
	v_mov_b32_e32 v57, 0x3ec71dee
	v_fmac_f64_e32 v[56:57], v[50:51], v[54:55]
	v_mov_b32_e32 v54, 0x7c89e6b0
	v_mov_b32_e32 v55, 0x3efa0199
	;; [unrolled: 3-line block ×8, first 2 shown]
	s_mov_b32 s22, 0
	v_fmac_f64_e32 v[54:55], v[50:51], v[56:57]
	s_mov_b32 s23, 0x40900000
	v_fma_f64 v[54:55], v[50:51], v[54:55], 1.0
	v_cmp_nlt_f64_e32 vcc, s[22:23], v[24:25]
	s_mov_b32 s22, 0
	v_fma_f64 v[50:51], v[50:51], v[54:55], 1.0
	v_cvt_i32_f64_e32 v26, v[26:27]
	s_mov_b32 s23, 0xc090cc00
	v_ldexp_f64 v[26:27], v[50:51], v26
	v_mov_b32_e32 v29, 0x7ff00000
	v_cmp_ngt_f64_e64 s[22:23], s[22:23], v[24:25]
	v_cndmask_b32_e32 v27, v29, v27, vcc
	s_and_b64 vcc, s[22:23], vcc
	v_cndmask_b32_e64 v25, 0, v27, s[22:23]
	v_cndmask_b32_e32 v24, 0, v26, vcc
	v_add_f64 v[26:27], v[24:25], 1.0
	v_add_f64 v[50:51], v[26:27], -1.0
	v_add_f64 v[54:55], v[50:51], -v[26:27]
	v_add_f64 v[54:55], v[54:55], 1.0
	v_add_f64 v[50:51], v[24:25], -v[50:51]
	s_mov_b32 s22, 0x55555555
	v_add_f64 v[50:51], v[50:51], v[54:55]
	v_frexp_mant_f64_e32 v[54:55], v[26:27]
	s_mov_b32 s23, 0x3fe55555
	v_frexp_exp_i32_f64_e32 v29, v[26:27]
	v_cmp_gt_f64_e32 vcc, s[22:23], v[54:55]
	v_subbrev_co_u32_e32 v29, vcc, 0, v29, vcc
	v_sub_u32_e32 v52, 0, v29
	v_ldexp_f64 v[26:27], v[26:27], v52
	v_add_f64 v[54:55], v[26:27], -1.0
	v_add_f64 v[60:61], v[26:27], 1.0
	v_add_f64 v[56:57], v[54:55], 1.0
	v_add_f64 v[62:63], v[60:61], -1.0
	v_ldexp_f64 v[50:51], v[50:51], v52
	v_add_f64 v[56:57], v[26:27], -v[56:57]
	v_add_f64 v[26:27], v[26:27], -v[62:63]
	v_add_f64 v[26:27], v[50:51], v[26:27]
	v_add_f64 v[56:57], v[50:51], v[56:57]
	v_add_f64 v[50:51], v[60:61], v[26:27]
	v_rcp_f64_e32 v[62:63], v[50:51]
	v_add_f64 v[58:59], v[54:55], v[56:57]
	v_add_f64 v[54:55], v[58:59], -v[54:55]
	v_add_f64 v[54:55], v[56:57], -v[54:55]
	;; [unrolled: 1-line block ×4, first 2 shown]
	v_fma_f64 v[56:57], -v[50:51], v[62:63], 1.0
	v_fmac_f64_e32 v[62:63], v[56:57], v[62:63]
	v_fma_f64 v[56:57], -v[50:51], v[62:63], 1.0
	v_fmac_f64_e32 v[62:63], v[56:57], v[62:63]
	v_mul_f64 v[56:57], v[58:59], v[62:63]
	v_mul_f64 v[60:61], v[50:51], v[56:57]
	v_fma_f64 v[64:65], v[56:57], v[50:51], -v[60:61]
	v_fmac_f64_e32 v[64:65], v[56:57], v[26:27]
	v_add_f64 v[66:67], v[60:61], v[64:65]
	v_add_f64 v[68:69], v[58:59], -v[66:67]
	v_add_f64 v[58:59], v[58:59], -v[68:69]
	;; [unrolled: 1-line block ×4, first 2 shown]
	v_add_f64 v[54:55], v[54:55], v[58:59]
	v_add_f64 v[58:59], v[60:61], -v[64:65]
	v_add_f64 v[54:55], v[58:59], v[54:55]
	v_add_f64 v[58:59], v[68:69], v[54:55]
	v_add_f64 v[60:61], v[68:69], -v[58:59]
	v_add_f64 v[54:55], v[54:55], v[60:61]
	v_mul_f64 v[60:61], v[62:63], v[58:59]
	v_mul_f64 v[64:65], v[50:51], v[60:61]
	v_fma_f64 v[50:51], v[60:61], v[50:51], -v[64:65]
	v_fmac_f64_e32 v[50:51], v[60:61], v[26:27]
	v_add_f64 v[26:27], v[64:65], v[50:51]
	v_add_f64 v[66:67], v[58:59], -v[26:27]
	v_add_f64 v[58:59], v[58:59], -v[66:67]
	;; [unrolled: 1-line block ×4, first 2 shown]
	v_add_f64 v[26:27], v[54:55], v[26:27]
	v_add_f64 v[50:51], v[64:65], -v[50:51]
	v_add_f64 v[26:27], v[50:51], v[26:27]
	v_add_f64 v[50:51], v[56:57], v[60:61]
	v_add_f64 v[26:27], v[66:67], v[26:27]
	v_add_f64 v[54:55], v[50:51], -v[56:57]
	v_mul_f64 v[26:27], v[62:63], v[26:27]
	v_add_f64 v[54:55], v[60:61], -v[54:55]
	v_add_f64 v[26:27], v[54:55], v[26:27]
	v_add_f64 v[54:55], v[50:51], v[26:27]
	v_add_f64 v[50:51], v[54:55], -v[50:51]
	s_mov_b32 s22, 0xbf559e2b
	v_add_f64 v[26:27], v[26:27], -v[50:51]
	v_mul_f64 v[50:51], v[54:55], v[54:55]
	v_mov_b32_e32 v56, 0x6b47b09a
	v_mov_b32_e32 v57, 0x3fc38538
	s_mov_b32 s23, 0x3fc3ab76
	v_fmac_f64_e32 v[56:57], s[22:23], v[50:51]
	v_mov_b32_e32 v58, 0xd7f4df2e
	v_mov_b32_e32 v59, 0x3fc7474d
	v_fmac_f64_e32 v[58:59], v[50:51], v[56:57]
	v_mov_b32_e32 v56, 0x16291751
	v_mov_b32_e32 v57, 0x3fcc71c0
	;; [unrolled: 3-line block ×5, first 2 shown]
	v_fmac_f64_e32 v[58:59], v[50:51], v[56:57]
	v_cvt_f64_i32_e32 v[56:57], v29
	s_mov_b32 s39, 0x3fe62e42
	v_mul_f64 v[60:61], v[56:57], s[38:39]
	v_fma_f64 v[62:63], v[56:57], s[38:39], -v[60:61]
	s_mov_b32 s41, 0x3c7abc9e
	v_fmac_f64_e32 v[62:63], s[40:41], v[56:57]
	v_add_f64 v[56:57], v[60:61], v[62:63]
	v_add_f64 v[60:61], v[56:57], -v[60:61]
	v_mul_f64 v[50:51], v[54:55], v[50:51]
	v_add_f64 v[60:61], v[62:63], -v[60:61]
	v_ldexp_f64 v[62:63], v[54:55], 1
	v_mul_f64 v[50:51], v[50:51], v[58:59]
	v_add_f64 v[54:55], v[62:63], v[50:51]
	v_add_f64 v[58:59], v[54:55], -v[62:63]
	v_ldexp_f64 v[26:27], v[26:27], 1
	v_add_f64 v[50:51], v[50:51], -v[58:59]
	v_add_f64 v[26:27], v[26:27], v[50:51]
	v_add_f64 v[50:51], v[54:55], v[26:27]
	v_add_f64 v[54:55], v[50:51], -v[54:55]
	v_add_f64 v[26:27], v[26:27], -v[54:55]
	v_add_f64 v[54:55], v[56:57], v[50:51]
	v_add_f64 v[58:59], v[54:55], -v[56:57]
	v_add_f64 v[62:63], v[54:55], -v[58:59]
	;; [unrolled: 1-line block ×4, first 2 shown]
	v_add_f64 v[50:51], v[50:51], v[56:57]
	v_add_f64 v[56:57], v[60:61], v[26:27]
	v_add_f64 v[58:59], v[56:57], -v[60:61]
	v_add_f64 v[50:51], v[56:57], v[50:51]
	v_add_f64 v[62:63], v[56:57], -v[58:59]
	;; [unrolled: 2-line block ×3, first 2 shown]
	v_add_f64 v[26:27], v[26:27], -v[58:59]
	v_add_f64 v[54:55], v[56:57], -v[54:55]
	v_add_f64 v[26:27], v[26:27], v[60:61]
	v_add_f64 v[50:51], v[50:51], -v[54:55]
	s_mov_b32 s22, 0
	v_add_f64 v[26:27], v[26:27], v[50:51]
	s_mov_b32 s23, 0x7ff00000
	v_add_f64 v[26:27], v[56:57], v[26:27]
	v_cmp_eq_f64_e32 vcc, s[22:23], v[24:25]
	v_cndmask_b32_e32 v26, v26, v24, vcc
	v_cndmask_b32_e32 v27, v27, v25, vcc
	v_mov_b32_e32 v29, 0x7ff80000
	v_cmp_ngt_f64_e32 vcc, -1.0, v[24:25]
	v_cndmask_b32_e32 v27, v29, v27, vcc
	v_cmp_nge_f64_e32 vcc, -1.0, v[24:25]
	v_cndmask_b32_e32 v26, 0, v26, vcc
	v_mov_b32_e32 v29, 0xfff00000
	v_cmp_neq_f64_e32 vcc, -1.0, v[24:25]
	v_cndmask_b32_e32 v27, v29, v27, vcc
	v_add_f64 v[24:25], v[22:23], v[26:27]
.LBB3_46:
	s_or_b64 exec, exec, s[36:37]
	v_mov_b32_e32 v26, v24
	v_mov_b32_e32 v27, v25
	v_pk_mov_b32 v[22:23], v[24:25], v[24:25] op_sel:[0,1]
.LBB3_47:
	s_or_b64 exec, exec, s[26:27]
	v_mov_b32_dpp v24, v26 row_shr:2 row_mask:0xf bank_mask:0xf
	v_mov_b32_dpp v25, v27 row_shr:2 row_mask:0xf bank_mask:0xf
	v_cmp_lt_u32_e32 vcc, 1, v28
	s_and_saveexec_b64 s[26:27], vcc
	s_cbranch_execz .LBB3_51
; %bb.48:
	v_max_f64 v[50:51], v[24:25], v[24:25]
	v_max_f64 v[54:55], v[22:23], v[22:23]
	v_min_f64 v[26:27], v[50:51], v[54:55]
	v_cmp_u_f64_e32 vcc, v[24:25], v[24:25]
	v_max_f64 v[50:51], v[50:51], v[54:55]
	v_cndmask_b32_e32 v26, v26, v24, vcc
	v_cndmask_b32_e32 v27, v27, v25, vcc
	v_cmp_u_f64_e64 s[22:23], v[22:23], v[22:23]
	v_cndmask_b32_e32 v29, v50, v24, vcc
	v_cndmask_b32_e32 v50, v51, v25, vcc
	v_cndmask_b32_e64 v27, v27, v23, s[22:23]
	v_cndmask_b32_e64 v26, v26, v22, s[22:23]
	;; [unrolled: 1-line block ×4, first 2 shown]
	v_cmp_neq_f64_e32 vcc, v[26:27], v[22:23]
	v_cmp_class_f64_e64 s[22:23], v[26:27], s7
	s_or_b64 s[22:23], vcc, s[22:23]
	s_and_saveexec_b64 s[36:37], s[22:23]
	s_cbranch_execz .LBB3_50
; %bb.49:
	s_mov_b32 s22, 0x652b82fe
	v_add_f64 v[24:25], v[26:27], -v[22:23]
	s_mov_b32 s23, 0x3ff71547
	v_mul_f64 v[26:27], v[24:25], s[22:23]
	v_rndne_f64_e32 v[26:27], v[26:27]
	s_mov_b32 s39, 0xbfe62e42
	s_mov_b32 s38, 0xfefa39ef
	v_fma_f64 v[50:51], s[38:39], v[26:27], v[24:25]
	s_mov_b32 s41, 0xbc7abc9e
	s_mov_b32 s40, 0x3b39803f
	;; [unrolled: 1-line block ×3, first 2 shown]
	v_fmac_f64_e32 v[50:51], s[40:41], v[26:27]
	v_mov_b32_e32 v54, 0xfca7ab0c
	v_mov_b32_e32 v55, 0x3e928af3
	s_mov_b32 s23, 0x3e5ade15
	v_fmac_f64_e32 v[54:55], s[22:23], v[50:51]
	v_mov_b32_e32 v56, 0x623fde64
	v_mov_b32_e32 v57, 0x3ec71dee
	v_fmac_f64_e32 v[56:57], v[50:51], v[54:55]
	v_mov_b32_e32 v54, 0x7c89e6b0
	v_mov_b32_e32 v55, 0x3efa0199
	;; [unrolled: 3-line block ×8, first 2 shown]
	s_mov_b32 s22, 0
	v_fmac_f64_e32 v[54:55], v[50:51], v[56:57]
	s_mov_b32 s23, 0x40900000
	v_fma_f64 v[54:55], v[50:51], v[54:55], 1.0
	v_cmp_nlt_f64_e32 vcc, s[22:23], v[24:25]
	s_mov_b32 s22, 0
	v_fma_f64 v[50:51], v[50:51], v[54:55], 1.0
	v_cvt_i32_f64_e32 v26, v[26:27]
	s_mov_b32 s23, 0xc090cc00
	v_ldexp_f64 v[26:27], v[50:51], v26
	v_mov_b32_e32 v29, 0x7ff00000
	v_cmp_ngt_f64_e64 s[22:23], s[22:23], v[24:25]
	v_cndmask_b32_e32 v27, v29, v27, vcc
	s_and_b64 vcc, s[22:23], vcc
	v_cndmask_b32_e64 v25, 0, v27, s[22:23]
	v_cndmask_b32_e32 v24, 0, v26, vcc
	v_add_f64 v[26:27], v[24:25], 1.0
	v_add_f64 v[50:51], v[26:27], -1.0
	v_add_f64 v[54:55], v[50:51], -v[26:27]
	v_add_f64 v[54:55], v[54:55], 1.0
	v_add_f64 v[50:51], v[24:25], -v[50:51]
	s_mov_b32 s22, 0x55555555
	v_add_f64 v[50:51], v[50:51], v[54:55]
	v_frexp_mant_f64_e32 v[54:55], v[26:27]
	s_mov_b32 s23, 0x3fe55555
	v_frexp_exp_i32_f64_e32 v29, v[26:27]
	v_cmp_gt_f64_e32 vcc, s[22:23], v[54:55]
	v_subbrev_co_u32_e32 v29, vcc, 0, v29, vcc
	v_sub_u32_e32 v52, 0, v29
	v_ldexp_f64 v[26:27], v[26:27], v52
	v_add_f64 v[54:55], v[26:27], -1.0
	v_add_f64 v[60:61], v[26:27], 1.0
	v_add_f64 v[56:57], v[54:55], 1.0
	v_add_f64 v[62:63], v[60:61], -1.0
	v_ldexp_f64 v[50:51], v[50:51], v52
	v_add_f64 v[56:57], v[26:27], -v[56:57]
	v_add_f64 v[26:27], v[26:27], -v[62:63]
	v_add_f64 v[26:27], v[50:51], v[26:27]
	v_add_f64 v[56:57], v[50:51], v[56:57]
	;; [unrolled: 1-line block ×3, first 2 shown]
	v_rcp_f64_e32 v[62:63], v[50:51]
	v_add_f64 v[58:59], v[54:55], v[56:57]
	v_add_f64 v[54:55], v[58:59], -v[54:55]
	v_add_f64 v[54:55], v[56:57], -v[54:55]
	;; [unrolled: 1-line block ×4, first 2 shown]
	v_fma_f64 v[56:57], -v[50:51], v[62:63], 1.0
	v_fmac_f64_e32 v[62:63], v[56:57], v[62:63]
	v_fma_f64 v[56:57], -v[50:51], v[62:63], 1.0
	v_fmac_f64_e32 v[62:63], v[56:57], v[62:63]
	v_mul_f64 v[56:57], v[58:59], v[62:63]
	v_mul_f64 v[60:61], v[50:51], v[56:57]
	v_fma_f64 v[64:65], v[56:57], v[50:51], -v[60:61]
	v_fmac_f64_e32 v[64:65], v[56:57], v[26:27]
	v_add_f64 v[66:67], v[60:61], v[64:65]
	v_add_f64 v[68:69], v[58:59], -v[66:67]
	v_add_f64 v[58:59], v[58:59], -v[68:69]
	;; [unrolled: 1-line block ×4, first 2 shown]
	v_add_f64 v[54:55], v[54:55], v[58:59]
	v_add_f64 v[58:59], v[60:61], -v[64:65]
	v_add_f64 v[54:55], v[58:59], v[54:55]
	v_add_f64 v[58:59], v[68:69], v[54:55]
	v_add_f64 v[60:61], v[68:69], -v[58:59]
	v_add_f64 v[54:55], v[54:55], v[60:61]
	v_mul_f64 v[60:61], v[62:63], v[58:59]
	v_mul_f64 v[64:65], v[50:51], v[60:61]
	v_fma_f64 v[50:51], v[60:61], v[50:51], -v[64:65]
	v_fmac_f64_e32 v[50:51], v[60:61], v[26:27]
	v_add_f64 v[26:27], v[64:65], v[50:51]
	v_add_f64 v[66:67], v[58:59], -v[26:27]
	v_add_f64 v[58:59], v[58:59], -v[66:67]
	;; [unrolled: 1-line block ×4, first 2 shown]
	v_add_f64 v[26:27], v[54:55], v[26:27]
	v_add_f64 v[50:51], v[64:65], -v[50:51]
	v_add_f64 v[26:27], v[50:51], v[26:27]
	v_add_f64 v[50:51], v[56:57], v[60:61]
	v_add_f64 v[26:27], v[66:67], v[26:27]
	v_add_f64 v[54:55], v[50:51], -v[56:57]
	v_mul_f64 v[26:27], v[62:63], v[26:27]
	v_add_f64 v[54:55], v[60:61], -v[54:55]
	v_add_f64 v[26:27], v[54:55], v[26:27]
	v_add_f64 v[54:55], v[50:51], v[26:27]
	v_add_f64 v[50:51], v[54:55], -v[50:51]
	s_mov_b32 s22, 0xbf559e2b
	v_add_f64 v[26:27], v[26:27], -v[50:51]
	v_mul_f64 v[50:51], v[54:55], v[54:55]
	v_mov_b32_e32 v56, 0x6b47b09a
	v_mov_b32_e32 v57, 0x3fc38538
	s_mov_b32 s23, 0x3fc3ab76
	v_fmac_f64_e32 v[56:57], s[22:23], v[50:51]
	v_mov_b32_e32 v58, 0xd7f4df2e
	v_mov_b32_e32 v59, 0x3fc7474d
	v_fmac_f64_e32 v[58:59], v[50:51], v[56:57]
	v_mov_b32_e32 v56, 0x16291751
	v_mov_b32_e32 v57, 0x3fcc71c0
	;; [unrolled: 3-line block ×5, first 2 shown]
	v_fmac_f64_e32 v[58:59], v[50:51], v[56:57]
	v_cvt_f64_i32_e32 v[56:57], v29
	s_mov_b32 s39, 0x3fe62e42
	v_mul_f64 v[60:61], v[56:57], s[38:39]
	v_fma_f64 v[62:63], v[56:57], s[38:39], -v[60:61]
	s_mov_b32 s41, 0x3c7abc9e
	v_fmac_f64_e32 v[62:63], s[40:41], v[56:57]
	v_add_f64 v[56:57], v[60:61], v[62:63]
	v_add_f64 v[60:61], v[56:57], -v[60:61]
	v_mul_f64 v[50:51], v[54:55], v[50:51]
	v_add_f64 v[60:61], v[62:63], -v[60:61]
	v_ldexp_f64 v[62:63], v[54:55], 1
	v_mul_f64 v[50:51], v[50:51], v[58:59]
	v_add_f64 v[54:55], v[62:63], v[50:51]
	v_add_f64 v[58:59], v[54:55], -v[62:63]
	v_ldexp_f64 v[26:27], v[26:27], 1
	v_add_f64 v[50:51], v[50:51], -v[58:59]
	v_add_f64 v[26:27], v[26:27], v[50:51]
	v_add_f64 v[50:51], v[54:55], v[26:27]
	v_add_f64 v[54:55], v[50:51], -v[54:55]
	v_add_f64 v[26:27], v[26:27], -v[54:55]
	v_add_f64 v[54:55], v[56:57], v[50:51]
	v_add_f64 v[58:59], v[54:55], -v[56:57]
	v_add_f64 v[62:63], v[54:55], -v[58:59]
	;; [unrolled: 1-line block ×4, first 2 shown]
	v_add_f64 v[50:51], v[50:51], v[56:57]
	v_add_f64 v[56:57], v[60:61], v[26:27]
	v_add_f64 v[58:59], v[56:57], -v[60:61]
	v_add_f64 v[50:51], v[56:57], v[50:51]
	v_add_f64 v[62:63], v[56:57], -v[58:59]
	;; [unrolled: 2-line block ×3, first 2 shown]
	v_add_f64 v[26:27], v[26:27], -v[58:59]
	v_add_f64 v[54:55], v[56:57], -v[54:55]
	v_add_f64 v[26:27], v[26:27], v[60:61]
	v_add_f64 v[50:51], v[50:51], -v[54:55]
	s_mov_b32 s22, 0
	v_add_f64 v[26:27], v[26:27], v[50:51]
	s_mov_b32 s23, 0x7ff00000
	v_add_f64 v[26:27], v[56:57], v[26:27]
	v_cmp_eq_f64_e32 vcc, s[22:23], v[24:25]
	v_cndmask_b32_e32 v26, v26, v24, vcc
	v_cndmask_b32_e32 v27, v27, v25, vcc
	v_mov_b32_e32 v29, 0x7ff80000
	v_cmp_ngt_f64_e32 vcc, -1.0, v[24:25]
	v_cndmask_b32_e32 v27, v29, v27, vcc
	v_cmp_nge_f64_e32 vcc, -1.0, v[24:25]
	v_cndmask_b32_e32 v26, 0, v26, vcc
	v_mov_b32_e32 v29, 0xfff00000
	v_cmp_neq_f64_e32 vcc, -1.0, v[24:25]
	v_cndmask_b32_e32 v27, v29, v27, vcc
	v_add_f64 v[24:25], v[22:23], v[26:27]
.LBB3_50:
	s_or_b64 exec, exec, s[36:37]
	v_pk_mov_b32 v[22:23], v[24:25], v[24:25] op_sel:[0,1]
	v_mov_b32_e32 v26, v24
	v_mov_b32_e32 v27, v25
.LBB3_51:
	s_or_b64 exec, exec, s[26:27]
	v_mov_b32_dpp v24, v26 row_shr:4 row_mask:0xf bank_mask:0xf
	v_mov_b32_dpp v25, v27 row_shr:4 row_mask:0xf bank_mask:0xf
	v_cmp_lt_u32_e32 vcc, 3, v28
	s_and_saveexec_b64 s[26:27], vcc
	s_cbranch_execz .LBB3_55
; %bb.52:
	v_max_f64 v[50:51], v[24:25], v[24:25]
	v_max_f64 v[54:55], v[22:23], v[22:23]
	v_min_f64 v[26:27], v[50:51], v[54:55]
	v_cmp_u_f64_e32 vcc, v[24:25], v[24:25]
	v_max_f64 v[50:51], v[50:51], v[54:55]
	v_cndmask_b32_e32 v26, v26, v24, vcc
	v_cndmask_b32_e32 v27, v27, v25, vcc
	v_cmp_u_f64_e64 s[22:23], v[22:23], v[22:23]
	v_cndmask_b32_e32 v29, v50, v24, vcc
	v_cndmask_b32_e32 v50, v51, v25, vcc
	v_cndmask_b32_e64 v27, v27, v23, s[22:23]
	v_cndmask_b32_e64 v26, v26, v22, s[22:23]
	;; [unrolled: 1-line block ×4, first 2 shown]
	v_cmp_neq_f64_e32 vcc, v[26:27], v[22:23]
	v_cmp_class_f64_e64 s[22:23], v[26:27], s7
	s_or_b64 s[22:23], vcc, s[22:23]
	s_and_saveexec_b64 s[36:37], s[22:23]
	s_cbranch_execz .LBB3_54
; %bb.53:
	s_mov_b32 s22, 0x652b82fe
	v_add_f64 v[24:25], v[26:27], -v[22:23]
	s_mov_b32 s23, 0x3ff71547
	v_mul_f64 v[26:27], v[24:25], s[22:23]
	v_rndne_f64_e32 v[26:27], v[26:27]
	s_mov_b32 s39, 0xbfe62e42
	s_mov_b32 s38, 0xfefa39ef
	v_fma_f64 v[50:51], s[38:39], v[26:27], v[24:25]
	s_mov_b32 s41, 0xbc7abc9e
	s_mov_b32 s40, 0x3b39803f
	;; [unrolled: 1-line block ×3, first 2 shown]
	v_fmac_f64_e32 v[50:51], s[40:41], v[26:27]
	v_mov_b32_e32 v54, 0xfca7ab0c
	v_mov_b32_e32 v55, 0x3e928af3
	s_mov_b32 s23, 0x3e5ade15
	v_fmac_f64_e32 v[54:55], s[22:23], v[50:51]
	v_mov_b32_e32 v56, 0x623fde64
	v_mov_b32_e32 v57, 0x3ec71dee
	v_fmac_f64_e32 v[56:57], v[50:51], v[54:55]
	v_mov_b32_e32 v54, 0x7c89e6b0
	v_mov_b32_e32 v55, 0x3efa0199
	;; [unrolled: 3-line block ×8, first 2 shown]
	s_mov_b32 s22, 0
	v_fmac_f64_e32 v[54:55], v[50:51], v[56:57]
	s_mov_b32 s23, 0x40900000
	v_fma_f64 v[54:55], v[50:51], v[54:55], 1.0
	v_cmp_nlt_f64_e32 vcc, s[22:23], v[24:25]
	s_mov_b32 s22, 0
	v_fma_f64 v[50:51], v[50:51], v[54:55], 1.0
	v_cvt_i32_f64_e32 v26, v[26:27]
	s_mov_b32 s23, 0xc090cc00
	v_ldexp_f64 v[26:27], v[50:51], v26
	v_mov_b32_e32 v29, 0x7ff00000
	v_cmp_ngt_f64_e64 s[22:23], s[22:23], v[24:25]
	v_cndmask_b32_e32 v27, v29, v27, vcc
	s_and_b64 vcc, s[22:23], vcc
	v_cndmask_b32_e64 v25, 0, v27, s[22:23]
	v_cndmask_b32_e32 v24, 0, v26, vcc
	v_add_f64 v[26:27], v[24:25], 1.0
	v_add_f64 v[50:51], v[26:27], -1.0
	v_add_f64 v[54:55], v[50:51], -v[26:27]
	v_add_f64 v[54:55], v[54:55], 1.0
	v_add_f64 v[50:51], v[24:25], -v[50:51]
	s_mov_b32 s22, 0x55555555
	v_add_f64 v[50:51], v[50:51], v[54:55]
	v_frexp_mant_f64_e32 v[54:55], v[26:27]
	s_mov_b32 s23, 0x3fe55555
	v_frexp_exp_i32_f64_e32 v29, v[26:27]
	v_cmp_gt_f64_e32 vcc, s[22:23], v[54:55]
	v_subbrev_co_u32_e32 v29, vcc, 0, v29, vcc
	v_sub_u32_e32 v52, 0, v29
	v_ldexp_f64 v[26:27], v[26:27], v52
	v_add_f64 v[54:55], v[26:27], -1.0
	v_add_f64 v[60:61], v[26:27], 1.0
	v_add_f64 v[56:57], v[54:55], 1.0
	v_add_f64 v[62:63], v[60:61], -1.0
	v_ldexp_f64 v[50:51], v[50:51], v52
	v_add_f64 v[56:57], v[26:27], -v[56:57]
	v_add_f64 v[26:27], v[26:27], -v[62:63]
	v_add_f64 v[26:27], v[50:51], v[26:27]
	v_add_f64 v[56:57], v[50:51], v[56:57]
	;; [unrolled: 1-line block ×3, first 2 shown]
	v_rcp_f64_e32 v[62:63], v[50:51]
	v_add_f64 v[58:59], v[54:55], v[56:57]
	v_add_f64 v[54:55], v[58:59], -v[54:55]
	v_add_f64 v[54:55], v[56:57], -v[54:55]
	;; [unrolled: 1-line block ×4, first 2 shown]
	v_fma_f64 v[56:57], -v[50:51], v[62:63], 1.0
	v_fmac_f64_e32 v[62:63], v[56:57], v[62:63]
	v_fma_f64 v[56:57], -v[50:51], v[62:63], 1.0
	v_fmac_f64_e32 v[62:63], v[56:57], v[62:63]
	v_mul_f64 v[56:57], v[58:59], v[62:63]
	v_mul_f64 v[60:61], v[50:51], v[56:57]
	v_fma_f64 v[64:65], v[56:57], v[50:51], -v[60:61]
	v_fmac_f64_e32 v[64:65], v[56:57], v[26:27]
	v_add_f64 v[66:67], v[60:61], v[64:65]
	v_add_f64 v[68:69], v[58:59], -v[66:67]
	v_add_f64 v[58:59], v[58:59], -v[68:69]
	;; [unrolled: 1-line block ×4, first 2 shown]
	v_add_f64 v[54:55], v[54:55], v[58:59]
	v_add_f64 v[58:59], v[60:61], -v[64:65]
	v_add_f64 v[54:55], v[58:59], v[54:55]
	v_add_f64 v[58:59], v[68:69], v[54:55]
	v_add_f64 v[60:61], v[68:69], -v[58:59]
	v_add_f64 v[54:55], v[54:55], v[60:61]
	v_mul_f64 v[60:61], v[62:63], v[58:59]
	v_mul_f64 v[64:65], v[50:51], v[60:61]
	v_fma_f64 v[50:51], v[60:61], v[50:51], -v[64:65]
	v_fmac_f64_e32 v[50:51], v[60:61], v[26:27]
	v_add_f64 v[26:27], v[64:65], v[50:51]
	v_add_f64 v[66:67], v[58:59], -v[26:27]
	v_add_f64 v[58:59], v[58:59], -v[66:67]
	;; [unrolled: 1-line block ×4, first 2 shown]
	v_add_f64 v[26:27], v[54:55], v[26:27]
	v_add_f64 v[50:51], v[64:65], -v[50:51]
	v_add_f64 v[26:27], v[50:51], v[26:27]
	v_add_f64 v[50:51], v[56:57], v[60:61]
	;; [unrolled: 1-line block ×3, first 2 shown]
	v_add_f64 v[54:55], v[50:51], -v[56:57]
	v_mul_f64 v[26:27], v[62:63], v[26:27]
	v_add_f64 v[54:55], v[60:61], -v[54:55]
	v_add_f64 v[26:27], v[54:55], v[26:27]
	v_add_f64 v[54:55], v[50:51], v[26:27]
	v_add_f64 v[50:51], v[54:55], -v[50:51]
	s_mov_b32 s22, 0xbf559e2b
	v_add_f64 v[26:27], v[26:27], -v[50:51]
	v_mul_f64 v[50:51], v[54:55], v[54:55]
	v_mov_b32_e32 v56, 0x6b47b09a
	v_mov_b32_e32 v57, 0x3fc38538
	s_mov_b32 s23, 0x3fc3ab76
	v_fmac_f64_e32 v[56:57], s[22:23], v[50:51]
	v_mov_b32_e32 v58, 0xd7f4df2e
	v_mov_b32_e32 v59, 0x3fc7474d
	v_fmac_f64_e32 v[58:59], v[50:51], v[56:57]
	v_mov_b32_e32 v56, 0x16291751
	v_mov_b32_e32 v57, 0x3fcc71c0
	;; [unrolled: 3-line block ×5, first 2 shown]
	v_fmac_f64_e32 v[58:59], v[50:51], v[56:57]
	v_cvt_f64_i32_e32 v[56:57], v29
	s_mov_b32 s39, 0x3fe62e42
	v_mul_f64 v[60:61], v[56:57], s[38:39]
	v_fma_f64 v[62:63], v[56:57], s[38:39], -v[60:61]
	s_mov_b32 s41, 0x3c7abc9e
	v_fmac_f64_e32 v[62:63], s[40:41], v[56:57]
	v_add_f64 v[56:57], v[60:61], v[62:63]
	v_add_f64 v[60:61], v[56:57], -v[60:61]
	v_mul_f64 v[50:51], v[54:55], v[50:51]
	v_add_f64 v[60:61], v[62:63], -v[60:61]
	v_ldexp_f64 v[62:63], v[54:55], 1
	v_mul_f64 v[50:51], v[50:51], v[58:59]
	v_add_f64 v[54:55], v[62:63], v[50:51]
	v_add_f64 v[58:59], v[54:55], -v[62:63]
	v_ldexp_f64 v[26:27], v[26:27], 1
	v_add_f64 v[50:51], v[50:51], -v[58:59]
	v_add_f64 v[26:27], v[26:27], v[50:51]
	v_add_f64 v[50:51], v[54:55], v[26:27]
	v_add_f64 v[54:55], v[50:51], -v[54:55]
	v_add_f64 v[26:27], v[26:27], -v[54:55]
	v_add_f64 v[54:55], v[56:57], v[50:51]
	v_add_f64 v[58:59], v[54:55], -v[56:57]
	v_add_f64 v[62:63], v[54:55], -v[58:59]
	;; [unrolled: 1-line block ×4, first 2 shown]
	v_add_f64 v[50:51], v[50:51], v[56:57]
	v_add_f64 v[56:57], v[60:61], v[26:27]
	v_add_f64 v[58:59], v[56:57], -v[60:61]
	v_add_f64 v[50:51], v[56:57], v[50:51]
	v_add_f64 v[62:63], v[56:57], -v[58:59]
	v_add_f64 v[56:57], v[54:55], v[50:51]
	v_add_f64 v[60:61], v[60:61], -v[62:63]
	v_add_f64 v[26:27], v[26:27], -v[58:59]
	v_add_f64 v[54:55], v[56:57], -v[54:55]
	v_add_f64 v[26:27], v[26:27], v[60:61]
	v_add_f64 v[50:51], v[50:51], -v[54:55]
	s_mov_b32 s22, 0
	v_add_f64 v[26:27], v[26:27], v[50:51]
	s_mov_b32 s23, 0x7ff00000
	v_add_f64 v[26:27], v[56:57], v[26:27]
	v_cmp_eq_f64_e32 vcc, s[22:23], v[24:25]
	v_cndmask_b32_e32 v26, v26, v24, vcc
	v_cndmask_b32_e32 v27, v27, v25, vcc
	v_mov_b32_e32 v29, 0x7ff80000
	v_cmp_ngt_f64_e32 vcc, -1.0, v[24:25]
	v_cndmask_b32_e32 v27, v29, v27, vcc
	v_cmp_nge_f64_e32 vcc, -1.0, v[24:25]
	v_cndmask_b32_e32 v26, 0, v26, vcc
	v_mov_b32_e32 v29, 0xfff00000
	v_cmp_neq_f64_e32 vcc, -1.0, v[24:25]
	v_cndmask_b32_e32 v27, v29, v27, vcc
	v_add_f64 v[24:25], v[22:23], v[26:27]
.LBB3_54:
	s_or_b64 exec, exec, s[36:37]
	v_pk_mov_b32 v[22:23], v[24:25], v[24:25] op_sel:[0,1]
	v_mov_b32_e32 v26, v24
	v_mov_b32_e32 v27, v25
.LBB3_55:
	s_or_b64 exec, exec, s[26:27]
	v_mov_b32_dpp v24, v26 row_shr:8 row_mask:0xf bank_mask:0xf
	v_mov_b32_dpp v25, v27 row_shr:8 row_mask:0xf bank_mask:0xf
	v_cmp_lt_u32_e32 vcc, 7, v28
	s_and_saveexec_b64 s[26:27], vcc
	s_cbranch_execz .LBB3_59
; %bb.56:
	v_max_f64 v[28:29], v[24:25], v[24:25]
	v_max_f64 v[50:51], v[22:23], v[22:23]
	v_min_f64 v[26:27], v[28:29], v[50:51]
	v_cmp_u_f64_e32 vcc, v[24:25], v[24:25]
	v_max_f64 v[28:29], v[28:29], v[50:51]
	v_cndmask_b32_e32 v26, v26, v24, vcc
	v_cndmask_b32_e32 v27, v27, v25, vcc
	v_cmp_u_f64_e64 s[22:23], v[22:23], v[22:23]
	v_cndmask_b32_e32 v28, v28, v24, vcc
	v_cndmask_b32_e32 v29, v29, v25, vcc
	v_cndmask_b32_e64 v27, v27, v23, s[22:23]
	v_cndmask_b32_e64 v26, v26, v22, s[22:23]
	v_cndmask_b32_e64 v23, v29, v23, s[22:23]
	v_cndmask_b32_e64 v22, v28, v22, s[22:23]
	v_cmp_neq_f64_e32 vcc, v[26:27], v[22:23]
	v_cmp_class_f64_e64 s[22:23], v[26:27], s7
	s_or_b64 s[22:23], vcc, s[22:23]
	s_and_saveexec_b64 s[36:37], s[22:23]
	s_cbranch_execz .LBB3_58
; %bb.57:
	s_mov_b32 s22, 0x652b82fe
	v_add_f64 v[24:25], v[26:27], -v[22:23]
	s_mov_b32 s23, 0x3ff71547
	v_mul_f64 v[26:27], v[24:25], s[22:23]
	v_rndne_f64_e32 v[26:27], v[26:27]
	s_mov_b32 s39, 0xbfe62e42
	s_mov_b32 s38, 0xfefa39ef
	v_fma_f64 v[28:29], s[38:39], v[26:27], v[24:25]
	s_mov_b32 s41, 0xbc7abc9e
	s_mov_b32 s40, 0x3b39803f
	;; [unrolled: 1-line block ×3, first 2 shown]
	v_fmac_f64_e32 v[28:29], s[40:41], v[26:27]
	v_mov_b32_e32 v50, 0xfca7ab0c
	v_mov_b32_e32 v51, 0x3e928af3
	s_mov_b32 s23, 0x3e5ade15
	v_fmac_f64_e32 v[50:51], s[22:23], v[28:29]
	v_mov_b32_e32 v54, 0x623fde64
	v_mov_b32_e32 v55, 0x3ec71dee
	v_fmac_f64_e32 v[54:55], v[28:29], v[50:51]
	v_mov_b32_e32 v50, 0x7c89e6b0
	v_mov_b32_e32 v51, 0x3efa0199
	;; [unrolled: 3-line block ×8, first 2 shown]
	s_mov_b32 s22, 0
	v_fmac_f64_e32 v[50:51], v[28:29], v[54:55]
	s_mov_b32 s23, 0x40900000
	v_fma_f64 v[50:51], v[28:29], v[50:51], 1.0
	v_cmp_nlt_f64_e32 vcc, s[22:23], v[24:25]
	s_mov_b32 s22, 0
	v_fma_f64 v[28:29], v[28:29], v[50:51], 1.0
	v_cvt_i32_f64_e32 v26, v[26:27]
	s_mov_b32 s23, 0xc090cc00
	v_ldexp_f64 v[26:27], v[28:29], v26
	v_mov_b32_e32 v28, 0x7ff00000
	v_cmp_ngt_f64_e64 s[22:23], s[22:23], v[24:25]
	v_cndmask_b32_e32 v27, v28, v27, vcc
	s_and_b64 vcc, s[22:23], vcc
	v_cndmask_b32_e64 v25, 0, v27, s[22:23]
	v_cndmask_b32_e32 v24, 0, v26, vcc
	v_add_f64 v[26:27], v[24:25], 1.0
	v_add_f64 v[28:29], v[26:27], -1.0
	v_add_f64 v[50:51], v[28:29], -v[26:27]
	v_add_f64 v[50:51], v[50:51], 1.0
	v_add_f64 v[28:29], v[24:25], -v[28:29]
	s_mov_b32 s22, 0x55555555
	v_add_f64 v[28:29], v[28:29], v[50:51]
	v_frexp_mant_f64_e32 v[50:51], v[26:27]
	s_mov_b32 s23, 0x3fe55555
	v_frexp_exp_i32_f64_e32 v52, v[26:27]
	v_cmp_gt_f64_e32 vcc, s[22:23], v[50:51]
	v_subbrev_co_u32_e32 v52, vcc, 0, v52, vcc
	v_sub_u32_e32 v50, 0, v52
	v_ldexp_f64 v[26:27], v[26:27], v50
	v_ldexp_f64 v[28:29], v[28:29], v50
	v_add_f64 v[50:51], v[26:27], -1.0
	v_add_f64 v[58:59], v[26:27], 1.0
	v_add_f64 v[54:55], v[50:51], 1.0
	v_add_f64 v[60:61], v[58:59], -1.0
	v_add_f64 v[54:55], v[26:27], -v[54:55]
	v_add_f64 v[26:27], v[26:27], -v[60:61]
	v_add_f64 v[26:27], v[28:29], v[26:27]
	v_add_f64 v[54:55], v[28:29], v[54:55]
	;; [unrolled: 1-line block ×3, first 2 shown]
	v_rcp_f64_e32 v[60:61], v[28:29]
	v_add_f64 v[56:57], v[50:51], v[54:55]
	v_add_f64 v[50:51], v[56:57], -v[50:51]
	v_add_f64 v[50:51], v[54:55], -v[50:51]
	;; [unrolled: 1-line block ×4, first 2 shown]
	v_fma_f64 v[54:55], -v[28:29], v[60:61], 1.0
	v_fmac_f64_e32 v[60:61], v[54:55], v[60:61]
	v_fma_f64 v[54:55], -v[28:29], v[60:61], 1.0
	v_fmac_f64_e32 v[60:61], v[54:55], v[60:61]
	v_mul_f64 v[54:55], v[56:57], v[60:61]
	v_mul_f64 v[58:59], v[28:29], v[54:55]
	v_fma_f64 v[62:63], v[54:55], v[28:29], -v[58:59]
	v_fmac_f64_e32 v[62:63], v[54:55], v[26:27]
	v_add_f64 v[64:65], v[58:59], v[62:63]
	v_add_f64 v[66:67], v[56:57], -v[64:65]
	v_add_f64 v[56:57], v[56:57], -v[66:67]
	;; [unrolled: 1-line block ×4, first 2 shown]
	v_add_f64 v[50:51], v[50:51], v[56:57]
	v_add_f64 v[56:57], v[58:59], -v[62:63]
	v_add_f64 v[50:51], v[56:57], v[50:51]
	v_add_f64 v[56:57], v[66:67], v[50:51]
	v_add_f64 v[58:59], v[66:67], -v[56:57]
	v_add_f64 v[50:51], v[50:51], v[58:59]
	v_mul_f64 v[58:59], v[60:61], v[56:57]
	v_mul_f64 v[62:63], v[28:29], v[58:59]
	v_fma_f64 v[28:29], v[58:59], v[28:29], -v[62:63]
	v_fmac_f64_e32 v[28:29], v[58:59], v[26:27]
	v_add_f64 v[26:27], v[62:63], v[28:29]
	v_add_f64 v[64:65], v[56:57], -v[26:27]
	v_add_f64 v[56:57], v[56:57], -v[64:65]
	;; [unrolled: 1-line block ×4, first 2 shown]
	v_add_f64 v[26:27], v[50:51], v[26:27]
	v_add_f64 v[28:29], v[62:63], -v[28:29]
	v_add_f64 v[26:27], v[28:29], v[26:27]
	v_add_f64 v[28:29], v[54:55], v[58:59]
	;; [unrolled: 1-line block ×3, first 2 shown]
	v_add_f64 v[50:51], v[28:29], -v[54:55]
	v_mul_f64 v[26:27], v[60:61], v[26:27]
	v_add_f64 v[50:51], v[58:59], -v[50:51]
	v_add_f64 v[26:27], v[50:51], v[26:27]
	v_add_f64 v[50:51], v[28:29], v[26:27]
	v_add_f64 v[28:29], v[50:51], -v[28:29]
	s_mov_b32 s22, 0xbf559e2b
	v_add_f64 v[26:27], v[26:27], -v[28:29]
	v_mul_f64 v[28:29], v[50:51], v[50:51]
	v_mov_b32_e32 v54, 0x6b47b09a
	v_mov_b32_e32 v55, 0x3fc38538
	s_mov_b32 s23, 0x3fc3ab76
	v_fmac_f64_e32 v[54:55], s[22:23], v[28:29]
	v_mov_b32_e32 v56, 0xd7f4df2e
	v_mov_b32_e32 v57, 0x3fc7474d
	v_fmac_f64_e32 v[56:57], v[28:29], v[54:55]
	v_mov_b32_e32 v54, 0x16291751
	v_mov_b32_e32 v55, 0x3fcc71c0
	;; [unrolled: 3-line block ×5, first 2 shown]
	v_fmac_f64_e32 v[56:57], v[28:29], v[54:55]
	v_cvt_f64_i32_e32 v[54:55], v52
	s_mov_b32 s39, 0x3fe62e42
	v_mul_f64 v[58:59], v[54:55], s[38:39]
	v_fma_f64 v[60:61], v[54:55], s[38:39], -v[58:59]
	s_mov_b32 s41, 0x3c7abc9e
	v_fmac_f64_e32 v[60:61], s[40:41], v[54:55]
	v_add_f64 v[54:55], v[58:59], v[60:61]
	v_add_f64 v[58:59], v[54:55], -v[58:59]
	v_mul_f64 v[28:29], v[50:51], v[28:29]
	v_add_f64 v[58:59], v[60:61], -v[58:59]
	v_ldexp_f64 v[60:61], v[50:51], 1
	v_mul_f64 v[28:29], v[28:29], v[56:57]
	v_add_f64 v[50:51], v[60:61], v[28:29]
	v_add_f64 v[56:57], v[50:51], -v[60:61]
	v_ldexp_f64 v[26:27], v[26:27], 1
	v_add_f64 v[28:29], v[28:29], -v[56:57]
	v_add_f64 v[26:27], v[26:27], v[28:29]
	v_add_f64 v[28:29], v[50:51], v[26:27]
	v_add_f64 v[50:51], v[28:29], -v[50:51]
	v_add_f64 v[26:27], v[26:27], -v[50:51]
	v_add_f64 v[50:51], v[54:55], v[28:29]
	v_add_f64 v[56:57], v[50:51], -v[54:55]
	v_add_f64 v[60:61], v[50:51], -v[56:57]
	;; [unrolled: 1-line block ×4, first 2 shown]
	v_add_f64 v[28:29], v[28:29], v[54:55]
	v_add_f64 v[54:55], v[58:59], v[26:27]
	v_add_f64 v[56:57], v[54:55], -v[58:59]
	v_add_f64 v[28:29], v[54:55], v[28:29]
	v_add_f64 v[60:61], v[54:55], -v[56:57]
	;; [unrolled: 2-line block ×3, first 2 shown]
	v_add_f64 v[26:27], v[26:27], -v[56:57]
	v_add_f64 v[50:51], v[54:55], -v[50:51]
	v_add_f64 v[26:27], v[26:27], v[58:59]
	v_add_f64 v[28:29], v[28:29], -v[50:51]
	s_mov_b32 s22, 0
	v_add_f64 v[26:27], v[26:27], v[28:29]
	s_mov_b32 s23, 0x7ff00000
	v_add_f64 v[26:27], v[54:55], v[26:27]
	v_cmp_eq_f64_e32 vcc, s[22:23], v[24:25]
	v_cndmask_b32_e32 v26, v26, v24, vcc
	v_cndmask_b32_e32 v27, v27, v25, vcc
	v_mov_b32_e32 v28, 0x7ff80000
	v_cmp_ngt_f64_e32 vcc, -1.0, v[24:25]
	v_cndmask_b32_e32 v27, v28, v27, vcc
	v_cmp_nge_f64_e32 vcc, -1.0, v[24:25]
	v_cndmask_b32_e32 v26, 0, v26, vcc
	v_mov_b32_e32 v28, 0xfff00000
	v_cmp_neq_f64_e32 vcc, -1.0, v[24:25]
	v_cndmask_b32_e32 v27, v28, v27, vcc
	v_add_f64 v[24:25], v[22:23], v[26:27]
.LBB3_58:
	s_or_b64 exec, exec, s[36:37]
	v_pk_mov_b32 v[22:23], v[24:25], v[24:25] op_sel:[0,1]
	v_mov_b32_e32 v26, v24
	v_mov_b32_e32 v27, v25
.LBB3_59:
	s_or_b64 exec, exec, s[26:27]
	v_and_b32_e32 v28, 16, v53
	v_mov_b32_dpp v24, v26 row_bcast:15 row_mask:0xf bank_mask:0xf
	v_mov_b32_dpp v25, v27 row_bcast:15 row_mask:0xf bank_mask:0xf
	v_cmp_ne_u32_e32 vcc, 0, v28
	s_and_saveexec_b64 s[26:27], vcc
	s_cbranch_execz .LBB3_63
; %bb.60:
	v_max_f64 v[28:29], v[24:25], v[24:25]
	v_max_f64 v[50:51], v[22:23], v[22:23]
	v_min_f64 v[26:27], v[28:29], v[50:51]
	v_cmp_u_f64_e32 vcc, v[24:25], v[24:25]
	v_max_f64 v[28:29], v[28:29], v[50:51]
	v_cndmask_b32_e32 v26, v26, v24, vcc
	v_cndmask_b32_e32 v27, v27, v25, vcc
	v_cmp_u_f64_e64 s[22:23], v[22:23], v[22:23]
	v_cndmask_b32_e32 v28, v28, v24, vcc
	v_cndmask_b32_e32 v29, v29, v25, vcc
	v_cndmask_b32_e64 v27, v27, v23, s[22:23]
	v_cndmask_b32_e64 v26, v26, v22, s[22:23]
	;; [unrolled: 1-line block ×4, first 2 shown]
	v_cmp_neq_f64_e32 vcc, v[26:27], v[22:23]
	v_cmp_class_f64_e64 s[22:23], v[26:27], s7
	s_or_b64 s[22:23], vcc, s[22:23]
	s_and_saveexec_b64 s[36:37], s[22:23]
	s_cbranch_execz .LBB3_62
; %bb.61:
	s_mov_b32 s22, 0x652b82fe
	v_add_f64 v[24:25], v[26:27], -v[22:23]
	s_mov_b32 s23, 0x3ff71547
	v_mul_f64 v[26:27], v[24:25], s[22:23]
	v_rndne_f64_e32 v[26:27], v[26:27]
	s_mov_b32 s39, 0xbfe62e42
	s_mov_b32 s38, 0xfefa39ef
	v_fma_f64 v[28:29], s[38:39], v[26:27], v[24:25]
	s_mov_b32 s41, 0xbc7abc9e
	s_mov_b32 s40, 0x3b39803f
	s_mov_b32 s22, 0x6a5dcb37
	v_fmac_f64_e32 v[28:29], s[40:41], v[26:27]
	v_mov_b32_e32 v50, 0xfca7ab0c
	v_mov_b32_e32 v51, 0x3e928af3
	s_mov_b32 s23, 0x3e5ade15
	v_fmac_f64_e32 v[50:51], s[22:23], v[28:29]
	v_mov_b32_e32 v54, 0x623fde64
	v_mov_b32_e32 v55, 0x3ec71dee
	v_fmac_f64_e32 v[54:55], v[28:29], v[50:51]
	v_mov_b32_e32 v50, 0x7c89e6b0
	v_mov_b32_e32 v51, 0x3efa0199
	v_fmac_f64_e32 v[50:51], v[28:29], v[54:55]
	v_mov_b32_e32 v54, 0x14761f6e
	v_mov_b32_e32 v55, 0x3f2a01a0
	v_fmac_f64_e32 v[54:55], v[28:29], v[50:51]
	v_mov_b32_e32 v50, 0x1852b7b0
	v_mov_b32_e32 v51, 0x3f56c16c
	v_fmac_f64_e32 v[50:51], v[28:29], v[54:55]
	v_mov_b32_e32 v54, 0x11122322
	v_mov_b32_e32 v55, 0x3f811111
	v_fmac_f64_e32 v[54:55], v[28:29], v[50:51]
	v_mov_b32_e32 v50, 0x555502a1
	v_mov_b32_e32 v51, 0x3fa55555
	v_fmac_f64_e32 v[50:51], v[28:29], v[54:55]
	v_mov_b32_e32 v54, 0x55555511
	v_mov_b32_e32 v55, 0x3fc55555
	v_fmac_f64_e32 v[54:55], v[28:29], v[50:51]
	v_mov_b32_e32 v50, 11
	v_mov_b32_e32 v51, 0x3fe00000
	s_mov_b32 s22, 0
	v_fmac_f64_e32 v[50:51], v[28:29], v[54:55]
	s_mov_b32 s23, 0x40900000
	v_fma_f64 v[50:51], v[28:29], v[50:51], 1.0
	v_cmp_nlt_f64_e32 vcc, s[22:23], v[24:25]
	s_mov_b32 s22, 0
	v_fma_f64 v[28:29], v[28:29], v[50:51], 1.0
	v_cvt_i32_f64_e32 v26, v[26:27]
	s_mov_b32 s23, 0xc090cc00
	v_ldexp_f64 v[26:27], v[28:29], v26
	v_mov_b32_e32 v28, 0x7ff00000
	v_cmp_ngt_f64_e64 s[22:23], s[22:23], v[24:25]
	v_cndmask_b32_e32 v27, v28, v27, vcc
	s_and_b64 vcc, s[22:23], vcc
	v_cndmask_b32_e64 v25, 0, v27, s[22:23]
	v_cndmask_b32_e32 v24, 0, v26, vcc
	v_add_f64 v[26:27], v[24:25], 1.0
	v_add_f64 v[28:29], v[26:27], -1.0
	v_add_f64 v[50:51], v[28:29], -v[26:27]
	v_add_f64 v[50:51], v[50:51], 1.0
	v_add_f64 v[28:29], v[24:25], -v[28:29]
	s_mov_b32 s22, 0x55555555
	v_add_f64 v[28:29], v[28:29], v[50:51]
	v_frexp_mant_f64_e32 v[50:51], v[26:27]
	s_mov_b32 s23, 0x3fe55555
	v_frexp_exp_i32_f64_e32 v52, v[26:27]
	v_cmp_gt_f64_e32 vcc, s[22:23], v[50:51]
	v_subbrev_co_u32_e32 v52, vcc, 0, v52, vcc
	v_sub_u32_e32 v50, 0, v52
	v_ldexp_f64 v[26:27], v[26:27], v50
	v_ldexp_f64 v[28:29], v[28:29], v50
	v_add_f64 v[50:51], v[26:27], -1.0
	v_add_f64 v[58:59], v[26:27], 1.0
	v_add_f64 v[54:55], v[50:51], 1.0
	v_add_f64 v[60:61], v[58:59], -1.0
	v_add_f64 v[54:55], v[26:27], -v[54:55]
	v_add_f64 v[26:27], v[26:27], -v[60:61]
	v_add_f64 v[26:27], v[28:29], v[26:27]
	v_add_f64 v[54:55], v[28:29], v[54:55]
	;; [unrolled: 1-line block ×3, first 2 shown]
	v_rcp_f64_e32 v[60:61], v[28:29]
	v_add_f64 v[56:57], v[50:51], v[54:55]
	v_add_f64 v[50:51], v[56:57], -v[50:51]
	v_add_f64 v[50:51], v[54:55], -v[50:51]
	v_add_f64 v[54:55], v[28:29], -v[58:59]
	v_add_f64 v[26:27], v[26:27], -v[54:55]
	v_fma_f64 v[54:55], -v[28:29], v[60:61], 1.0
	v_fmac_f64_e32 v[60:61], v[54:55], v[60:61]
	v_fma_f64 v[54:55], -v[28:29], v[60:61], 1.0
	v_fmac_f64_e32 v[60:61], v[54:55], v[60:61]
	v_mul_f64 v[54:55], v[56:57], v[60:61]
	v_mul_f64 v[58:59], v[28:29], v[54:55]
	v_fma_f64 v[62:63], v[54:55], v[28:29], -v[58:59]
	v_fmac_f64_e32 v[62:63], v[54:55], v[26:27]
	v_add_f64 v[64:65], v[58:59], v[62:63]
	v_add_f64 v[66:67], v[56:57], -v[64:65]
	v_add_f64 v[56:57], v[56:57], -v[66:67]
	;; [unrolled: 1-line block ×4, first 2 shown]
	v_add_f64 v[50:51], v[50:51], v[56:57]
	v_add_f64 v[56:57], v[58:59], -v[62:63]
	v_add_f64 v[50:51], v[56:57], v[50:51]
	v_add_f64 v[56:57], v[66:67], v[50:51]
	v_add_f64 v[58:59], v[66:67], -v[56:57]
	v_add_f64 v[50:51], v[50:51], v[58:59]
	v_mul_f64 v[58:59], v[60:61], v[56:57]
	v_mul_f64 v[62:63], v[28:29], v[58:59]
	v_fma_f64 v[28:29], v[58:59], v[28:29], -v[62:63]
	v_fmac_f64_e32 v[28:29], v[58:59], v[26:27]
	v_add_f64 v[26:27], v[62:63], v[28:29]
	v_add_f64 v[64:65], v[56:57], -v[26:27]
	v_add_f64 v[56:57], v[56:57], -v[64:65]
	;; [unrolled: 1-line block ×4, first 2 shown]
	v_add_f64 v[26:27], v[50:51], v[26:27]
	v_add_f64 v[28:29], v[62:63], -v[28:29]
	v_add_f64 v[26:27], v[28:29], v[26:27]
	v_add_f64 v[28:29], v[54:55], v[58:59]
	v_add_f64 v[26:27], v[64:65], v[26:27]
	v_add_f64 v[50:51], v[28:29], -v[54:55]
	v_mul_f64 v[26:27], v[60:61], v[26:27]
	v_add_f64 v[50:51], v[58:59], -v[50:51]
	v_add_f64 v[26:27], v[50:51], v[26:27]
	v_add_f64 v[50:51], v[28:29], v[26:27]
	v_add_f64 v[28:29], v[50:51], -v[28:29]
	s_mov_b32 s22, 0xbf559e2b
	v_add_f64 v[26:27], v[26:27], -v[28:29]
	v_mul_f64 v[28:29], v[50:51], v[50:51]
	v_mov_b32_e32 v54, 0x6b47b09a
	v_mov_b32_e32 v55, 0x3fc38538
	s_mov_b32 s23, 0x3fc3ab76
	v_fmac_f64_e32 v[54:55], s[22:23], v[28:29]
	v_mov_b32_e32 v56, 0xd7f4df2e
	v_mov_b32_e32 v57, 0x3fc7474d
	v_fmac_f64_e32 v[56:57], v[28:29], v[54:55]
	v_mov_b32_e32 v54, 0x16291751
	v_mov_b32_e32 v55, 0x3fcc71c0
	v_fmac_f64_e32 v[54:55], v[28:29], v[56:57]
	v_mov_b32_e32 v56, 0x9b27acf1
	v_mov_b32_e32 v57, 0x3fd24924
	v_fmac_f64_e32 v[56:57], v[28:29], v[54:55]
	v_mov_b32_e32 v54, 0x998ef7b6
	v_mov_b32_e32 v55, 0x3fd99999
	v_fmac_f64_e32 v[54:55], v[28:29], v[56:57]
	v_mov_b32_e32 v56, 0x55555780
	v_mov_b32_e32 v57, 0x3fe55555
	v_fmac_f64_e32 v[56:57], v[28:29], v[54:55]
	v_cvt_f64_i32_e32 v[54:55], v52
	s_mov_b32 s39, 0x3fe62e42
	v_mul_f64 v[58:59], v[54:55], s[38:39]
	v_fma_f64 v[60:61], v[54:55], s[38:39], -v[58:59]
	s_mov_b32 s41, 0x3c7abc9e
	v_fmac_f64_e32 v[60:61], s[40:41], v[54:55]
	v_add_f64 v[54:55], v[58:59], v[60:61]
	v_add_f64 v[58:59], v[54:55], -v[58:59]
	v_mul_f64 v[28:29], v[50:51], v[28:29]
	v_add_f64 v[58:59], v[60:61], -v[58:59]
	v_ldexp_f64 v[60:61], v[50:51], 1
	v_mul_f64 v[28:29], v[28:29], v[56:57]
	v_add_f64 v[50:51], v[60:61], v[28:29]
	v_add_f64 v[56:57], v[50:51], -v[60:61]
	v_ldexp_f64 v[26:27], v[26:27], 1
	v_add_f64 v[28:29], v[28:29], -v[56:57]
	v_add_f64 v[26:27], v[26:27], v[28:29]
	v_add_f64 v[28:29], v[50:51], v[26:27]
	v_add_f64 v[50:51], v[28:29], -v[50:51]
	v_add_f64 v[26:27], v[26:27], -v[50:51]
	v_add_f64 v[50:51], v[54:55], v[28:29]
	v_add_f64 v[56:57], v[50:51], -v[54:55]
	v_add_f64 v[60:61], v[50:51], -v[56:57]
	;; [unrolled: 1-line block ×4, first 2 shown]
	v_add_f64 v[28:29], v[28:29], v[54:55]
	v_add_f64 v[54:55], v[58:59], v[26:27]
	v_add_f64 v[56:57], v[54:55], -v[58:59]
	v_add_f64 v[28:29], v[54:55], v[28:29]
	v_add_f64 v[60:61], v[54:55], -v[56:57]
	;; [unrolled: 2-line block ×3, first 2 shown]
	v_add_f64 v[26:27], v[26:27], -v[56:57]
	v_add_f64 v[50:51], v[54:55], -v[50:51]
	v_add_f64 v[26:27], v[26:27], v[58:59]
	v_add_f64 v[28:29], v[28:29], -v[50:51]
	s_mov_b32 s22, 0
	v_add_f64 v[26:27], v[26:27], v[28:29]
	s_mov_b32 s23, 0x7ff00000
	v_add_f64 v[26:27], v[54:55], v[26:27]
	v_cmp_eq_f64_e32 vcc, s[22:23], v[24:25]
	v_cndmask_b32_e32 v26, v26, v24, vcc
	v_cndmask_b32_e32 v27, v27, v25, vcc
	v_mov_b32_e32 v28, 0x7ff80000
	v_cmp_ngt_f64_e32 vcc, -1.0, v[24:25]
	v_cndmask_b32_e32 v27, v28, v27, vcc
	v_cmp_nge_f64_e32 vcc, -1.0, v[24:25]
	v_cndmask_b32_e32 v26, 0, v26, vcc
	v_mov_b32_e32 v28, 0xfff00000
	v_cmp_neq_f64_e32 vcc, -1.0, v[24:25]
	v_cndmask_b32_e32 v27, v28, v27, vcc
	v_add_f64 v[24:25], v[22:23], v[26:27]
.LBB3_62:
	s_or_b64 exec, exec, s[36:37]
	v_mov_b32_e32 v26, v24
	v_mov_b32_e32 v27, v25
	v_pk_mov_b32 v[22:23], v[24:25], v[24:25] op_sel:[0,1]
.LBB3_63:
	s_or_b64 exec, exec, s[26:27]
	v_mov_b32_dpp v24, v26 row_bcast:31 row_mask:0xf bank_mask:0xf
	v_mov_b32_dpp v25, v27 row_bcast:31 row_mask:0xf bank_mask:0xf
	v_cmp_lt_u32_e32 vcc, 31, v53
	s_and_saveexec_b64 s[26:27], vcc
	s_cbranch_execz .LBB3_67
; %bb.64:
	v_max_f64 v[28:29], v[24:25], v[24:25]
	v_max_f64 v[50:51], v[22:23], v[22:23]
	v_min_f64 v[26:27], v[28:29], v[50:51]
	v_cmp_u_f64_e32 vcc, v[24:25], v[24:25]
	v_max_f64 v[28:29], v[28:29], v[50:51]
	v_cndmask_b32_e32 v26, v26, v24, vcc
	v_cndmask_b32_e32 v27, v27, v25, vcc
	v_cmp_u_f64_e64 s[22:23], v[22:23], v[22:23]
	v_cndmask_b32_e32 v28, v28, v24, vcc
	v_cndmask_b32_e32 v29, v29, v25, vcc
	v_cndmask_b32_e64 v27, v27, v23, s[22:23]
	v_cndmask_b32_e64 v26, v26, v22, s[22:23]
	;; [unrolled: 1-line block ×4, first 2 shown]
	v_cmp_neq_f64_e32 vcc, v[26:27], v[22:23]
	v_cmp_class_f64_e64 s[22:23], v[26:27], s7
	s_or_b64 s[22:23], vcc, s[22:23]
	s_and_saveexec_b64 s[36:37], s[22:23]
	s_cbranch_execz .LBB3_66
; %bb.65:
	s_mov_b32 s22, 0x652b82fe
	v_add_f64 v[24:25], v[26:27], -v[22:23]
	s_mov_b32 s23, 0x3ff71547
	v_mul_f64 v[26:27], v[24:25], s[22:23]
	v_rndne_f64_e32 v[26:27], v[26:27]
	s_mov_b32 s39, 0xbfe62e42
	s_mov_b32 s38, 0xfefa39ef
	v_fma_f64 v[28:29], s[38:39], v[26:27], v[24:25]
	s_mov_b32 s41, 0xbc7abc9e
	s_mov_b32 s40, 0x3b39803f
	;; [unrolled: 1-line block ×3, first 2 shown]
	v_fmac_f64_e32 v[28:29], s[40:41], v[26:27]
	v_mov_b32_e32 v50, 0xfca7ab0c
	v_mov_b32_e32 v51, 0x3e928af3
	s_mov_b32 s23, 0x3e5ade15
	v_fmac_f64_e32 v[50:51], s[22:23], v[28:29]
	v_mov_b32_e32 v54, 0x623fde64
	v_mov_b32_e32 v55, 0x3ec71dee
	v_fmac_f64_e32 v[54:55], v[28:29], v[50:51]
	v_mov_b32_e32 v50, 0x7c89e6b0
	v_mov_b32_e32 v51, 0x3efa0199
	;; [unrolled: 3-line block ×8, first 2 shown]
	s_mov_b32 s22, 0
	v_fmac_f64_e32 v[50:51], v[28:29], v[54:55]
	s_mov_b32 s23, 0x40900000
	v_fma_f64 v[50:51], v[28:29], v[50:51], 1.0
	v_cmp_nlt_f64_e32 vcc, s[22:23], v[24:25]
	s_mov_b32 s22, 0
	v_fma_f64 v[28:29], v[28:29], v[50:51], 1.0
	v_cvt_i32_f64_e32 v26, v[26:27]
	s_mov_b32 s23, 0xc090cc00
	v_ldexp_f64 v[26:27], v[28:29], v26
	v_mov_b32_e32 v28, 0x7ff00000
	v_cmp_ngt_f64_e64 s[22:23], s[22:23], v[24:25]
	v_cndmask_b32_e32 v27, v28, v27, vcc
	s_and_b64 vcc, s[22:23], vcc
	v_cndmask_b32_e64 v25, 0, v27, s[22:23]
	v_cndmask_b32_e32 v24, 0, v26, vcc
	v_add_f64 v[26:27], v[24:25], 1.0
	v_add_f64 v[28:29], v[26:27], -1.0
	v_add_f64 v[50:51], v[28:29], -v[26:27]
	v_add_f64 v[50:51], v[50:51], 1.0
	v_add_f64 v[28:29], v[24:25], -v[28:29]
	s_mov_b32 s22, 0x55555555
	v_add_f64 v[28:29], v[28:29], v[50:51]
	v_frexp_mant_f64_e32 v[50:51], v[26:27]
	s_mov_b32 s23, 0x3fe55555
	v_frexp_exp_i32_f64_e32 v52, v[26:27]
	v_cmp_gt_f64_e32 vcc, s[22:23], v[50:51]
	v_subbrev_co_u32_e32 v52, vcc, 0, v52, vcc
	v_sub_u32_e32 v50, 0, v52
	v_ldexp_f64 v[26:27], v[26:27], v50
	v_ldexp_f64 v[28:29], v[28:29], v50
	v_add_f64 v[50:51], v[26:27], -1.0
	v_add_f64 v[58:59], v[26:27], 1.0
	v_add_f64 v[54:55], v[50:51], 1.0
	v_add_f64 v[60:61], v[58:59], -1.0
	v_add_f64 v[54:55], v[26:27], -v[54:55]
	v_add_f64 v[26:27], v[26:27], -v[60:61]
	v_add_f64 v[26:27], v[28:29], v[26:27]
	v_add_f64 v[54:55], v[28:29], v[54:55]
	;; [unrolled: 1-line block ×3, first 2 shown]
	v_rcp_f64_e32 v[60:61], v[28:29]
	v_add_f64 v[56:57], v[50:51], v[54:55]
	v_add_f64 v[50:51], v[56:57], -v[50:51]
	v_add_f64 v[50:51], v[54:55], -v[50:51]
	;; [unrolled: 1-line block ×4, first 2 shown]
	v_fma_f64 v[54:55], -v[28:29], v[60:61], 1.0
	v_fmac_f64_e32 v[60:61], v[54:55], v[60:61]
	v_fma_f64 v[54:55], -v[28:29], v[60:61], 1.0
	v_fmac_f64_e32 v[60:61], v[54:55], v[60:61]
	v_mul_f64 v[54:55], v[56:57], v[60:61]
	v_mul_f64 v[58:59], v[28:29], v[54:55]
	v_fma_f64 v[62:63], v[54:55], v[28:29], -v[58:59]
	v_fmac_f64_e32 v[62:63], v[54:55], v[26:27]
	v_add_f64 v[64:65], v[58:59], v[62:63]
	v_add_f64 v[66:67], v[56:57], -v[64:65]
	v_add_f64 v[56:57], v[56:57], -v[66:67]
	;; [unrolled: 1-line block ×4, first 2 shown]
	v_add_f64 v[50:51], v[50:51], v[56:57]
	v_add_f64 v[56:57], v[58:59], -v[62:63]
	v_add_f64 v[50:51], v[56:57], v[50:51]
	v_add_f64 v[56:57], v[66:67], v[50:51]
	v_add_f64 v[58:59], v[66:67], -v[56:57]
	v_add_f64 v[50:51], v[50:51], v[58:59]
	v_mul_f64 v[58:59], v[60:61], v[56:57]
	v_mul_f64 v[62:63], v[28:29], v[58:59]
	v_fma_f64 v[28:29], v[58:59], v[28:29], -v[62:63]
	v_fmac_f64_e32 v[28:29], v[58:59], v[26:27]
	v_add_f64 v[26:27], v[62:63], v[28:29]
	v_add_f64 v[64:65], v[56:57], -v[26:27]
	v_add_f64 v[56:57], v[56:57], -v[64:65]
	;; [unrolled: 1-line block ×4, first 2 shown]
	v_add_f64 v[26:27], v[50:51], v[26:27]
	v_add_f64 v[28:29], v[62:63], -v[28:29]
	v_add_f64 v[26:27], v[28:29], v[26:27]
	v_add_f64 v[28:29], v[54:55], v[58:59]
	;; [unrolled: 1-line block ×3, first 2 shown]
	v_add_f64 v[50:51], v[28:29], -v[54:55]
	v_mul_f64 v[26:27], v[60:61], v[26:27]
	v_add_f64 v[50:51], v[58:59], -v[50:51]
	v_add_f64 v[26:27], v[50:51], v[26:27]
	v_add_f64 v[50:51], v[28:29], v[26:27]
	v_add_f64 v[28:29], v[50:51], -v[28:29]
	s_mov_b32 s22, 0xbf559e2b
	v_add_f64 v[26:27], v[26:27], -v[28:29]
	v_mul_f64 v[28:29], v[50:51], v[50:51]
	v_mov_b32_e32 v54, 0x6b47b09a
	v_mov_b32_e32 v55, 0x3fc38538
	s_mov_b32 s23, 0x3fc3ab76
	v_fmac_f64_e32 v[54:55], s[22:23], v[28:29]
	v_mov_b32_e32 v56, 0xd7f4df2e
	v_mov_b32_e32 v57, 0x3fc7474d
	v_fmac_f64_e32 v[56:57], v[28:29], v[54:55]
	v_mov_b32_e32 v54, 0x16291751
	v_mov_b32_e32 v55, 0x3fcc71c0
	;; [unrolled: 3-line block ×5, first 2 shown]
	v_fmac_f64_e32 v[56:57], v[28:29], v[54:55]
	v_cvt_f64_i32_e32 v[54:55], v52
	s_mov_b32 s39, 0x3fe62e42
	v_mul_f64 v[58:59], v[54:55], s[38:39]
	v_fma_f64 v[60:61], v[54:55], s[38:39], -v[58:59]
	s_mov_b32 s41, 0x3c7abc9e
	v_fmac_f64_e32 v[60:61], s[40:41], v[54:55]
	v_add_f64 v[54:55], v[58:59], v[60:61]
	v_add_f64 v[58:59], v[54:55], -v[58:59]
	v_mul_f64 v[28:29], v[50:51], v[28:29]
	v_add_f64 v[58:59], v[60:61], -v[58:59]
	v_ldexp_f64 v[60:61], v[50:51], 1
	v_mul_f64 v[28:29], v[28:29], v[56:57]
	v_add_f64 v[50:51], v[60:61], v[28:29]
	v_add_f64 v[56:57], v[50:51], -v[60:61]
	v_ldexp_f64 v[26:27], v[26:27], 1
	v_add_f64 v[28:29], v[28:29], -v[56:57]
	v_add_f64 v[26:27], v[26:27], v[28:29]
	v_add_f64 v[28:29], v[50:51], v[26:27]
	v_add_f64 v[50:51], v[28:29], -v[50:51]
	v_add_f64 v[26:27], v[26:27], -v[50:51]
	v_add_f64 v[50:51], v[54:55], v[28:29]
	v_add_f64 v[56:57], v[50:51], -v[54:55]
	v_add_f64 v[60:61], v[50:51], -v[56:57]
	;; [unrolled: 1-line block ×4, first 2 shown]
	v_add_f64 v[28:29], v[28:29], v[54:55]
	v_add_f64 v[54:55], v[58:59], v[26:27]
	v_add_f64 v[56:57], v[54:55], -v[58:59]
	v_add_f64 v[28:29], v[54:55], v[28:29]
	v_add_f64 v[60:61], v[54:55], -v[56:57]
	;; [unrolled: 2-line block ×3, first 2 shown]
	v_add_f64 v[26:27], v[26:27], -v[56:57]
	v_add_f64 v[50:51], v[54:55], -v[50:51]
	v_add_f64 v[26:27], v[26:27], v[58:59]
	v_add_f64 v[28:29], v[28:29], -v[50:51]
	s_mov_b32 s22, 0
	v_add_f64 v[26:27], v[26:27], v[28:29]
	s_mov_b32 s23, 0x7ff00000
	v_add_f64 v[26:27], v[54:55], v[26:27]
	v_cmp_eq_f64_e32 vcc, s[22:23], v[24:25]
	v_cndmask_b32_e32 v26, v26, v24, vcc
	v_cndmask_b32_e32 v27, v27, v25, vcc
	v_mov_b32_e32 v28, 0x7ff80000
	v_cmp_ngt_f64_e32 vcc, -1.0, v[24:25]
	v_cndmask_b32_e32 v27, v28, v27, vcc
	v_cmp_nge_f64_e32 vcc, -1.0, v[24:25]
	v_cndmask_b32_e32 v26, 0, v26, vcc
	v_mov_b32_e32 v28, 0xfff00000
	v_cmp_neq_f64_e32 vcc, -1.0, v[24:25]
	v_cndmask_b32_e32 v27, v28, v27, vcc
	v_add_f64 v[24:25], v[22:23], v[26:27]
.LBB3_66:
	s_or_b64 exec, exec, s[36:37]
	v_pk_mov_b32 v[22:23], v[24:25], v[24:25] op_sel:[0,1]
.LBB3_67:
	s_or_b64 exec, exec, s[26:27]
	v_or_b32_e32 v24, 63, v0
	v_lshrrev_b32_e32 v52, 6, v0
	v_cmp_eq_u32_e32 vcc, v24, v0
	s_and_saveexec_b64 s[22:23], vcc
	s_cbranch_execz .LBB3_69
; %bb.68:
	v_lshlrev_b32_e32 v24, 3, v52
	ds_write_b64 v24, v[22:23]
.LBB3_69:
	s_or_b64 exec, exec, s[22:23]
	v_cmp_gt_u32_e32 vcc, 2, v0
	s_waitcnt lgkmcnt(0)
	s_barrier
	s_and_saveexec_b64 s[26:27], vcc
	s_cbranch_execz .LBB3_75
; %bb.70:
	ds_read_b64 v[24:25], v92
	v_and_b32_e32 v28, 1, v53
	v_cmp_eq_u32_e32 vcc, 1, v28
	s_waitcnt lgkmcnt(0)
	v_mov_b32_dpp v26, v24 row_shr:1 row_mask:0xf bank_mask:0xf
	v_mov_b32_dpp v27, v25 row_shr:1 row_mask:0xf bank_mask:0xf
	s_and_saveexec_b64 s[36:37], vcc
	s_cbranch_execz .LBB3_74
; %bb.71:
	v_max_f64 v[50:51], v[26:27], v[26:27]
	v_max_f64 v[54:55], v[24:25], v[24:25]
	v_min_f64 v[28:29], v[50:51], v[54:55]
	v_cmp_u_f64_e32 vcc, v[26:27], v[26:27]
	v_max_f64 v[50:51], v[50:51], v[54:55]
	v_cndmask_b32_e32 v28, v28, v26, vcc
	v_cndmask_b32_e32 v29, v29, v27, vcc
	v_cmp_u_f64_e64 s[22:23], v[24:25], v[24:25]
	v_cndmask_b32_e32 v50, v50, v26, vcc
	v_cndmask_b32_e32 v51, v51, v27, vcc
	v_cndmask_b32_e64 v29, v29, v25, s[22:23]
	v_cndmask_b32_e64 v28, v28, v24, s[22:23]
	;; [unrolled: 1-line block ×4, first 2 shown]
	v_cmp_neq_f64_e32 vcc, v[28:29], v[24:25]
	v_cmp_class_f64_e64 s[22:23], v[28:29], s7
	s_or_b64 s[22:23], vcc, s[22:23]
	s_and_saveexec_b64 s[38:39], s[22:23]
	s_cbranch_execz .LBB3_73
; %bb.72:
	s_mov_b32 s22, 0x652b82fe
	v_add_f64 v[26:27], v[28:29], -v[24:25]
	s_mov_b32 s23, 0x3ff71547
	v_mul_f64 v[28:29], v[26:27], s[22:23]
	v_rndne_f64_e32 v[28:29], v[28:29]
	s_mov_b32 s41, 0xbfe62e42
	s_mov_b32 s40, 0xfefa39ef
	v_fma_f64 v[50:51], s[40:41], v[28:29], v[26:27]
	s_mov_b32 s43, 0xbc7abc9e
	s_mov_b32 s42, 0x3b39803f
	;; [unrolled: 1-line block ×3, first 2 shown]
	v_fmac_f64_e32 v[50:51], s[42:43], v[28:29]
	v_mov_b32_e32 v54, 0xfca7ab0c
	v_mov_b32_e32 v55, 0x3e928af3
	s_mov_b32 s23, 0x3e5ade15
	v_fmac_f64_e32 v[54:55], s[22:23], v[50:51]
	v_mov_b32_e32 v56, 0x623fde64
	v_mov_b32_e32 v57, 0x3ec71dee
	v_fmac_f64_e32 v[56:57], v[50:51], v[54:55]
	v_mov_b32_e32 v54, 0x7c89e6b0
	v_mov_b32_e32 v55, 0x3efa0199
	;; [unrolled: 3-line block ×8, first 2 shown]
	s_mov_b32 s22, 0
	v_fmac_f64_e32 v[54:55], v[50:51], v[56:57]
	s_mov_b32 s23, 0x40900000
	v_fma_f64 v[54:55], v[50:51], v[54:55], 1.0
	v_cmp_nlt_f64_e32 vcc, s[22:23], v[26:27]
	s_mov_b32 s22, 0
	v_fma_f64 v[50:51], v[50:51], v[54:55], 1.0
	v_cvt_i32_f64_e32 v28, v[28:29]
	s_mov_b32 s23, 0xc090cc00
	v_ldexp_f64 v[28:29], v[50:51], v28
	v_mov_b32_e32 v50, 0x7ff00000
	v_cmp_ngt_f64_e64 s[22:23], s[22:23], v[26:27]
	v_cndmask_b32_e32 v29, v50, v29, vcc
	s_and_b64 vcc, s[22:23], vcc
	v_cndmask_b32_e64 v27, 0, v29, s[22:23]
	v_cndmask_b32_e32 v26, 0, v28, vcc
	v_add_f64 v[28:29], v[26:27], 1.0
	v_add_f64 v[50:51], v[28:29], -1.0
	v_add_f64 v[54:55], v[50:51], -v[28:29]
	v_add_f64 v[54:55], v[54:55], 1.0
	v_add_f64 v[50:51], v[26:27], -v[50:51]
	s_mov_b32 s22, 0x55555555
	v_add_f64 v[50:51], v[50:51], v[54:55]
	v_frexp_mant_f64_e32 v[54:55], v[28:29]
	s_mov_b32 s23, 0x3fe55555
	v_frexp_exp_i32_f64_e32 v56, v[28:29]
	v_cmp_gt_f64_e32 vcc, s[22:23], v[54:55]
	v_subbrev_co_u32_e32 v70, vcc, 0, v56, vcc
	v_sub_u32_e32 v54, 0, v70
	v_ldexp_f64 v[28:29], v[28:29], v54
	v_ldexp_f64 v[50:51], v[50:51], v54
	v_add_f64 v[54:55], v[28:29], -1.0
	v_add_f64 v[60:61], v[28:29], 1.0
	v_add_f64 v[56:57], v[54:55], 1.0
	v_add_f64 v[62:63], v[60:61], -1.0
	v_add_f64 v[56:57], v[28:29], -v[56:57]
	v_add_f64 v[28:29], v[28:29], -v[62:63]
	v_add_f64 v[28:29], v[50:51], v[28:29]
	v_add_f64 v[56:57], v[50:51], v[56:57]
	;; [unrolled: 1-line block ×3, first 2 shown]
	v_rcp_f64_e32 v[62:63], v[50:51]
	v_add_f64 v[58:59], v[54:55], v[56:57]
	v_add_f64 v[54:55], v[58:59], -v[54:55]
	v_add_f64 v[54:55], v[56:57], -v[54:55]
	;; [unrolled: 1-line block ×4, first 2 shown]
	v_fma_f64 v[56:57], -v[50:51], v[62:63], 1.0
	v_fmac_f64_e32 v[62:63], v[56:57], v[62:63]
	v_fma_f64 v[56:57], -v[50:51], v[62:63], 1.0
	v_fmac_f64_e32 v[62:63], v[56:57], v[62:63]
	v_mul_f64 v[56:57], v[58:59], v[62:63]
	v_mul_f64 v[60:61], v[50:51], v[56:57]
	v_fma_f64 v[64:65], v[56:57], v[50:51], -v[60:61]
	v_fmac_f64_e32 v[64:65], v[56:57], v[28:29]
	v_add_f64 v[66:67], v[60:61], v[64:65]
	v_add_f64 v[68:69], v[58:59], -v[66:67]
	v_add_f64 v[58:59], v[58:59], -v[68:69]
	;; [unrolled: 1-line block ×4, first 2 shown]
	v_add_f64 v[54:55], v[54:55], v[58:59]
	v_add_f64 v[58:59], v[60:61], -v[64:65]
	v_add_f64 v[54:55], v[58:59], v[54:55]
	v_add_f64 v[58:59], v[68:69], v[54:55]
	v_add_f64 v[60:61], v[68:69], -v[58:59]
	v_add_f64 v[54:55], v[54:55], v[60:61]
	v_mul_f64 v[60:61], v[62:63], v[58:59]
	v_mul_f64 v[64:65], v[50:51], v[60:61]
	v_fma_f64 v[50:51], v[60:61], v[50:51], -v[64:65]
	v_fmac_f64_e32 v[50:51], v[60:61], v[28:29]
	v_add_f64 v[28:29], v[64:65], v[50:51]
	v_add_f64 v[66:67], v[58:59], -v[28:29]
	v_add_f64 v[58:59], v[58:59], -v[66:67]
	;; [unrolled: 1-line block ×4, first 2 shown]
	v_add_f64 v[28:29], v[54:55], v[28:29]
	v_add_f64 v[50:51], v[64:65], -v[50:51]
	v_add_f64 v[28:29], v[50:51], v[28:29]
	v_add_f64 v[50:51], v[56:57], v[60:61]
	;; [unrolled: 1-line block ×3, first 2 shown]
	v_add_f64 v[54:55], v[50:51], -v[56:57]
	v_mul_f64 v[28:29], v[62:63], v[28:29]
	v_add_f64 v[54:55], v[60:61], -v[54:55]
	v_add_f64 v[28:29], v[54:55], v[28:29]
	v_add_f64 v[54:55], v[50:51], v[28:29]
	v_add_f64 v[50:51], v[54:55], -v[50:51]
	s_mov_b32 s22, 0xbf559e2b
	v_add_f64 v[28:29], v[28:29], -v[50:51]
	v_mul_f64 v[50:51], v[54:55], v[54:55]
	v_mov_b32_e32 v56, 0x6b47b09a
	v_mov_b32_e32 v57, 0x3fc38538
	s_mov_b32 s23, 0x3fc3ab76
	v_fmac_f64_e32 v[56:57], s[22:23], v[50:51]
	v_mov_b32_e32 v58, 0xd7f4df2e
	v_mov_b32_e32 v59, 0x3fc7474d
	v_fmac_f64_e32 v[58:59], v[50:51], v[56:57]
	v_mov_b32_e32 v56, 0x16291751
	v_mov_b32_e32 v57, 0x3fcc71c0
	;; [unrolled: 3-line block ×5, first 2 shown]
	v_fmac_f64_e32 v[58:59], v[50:51], v[56:57]
	v_cvt_f64_i32_e32 v[56:57], v70
	s_mov_b32 s41, 0x3fe62e42
	v_mul_f64 v[60:61], v[56:57], s[40:41]
	v_fma_f64 v[62:63], v[56:57], s[40:41], -v[60:61]
	s_mov_b32 s43, 0x3c7abc9e
	v_fmac_f64_e32 v[62:63], s[42:43], v[56:57]
	v_add_f64 v[56:57], v[60:61], v[62:63]
	v_add_f64 v[60:61], v[56:57], -v[60:61]
	v_mul_f64 v[50:51], v[54:55], v[50:51]
	v_add_f64 v[60:61], v[62:63], -v[60:61]
	v_ldexp_f64 v[62:63], v[54:55], 1
	v_mul_f64 v[50:51], v[50:51], v[58:59]
	v_add_f64 v[54:55], v[62:63], v[50:51]
	v_add_f64 v[58:59], v[54:55], -v[62:63]
	v_ldexp_f64 v[28:29], v[28:29], 1
	v_add_f64 v[50:51], v[50:51], -v[58:59]
	v_add_f64 v[28:29], v[28:29], v[50:51]
	v_add_f64 v[50:51], v[54:55], v[28:29]
	v_add_f64 v[54:55], v[50:51], -v[54:55]
	v_add_f64 v[28:29], v[28:29], -v[54:55]
	v_add_f64 v[54:55], v[56:57], v[50:51]
	v_add_f64 v[58:59], v[54:55], -v[56:57]
	v_add_f64 v[62:63], v[54:55], -v[58:59]
	v_add_f64 v[56:57], v[56:57], -v[62:63]
	v_add_f64 v[50:51], v[50:51], -v[58:59]
	v_add_f64 v[50:51], v[50:51], v[56:57]
	v_add_f64 v[56:57], v[60:61], v[28:29]
	v_add_f64 v[58:59], v[56:57], -v[60:61]
	v_add_f64 v[50:51], v[56:57], v[50:51]
	v_add_f64 v[62:63], v[56:57], -v[58:59]
	;; [unrolled: 2-line block ×3, first 2 shown]
	v_add_f64 v[28:29], v[28:29], -v[58:59]
	v_add_f64 v[54:55], v[56:57], -v[54:55]
	v_add_f64 v[28:29], v[28:29], v[60:61]
	v_add_f64 v[50:51], v[50:51], -v[54:55]
	s_mov_b32 s22, 0
	v_add_f64 v[28:29], v[28:29], v[50:51]
	s_mov_b32 s23, 0x7ff00000
	v_add_f64 v[28:29], v[56:57], v[28:29]
	v_cmp_eq_f64_e32 vcc, s[22:23], v[26:27]
	v_cndmask_b32_e32 v28, v28, v26, vcc
	v_cndmask_b32_e32 v29, v29, v27, vcc
	v_mov_b32_e32 v50, 0x7ff80000
	v_cmp_ngt_f64_e32 vcc, -1.0, v[26:27]
	v_cndmask_b32_e32 v29, v50, v29, vcc
	v_cmp_nge_f64_e32 vcc, -1.0, v[26:27]
	v_cndmask_b32_e32 v28, 0, v28, vcc
	v_mov_b32_e32 v50, 0xfff00000
	v_cmp_neq_f64_e32 vcc, -1.0, v[26:27]
	v_cndmask_b32_e32 v29, v50, v29, vcc
	v_add_f64 v[26:27], v[24:25], v[28:29]
.LBB3_73:
	s_or_b64 exec, exec, s[38:39]
	v_pk_mov_b32 v[24:25], v[26:27], v[26:27] op_sel:[0,1]
.LBB3_74:
	s_or_b64 exec, exec, s[36:37]
	ds_write_b64 v92, v[24:25]
.LBB3_75:
	s_or_b64 exec, exec, s[26:27]
	v_cmp_gt_u32_e32 vcc, 64, v0
	v_cmp_lt_u32_e64 s[22:23], 63, v0
	s_waitcnt lgkmcnt(0)
	s_barrier
	s_waitcnt lgkmcnt(0)
                                        ; implicit-def: $vgpr50_vgpr51
	s_and_saveexec_b64 s[36:37], s[22:23]
	s_cbranch_execz .LBB3_79
; %bb.76:
	v_lshl_add_u32 v24, v52, 3, -8
	ds_read_b64 v[50:51], v24
	v_max_f64 v[24:25], v[22:23], v[22:23]
	v_cmp_u_f64_e64 s[26:27], v[22:23], v[22:23]
	s_waitcnt lgkmcnt(0)
	v_max_f64 v[28:29], v[50:51], v[50:51]
	v_min_f64 v[26:27], v[28:29], v[24:25]
	v_cmp_u_f64_e64 s[22:23], v[50:51], v[50:51]
	v_max_f64 v[24:25], v[28:29], v[24:25]
	v_cndmask_b32_e64 v26, v26, v50, s[22:23]
	v_cndmask_b32_e64 v27, v27, v51, s[22:23]
	;; [unrolled: 1-line block ×8, first 2 shown]
	v_cmp_neq_f64_e64 s[22:23], v[26:27], v[24:25]
	v_cmp_class_f64_e64 s[26:27], v[26:27], s7
	s_or_b64 s[22:23], s[22:23], s[26:27]
	v_pk_mov_b32 v[22:23], v[50:51], v[50:51] op_sel:[0,1]
	s_and_saveexec_b64 s[38:39], s[22:23]
	s_cbranch_execz .LBB3_78
; %bb.77:
	s_mov_b32 s22, 0x652b82fe
	v_add_f64 v[22:23], v[26:27], -v[24:25]
	s_mov_b32 s23, 0x3ff71547
	v_mul_f64 v[26:27], v[22:23], s[22:23]
	v_rndne_f64_e32 v[26:27], v[26:27]
	s_mov_b32 s41, 0xbfe62e42
	s_mov_b32 s40, 0xfefa39ef
	v_fma_f64 v[28:29], s[40:41], v[26:27], v[22:23]
	s_mov_b32 s43, 0xbc7abc9e
	s_mov_b32 s42, 0x3b39803f
	;; [unrolled: 1-line block ×3, first 2 shown]
	v_fmac_f64_e32 v[28:29], s[42:43], v[26:27]
	v_mov_b32_e32 v54, 0xfca7ab0c
	v_mov_b32_e32 v55, 0x3e928af3
	s_mov_b32 s23, 0x3e5ade15
	v_fmac_f64_e32 v[54:55], s[22:23], v[28:29]
	v_mov_b32_e32 v56, 0x623fde64
	v_mov_b32_e32 v57, 0x3ec71dee
	v_fmac_f64_e32 v[56:57], v[28:29], v[54:55]
	v_mov_b32_e32 v54, 0x7c89e6b0
	v_mov_b32_e32 v55, 0x3efa0199
	v_fmac_f64_e32 v[54:55], v[28:29], v[56:57]
	v_mov_b32_e32 v56, 0x14761f6e
	v_mov_b32_e32 v57, 0x3f2a01a0
	v_fmac_f64_e32 v[56:57], v[28:29], v[54:55]
	v_mov_b32_e32 v54, 0x1852b7b0
	v_mov_b32_e32 v55, 0x3f56c16c
	v_fmac_f64_e32 v[54:55], v[28:29], v[56:57]
	v_mov_b32_e32 v56, 0x11122322
	v_mov_b32_e32 v57, 0x3f811111
	v_fmac_f64_e32 v[56:57], v[28:29], v[54:55]
	v_mov_b32_e32 v54, 0x555502a1
	v_mov_b32_e32 v55, 0x3fa55555
	v_fmac_f64_e32 v[54:55], v[28:29], v[56:57]
	v_mov_b32_e32 v56, 0x55555511
	v_mov_b32_e32 v57, 0x3fc55555
	v_fmac_f64_e32 v[56:57], v[28:29], v[54:55]
	v_mov_b32_e32 v54, 11
	v_mov_b32_e32 v55, 0x3fe00000
	v_fmac_f64_e32 v[54:55], v[28:29], v[56:57]
	v_fma_f64 v[54:55], v[28:29], v[54:55], 1.0
	s_mov_b32 s22, 0
	s_mov_b32 s26, 0
	v_fma_f64 v[28:29], v[28:29], v[54:55], 1.0
	v_cvt_i32_f64_e32 v26, v[26:27]
	s_mov_b32 s23, 0x40900000
	s_mov_b32 s27, 0xc090cc00
	v_ldexp_f64 v[26:27], v[28:29], v26
	v_mov_b32_e32 v28, 0x7ff00000
	v_cmp_nlt_f64_e64 s[22:23], s[22:23], v[22:23]
	v_cmp_ngt_f64_e64 s[26:27], s[26:27], v[22:23]
	v_cndmask_b32_e64 v27, v28, v27, s[22:23]
	s_and_b64 s[22:23], s[26:27], s[22:23]
	v_cndmask_b32_e64 v23, 0, v27, s[26:27]
	v_cndmask_b32_e64 v22, 0, v26, s[22:23]
	v_add_f64 v[26:27], v[22:23], 1.0
	v_add_f64 v[28:29], v[26:27], -1.0
	v_add_f64 v[54:55], v[28:29], -v[26:27]
	v_add_f64 v[54:55], v[54:55], 1.0
	v_add_f64 v[28:29], v[22:23], -v[28:29]
	s_mov_b32 s22, 0x55555555
	v_add_f64 v[28:29], v[28:29], v[54:55]
	v_frexp_mant_f64_e32 v[54:55], v[26:27]
	s_mov_b32 s23, 0x3fe55555
	v_frexp_exp_i32_f64_e32 v52, v[26:27]
	v_cmp_gt_f64_e64 s[22:23], s[22:23], v[54:55]
	v_subbrev_co_u32_e64 v52, s[22:23], 0, v52, s[22:23]
	v_sub_u32_e32 v54, 0, v52
	v_ldexp_f64 v[26:27], v[26:27], v54
	v_ldexp_f64 v[28:29], v[28:29], v54
	v_add_f64 v[54:55], v[26:27], -1.0
	v_add_f64 v[60:61], v[26:27], 1.0
	v_add_f64 v[56:57], v[54:55], 1.0
	v_add_f64 v[62:63], v[60:61], -1.0
	v_add_f64 v[56:57], v[26:27], -v[56:57]
	v_add_f64 v[26:27], v[26:27], -v[62:63]
	v_add_f64 v[26:27], v[28:29], v[26:27]
	v_add_f64 v[56:57], v[28:29], v[56:57]
	;; [unrolled: 1-line block ×3, first 2 shown]
	v_rcp_f64_e32 v[62:63], v[28:29]
	v_add_f64 v[58:59], v[54:55], v[56:57]
	v_add_f64 v[54:55], v[58:59], -v[54:55]
	v_add_f64 v[54:55], v[56:57], -v[54:55]
	;; [unrolled: 1-line block ×4, first 2 shown]
	v_fma_f64 v[56:57], -v[28:29], v[62:63], 1.0
	v_fmac_f64_e32 v[62:63], v[56:57], v[62:63]
	v_fma_f64 v[56:57], -v[28:29], v[62:63], 1.0
	v_fmac_f64_e32 v[62:63], v[56:57], v[62:63]
	v_mul_f64 v[56:57], v[58:59], v[62:63]
	v_mul_f64 v[60:61], v[28:29], v[56:57]
	v_fma_f64 v[64:65], v[56:57], v[28:29], -v[60:61]
	v_fmac_f64_e32 v[64:65], v[56:57], v[26:27]
	v_add_f64 v[66:67], v[60:61], v[64:65]
	v_add_f64 v[68:69], v[58:59], -v[66:67]
	v_add_f64 v[58:59], v[58:59], -v[68:69]
	;; [unrolled: 1-line block ×4, first 2 shown]
	v_add_f64 v[54:55], v[54:55], v[58:59]
	v_add_f64 v[58:59], v[60:61], -v[64:65]
	v_add_f64 v[54:55], v[58:59], v[54:55]
	v_add_f64 v[58:59], v[68:69], v[54:55]
	v_add_f64 v[60:61], v[68:69], -v[58:59]
	v_add_f64 v[54:55], v[54:55], v[60:61]
	v_mul_f64 v[60:61], v[62:63], v[58:59]
	v_mul_f64 v[64:65], v[28:29], v[60:61]
	v_fma_f64 v[28:29], v[60:61], v[28:29], -v[64:65]
	v_fmac_f64_e32 v[28:29], v[60:61], v[26:27]
	v_add_f64 v[26:27], v[64:65], v[28:29]
	v_add_f64 v[66:67], v[58:59], -v[26:27]
	v_add_f64 v[58:59], v[58:59], -v[66:67]
	;; [unrolled: 1-line block ×4, first 2 shown]
	v_add_f64 v[26:27], v[54:55], v[26:27]
	v_add_f64 v[28:29], v[64:65], -v[28:29]
	v_add_f64 v[26:27], v[28:29], v[26:27]
	v_add_f64 v[28:29], v[56:57], v[60:61]
	;; [unrolled: 1-line block ×3, first 2 shown]
	v_add_f64 v[54:55], v[28:29], -v[56:57]
	v_mul_f64 v[26:27], v[62:63], v[26:27]
	v_add_f64 v[54:55], v[60:61], -v[54:55]
	v_add_f64 v[26:27], v[54:55], v[26:27]
	v_add_f64 v[54:55], v[28:29], v[26:27]
	v_add_f64 v[28:29], v[54:55], -v[28:29]
	s_mov_b32 s22, 0xbf559e2b
	v_add_f64 v[26:27], v[26:27], -v[28:29]
	v_mul_f64 v[28:29], v[54:55], v[54:55]
	v_mov_b32_e32 v56, 0x6b47b09a
	v_mov_b32_e32 v57, 0x3fc38538
	s_mov_b32 s23, 0x3fc3ab76
	v_fmac_f64_e32 v[56:57], s[22:23], v[28:29]
	v_mov_b32_e32 v58, 0xd7f4df2e
	v_mov_b32_e32 v59, 0x3fc7474d
	v_fmac_f64_e32 v[58:59], v[28:29], v[56:57]
	v_mov_b32_e32 v56, 0x16291751
	v_mov_b32_e32 v57, 0x3fcc71c0
	;; [unrolled: 3-line block ×5, first 2 shown]
	v_fmac_f64_e32 v[58:59], v[28:29], v[56:57]
	v_cvt_f64_i32_e32 v[56:57], v52
	s_mov_b32 s41, 0x3fe62e42
	v_mul_f64 v[60:61], v[56:57], s[40:41]
	v_fma_f64 v[62:63], v[56:57], s[40:41], -v[60:61]
	s_mov_b32 s43, 0x3c7abc9e
	v_fmac_f64_e32 v[62:63], s[42:43], v[56:57]
	v_add_f64 v[56:57], v[60:61], v[62:63]
	v_add_f64 v[60:61], v[56:57], -v[60:61]
	v_mul_f64 v[28:29], v[54:55], v[28:29]
	v_add_f64 v[60:61], v[62:63], -v[60:61]
	v_ldexp_f64 v[62:63], v[54:55], 1
	v_mul_f64 v[28:29], v[28:29], v[58:59]
	v_add_f64 v[54:55], v[62:63], v[28:29]
	v_add_f64 v[58:59], v[54:55], -v[62:63]
	v_ldexp_f64 v[26:27], v[26:27], 1
	v_add_f64 v[28:29], v[28:29], -v[58:59]
	v_add_f64 v[26:27], v[26:27], v[28:29]
	v_add_f64 v[28:29], v[54:55], v[26:27]
	v_add_f64 v[54:55], v[28:29], -v[54:55]
	v_add_f64 v[26:27], v[26:27], -v[54:55]
	v_add_f64 v[54:55], v[56:57], v[28:29]
	v_add_f64 v[58:59], v[54:55], -v[56:57]
	v_add_f64 v[62:63], v[54:55], -v[58:59]
	;; [unrolled: 1-line block ×4, first 2 shown]
	v_add_f64 v[28:29], v[28:29], v[56:57]
	v_add_f64 v[56:57], v[60:61], v[26:27]
	v_add_f64 v[58:59], v[56:57], -v[60:61]
	v_add_f64 v[28:29], v[56:57], v[28:29]
	v_add_f64 v[62:63], v[56:57], -v[58:59]
	v_add_f64 v[56:57], v[54:55], v[28:29]
	v_add_f64 v[60:61], v[60:61], -v[62:63]
	v_add_f64 v[26:27], v[26:27], -v[58:59]
	v_add_f64 v[54:55], v[56:57], -v[54:55]
	v_add_f64 v[26:27], v[26:27], v[60:61]
	v_add_f64 v[28:29], v[28:29], -v[54:55]
	s_mov_b32 s22, 0
	v_add_f64 v[26:27], v[26:27], v[28:29]
	s_mov_b32 s23, 0x7ff00000
	v_add_f64 v[26:27], v[56:57], v[26:27]
	v_cmp_eq_f64_e64 s[22:23], s[22:23], v[22:23]
	v_cndmask_b32_e64 v26, v26, v22, s[22:23]
	v_cndmask_b32_e64 v27, v27, v23, s[22:23]
	v_mov_b32_e32 v28, 0x7ff80000
	v_cmp_ngt_f64_e64 s[22:23], -1.0, v[22:23]
	v_cndmask_b32_e64 v27, v28, v27, s[22:23]
	v_cmp_nge_f64_e64 s[22:23], -1.0, v[22:23]
	v_cndmask_b32_e64 v26, 0, v26, s[22:23]
	v_mov_b32_e32 v28, 0xfff00000
	v_cmp_neq_f64_e64 s[22:23], -1.0, v[22:23]
	v_cndmask_b32_e64 v27, v28, v27, s[22:23]
	v_add_f64 v[22:23], v[24:25], v[26:27]
.LBB3_78:
	s_or_b64 exec, exec, s[38:39]
.LBB3_79:
	s_or_b64 exec, exec, s[36:37]
	v_add_u32_e32 v24, -1, v53
	v_and_b32_e32 v25, 64, v53
	v_cmp_lt_i32_e64 s[22:23], v24, v25
	v_cndmask_b32_e64 v24, v24, v53, s[22:23]
	v_lshlrev_b32_e32 v24, 2, v24
	ds_bpermute_b32 v94, v24, v22
	ds_bpermute_b32 v95, v24, v23
	v_cmp_eq_u32_e64 s[22:23], 0, v53
	s_and_saveexec_b64 s[36:37], vcc
	s_cbranch_execz .LBB3_150
; %bb.80:
	v_mov_b32_e32 v25, 0
	ds_read_b64 v[22:23], v25 offset:8
	s_and_saveexec_b64 s[26:27], s[22:23]
	s_cbranch_execz .LBB3_82
; %bb.81:
	s_add_i32 s38, s6, 64
	s_mov_b32 s39, 0
	s_lshl_b64 s[38:39], s[38:39], 4
	s_add_u32 s38, s58, s38
	s_addc_u32 s39, s59, s39
	v_mov_b32_e32 v24, 1
	v_pk_mov_b32 v[26:27], s[38:39], s[38:39] op_sel:[0,1]
	s_waitcnt lgkmcnt(0)
	;;#ASMSTART
	global_store_dwordx4 v[26:27], v[22:25] off	
s_waitcnt vmcnt(0)
	;;#ASMEND
.LBB3_82:
	s_or_b64 exec, exec, s[26:27]
	v_xad_u32 v52, v53, -1, s6
	v_add_u32_e32 v24, 64, v52
	v_lshlrev_b64 v[26:27], 4, v[24:25]
	v_mov_b32_e32 v24, s59
	v_add_co_u32_e32 v54, vcc, s58, v26
	v_addc_co_u32_e32 v55, vcc, v24, v27, vcc
	;;#ASMSTART
	global_load_dwordx4 v[26:29], v[54:55] off glc	
s_waitcnt vmcnt(0)
	;;#ASMEND
	v_and_b32_e32 v24, 0xff, v27
	v_and_b32_e32 v29, 0xff00, v27
	v_or3_b32 v24, 0, v24, v29
	v_or3_b32 v26, v26, 0, 0
	v_and_b32_e32 v29, 0xff000000, v27
	v_and_b32_e32 v27, 0xff0000, v27
	v_or3_b32 v27, v24, v27, v29
	v_or3_b32 v26, v26, 0, 0
	v_cmp_eq_u16_sdwa s[38:39], v28, v25 src0_sel:BYTE_0 src1_sel:DWORD
	s_and_saveexec_b64 s[26:27], s[38:39]
	s_cbranch_execz .LBB3_86
; %bb.83:
	s_mov_b64 s[38:39], 0
	v_mov_b32_e32 v24, 0
.LBB3_84:                               ; =>This Inner Loop Header: Depth=1
	;;#ASMSTART
	global_load_dwordx4 v[26:29], v[54:55] off glc	
s_waitcnt vmcnt(0)
	;;#ASMEND
	v_cmp_ne_u16_sdwa s[40:41], v28, v24 src0_sel:BYTE_0 src1_sel:DWORD
	s_or_b64 s[38:39], s[40:41], s[38:39]
	s_andn2_b64 exec, exec, s[38:39]
	s_cbranch_execnz .LBB3_84
; %bb.85:
	s_or_b64 exec, exec, s[38:39]
.LBB3_86:
	s_or_b64 exec, exec, s[26:27]
	v_and_b32_e32 v96, 63, v53
	v_mov_b32_e32 v24, 2
	v_cmp_ne_u32_e32 vcc, 63, v96
	v_cmp_eq_u16_sdwa s[26:27], v28, v24 src0_sel:BYTE_0 src1_sel:DWORD
	v_lshlrev_b64 v[24:25], v53, -1
	v_addc_co_u32_e32 v54, vcc, 0, v53, vcc
	v_and_b32_e32 v29, s27, v25
	v_lshlrev_b32_e32 v97, 2, v54
	v_or_b32_e32 v29, 0x80000000, v29
	ds_bpermute_b32 v54, v97, v26
	ds_bpermute_b32 v55, v97, v27
	v_and_b32_e32 v56, s26, v24
	v_ffbl_b32_e32 v29, v29
	v_add_u32_e32 v29, 32, v29
	v_ffbl_b32_e32 v56, v56
	v_min_u32_e32 v29, v56, v29
	v_cmp_lt_u32_e32 vcc, v96, v29
	v_pk_mov_b32 v[86:87], v[26:27], v[26:27] op_sel:[0,1]
	s_and_saveexec_b64 s[38:39], vcc
	s_cbranch_execz .LBB3_90
; %bb.87:
	s_waitcnt lgkmcnt(0)
	v_max_f64 v[58:59], v[54:55], v[54:55]
	v_max_f64 v[60:61], v[26:27], v[26:27]
	v_min_f64 v[56:57], v[58:59], v[60:61]
	v_cmp_u_f64_e32 vcc, v[54:55], v[54:55]
	v_max_f64 v[58:59], v[58:59], v[60:61]
	v_cndmask_b32_e32 v56, v56, v54, vcc
	v_cndmask_b32_e32 v57, v57, v55, vcc
	v_cmp_u_f64_e64 s[26:27], v[26:27], v[26:27]
	v_cndmask_b32_e32 v58, v58, v54, vcc
	v_cndmask_b32_e32 v59, v59, v55, vcc
	v_cndmask_b32_e64 v57, v57, v27, s[26:27]
	v_cndmask_b32_e64 v56, v56, v26, s[26:27]
	;; [unrolled: 1-line block ×4, first 2 shown]
	s_movk_i32 s7, 0x1f8
	v_cmp_neq_f64_e32 vcc, v[56:57], v[26:27]
	v_cmp_class_f64_e64 s[26:27], v[56:57], s7
	s_or_b64 s[26:27], vcc, s[26:27]
	s_and_saveexec_b64 s[40:41], s[26:27]
	s_cbranch_execz .LBB3_89
; %bb.88:
	s_mov_b32 s26, 0x652b82fe
	v_add_f64 v[54:55], v[56:57], -v[26:27]
	s_mov_b32 s27, 0x3ff71547
	v_mul_f64 v[56:57], v[54:55], s[26:27]
	v_rndne_f64_e32 v[56:57], v[56:57]
	s_mov_b32 s43, 0xbfe62e42
	s_mov_b32 s42, 0xfefa39ef
	v_fma_f64 v[58:59], s[42:43], v[56:57], v[54:55]
	s_mov_b32 s45, 0xbc7abc9e
	s_mov_b32 s44, 0x3b39803f
	;; [unrolled: 1-line block ×3, first 2 shown]
	v_fmac_f64_e32 v[58:59], s[44:45], v[56:57]
	v_mov_b32_e32 v60, 0xfca7ab0c
	v_mov_b32_e32 v61, 0x3e928af3
	s_mov_b32 s27, 0x3e5ade15
	v_fmac_f64_e32 v[60:61], s[26:27], v[58:59]
	v_mov_b32_e32 v62, 0x623fde64
	v_mov_b32_e32 v63, 0x3ec71dee
	v_fmac_f64_e32 v[62:63], v[58:59], v[60:61]
	v_mov_b32_e32 v60, 0x7c89e6b0
	v_mov_b32_e32 v61, 0x3efa0199
	;; [unrolled: 3-line block ×8, first 2 shown]
	s_mov_b32 s26, 0
	v_fmac_f64_e32 v[60:61], v[58:59], v[62:63]
	s_mov_b32 s27, 0x40900000
	v_fma_f64 v[60:61], v[58:59], v[60:61], 1.0
	v_cmp_nlt_f64_e32 vcc, s[26:27], v[54:55]
	s_mov_b32 s26, 0
	v_fma_f64 v[58:59], v[58:59], v[60:61], 1.0
	v_cvt_i32_f64_e32 v56, v[56:57]
	s_mov_b32 s27, 0xc090cc00
	v_ldexp_f64 v[56:57], v[58:59], v56
	v_mov_b32_e32 v58, 0x7ff00000
	v_cmp_ngt_f64_e64 s[26:27], s[26:27], v[54:55]
	v_cndmask_b32_e32 v57, v58, v57, vcc
	s_and_b64 vcc, s[26:27], vcc
	v_cndmask_b32_e64 v55, 0, v57, s[26:27]
	v_cndmask_b32_e32 v54, 0, v56, vcc
	v_add_f64 v[56:57], v[54:55], 1.0
	v_add_f64 v[58:59], v[56:57], -1.0
	v_add_f64 v[60:61], v[58:59], -v[56:57]
	v_add_f64 v[60:61], v[60:61], 1.0
	v_add_f64 v[58:59], v[54:55], -v[58:59]
	s_mov_b32 s26, 0x55555555
	v_add_f64 v[58:59], v[58:59], v[60:61]
	v_frexp_mant_f64_e32 v[60:61], v[56:57]
	s_mov_b32 s27, 0x3fe55555
	v_frexp_exp_i32_f64_e32 v62, v[56:57]
	v_cmp_gt_f64_e32 vcc, s[26:27], v[60:61]
	v_subbrev_co_u32_e32 v76, vcc, 0, v62, vcc
	v_sub_u32_e32 v60, 0, v76
	v_ldexp_f64 v[56:57], v[56:57], v60
	v_ldexp_f64 v[58:59], v[58:59], v60
	v_add_f64 v[60:61], v[56:57], -1.0
	v_add_f64 v[66:67], v[56:57], 1.0
	v_add_f64 v[62:63], v[60:61], 1.0
	v_add_f64 v[68:69], v[66:67], -1.0
	v_add_f64 v[62:63], v[56:57], -v[62:63]
	v_add_f64 v[56:57], v[56:57], -v[68:69]
	v_add_f64 v[56:57], v[58:59], v[56:57]
	v_add_f64 v[62:63], v[58:59], v[62:63]
	;; [unrolled: 1-line block ×3, first 2 shown]
	v_rcp_f64_e32 v[68:69], v[58:59]
	v_add_f64 v[64:65], v[60:61], v[62:63]
	v_add_f64 v[60:61], v[64:65], -v[60:61]
	v_add_f64 v[60:61], v[62:63], -v[60:61]
	;; [unrolled: 1-line block ×4, first 2 shown]
	v_fma_f64 v[62:63], -v[58:59], v[68:69], 1.0
	v_fmac_f64_e32 v[68:69], v[62:63], v[68:69]
	v_fma_f64 v[62:63], -v[58:59], v[68:69], 1.0
	v_fmac_f64_e32 v[68:69], v[62:63], v[68:69]
	v_mul_f64 v[62:63], v[64:65], v[68:69]
	v_mul_f64 v[66:67], v[58:59], v[62:63]
	v_fma_f64 v[70:71], v[62:63], v[58:59], -v[66:67]
	v_fmac_f64_e32 v[70:71], v[62:63], v[56:57]
	v_add_f64 v[72:73], v[66:67], v[70:71]
	v_add_f64 v[74:75], v[64:65], -v[72:73]
	v_add_f64 v[64:65], v[64:65], -v[74:75]
	;; [unrolled: 1-line block ×4, first 2 shown]
	v_add_f64 v[60:61], v[60:61], v[64:65]
	v_add_f64 v[64:65], v[66:67], -v[70:71]
	v_add_f64 v[60:61], v[64:65], v[60:61]
	v_add_f64 v[64:65], v[74:75], v[60:61]
	v_add_f64 v[66:67], v[74:75], -v[64:65]
	v_add_f64 v[60:61], v[60:61], v[66:67]
	v_mul_f64 v[66:67], v[68:69], v[64:65]
	v_mul_f64 v[70:71], v[58:59], v[66:67]
	v_fma_f64 v[58:59], v[66:67], v[58:59], -v[70:71]
	v_fmac_f64_e32 v[58:59], v[66:67], v[56:57]
	v_add_f64 v[56:57], v[70:71], v[58:59]
	v_add_f64 v[72:73], v[64:65], -v[56:57]
	v_add_f64 v[64:65], v[64:65], -v[72:73]
	;; [unrolled: 1-line block ×4, first 2 shown]
	v_add_f64 v[56:57], v[60:61], v[56:57]
	v_add_f64 v[58:59], v[70:71], -v[58:59]
	v_add_f64 v[56:57], v[58:59], v[56:57]
	v_add_f64 v[58:59], v[62:63], v[66:67]
	;; [unrolled: 1-line block ×3, first 2 shown]
	v_add_f64 v[60:61], v[58:59], -v[62:63]
	v_mul_f64 v[56:57], v[68:69], v[56:57]
	v_add_f64 v[60:61], v[66:67], -v[60:61]
	v_add_f64 v[56:57], v[60:61], v[56:57]
	v_add_f64 v[60:61], v[58:59], v[56:57]
	v_add_f64 v[58:59], v[60:61], -v[58:59]
	s_mov_b32 s26, 0xbf559e2b
	v_add_f64 v[56:57], v[56:57], -v[58:59]
	v_mul_f64 v[58:59], v[60:61], v[60:61]
	v_mov_b32_e32 v62, 0x6b47b09a
	v_mov_b32_e32 v63, 0x3fc38538
	s_mov_b32 s27, 0x3fc3ab76
	v_fmac_f64_e32 v[62:63], s[26:27], v[58:59]
	v_mov_b32_e32 v64, 0xd7f4df2e
	v_mov_b32_e32 v65, 0x3fc7474d
	v_fmac_f64_e32 v[64:65], v[58:59], v[62:63]
	v_mov_b32_e32 v62, 0x16291751
	v_mov_b32_e32 v63, 0x3fcc71c0
	;; [unrolled: 3-line block ×5, first 2 shown]
	v_fmac_f64_e32 v[64:65], v[58:59], v[62:63]
	v_cvt_f64_i32_e32 v[62:63], v76
	s_mov_b32 s43, 0x3fe62e42
	v_mul_f64 v[66:67], v[62:63], s[42:43]
	v_fma_f64 v[68:69], v[62:63], s[42:43], -v[66:67]
	s_mov_b32 s45, 0x3c7abc9e
	v_fmac_f64_e32 v[68:69], s[44:45], v[62:63]
	v_add_f64 v[62:63], v[66:67], v[68:69]
	v_add_f64 v[66:67], v[62:63], -v[66:67]
	v_mul_f64 v[58:59], v[60:61], v[58:59]
	v_add_f64 v[66:67], v[68:69], -v[66:67]
	v_ldexp_f64 v[68:69], v[60:61], 1
	v_mul_f64 v[58:59], v[58:59], v[64:65]
	v_add_f64 v[60:61], v[68:69], v[58:59]
	v_add_f64 v[64:65], v[60:61], -v[68:69]
	v_ldexp_f64 v[56:57], v[56:57], 1
	v_add_f64 v[58:59], v[58:59], -v[64:65]
	v_add_f64 v[56:57], v[56:57], v[58:59]
	v_add_f64 v[58:59], v[60:61], v[56:57]
	v_add_f64 v[60:61], v[58:59], -v[60:61]
	v_add_f64 v[56:57], v[56:57], -v[60:61]
	v_add_f64 v[60:61], v[62:63], v[58:59]
	v_add_f64 v[64:65], v[60:61], -v[62:63]
	v_add_f64 v[68:69], v[60:61], -v[64:65]
	;; [unrolled: 1-line block ×4, first 2 shown]
	v_add_f64 v[58:59], v[58:59], v[62:63]
	v_add_f64 v[62:63], v[66:67], v[56:57]
	v_add_f64 v[64:65], v[62:63], -v[66:67]
	v_add_f64 v[58:59], v[62:63], v[58:59]
	v_add_f64 v[68:69], v[62:63], -v[64:65]
	;; [unrolled: 2-line block ×3, first 2 shown]
	v_add_f64 v[56:57], v[56:57], -v[64:65]
	v_add_f64 v[60:61], v[62:63], -v[60:61]
	v_add_f64 v[56:57], v[56:57], v[66:67]
	v_add_f64 v[58:59], v[58:59], -v[60:61]
	s_mov_b32 s26, 0
	v_add_f64 v[56:57], v[56:57], v[58:59]
	s_mov_b32 s27, 0x7ff00000
	v_add_f64 v[56:57], v[62:63], v[56:57]
	v_cmp_eq_f64_e32 vcc, s[26:27], v[54:55]
	v_cndmask_b32_e32 v56, v56, v54, vcc
	v_cndmask_b32_e32 v57, v57, v55, vcc
	v_mov_b32_e32 v58, 0x7ff80000
	v_cmp_ngt_f64_e32 vcc, -1.0, v[54:55]
	v_cndmask_b32_e32 v57, v58, v57, vcc
	v_cmp_nge_f64_e32 vcc, -1.0, v[54:55]
	v_cndmask_b32_e32 v56, 0, v56, vcc
	v_mov_b32_e32 v58, 0xfff00000
	v_cmp_neq_f64_e32 vcc, -1.0, v[54:55]
	v_cndmask_b32_e32 v57, v58, v57, vcc
	v_add_f64 v[54:55], v[26:27], v[56:57]
.LBB3_89:
	s_or_b64 exec, exec, s[40:41]
	v_mov_b32_e32 v26, v54
	v_mov_b32_e32 v27, v55
	v_pk_mov_b32 v[86:87], v[54:55], v[54:55] op_sel:[0,1]
.LBB3_90:
	s_or_b64 exec, exec, s[38:39]
	v_cmp_gt_u32_e32 vcc, 62, v96
	s_waitcnt lgkmcnt(1)
	v_cndmask_b32_e64 v54, 0, 1, vcc
	v_lshlrev_b32_e32 v54, 1, v54
	v_add_lshl_u32 v98, v54, v53, 2
	ds_bpermute_b32 v54, v98, v26
	s_waitcnt lgkmcnt(1)
	ds_bpermute_b32 v55, v98, v27
	v_add_u32_e32 v99, 2, v96
	v_cmp_le_u32_e32 vcc, v99, v29
	s_and_saveexec_b64 s[38:39], vcc
	s_cbranch_execz .LBB3_94
; %bb.91:
	s_waitcnt lgkmcnt(0)
	v_max_f64 v[26:27], v[54:55], v[54:55]
	v_max_f64 v[58:59], v[86:87], v[86:87]
	v_min_f64 v[56:57], v[26:27], v[58:59]
	v_cmp_u_f64_e32 vcc, v[54:55], v[54:55]
	v_max_f64 v[26:27], v[26:27], v[58:59]
	v_cndmask_b32_e32 v56, v56, v54, vcc
	v_cndmask_b32_e32 v57, v57, v55, vcc
	v_cmp_u_f64_e64 s[26:27], v[86:87], v[86:87]
	v_cndmask_b32_e32 v26, v26, v54, vcc
	v_cndmask_b32_e32 v27, v27, v55, vcc
	v_cndmask_b32_e64 v57, v57, v87, s[26:27]
	v_cndmask_b32_e64 v56, v56, v86, s[26:27]
	;; [unrolled: 1-line block ×4, first 2 shown]
	s_movk_i32 s7, 0x1f8
	v_cmp_neq_f64_e32 vcc, v[56:57], v[26:27]
	v_cmp_class_f64_e64 s[26:27], v[56:57], s7
	s_or_b64 s[26:27], vcc, s[26:27]
	s_and_saveexec_b64 s[40:41], s[26:27]
	s_cbranch_execz .LBB3_93
; %bb.92:
	s_mov_b32 s26, 0x652b82fe
	v_add_f64 v[54:55], v[56:57], -v[26:27]
	s_mov_b32 s27, 0x3ff71547
	v_mul_f64 v[56:57], v[54:55], s[26:27]
	v_rndne_f64_e32 v[56:57], v[56:57]
	s_mov_b32 s43, 0xbfe62e42
	s_mov_b32 s42, 0xfefa39ef
	v_fma_f64 v[58:59], s[42:43], v[56:57], v[54:55]
	s_mov_b32 s45, 0xbc7abc9e
	s_mov_b32 s44, 0x3b39803f
	;; [unrolled: 1-line block ×3, first 2 shown]
	v_fmac_f64_e32 v[58:59], s[44:45], v[56:57]
	v_mov_b32_e32 v60, 0xfca7ab0c
	v_mov_b32_e32 v61, 0x3e928af3
	s_mov_b32 s27, 0x3e5ade15
	v_fmac_f64_e32 v[60:61], s[26:27], v[58:59]
	v_mov_b32_e32 v62, 0x623fde64
	v_mov_b32_e32 v63, 0x3ec71dee
	v_fmac_f64_e32 v[62:63], v[58:59], v[60:61]
	v_mov_b32_e32 v60, 0x7c89e6b0
	v_mov_b32_e32 v61, 0x3efa0199
	;; [unrolled: 3-line block ×8, first 2 shown]
	s_mov_b32 s26, 0
	v_fmac_f64_e32 v[60:61], v[58:59], v[62:63]
	s_mov_b32 s27, 0x40900000
	v_fma_f64 v[60:61], v[58:59], v[60:61], 1.0
	v_cmp_nlt_f64_e32 vcc, s[26:27], v[54:55]
	s_mov_b32 s26, 0
	v_fma_f64 v[58:59], v[58:59], v[60:61], 1.0
	v_cvt_i32_f64_e32 v56, v[56:57]
	s_mov_b32 s27, 0xc090cc00
	v_ldexp_f64 v[56:57], v[58:59], v56
	v_mov_b32_e32 v58, 0x7ff00000
	v_cmp_ngt_f64_e64 s[26:27], s[26:27], v[54:55]
	v_cndmask_b32_e32 v57, v58, v57, vcc
	s_and_b64 vcc, s[26:27], vcc
	v_cndmask_b32_e64 v55, 0, v57, s[26:27]
	v_cndmask_b32_e32 v54, 0, v56, vcc
	v_add_f64 v[56:57], v[54:55], 1.0
	v_add_f64 v[58:59], v[56:57], -1.0
	v_add_f64 v[60:61], v[58:59], -v[56:57]
	v_add_f64 v[60:61], v[60:61], 1.0
	v_add_f64 v[58:59], v[54:55], -v[58:59]
	s_mov_b32 s26, 0x55555555
	v_add_f64 v[58:59], v[58:59], v[60:61]
	v_frexp_mant_f64_e32 v[60:61], v[56:57]
	s_mov_b32 s27, 0x3fe55555
	v_frexp_exp_i32_f64_e32 v62, v[56:57]
	v_cmp_gt_f64_e32 vcc, s[26:27], v[60:61]
	v_subbrev_co_u32_e32 v76, vcc, 0, v62, vcc
	v_sub_u32_e32 v60, 0, v76
	v_ldexp_f64 v[56:57], v[56:57], v60
	v_ldexp_f64 v[58:59], v[58:59], v60
	v_add_f64 v[60:61], v[56:57], -1.0
	v_add_f64 v[66:67], v[56:57], 1.0
	v_add_f64 v[62:63], v[60:61], 1.0
	v_add_f64 v[68:69], v[66:67], -1.0
	v_add_f64 v[62:63], v[56:57], -v[62:63]
	v_add_f64 v[56:57], v[56:57], -v[68:69]
	v_add_f64 v[56:57], v[58:59], v[56:57]
	v_add_f64 v[62:63], v[58:59], v[62:63]
	;; [unrolled: 1-line block ×3, first 2 shown]
	v_rcp_f64_e32 v[68:69], v[58:59]
	v_add_f64 v[64:65], v[60:61], v[62:63]
	v_add_f64 v[60:61], v[64:65], -v[60:61]
	v_add_f64 v[60:61], v[62:63], -v[60:61]
	v_add_f64 v[62:63], v[58:59], -v[66:67]
	v_add_f64 v[56:57], v[56:57], -v[62:63]
	v_fma_f64 v[62:63], -v[58:59], v[68:69], 1.0
	v_fmac_f64_e32 v[68:69], v[62:63], v[68:69]
	v_fma_f64 v[62:63], -v[58:59], v[68:69], 1.0
	v_fmac_f64_e32 v[68:69], v[62:63], v[68:69]
	v_mul_f64 v[62:63], v[64:65], v[68:69]
	v_mul_f64 v[66:67], v[58:59], v[62:63]
	v_fma_f64 v[70:71], v[62:63], v[58:59], -v[66:67]
	v_fmac_f64_e32 v[70:71], v[62:63], v[56:57]
	v_add_f64 v[72:73], v[66:67], v[70:71]
	v_add_f64 v[74:75], v[64:65], -v[72:73]
	v_add_f64 v[64:65], v[64:65], -v[74:75]
	;; [unrolled: 1-line block ×4, first 2 shown]
	v_add_f64 v[60:61], v[60:61], v[64:65]
	v_add_f64 v[64:65], v[66:67], -v[70:71]
	v_add_f64 v[60:61], v[64:65], v[60:61]
	v_add_f64 v[64:65], v[74:75], v[60:61]
	v_add_f64 v[66:67], v[74:75], -v[64:65]
	v_add_f64 v[60:61], v[60:61], v[66:67]
	v_mul_f64 v[66:67], v[68:69], v[64:65]
	v_mul_f64 v[70:71], v[58:59], v[66:67]
	v_fma_f64 v[58:59], v[66:67], v[58:59], -v[70:71]
	v_fmac_f64_e32 v[58:59], v[66:67], v[56:57]
	v_add_f64 v[56:57], v[70:71], v[58:59]
	v_add_f64 v[72:73], v[64:65], -v[56:57]
	v_add_f64 v[64:65], v[64:65], -v[72:73]
	;; [unrolled: 1-line block ×4, first 2 shown]
	v_add_f64 v[56:57], v[60:61], v[56:57]
	v_add_f64 v[58:59], v[70:71], -v[58:59]
	v_add_f64 v[56:57], v[58:59], v[56:57]
	v_add_f64 v[58:59], v[62:63], v[66:67]
	;; [unrolled: 1-line block ×3, first 2 shown]
	v_add_f64 v[60:61], v[58:59], -v[62:63]
	v_mul_f64 v[56:57], v[68:69], v[56:57]
	v_add_f64 v[60:61], v[66:67], -v[60:61]
	v_add_f64 v[56:57], v[60:61], v[56:57]
	v_add_f64 v[60:61], v[58:59], v[56:57]
	v_add_f64 v[58:59], v[60:61], -v[58:59]
	s_mov_b32 s26, 0xbf559e2b
	v_add_f64 v[56:57], v[56:57], -v[58:59]
	v_mul_f64 v[58:59], v[60:61], v[60:61]
	v_mov_b32_e32 v62, 0x6b47b09a
	v_mov_b32_e32 v63, 0x3fc38538
	s_mov_b32 s27, 0x3fc3ab76
	v_fmac_f64_e32 v[62:63], s[26:27], v[58:59]
	v_mov_b32_e32 v64, 0xd7f4df2e
	v_mov_b32_e32 v65, 0x3fc7474d
	v_fmac_f64_e32 v[64:65], v[58:59], v[62:63]
	v_mov_b32_e32 v62, 0x16291751
	v_mov_b32_e32 v63, 0x3fcc71c0
	;; [unrolled: 3-line block ×5, first 2 shown]
	v_fmac_f64_e32 v[64:65], v[58:59], v[62:63]
	v_cvt_f64_i32_e32 v[62:63], v76
	s_mov_b32 s43, 0x3fe62e42
	v_mul_f64 v[66:67], v[62:63], s[42:43]
	v_fma_f64 v[68:69], v[62:63], s[42:43], -v[66:67]
	s_mov_b32 s45, 0x3c7abc9e
	v_fmac_f64_e32 v[68:69], s[44:45], v[62:63]
	v_add_f64 v[62:63], v[66:67], v[68:69]
	v_add_f64 v[66:67], v[62:63], -v[66:67]
	v_mul_f64 v[58:59], v[60:61], v[58:59]
	v_add_f64 v[66:67], v[68:69], -v[66:67]
	v_ldexp_f64 v[68:69], v[60:61], 1
	v_mul_f64 v[58:59], v[58:59], v[64:65]
	v_add_f64 v[60:61], v[68:69], v[58:59]
	v_add_f64 v[64:65], v[60:61], -v[68:69]
	v_ldexp_f64 v[56:57], v[56:57], 1
	v_add_f64 v[58:59], v[58:59], -v[64:65]
	v_add_f64 v[56:57], v[56:57], v[58:59]
	v_add_f64 v[58:59], v[60:61], v[56:57]
	v_add_f64 v[60:61], v[58:59], -v[60:61]
	v_add_f64 v[56:57], v[56:57], -v[60:61]
	v_add_f64 v[60:61], v[62:63], v[58:59]
	v_add_f64 v[64:65], v[60:61], -v[62:63]
	v_add_f64 v[68:69], v[60:61], -v[64:65]
	;; [unrolled: 1-line block ×4, first 2 shown]
	v_add_f64 v[58:59], v[58:59], v[62:63]
	v_add_f64 v[62:63], v[66:67], v[56:57]
	v_add_f64 v[64:65], v[62:63], -v[66:67]
	v_add_f64 v[58:59], v[62:63], v[58:59]
	v_add_f64 v[68:69], v[62:63], -v[64:65]
	;; [unrolled: 2-line block ×3, first 2 shown]
	v_add_f64 v[56:57], v[56:57], -v[64:65]
	v_add_f64 v[60:61], v[62:63], -v[60:61]
	v_add_f64 v[56:57], v[56:57], v[66:67]
	v_add_f64 v[58:59], v[58:59], -v[60:61]
	s_mov_b32 s26, 0
	v_add_f64 v[56:57], v[56:57], v[58:59]
	s_mov_b32 s27, 0x7ff00000
	v_add_f64 v[56:57], v[62:63], v[56:57]
	v_cmp_eq_f64_e32 vcc, s[26:27], v[54:55]
	v_cndmask_b32_e32 v56, v56, v54, vcc
	v_cndmask_b32_e32 v57, v57, v55, vcc
	v_mov_b32_e32 v58, 0x7ff80000
	v_cmp_ngt_f64_e32 vcc, -1.0, v[54:55]
	v_cndmask_b32_e32 v57, v58, v57, vcc
	v_cmp_nge_f64_e32 vcc, -1.0, v[54:55]
	v_cndmask_b32_e32 v56, 0, v56, vcc
	v_mov_b32_e32 v58, 0xfff00000
	v_cmp_neq_f64_e32 vcc, -1.0, v[54:55]
	v_cndmask_b32_e32 v57, v58, v57, vcc
	v_add_f64 v[54:55], v[26:27], v[56:57]
.LBB3_93:
	s_or_b64 exec, exec, s[40:41]
	v_mov_b32_e32 v26, v54
	v_mov_b32_e32 v27, v55
	v_pk_mov_b32 v[86:87], v[54:55], v[54:55] op_sel:[0,1]
.LBB3_94:
	s_or_b64 exec, exec, s[38:39]
	v_cmp_gt_u32_e32 vcc, 60, v96
	s_waitcnt lgkmcnt(1)
	v_cndmask_b32_e64 v54, 0, 1, vcc
	v_lshlrev_b32_e32 v54, 2, v54
	v_add_lshl_u32 v100, v54, v53, 2
	ds_bpermute_b32 v54, v100, v26
	s_waitcnt lgkmcnt(1)
	ds_bpermute_b32 v55, v100, v27
	v_add_u32_e32 v101, 4, v96
	v_cmp_le_u32_e32 vcc, v101, v29
	s_and_saveexec_b64 s[38:39], vcc
	s_cbranch_execz .LBB3_98
; %bb.95:
	s_waitcnt lgkmcnt(0)
	v_max_f64 v[26:27], v[54:55], v[54:55]
	v_max_f64 v[58:59], v[86:87], v[86:87]
	v_min_f64 v[56:57], v[26:27], v[58:59]
	v_cmp_u_f64_e32 vcc, v[54:55], v[54:55]
	v_max_f64 v[26:27], v[26:27], v[58:59]
	v_cndmask_b32_e32 v56, v56, v54, vcc
	v_cndmask_b32_e32 v57, v57, v55, vcc
	v_cmp_u_f64_e64 s[26:27], v[86:87], v[86:87]
	v_cndmask_b32_e32 v26, v26, v54, vcc
	v_cndmask_b32_e32 v27, v27, v55, vcc
	v_cndmask_b32_e64 v57, v57, v87, s[26:27]
	v_cndmask_b32_e64 v56, v56, v86, s[26:27]
	;; [unrolled: 1-line block ×4, first 2 shown]
	s_movk_i32 s7, 0x1f8
	v_cmp_neq_f64_e32 vcc, v[56:57], v[26:27]
	v_cmp_class_f64_e64 s[26:27], v[56:57], s7
	s_or_b64 s[26:27], vcc, s[26:27]
	s_and_saveexec_b64 s[40:41], s[26:27]
	s_cbranch_execz .LBB3_97
; %bb.96:
	s_mov_b32 s26, 0x652b82fe
	v_add_f64 v[54:55], v[56:57], -v[26:27]
	s_mov_b32 s27, 0x3ff71547
	v_mul_f64 v[56:57], v[54:55], s[26:27]
	v_rndne_f64_e32 v[56:57], v[56:57]
	s_mov_b32 s43, 0xbfe62e42
	s_mov_b32 s42, 0xfefa39ef
	v_fma_f64 v[58:59], s[42:43], v[56:57], v[54:55]
	s_mov_b32 s45, 0xbc7abc9e
	s_mov_b32 s44, 0x3b39803f
	;; [unrolled: 1-line block ×3, first 2 shown]
	v_fmac_f64_e32 v[58:59], s[44:45], v[56:57]
	v_mov_b32_e32 v60, 0xfca7ab0c
	v_mov_b32_e32 v61, 0x3e928af3
	s_mov_b32 s27, 0x3e5ade15
	v_fmac_f64_e32 v[60:61], s[26:27], v[58:59]
	v_mov_b32_e32 v62, 0x623fde64
	v_mov_b32_e32 v63, 0x3ec71dee
	v_fmac_f64_e32 v[62:63], v[58:59], v[60:61]
	v_mov_b32_e32 v60, 0x7c89e6b0
	v_mov_b32_e32 v61, 0x3efa0199
	;; [unrolled: 3-line block ×8, first 2 shown]
	s_mov_b32 s26, 0
	v_fmac_f64_e32 v[60:61], v[58:59], v[62:63]
	s_mov_b32 s27, 0x40900000
	v_fma_f64 v[60:61], v[58:59], v[60:61], 1.0
	v_cmp_nlt_f64_e32 vcc, s[26:27], v[54:55]
	s_mov_b32 s26, 0
	v_fma_f64 v[58:59], v[58:59], v[60:61], 1.0
	v_cvt_i32_f64_e32 v56, v[56:57]
	s_mov_b32 s27, 0xc090cc00
	v_ldexp_f64 v[56:57], v[58:59], v56
	v_mov_b32_e32 v58, 0x7ff00000
	v_cmp_ngt_f64_e64 s[26:27], s[26:27], v[54:55]
	v_cndmask_b32_e32 v57, v58, v57, vcc
	s_and_b64 vcc, s[26:27], vcc
	v_cndmask_b32_e64 v55, 0, v57, s[26:27]
	v_cndmask_b32_e32 v54, 0, v56, vcc
	v_add_f64 v[56:57], v[54:55], 1.0
	v_add_f64 v[58:59], v[56:57], -1.0
	v_add_f64 v[60:61], v[58:59], -v[56:57]
	v_add_f64 v[60:61], v[60:61], 1.0
	v_add_f64 v[58:59], v[54:55], -v[58:59]
	s_mov_b32 s26, 0x55555555
	v_add_f64 v[58:59], v[58:59], v[60:61]
	v_frexp_mant_f64_e32 v[60:61], v[56:57]
	s_mov_b32 s27, 0x3fe55555
	v_frexp_exp_i32_f64_e32 v62, v[56:57]
	v_cmp_gt_f64_e32 vcc, s[26:27], v[60:61]
	v_subbrev_co_u32_e32 v76, vcc, 0, v62, vcc
	v_sub_u32_e32 v60, 0, v76
	v_ldexp_f64 v[56:57], v[56:57], v60
	v_ldexp_f64 v[58:59], v[58:59], v60
	v_add_f64 v[60:61], v[56:57], -1.0
	v_add_f64 v[66:67], v[56:57], 1.0
	v_add_f64 v[62:63], v[60:61], 1.0
	v_add_f64 v[68:69], v[66:67], -1.0
	v_add_f64 v[62:63], v[56:57], -v[62:63]
	v_add_f64 v[56:57], v[56:57], -v[68:69]
	v_add_f64 v[56:57], v[58:59], v[56:57]
	v_add_f64 v[62:63], v[58:59], v[62:63]
	;; [unrolled: 1-line block ×3, first 2 shown]
	v_rcp_f64_e32 v[68:69], v[58:59]
	v_add_f64 v[64:65], v[60:61], v[62:63]
	v_add_f64 v[60:61], v[64:65], -v[60:61]
	v_add_f64 v[60:61], v[62:63], -v[60:61]
	;; [unrolled: 1-line block ×4, first 2 shown]
	v_fma_f64 v[62:63], -v[58:59], v[68:69], 1.0
	v_fmac_f64_e32 v[68:69], v[62:63], v[68:69]
	v_fma_f64 v[62:63], -v[58:59], v[68:69], 1.0
	v_fmac_f64_e32 v[68:69], v[62:63], v[68:69]
	v_mul_f64 v[62:63], v[64:65], v[68:69]
	v_mul_f64 v[66:67], v[58:59], v[62:63]
	v_fma_f64 v[70:71], v[62:63], v[58:59], -v[66:67]
	v_fmac_f64_e32 v[70:71], v[62:63], v[56:57]
	v_add_f64 v[72:73], v[66:67], v[70:71]
	v_add_f64 v[74:75], v[64:65], -v[72:73]
	v_add_f64 v[64:65], v[64:65], -v[74:75]
	;; [unrolled: 1-line block ×4, first 2 shown]
	v_add_f64 v[60:61], v[60:61], v[64:65]
	v_add_f64 v[64:65], v[66:67], -v[70:71]
	v_add_f64 v[60:61], v[64:65], v[60:61]
	v_add_f64 v[64:65], v[74:75], v[60:61]
	v_add_f64 v[66:67], v[74:75], -v[64:65]
	v_add_f64 v[60:61], v[60:61], v[66:67]
	v_mul_f64 v[66:67], v[68:69], v[64:65]
	v_mul_f64 v[70:71], v[58:59], v[66:67]
	v_fma_f64 v[58:59], v[66:67], v[58:59], -v[70:71]
	v_fmac_f64_e32 v[58:59], v[66:67], v[56:57]
	v_add_f64 v[56:57], v[70:71], v[58:59]
	v_add_f64 v[72:73], v[64:65], -v[56:57]
	v_add_f64 v[64:65], v[64:65], -v[72:73]
	;; [unrolled: 1-line block ×4, first 2 shown]
	v_add_f64 v[56:57], v[60:61], v[56:57]
	v_add_f64 v[58:59], v[70:71], -v[58:59]
	v_add_f64 v[56:57], v[58:59], v[56:57]
	v_add_f64 v[58:59], v[62:63], v[66:67]
	;; [unrolled: 1-line block ×3, first 2 shown]
	v_add_f64 v[60:61], v[58:59], -v[62:63]
	v_mul_f64 v[56:57], v[68:69], v[56:57]
	v_add_f64 v[60:61], v[66:67], -v[60:61]
	v_add_f64 v[56:57], v[60:61], v[56:57]
	v_add_f64 v[60:61], v[58:59], v[56:57]
	v_add_f64 v[58:59], v[60:61], -v[58:59]
	s_mov_b32 s26, 0xbf559e2b
	v_add_f64 v[56:57], v[56:57], -v[58:59]
	v_mul_f64 v[58:59], v[60:61], v[60:61]
	v_mov_b32_e32 v62, 0x6b47b09a
	v_mov_b32_e32 v63, 0x3fc38538
	s_mov_b32 s27, 0x3fc3ab76
	v_fmac_f64_e32 v[62:63], s[26:27], v[58:59]
	v_mov_b32_e32 v64, 0xd7f4df2e
	v_mov_b32_e32 v65, 0x3fc7474d
	v_fmac_f64_e32 v[64:65], v[58:59], v[62:63]
	v_mov_b32_e32 v62, 0x16291751
	v_mov_b32_e32 v63, 0x3fcc71c0
	;; [unrolled: 3-line block ×5, first 2 shown]
	v_fmac_f64_e32 v[64:65], v[58:59], v[62:63]
	v_cvt_f64_i32_e32 v[62:63], v76
	s_mov_b32 s43, 0x3fe62e42
	v_mul_f64 v[66:67], v[62:63], s[42:43]
	v_fma_f64 v[68:69], v[62:63], s[42:43], -v[66:67]
	s_mov_b32 s45, 0x3c7abc9e
	v_fmac_f64_e32 v[68:69], s[44:45], v[62:63]
	v_add_f64 v[62:63], v[66:67], v[68:69]
	v_add_f64 v[66:67], v[62:63], -v[66:67]
	v_mul_f64 v[58:59], v[60:61], v[58:59]
	v_add_f64 v[66:67], v[68:69], -v[66:67]
	v_ldexp_f64 v[68:69], v[60:61], 1
	v_mul_f64 v[58:59], v[58:59], v[64:65]
	v_add_f64 v[60:61], v[68:69], v[58:59]
	v_add_f64 v[64:65], v[60:61], -v[68:69]
	v_ldexp_f64 v[56:57], v[56:57], 1
	v_add_f64 v[58:59], v[58:59], -v[64:65]
	v_add_f64 v[56:57], v[56:57], v[58:59]
	v_add_f64 v[58:59], v[60:61], v[56:57]
	v_add_f64 v[60:61], v[58:59], -v[60:61]
	v_add_f64 v[56:57], v[56:57], -v[60:61]
	v_add_f64 v[60:61], v[62:63], v[58:59]
	v_add_f64 v[64:65], v[60:61], -v[62:63]
	v_add_f64 v[68:69], v[60:61], -v[64:65]
	v_add_f64 v[62:63], v[62:63], -v[68:69]
	v_add_f64 v[58:59], v[58:59], -v[64:65]
	v_add_f64 v[58:59], v[58:59], v[62:63]
	v_add_f64 v[62:63], v[66:67], v[56:57]
	v_add_f64 v[64:65], v[62:63], -v[66:67]
	v_add_f64 v[58:59], v[62:63], v[58:59]
	v_add_f64 v[68:69], v[62:63], -v[64:65]
	;; [unrolled: 2-line block ×3, first 2 shown]
	v_add_f64 v[56:57], v[56:57], -v[64:65]
	v_add_f64 v[60:61], v[62:63], -v[60:61]
	v_add_f64 v[56:57], v[56:57], v[66:67]
	v_add_f64 v[58:59], v[58:59], -v[60:61]
	s_mov_b32 s26, 0
	v_add_f64 v[56:57], v[56:57], v[58:59]
	s_mov_b32 s27, 0x7ff00000
	v_add_f64 v[56:57], v[62:63], v[56:57]
	v_cmp_eq_f64_e32 vcc, s[26:27], v[54:55]
	v_cndmask_b32_e32 v56, v56, v54, vcc
	v_cndmask_b32_e32 v57, v57, v55, vcc
	v_mov_b32_e32 v58, 0x7ff80000
	v_cmp_ngt_f64_e32 vcc, -1.0, v[54:55]
	v_cndmask_b32_e32 v57, v58, v57, vcc
	v_cmp_nge_f64_e32 vcc, -1.0, v[54:55]
	v_cndmask_b32_e32 v56, 0, v56, vcc
	v_mov_b32_e32 v58, 0xfff00000
	v_cmp_neq_f64_e32 vcc, -1.0, v[54:55]
	v_cndmask_b32_e32 v57, v58, v57, vcc
	v_add_f64 v[54:55], v[26:27], v[56:57]
.LBB3_97:
	s_or_b64 exec, exec, s[40:41]
	v_mov_b32_e32 v26, v54
	v_mov_b32_e32 v27, v55
	v_pk_mov_b32 v[86:87], v[54:55], v[54:55] op_sel:[0,1]
.LBB3_98:
	s_or_b64 exec, exec, s[38:39]
	v_cmp_gt_u32_e32 vcc, 56, v96
	s_waitcnt lgkmcnt(1)
	v_cndmask_b32_e64 v54, 0, 1, vcc
	v_lshlrev_b32_e32 v54, 3, v54
	v_add_lshl_u32 v102, v54, v53, 2
	ds_bpermute_b32 v54, v102, v26
	s_waitcnt lgkmcnt(1)
	ds_bpermute_b32 v55, v102, v27
	v_add_u32_e32 v103, 8, v96
	v_cmp_le_u32_e32 vcc, v103, v29
	s_and_saveexec_b64 s[38:39], vcc
	s_cbranch_execz .LBB3_102
; %bb.99:
	s_waitcnt lgkmcnt(0)
	v_max_f64 v[26:27], v[54:55], v[54:55]
	v_max_f64 v[58:59], v[86:87], v[86:87]
	v_min_f64 v[56:57], v[26:27], v[58:59]
	v_cmp_u_f64_e32 vcc, v[54:55], v[54:55]
	v_max_f64 v[26:27], v[26:27], v[58:59]
	v_cndmask_b32_e32 v56, v56, v54, vcc
	v_cndmask_b32_e32 v57, v57, v55, vcc
	v_cmp_u_f64_e64 s[26:27], v[86:87], v[86:87]
	v_cndmask_b32_e32 v26, v26, v54, vcc
	v_cndmask_b32_e32 v27, v27, v55, vcc
	v_cndmask_b32_e64 v57, v57, v87, s[26:27]
	v_cndmask_b32_e64 v56, v56, v86, s[26:27]
	;; [unrolled: 1-line block ×4, first 2 shown]
	s_movk_i32 s7, 0x1f8
	v_cmp_neq_f64_e32 vcc, v[56:57], v[26:27]
	v_cmp_class_f64_e64 s[26:27], v[56:57], s7
	s_or_b64 s[26:27], vcc, s[26:27]
	s_and_saveexec_b64 s[40:41], s[26:27]
	s_cbranch_execz .LBB3_101
; %bb.100:
	s_mov_b32 s26, 0x652b82fe
	v_add_f64 v[54:55], v[56:57], -v[26:27]
	s_mov_b32 s27, 0x3ff71547
	v_mul_f64 v[56:57], v[54:55], s[26:27]
	v_rndne_f64_e32 v[56:57], v[56:57]
	s_mov_b32 s43, 0xbfe62e42
	s_mov_b32 s42, 0xfefa39ef
	v_fma_f64 v[58:59], s[42:43], v[56:57], v[54:55]
	s_mov_b32 s45, 0xbc7abc9e
	s_mov_b32 s44, 0x3b39803f
	;; [unrolled: 1-line block ×3, first 2 shown]
	v_fmac_f64_e32 v[58:59], s[44:45], v[56:57]
	v_mov_b32_e32 v60, 0xfca7ab0c
	v_mov_b32_e32 v61, 0x3e928af3
	s_mov_b32 s27, 0x3e5ade15
	v_fmac_f64_e32 v[60:61], s[26:27], v[58:59]
	v_mov_b32_e32 v62, 0x623fde64
	v_mov_b32_e32 v63, 0x3ec71dee
	v_fmac_f64_e32 v[62:63], v[58:59], v[60:61]
	v_mov_b32_e32 v60, 0x7c89e6b0
	v_mov_b32_e32 v61, 0x3efa0199
	v_fmac_f64_e32 v[60:61], v[58:59], v[62:63]
	v_mov_b32_e32 v62, 0x14761f6e
	v_mov_b32_e32 v63, 0x3f2a01a0
	v_fmac_f64_e32 v[62:63], v[58:59], v[60:61]
	v_mov_b32_e32 v60, 0x1852b7b0
	v_mov_b32_e32 v61, 0x3f56c16c
	v_fmac_f64_e32 v[60:61], v[58:59], v[62:63]
	v_mov_b32_e32 v62, 0x11122322
	v_mov_b32_e32 v63, 0x3f811111
	v_fmac_f64_e32 v[62:63], v[58:59], v[60:61]
	v_mov_b32_e32 v60, 0x555502a1
	v_mov_b32_e32 v61, 0x3fa55555
	v_fmac_f64_e32 v[60:61], v[58:59], v[62:63]
	v_mov_b32_e32 v62, 0x55555511
	v_mov_b32_e32 v63, 0x3fc55555
	v_fmac_f64_e32 v[62:63], v[58:59], v[60:61]
	v_mov_b32_e32 v60, 11
	v_mov_b32_e32 v61, 0x3fe00000
	s_mov_b32 s26, 0
	v_fmac_f64_e32 v[60:61], v[58:59], v[62:63]
	s_mov_b32 s27, 0x40900000
	v_fma_f64 v[60:61], v[58:59], v[60:61], 1.0
	v_cmp_nlt_f64_e32 vcc, s[26:27], v[54:55]
	s_mov_b32 s26, 0
	v_fma_f64 v[58:59], v[58:59], v[60:61], 1.0
	v_cvt_i32_f64_e32 v56, v[56:57]
	s_mov_b32 s27, 0xc090cc00
	v_ldexp_f64 v[56:57], v[58:59], v56
	v_mov_b32_e32 v58, 0x7ff00000
	v_cmp_ngt_f64_e64 s[26:27], s[26:27], v[54:55]
	v_cndmask_b32_e32 v57, v58, v57, vcc
	s_and_b64 vcc, s[26:27], vcc
	v_cndmask_b32_e64 v55, 0, v57, s[26:27]
	v_cndmask_b32_e32 v54, 0, v56, vcc
	v_add_f64 v[56:57], v[54:55], 1.0
	v_add_f64 v[58:59], v[56:57], -1.0
	v_add_f64 v[60:61], v[58:59], -v[56:57]
	v_add_f64 v[60:61], v[60:61], 1.0
	v_add_f64 v[58:59], v[54:55], -v[58:59]
	s_mov_b32 s26, 0x55555555
	v_add_f64 v[58:59], v[58:59], v[60:61]
	v_frexp_mant_f64_e32 v[60:61], v[56:57]
	s_mov_b32 s27, 0x3fe55555
	v_frexp_exp_i32_f64_e32 v62, v[56:57]
	v_cmp_gt_f64_e32 vcc, s[26:27], v[60:61]
	v_subbrev_co_u32_e32 v76, vcc, 0, v62, vcc
	v_sub_u32_e32 v60, 0, v76
	v_ldexp_f64 v[56:57], v[56:57], v60
	v_ldexp_f64 v[58:59], v[58:59], v60
	v_add_f64 v[60:61], v[56:57], -1.0
	v_add_f64 v[66:67], v[56:57], 1.0
	v_add_f64 v[62:63], v[60:61], 1.0
	v_add_f64 v[68:69], v[66:67], -1.0
	v_add_f64 v[62:63], v[56:57], -v[62:63]
	v_add_f64 v[56:57], v[56:57], -v[68:69]
	v_add_f64 v[56:57], v[58:59], v[56:57]
	v_add_f64 v[62:63], v[58:59], v[62:63]
	;; [unrolled: 1-line block ×3, first 2 shown]
	v_rcp_f64_e32 v[68:69], v[58:59]
	v_add_f64 v[64:65], v[60:61], v[62:63]
	v_add_f64 v[60:61], v[64:65], -v[60:61]
	v_add_f64 v[60:61], v[62:63], -v[60:61]
	;; [unrolled: 1-line block ×4, first 2 shown]
	v_fma_f64 v[62:63], -v[58:59], v[68:69], 1.0
	v_fmac_f64_e32 v[68:69], v[62:63], v[68:69]
	v_fma_f64 v[62:63], -v[58:59], v[68:69], 1.0
	v_fmac_f64_e32 v[68:69], v[62:63], v[68:69]
	v_mul_f64 v[62:63], v[64:65], v[68:69]
	v_mul_f64 v[66:67], v[58:59], v[62:63]
	v_fma_f64 v[70:71], v[62:63], v[58:59], -v[66:67]
	v_fmac_f64_e32 v[70:71], v[62:63], v[56:57]
	v_add_f64 v[72:73], v[66:67], v[70:71]
	v_add_f64 v[74:75], v[64:65], -v[72:73]
	v_add_f64 v[64:65], v[64:65], -v[74:75]
	;; [unrolled: 1-line block ×4, first 2 shown]
	v_add_f64 v[60:61], v[60:61], v[64:65]
	v_add_f64 v[64:65], v[66:67], -v[70:71]
	v_add_f64 v[60:61], v[64:65], v[60:61]
	v_add_f64 v[64:65], v[74:75], v[60:61]
	v_add_f64 v[66:67], v[74:75], -v[64:65]
	v_add_f64 v[60:61], v[60:61], v[66:67]
	v_mul_f64 v[66:67], v[68:69], v[64:65]
	v_mul_f64 v[70:71], v[58:59], v[66:67]
	v_fma_f64 v[58:59], v[66:67], v[58:59], -v[70:71]
	v_fmac_f64_e32 v[58:59], v[66:67], v[56:57]
	v_add_f64 v[56:57], v[70:71], v[58:59]
	v_add_f64 v[72:73], v[64:65], -v[56:57]
	v_add_f64 v[64:65], v[64:65], -v[72:73]
	;; [unrolled: 1-line block ×4, first 2 shown]
	v_add_f64 v[56:57], v[60:61], v[56:57]
	v_add_f64 v[58:59], v[70:71], -v[58:59]
	v_add_f64 v[56:57], v[58:59], v[56:57]
	v_add_f64 v[58:59], v[62:63], v[66:67]
	;; [unrolled: 1-line block ×3, first 2 shown]
	v_add_f64 v[60:61], v[58:59], -v[62:63]
	v_mul_f64 v[56:57], v[68:69], v[56:57]
	v_add_f64 v[60:61], v[66:67], -v[60:61]
	v_add_f64 v[56:57], v[60:61], v[56:57]
	v_add_f64 v[60:61], v[58:59], v[56:57]
	v_add_f64 v[58:59], v[60:61], -v[58:59]
	s_mov_b32 s26, 0xbf559e2b
	v_add_f64 v[56:57], v[56:57], -v[58:59]
	v_mul_f64 v[58:59], v[60:61], v[60:61]
	v_mov_b32_e32 v62, 0x6b47b09a
	v_mov_b32_e32 v63, 0x3fc38538
	s_mov_b32 s27, 0x3fc3ab76
	v_fmac_f64_e32 v[62:63], s[26:27], v[58:59]
	v_mov_b32_e32 v64, 0xd7f4df2e
	v_mov_b32_e32 v65, 0x3fc7474d
	v_fmac_f64_e32 v[64:65], v[58:59], v[62:63]
	v_mov_b32_e32 v62, 0x16291751
	v_mov_b32_e32 v63, 0x3fcc71c0
	;; [unrolled: 3-line block ×5, first 2 shown]
	v_fmac_f64_e32 v[64:65], v[58:59], v[62:63]
	v_cvt_f64_i32_e32 v[62:63], v76
	s_mov_b32 s43, 0x3fe62e42
	v_mul_f64 v[66:67], v[62:63], s[42:43]
	v_fma_f64 v[68:69], v[62:63], s[42:43], -v[66:67]
	s_mov_b32 s45, 0x3c7abc9e
	v_fmac_f64_e32 v[68:69], s[44:45], v[62:63]
	v_add_f64 v[62:63], v[66:67], v[68:69]
	v_add_f64 v[66:67], v[62:63], -v[66:67]
	v_mul_f64 v[58:59], v[60:61], v[58:59]
	v_add_f64 v[66:67], v[68:69], -v[66:67]
	v_ldexp_f64 v[68:69], v[60:61], 1
	v_mul_f64 v[58:59], v[58:59], v[64:65]
	v_add_f64 v[60:61], v[68:69], v[58:59]
	v_add_f64 v[64:65], v[60:61], -v[68:69]
	v_ldexp_f64 v[56:57], v[56:57], 1
	v_add_f64 v[58:59], v[58:59], -v[64:65]
	v_add_f64 v[56:57], v[56:57], v[58:59]
	v_add_f64 v[58:59], v[60:61], v[56:57]
	v_add_f64 v[60:61], v[58:59], -v[60:61]
	v_add_f64 v[56:57], v[56:57], -v[60:61]
	v_add_f64 v[60:61], v[62:63], v[58:59]
	v_add_f64 v[64:65], v[60:61], -v[62:63]
	v_add_f64 v[68:69], v[60:61], -v[64:65]
	;; [unrolled: 1-line block ×4, first 2 shown]
	v_add_f64 v[58:59], v[58:59], v[62:63]
	v_add_f64 v[62:63], v[66:67], v[56:57]
	v_add_f64 v[64:65], v[62:63], -v[66:67]
	v_add_f64 v[58:59], v[62:63], v[58:59]
	v_add_f64 v[68:69], v[62:63], -v[64:65]
	;; [unrolled: 2-line block ×3, first 2 shown]
	v_add_f64 v[56:57], v[56:57], -v[64:65]
	v_add_f64 v[60:61], v[62:63], -v[60:61]
	v_add_f64 v[56:57], v[56:57], v[66:67]
	v_add_f64 v[58:59], v[58:59], -v[60:61]
	s_mov_b32 s26, 0
	v_add_f64 v[56:57], v[56:57], v[58:59]
	s_mov_b32 s27, 0x7ff00000
	v_add_f64 v[56:57], v[62:63], v[56:57]
	v_cmp_eq_f64_e32 vcc, s[26:27], v[54:55]
	v_cndmask_b32_e32 v56, v56, v54, vcc
	v_cndmask_b32_e32 v57, v57, v55, vcc
	v_mov_b32_e32 v58, 0x7ff80000
	v_cmp_ngt_f64_e32 vcc, -1.0, v[54:55]
	v_cndmask_b32_e32 v57, v58, v57, vcc
	v_cmp_nge_f64_e32 vcc, -1.0, v[54:55]
	v_cndmask_b32_e32 v56, 0, v56, vcc
	v_mov_b32_e32 v58, 0xfff00000
	v_cmp_neq_f64_e32 vcc, -1.0, v[54:55]
	v_cndmask_b32_e32 v57, v58, v57, vcc
	v_add_f64 v[54:55], v[26:27], v[56:57]
.LBB3_101:
	s_or_b64 exec, exec, s[40:41]
	v_mov_b32_e32 v26, v54
	v_mov_b32_e32 v27, v55
	v_pk_mov_b32 v[86:87], v[54:55], v[54:55] op_sel:[0,1]
.LBB3_102:
	s_or_b64 exec, exec, s[38:39]
	v_cmp_gt_u32_e32 vcc, 48, v96
	s_waitcnt lgkmcnt(1)
	v_cndmask_b32_e64 v54, 0, 1, vcc
	v_lshlrev_b32_e32 v54, 4, v54
	v_add_lshl_u32 v104, v54, v53, 2
	ds_bpermute_b32 v54, v104, v26
	s_waitcnt lgkmcnt(1)
	ds_bpermute_b32 v55, v104, v27
	v_add_u32_e32 v105, 16, v96
	v_cmp_le_u32_e32 vcc, v105, v29
	s_and_saveexec_b64 s[38:39], vcc
	s_cbranch_execz .LBB3_106
; %bb.103:
	s_waitcnt lgkmcnt(0)
	v_max_f64 v[26:27], v[54:55], v[54:55]
	v_max_f64 v[58:59], v[86:87], v[86:87]
	v_min_f64 v[56:57], v[26:27], v[58:59]
	v_cmp_u_f64_e32 vcc, v[54:55], v[54:55]
	v_max_f64 v[26:27], v[26:27], v[58:59]
	v_cndmask_b32_e32 v56, v56, v54, vcc
	v_cndmask_b32_e32 v57, v57, v55, vcc
	v_cmp_u_f64_e64 s[26:27], v[86:87], v[86:87]
	v_cndmask_b32_e32 v26, v26, v54, vcc
	v_cndmask_b32_e32 v27, v27, v55, vcc
	v_cndmask_b32_e64 v57, v57, v87, s[26:27]
	v_cndmask_b32_e64 v56, v56, v86, s[26:27]
	;; [unrolled: 1-line block ×4, first 2 shown]
	s_movk_i32 s7, 0x1f8
	v_cmp_neq_f64_e32 vcc, v[56:57], v[26:27]
	v_cmp_class_f64_e64 s[26:27], v[56:57], s7
	s_or_b64 s[26:27], vcc, s[26:27]
	s_and_saveexec_b64 s[40:41], s[26:27]
	s_cbranch_execz .LBB3_105
; %bb.104:
	s_mov_b32 s26, 0x652b82fe
	v_add_f64 v[54:55], v[56:57], -v[26:27]
	s_mov_b32 s27, 0x3ff71547
	v_mul_f64 v[56:57], v[54:55], s[26:27]
	v_rndne_f64_e32 v[56:57], v[56:57]
	s_mov_b32 s43, 0xbfe62e42
	s_mov_b32 s42, 0xfefa39ef
	v_fma_f64 v[58:59], s[42:43], v[56:57], v[54:55]
	s_mov_b32 s45, 0xbc7abc9e
	s_mov_b32 s44, 0x3b39803f
	;; [unrolled: 1-line block ×3, first 2 shown]
	v_fmac_f64_e32 v[58:59], s[44:45], v[56:57]
	v_mov_b32_e32 v60, 0xfca7ab0c
	v_mov_b32_e32 v61, 0x3e928af3
	s_mov_b32 s27, 0x3e5ade15
	v_fmac_f64_e32 v[60:61], s[26:27], v[58:59]
	v_mov_b32_e32 v62, 0x623fde64
	v_mov_b32_e32 v63, 0x3ec71dee
	v_fmac_f64_e32 v[62:63], v[58:59], v[60:61]
	v_mov_b32_e32 v60, 0x7c89e6b0
	v_mov_b32_e32 v61, 0x3efa0199
	;; [unrolled: 3-line block ×8, first 2 shown]
	s_mov_b32 s26, 0
	v_fmac_f64_e32 v[60:61], v[58:59], v[62:63]
	s_mov_b32 s27, 0x40900000
	v_fma_f64 v[60:61], v[58:59], v[60:61], 1.0
	v_cmp_nlt_f64_e32 vcc, s[26:27], v[54:55]
	s_mov_b32 s26, 0
	v_fma_f64 v[58:59], v[58:59], v[60:61], 1.0
	v_cvt_i32_f64_e32 v56, v[56:57]
	s_mov_b32 s27, 0xc090cc00
	v_ldexp_f64 v[56:57], v[58:59], v56
	v_mov_b32_e32 v58, 0x7ff00000
	v_cmp_ngt_f64_e64 s[26:27], s[26:27], v[54:55]
	v_cndmask_b32_e32 v57, v58, v57, vcc
	s_and_b64 vcc, s[26:27], vcc
	v_cndmask_b32_e64 v55, 0, v57, s[26:27]
	v_cndmask_b32_e32 v54, 0, v56, vcc
	v_add_f64 v[56:57], v[54:55], 1.0
	v_add_f64 v[58:59], v[56:57], -1.0
	v_add_f64 v[60:61], v[58:59], -v[56:57]
	v_add_f64 v[60:61], v[60:61], 1.0
	v_add_f64 v[58:59], v[54:55], -v[58:59]
	s_mov_b32 s26, 0x55555555
	v_add_f64 v[58:59], v[58:59], v[60:61]
	v_frexp_mant_f64_e32 v[60:61], v[56:57]
	s_mov_b32 s27, 0x3fe55555
	v_frexp_exp_i32_f64_e32 v62, v[56:57]
	v_cmp_gt_f64_e32 vcc, s[26:27], v[60:61]
	v_subbrev_co_u32_e32 v76, vcc, 0, v62, vcc
	v_sub_u32_e32 v60, 0, v76
	v_ldexp_f64 v[56:57], v[56:57], v60
	v_ldexp_f64 v[58:59], v[58:59], v60
	v_add_f64 v[60:61], v[56:57], -1.0
	v_add_f64 v[66:67], v[56:57], 1.0
	v_add_f64 v[62:63], v[60:61], 1.0
	v_add_f64 v[68:69], v[66:67], -1.0
	v_add_f64 v[62:63], v[56:57], -v[62:63]
	v_add_f64 v[56:57], v[56:57], -v[68:69]
	v_add_f64 v[56:57], v[58:59], v[56:57]
	v_add_f64 v[62:63], v[58:59], v[62:63]
	;; [unrolled: 1-line block ×3, first 2 shown]
	v_rcp_f64_e32 v[68:69], v[58:59]
	v_add_f64 v[64:65], v[60:61], v[62:63]
	v_add_f64 v[60:61], v[64:65], -v[60:61]
	v_add_f64 v[60:61], v[62:63], -v[60:61]
	;; [unrolled: 1-line block ×4, first 2 shown]
	v_fma_f64 v[62:63], -v[58:59], v[68:69], 1.0
	v_fmac_f64_e32 v[68:69], v[62:63], v[68:69]
	v_fma_f64 v[62:63], -v[58:59], v[68:69], 1.0
	v_fmac_f64_e32 v[68:69], v[62:63], v[68:69]
	v_mul_f64 v[62:63], v[64:65], v[68:69]
	v_mul_f64 v[66:67], v[58:59], v[62:63]
	v_fma_f64 v[70:71], v[62:63], v[58:59], -v[66:67]
	v_fmac_f64_e32 v[70:71], v[62:63], v[56:57]
	v_add_f64 v[72:73], v[66:67], v[70:71]
	v_add_f64 v[74:75], v[64:65], -v[72:73]
	v_add_f64 v[64:65], v[64:65], -v[74:75]
	;; [unrolled: 1-line block ×4, first 2 shown]
	v_add_f64 v[60:61], v[60:61], v[64:65]
	v_add_f64 v[64:65], v[66:67], -v[70:71]
	v_add_f64 v[60:61], v[64:65], v[60:61]
	v_add_f64 v[64:65], v[74:75], v[60:61]
	v_add_f64 v[66:67], v[74:75], -v[64:65]
	v_add_f64 v[60:61], v[60:61], v[66:67]
	v_mul_f64 v[66:67], v[68:69], v[64:65]
	v_mul_f64 v[70:71], v[58:59], v[66:67]
	v_fma_f64 v[58:59], v[66:67], v[58:59], -v[70:71]
	v_fmac_f64_e32 v[58:59], v[66:67], v[56:57]
	v_add_f64 v[56:57], v[70:71], v[58:59]
	v_add_f64 v[72:73], v[64:65], -v[56:57]
	v_add_f64 v[64:65], v[64:65], -v[72:73]
	v_add_f64 v[70:71], v[56:57], -v[70:71]
	v_add_f64 v[56:57], v[64:65], -v[56:57]
	v_add_f64 v[56:57], v[60:61], v[56:57]
	v_add_f64 v[58:59], v[70:71], -v[58:59]
	v_add_f64 v[56:57], v[58:59], v[56:57]
	v_add_f64 v[58:59], v[62:63], v[66:67]
	;; [unrolled: 1-line block ×3, first 2 shown]
	v_add_f64 v[60:61], v[58:59], -v[62:63]
	v_mul_f64 v[56:57], v[68:69], v[56:57]
	v_add_f64 v[60:61], v[66:67], -v[60:61]
	v_add_f64 v[56:57], v[60:61], v[56:57]
	v_add_f64 v[60:61], v[58:59], v[56:57]
	v_add_f64 v[58:59], v[60:61], -v[58:59]
	s_mov_b32 s26, 0xbf559e2b
	v_add_f64 v[56:57], v[56:57], -v[58:59]
	v_mul_f64 v[58:59], v[60:61], v[60:61]
	v_mov_b32_e32 v62, 0x6b47b09a
	v_mov_b32_e32 v63, 0x3fc38538
	s_mov_b32 s27, 0x3fc3ab76
	v_fmac_f64_e32 v[62:63], s[26:27], v[58:59]
	v_mov_b32_e32 v64, 0xd7f4df2e
	v_mov_b32_e32 v65, 0x3fc7474d
	v_fmac_f64_e32 v[64:65], v[58:59], v[62:63]
	v_mov_b32_e32 v62, 0x16291751
	v_mov_b32_e32 v63, 0x3fcc71c0
	;; [unrolled: 3-line block ×5, first 2 shown]
	v_fmac_f64_e32 v[64:65], v[58:59], v[62:63]
	v_cvt_f64_i32_e32 v[62:63], v76
	s_mov_b32 s43, 0x3fe62e42
	v_mul_f64 v[66:67], v[62:63], s[42:43]
	v_fma_f64 v[68:69], v[62:63], s[42:43], -v[66:67]
	s_mov_b32 s45, 0x3c7abc9e
	v_fmac_f64_e32 v[68:69], s[44:45], v[62:63]
	v_add_f64 v[62:63], v[66:67], v[68:69]
	v_add_f64 v[66:67], v[62:63], -v[66:67]
	v_mul_f64 v[58:59], v[60:61], v[58:59]
	v_add_f64 v[66:67], v[68:69], -v[66:67]
	v_ldexp_f64 v[68:69], v[60:61], 1
	v_mul_f64 v[58:59], v[58:59], v[64:65]
	v_add_f64 v[60:61], v[68:69], v[58:59]
	v_add_f64 v[64:65], v[60:61], -v[68:69]
	v_ldexp_f64 v[56:57], v[56:57], 1
	v_add_f64 v[58:59], v[58:59], -v[64:65]
	v_add_f64 v[56:57], v[56:57], v[58:59]
	v_add_f64 v[58:59], v[60:61], v[56:57]
	v_add_f64 v[60:61], v[58:59], -v[60:61]
	v_add_f64 v[56:57], v[56:57], -v[60:61]
	v_add_f64 v[60:61], v[62:63], v[58:59]
	v_add_f64 v[64:65], v[60:61], -v[62:63]
	v_add_f64 v[68:69], v[60:61], -v[64:65]
	;; [unrolled: 1-line block ×4, first 2 shown]
	v_add_f64 v[58:59], v[58:59], v[62:63]
	v_add_f64 v[62:63], v[66:67], v[56:57]
	v_add_f64 v[64:65], v[62:63], -v[66:67]
	v_add_f64 v[58:59], v[62:63], v[58:59]
	v_add_f64 v[68:69], v[62:63], -v[64:65]
	;; [unrolled: 2-line block ×3, first 2 shown]
	v_add_f64 v[56:57], v[56:57], -v[64:65]
	v_add_f64 v[60:61], v[62:63], -v[60:61]
	v_add_f64 v[56:57], v[56:57], v[66:67]
	v_add_f64 v[58:59], v[58:59], -v[60:61]
	s_mov_b32 s26, 0
	v_add_f64 v[56:57], v[56:57], v[58:59]
	s_mov_b32 s27, 0x7ff00000
	v_add_f64 v[56:57], v[62:63], v[56:57]
	v_cmp_eq_f64_e32 vcc, s[26:27], v[54:55]
	v_cndmask_b32_e32 v56, v56, v54, vcc
	v_cndmask_b32_e32 v57, v57, v55, vcc
	v_mov_b32_e32 v58, 0x7ff80000
	v_cmp_ngt_f64_e32 vcc, -1.0, v[54:55]
	v_cndmask_b32_e32 v57, v58, v57, vcc
	v_cmp_nge_f64_e32 vcc, -1.0, v[54:55]
	v_cndmask_b32_e32 v56, 0, v56, vcc
	v_mov_b32_e32 v58, 0xfff00000
	v_cmp_neq_f64_e32 vcc, -1.0, v[54:55]
	v_cndmask_b32_e32 v57, v58, v57, vcc
	v_add_f64 v[54:55], v[26:27], v[56:57]
.LBB3_105:
	s_or_b64 exec, exec, s[40:41]
	v_mov_b32_e32 v26, v54
	v_mov_b32_e32 v27, v55
	v_pk_mov_b32 v[86:87], v[54:55], v[54:55] op_sel:[0,1]
.LBB3_106:
	s_or_b64 exec, exec, s[38:39]
	v_cmp_gt_u32_e32 vcc, 32, v96
	s_waitcnt lgkmcnt(1)
	v_cndmask_b32_e64 v54, 0, 1, vcc
	v_lshlrev_b32_e32 v54, 5, v54
	v_add_lshl_u32 v106, v54, v53, 2
	ds_bpermute_b32 v54, v106, v26
	s_waitcnt lgkmcnt(1)
	ds_bpermute_b32 v55, v106, v27
	v_add_u32_e32 v107, 32, v96
	v_cmp_le_u32_e32 vcc, v107, v29
	s_and_saveexec_b64 s[38:39], vcc
	s_cbranch_execz .LBB3_110
; %bb.107:
	s_waitcnt lgkmcnt(0)
	v_max_f64 v[26:27], v[54:55], v[54:55]
	v_max_f64 v[58:59], v[86:87], v[86:87]
	v_min_f64 v[56:57], v[26:27], v[58:59]
	v_cmp_u_f64_e32 vcc, v[54:55], v[54:55]
	v_max_f64 v[26:27], v[26:27], v[58:59]
	v_cndmask_b32_e32 v29, v56, v54, vcc
	v_cndmask_b32_e32 v53, v57, v55, vcc
	v_cmp_u_f64_e64 s[26:27], v[86:87], v[86:87]
	v_cndmask_b32_e32 v26, v26, v54, vcc
	v_cndmask_b32_e32 v27, v27, v55, vcc
	v_cndmask_b32_e64 v57, v53, v87, s[26:27]
	v_cndmask_b32_e64 v56, v29, v86, s[26:27]
	;; [unrolled: 1-line block ×4, first 2 shown]
	s_movk_i32 s7, 0x1f8
	v_cmp_neq_f64_e32 vcc, v[56:57], v[26:27]
	v_cmp_class_f64_e64 s[26:27], v[56:57], s7
	s_or_b64 s[26:27], vcc, s[26:27]
	s_and_saveexec_b64 s[40:41], s[26:27]
	s_cbranch_execz .LBB3_109
; %bb.108:
	s_mov_b32 s26, 0x652b82fe
	v_add_f64 v[54:55], v[56:57], -v[26:27]
	s_mov_b32 s27, 0x3ff71547
	v_mul_f64 v[56:57], v[54:55], s[26:27]
	v_rndne_f64_e32 v[56:57], v[56:57]
	s_mov_b32 s43, 0xbfe62e42
	s_mov_b32 s42, 0xfefa39ef
	v_fma_f64 v[58:59], s[42:43], v[56:57], v[54:55]
	s_mov_b32 s45, 0xbc7abc9e
	s_mov_b32 s44, 0x3b39803f
	;; [unrolled: 1-line block ×3, first 2 shown]
	v_fmac_f64_e32 v[58:59], s[44:45], v[56:57]
	v_mov_b32_e32 v60, 0xfca7ab0c
	v_mov_b32_e32 v61, 0x3e928af3
	s_mov_b32 s27, 0x3e5ade15
	v_fmac_f64_e32 v[60:61], s[26:27], v[58:59]
	v_mov_b32_e32 v62, 0x623fde64
	v_mov_b32_e32 v63, 0x3ec71dee
	v_fmac_f64_e32 v[62:63], v[58:59], v[60:61]
	v_mov_b32_e32 v60, 0x7c89e6b0
	v_mov_b32_e32 v61, 0x3efa0199
	;; [unrolled: 3-line block ×8, first 2 shown]
	s_mov_b32 s26, 0
	v_fmac_f64_e32 v[60:61], v[58:59], v[62:63]
	s_mov_b32 s27, 0x40900000
	v_fma_f64 v[60:61], v[58:59], v[60:61], 1.0
	v_cmp_nlt_f64_e32 vcc, s[26:27], v[54:55]
	s_mov_b32 s26, 0
	v_fma_f64 v[58:59], v[58:59], v[60:61], 1.0
	v_cvt_i32_f64_e32 v29, v[56:57]
	s_mov_b32 s27, 0xc090cc00
	v_ldexp_f64 v[56:57], v[58:59], v29
	v_mov_b32_e32 v29, 0x7ff00000
	v_cmp_ngt_f64_e64 s[26:27], s[26:27], v[54:55]
	v_cndmask_b32_e32 v29, v29, v57, vcc
	s_and_b64 vcc, s[26:27], vcc
	v_cndmask_b32_e64 v55, 0, v29, s[26:27]
	v_cndmask_b32_e32 v54, 0, v56, vcc
	v_add_f64 v[56:57], v[54:55], 1.0
	v_add_f64 v[58:59], v[56:57], -1.0
	v_add_f64 v[60:61], v[58:59], -v[56:57]
	v_add_f64 v[60:61], v[60:61], 1.0
	v_add_f64 v[58:59], v[54:55], -v[58:59]
	s_mov_b32 s26, 0x55555555
	v_add_f64 v[58:59], v[58:59], v[60:61]
	v_frexp_mant_f64_e32 v[60:61], v[56:57]
	s_mov_b32 s27, 0x3fe55555
	v_frexp_exp_i32_f64_e32 v29, v[56:57]
	v_cmp_gt_f64_e32 vcc, s[26:27], v[60:61]
	v_subbrev_co_u32_e32 v29, vcc, 0, v29, vcc
	v_sub_u32_e32 v53, 0, v29
	v_ldexp_f64 v[56:57], v[56:57], v53
	v_add_f64 v[60:61], v[56:57], -1.0
	v_add_f64 v[66:67], v[56:57], 1.0
	v_add_f64 v[62:63], v[60:61], 1.0
	v_add_f64 v[68:69], v[66:67], -1.0
	v_ldexp_f64 v[58:59], v[58:59], v53
	v_add_f64 v[62:63], v[56:57], -v[62:63]
	v_add_f64 v[56:57], v[56:57], -v[68:69]
	v_add_f64 v[56:57], v[58:59], v[56:57]
	v_add_f64 v[62:63], v[58:59], v[62:63]
	;; [unrolled: 1-line block ×3, first 2 shown]
	v_rcp_f64_e32 v[68:69], v[58:59]
	v_add_f64 v[64:65], v[60:61], v[62:63]
	v_add_f64 v[60:61], v[64:65], -v[60:61]
	v_add_f64 v[60:61], v[62:63], -v[60:61]
	;; [unrolled: 1-line block ×4, first 2 shown]
	v_fma_f64 v[62:63], -v[58:59], v[68:69], 1.0
	v_fmac_f64_e32 v[68:69], v[62:63], v[68:69]
	v_fma_f64 v[62:63], -v[58:59], v[68:69], 1.0
	v_fmac_f64_e32 v[68:69], v[62:63], v[68:69]
	v_mul_f64 v[62:63], v[64:65], v[68:69]
	v_mul_f64 v[66:67], v[58:59], v[62:63]
	v_fma_f64 v[70:71], v[62:63], v[58:59], -v[66:67]
	v_fmac_f64_e32 v[70:71], v[62:63], v[56:57]
	v_add_f64 v[72:73], v[66:67], v[70:71]
	v_add_f64 v[74:75], v[64:65], -v[72:73]
	v_add_f64 v[64:65], v[64:65], -v[74:75]
	;; [unrolled: 1-line block ×4, first 2 shown]
	v_add_f64 v[60:61], v[60:61], v[64:65]
	v_add_f64 v[64:65], v[66:67], -v[70:71]
	v_add_f64 v[60:61], v[64:65], v[60:61]
	v_add_f64 v[64:65], v[74:75], v[60:61]
	v_add_f64 v[66:67], v[74:75], -v[64:65]
	v_add_f64 v[60:61], v[60:61], v[66:67]
	v_mul_f64 v[66:67], v[68:69], v[64:65]
	v_mul_f64 v[70:71], v[58:59], v[66:67]
	v_fma_f64 v[58:59], v[66:67], v[58:59], -v[70:71]
	v_fmac_f64_e32 v[58:59], v[66:67], v[56:57]
	v_add_f64 v[56:57], v[70:71], v[58:59]
	v_add_f64 v[72:73], v[64:65], -v[56:57]
	v_add_f64 v[64:65], v[64:65], -v[72:73]
	;; [unrolled: 1-line block ×4, first 2 shown]
	v_add_f64 v[56:57], v[60:61], v[56:57]
	v_add_f64 v[58:59], v[70:71], -v[58:59]
	v_add_f64 v[56:57], v[58:59], v[56:57]
	v_add_f64 v[58:59], v[62:63], v[66:67]
	;; [unrolled: 1-line block ×3, first 2 shown]
	v_add_f64 v[60:61], v[58:59], -v[62:63]
	v_mul_f64 v[56:57], v[68:69], v[56:57]
	v_add_f64 v[60:61], v[66:67], -v[60:61]
	v_add_f64 v[56:57], v[60:61], v[56:57]
	v_add_f64 v[60:61], v[58:59], v[56:57]
	v_add_f64 v[58:59], v[60:61], -v[58:59]
	s_mov_b32 s26, 0xbf559e2b
	v_add_f64 v[56:57], v[56:57], -v[58:59]
	v_mul_f64 v[58:59], v[60:61], v[60:61]
	v_mov_b32_e32 v62, 0x6b47b09a
	v_mov_b32_e32 v63, 0x3fc38538
	s_mov_b32 s27, 0x3fc3ab76
	v_fmac_f64_e32 v[62:63], s[26:27], v[58:59]
	v_mov_b32_e32 v64, 0xd7f4df2e
	v_mov_b32_e32 v65, 0x3fc7474d
	v_fmac_f64_e32 v[64:65], v[58:59], v[62:63]
	v_mov_b32_e32 v62, 0x16291751
	v_mov_b32_e32 v63, 0x3fcc71c0
	;; [unrolled: 3-line block ×5, first 2 shown]
	v_fmac_f64_e32 v[64:65], v[58:59], v[62:63]
	v_cvt_f64_i32_e32 v[62:63], v29
	s_mov_b32 s43, 0x3fe62e42
	v_mul_f64 v[66:67], v[62:63], s[42:43]
	v_fma_f64 v[68:69], v[62:63], s[42:43], -v[66:67]
	s_mov_b32 s45, 0x3c7abc9e
	v_fmac_f64_e32 v[68:69], s[44:45], v[62:63]
	v_add_f64 v[62:63], v[66:67], v[68:69]
	v_add_f64 v[66:67], v[62:63], -v[66:67]
	v_mul_f64 v[58:59], v[60:61], v[58:59]
	v_add_f64 v[66:67], v[68:69], -v[66:67]
	v_ldexp_f64 v[68:69], v[60:61], 1
	v_mul_f64 v[58:59], v[58:59], v[64:65]
	v_add_f64 v[60:61], v[68:69], v[58:59]
	v_add_f64 v[64:65], v[60:61], -v[68:69]
	v_ldexp_f64 v[56:57], v[56:57], 1
	v_add_f64 v[58:59], v[58:59], -v[64:65]
	v_add_f64 v[56:57], v[56:57], v[58:59]
	v_add_f64 v[58:59], v[60:61], v[56:57]
	v_add_f64 v[60:61], v[58:59], -v[60:61]
	v_add_f64 v[56:57], v[56:57], -v[60:61]
	v_add_f64 v[60:61], v[62:63], v[58:59]
	v_add_f64 v[64:65], v[60:61], -v[62:63]
	v_add_f64 v[68:69], v[60:61], -v[64:65]
	;; [unrolled: 1-line block ×4, first 2 shown]
	v_add_f64 v[58:59], v[58:59], v[62:63]
	v_add_f64 v[62:63], v[66:67], v[56:57]
	v_add_f64 v[64:65], v[62:63], -v[66:67]
	v_add_f64 v[58:59], v[62:63], v[58:59]
	v_add_f64 v[68:69], v[62:63], -v[64:65]
	;; [unrolled: 2-line block ×3, first 2 shown]
	v_add_f64 v[56:57], v[56:57], -v[64:65]
	v_add_f64 v[60:61], v[62:63], -v[60:61]
	v_add_f64 v[56:57], v[56:57], v[66:67]
	v_add_f64 v[58:59], v[58:59], -v[60:61]
	s_mov_b32 s26, 0
	v_add_f64 v[56:57], v[56:57], v[58:59]
	s_mov_b32 s27, 0x7ff00000
	v_add_f64 v[56:57], v[62:63], v[56:57]
	v_cmp_eq_f64_e32 vcc, s[26:27], v[54:55]
	v_cndmask_b32_e32 v29, v56, v54, vcc
	v_cndmask_b32_e32 v53, v57, v55, vcc
	v_mov_b32_e32 v56, 0x7ff80000
	v_cmp_ngt_f64_e32 vcc, -1.0, v[54:55]
	v_cndmask_b32_e32 v53, v56, v53, vcc
	v_cmp_nge_f64_e32 vcc, -1.0, v[54:55]
	v_cndmask_b32_e32 v56, 0, v29, vcc
	v_mov_b32_e32 v29, 0xfff00000
	v_cmp_neq_f64_e32 vcc, -1.0, v[54:55]
	v_cndmask_b32_e32 v57, v29, v53, vcc
	v_add_f64 v[54:55], v[26:27], v[56:57]
.LBB3_109:
	s_or_b64 exec, exec, s[40:41]
	v_pk_mov_b32 v[86:87], v[54:55], v[54:55] op_sel:[0,1]
.LBB3_110:
	s_or_b64 exec, exec, s[38:39]
	s_mov_b32 s38, 0x652b82fe
	s_mov_b32 s40, 0xfefa39ef
	;; [unrolled: 1-line block ×9, first 2 shown]
	v_mov_b32_e32 v53, 0
	s_movk_i32 s7, 0x1f8
	s_mov_b32 s39, 0x3ff71547
	s_mov_b32 s41, 0xbfe62e42
	;; [unrolled: 1-line block ×11, first 2 shown]
	v_mov_b32_e32 v108, 2
	v_mov_b32_e32 v56, 0xfca7ab0c
	;; [unrolled: 1-line block ×34, first 2 shown]
	s_branch .LBB3_112
.LBB3_111:                              ;   in Loop: Header=BB3_112 Depth=1
	s_or_b64 exec, exec, s[64:65]
	v_subrev_u32_e32 v52, 64, v52
.LBB3_112:                              ; =>This Loop Header: Depth=1
                                        ;     Child Loop BB3_115 Depth 2
	v_cmp_ne_u16_sdwa s[26:27], v28, v108 src0_sel:BYTE_0 src1_sel:DWORD
	v_cndmask_b32_e64 v26, 0, 1, s[26:27]
	;;#ASMSTART
	;;#ASMEND
	v_cmp_ne_u32_e32 vcc, 0, v26
	s_cmp_lg_u64 vcc, exec
	s_waitcnt lgkmcnt(0)
	v_pk_mov_b32 v[54:55], v[86:87], v[86:87] op_sel:[0,1]
	s_cbranch_scc1 .LBB3_143
; %bb.113:                              ;   in Loop: Header=BB3_112 Depth=1
	v_lshlrev_b64 v[26:27], 4, v[52:53]
	v_mov_b32_e32 v28, s59
	v_add_co_u32_e32 v86, vcc, s58, v26
	v_addc_co_u32_e32 v87, vcc, v28, v27, vcc
	;;#ASMSTART
	global_load_dwordx4 v[26:29], v[86:87] off glc	
s_waitcnt vmcnt(0)
	;;#ASMEND
	v_and_b32_e32 v29, 0xff, v27
	v_and_b32_e32 v88, 0xff00, v27
	v_or3_b32 v29, 0, v29, v88
	v_or3_b32 v26, v26, 0, 0
	v_and_b32_e32 v88, 0xff000000, v27
	v_and_b32_e32 v27, 0xff0000, v27
	v_or3_b32 v27, v29, v27, v88
	v_or3_b32 v26, v26, 0, 0
	v_cmp_eq_u16_sdwa s[64:65], v28, v53 src0_sel:BYTE_0 src1_sel:DWORD
	s_and_saveexec_b64 s[26:27], s[64:65]
	s_cbranch_execz .LBB3_117
; %bb.114:                              ;   in Loop: Header=BB3_112 Depth=1
	s_mov_b64 s[64:65], 0
.LBB3_115:                              ;   Parent Loop BB3_112 Depth=1
                                        ; =>  This Inner Loop Header: Depth=2
	;;#ASMSTART
	global_load_dwordx4 v[26:29], v[86:87] off glc	
s_waitcnt vmcnt(0)
	;;#ASMEND
	v_cmp_ne_u16_sdwa s[66:67], v28, v53 src0_sel:BYTE_0 src1_sel:DWORD
	s_or_b64 s[64:65], s[66:67], s[64:65]
	s_andn2_b64 exec, exec, s[64:65]
	s_cbranch_execnz .LBB3_115
; %bb.116:                              ;   in Loop: Header=BB3_112 Depth=1
	s_or_b64 exec, exec, s[64:65]
.LBB3_117:                              ;   in Loop: Header=BB3_112 Depth=1
	s_or_b64 exec, exec, s[26:27]
	v_cmp_eq_u16_sdwa s[26:27], v28, v108 src0_sel:BYTE_0 src1_sel:DWORD
	v_and_b32_e32 v29, s27, v25
	v_or_b32_e32 v29, 0x80000000, v29
	ds_bpermute_b32 v88, v97, v26
	ds_bpermute_b32 v89, v97, v27
	v_and_b32_e32 v86, s26, v24
	v_ffbl_b32_e32 v29, v29
	v_add_u32_e32 v29, 32, v29
	v_ffbl_b32_e32 v86, v86
	v_min_u32_e32 v29, v86, v29
	v_cmp_lt_u32_e32 vcc, v96, v29
	v_pk_mov_b32 v[86:87], v[26:27], v[26:27] op_sel:[0,1]
	s_and_saveexec_b64 s[64:65], vcc
	s_cbranch_execz .LBB3_121
; %bb.118:                              ;   in Loop: Header=BB3_112 Depth=1
	s_waitcnt lgkmcnt(0)
	v_max_f64 v[90:91], v[88:89], v[88:89]
	v_max_f64 v[112:113], v[26:27], v[26:27]
	v_min_f64 v[86:87], v[90:91], v[112:113]
	v_cmp_u_f64_e32 vcc, v[88:89], v[88:89]
	v_max_f64 v[90:91], v[90:91], v[112:113]
	v_cndmask_b32_e32 v86, v86, v88, vcc
	v_cndmask_b32_e32 v87, v87, v89, vcc
	v_cmp_u_f64_e64 s[26:27], v[26:27], v[26:27]
	v_cndmask_b32_e32 v90, v90, v88, vcc
	v_cndmask_b32_e32 v91, v91, v89, vcc
	v_cndmask_b32_e64 v87, v87, v27, s[26:27]
	v_cndmask_b32_e64 v86, v86, v26, s[26:27]
	;; [unrolled: 1-line block ×4, first 2 shown]
	v_cmp_neq_f64_e32 vcc, v[86:87], v[26:27]
	v_cmp_class_f64_e64 s[26:27], v[86:87], s7
	s_or_b64 s[26:27], vcc, s[26:27]
	s_and_saveexec_b64 s[66:67], s[26:27]
	s_cbranch_execz .LBB3_120
; %bb.119:                              ;   in Loop: Header=BB3_112 Depth=1
	v_add_f64 v[86:87], v[86:87], -v[26:27]
	v_mul_f64 v[88:89], v[86:87], s[38:39]
	v_rndne_f64_e32 v[88:89], v[88:89]
	v_fma_f64 v[90:91], s[40:41], v[88:89], v[86:87]
	v_fmac_f64_e32 v[90:91], s[42:43], v[88:89]
	v_pk_mov_b32 v[112:113], v[56:57], v[56:57] op_sel:[0,1]
	v_fmac_f64_e32 v[112:113], s[44:45], v[90:91]
	v_pk_mov_b32 v[114:115], v[58:59], v[58:59] op_sel:[0,1]
	;; [unrolled: 2-line block ×9, first 2 shown]
	v_fmac_f64_e32 v[112:113], v[90:91], v[114:115]
	v_fma_f64 v[112:113], v[90:91], v[112:113], 1.0
	v_fma_f64 v[90:91], v[90:91], v[112:113], 1.0
	v_cvt_i32_f64_e32 v88, v[88:89]
	v_ldexp_f64 v[88:89], v[90:91], v88
	v_cmp_nlt_f64_e32 vcc, s[46:47], v[86:87]
	v_cmp_ngt_f64_e64 s[26:27], s[48:49], v[86:87]
	v_cndmask_b32_e32 v89, v109, v89, vcc
	s_and_b64 vcc, s[26:27], vcc
	v_cndmask_b32_e64 v87, 0, v89, s[26:27]
	v_cndmask_b32_e32 v86, 0, v88, vcc
	v_add_f64 v[88:89], v[86:87], 1.0
	v_add_f64 v[90:91], v[88:89], -1.0
	v_add_f64 v[112:113], v[90:91], -v[88:89]
	v_add_f64 v[112:113], v[112:113], 1.0
	v_add_f64 v[90:91], v[86:87], -v[90:91]
	v_add_f64 v[90:91], v[90:91], v[112:113]
	v_frexp_mant_f64_e32 v[112:113], v[88:89]
	v_frexp_exp_i32_f64_e32 v114, v[88:89]
	v_cmp_gt_f64_e32 vcc, s[50:51], v[112:113]
	v_subbrev_co_u32_e32 v128, vcc, 0, v114, vcc
	v_sub_u32_e32 v112, 0, v128
	v_ldexp_f64 v[88:89], v[88:89], v112
	v_ldexp_f64 v[90:91], v[90:91], v112
	v_add_f64 v[112:113], v[88:89], -1.0
	v_add_f64 v[118:119], v[88:89], 1.0
	v_add_f64 v[114:115], v[112:113], 1.0
	v_add_f64 v[120:121], v[118:119], -1.0
	v_add_f64 v[114:115], v[88:89], -v[114:115]
	v_add_f64 v[88:89], v[88:89], -v[120:121]
	v_add_f64 v[88:89], v[90:91], v[88:89]
	v_add_f64 v[114:115], v[90:91], v[114:115]
	;; [unrolled: 1-line block ×3, first 2 shown]
	v_rcp_f64_e32 v[120:121], v[90:91]
	v_add_f64 v[116:117], v[112:113], v[114:115]
	v_add_f64 v[112:113], v[116:117], -v[112:113]
	v_add_f64 v[112:113], v[114:115], -v[112:113]
	;; [unrolled: 1-line block ×4, first 2 shown]
	v_fma_f64 v[114:115], -v[90:91], v[120:121], 1.0
	v_fmac_f64_e32 v[120:121], v[114:115], v[120:121]
	v_fma_f64 v[114:115], -v[90:91], v[120:121], 1.0
	v_fmac_f64_e32 v[120:121], v[114:115], v[120:121]
	v_mul_f64 v[114:115], v[116:117], v[120:121]
	v_mul_f64 v[118:119], v[90:91], v[114:115]
	v_fma_f64 v[122:123], v[114:115], v[90:91], -v[118:119]
	v_fmac_f64_e32 v[122:123], v[114:115], v[88:89]
	v_add_f64 v[124:125], v[118:119], v[122:123]
	v_add_f64 v[126:127], v[116:117], -v[124:125]
	v_add_f64 v[116:117], v[116:117], -v[126:127]
	;; [unrolled: 1-line block ×4, first 2 shown]
	v_add_f64 v[112:113], v[112:113], v[116:117]
	v_add_f64 v[116:117], v[118:119], -v[122:123]
	v_add_f64 v[112:113], v[116:117], v[112:113]
	v_add_f64 v[116:117], v[126:127], v[112:113]
	v_add_f64 v[118:119], v[126:127], -v[116:117]
	v_add_f64 v[112:113], v[112:113], v[118:119]
	v_mul_f64 v[118:119], v[120:121], v[116:117]
	v_mul_f64 v[122:123], v[90:91], v[118:119]
	v_fma_f64 v[90:91], v[118:119], v[90:91], -v[122:123]
	v_fmac_f64_e32 v[90:91], v[118:119], v[88:89]
	v_add_f64 v[88:89], v[122:123], v[90:91]
	v_add_f64 v[124:125], v[116:117], -v[88:89]
	v_add_f64 v[116:117], v[116:117], -v[124:125]
	;; [unrolled: 1-line block ×4, first 2 shown]
	v_add_f64 v[88:89], v[112:113], v[88:89]
	v_add_f64 v[90:91], v[122:123], -v[90:91]
	v_add_f64 v[88:89], v[90:91], v[88:89]
	v_add_f64 v[90:91], v[114:115], v[118:119]
	;; [unrolled: 1-line block ×3, first 2 shown]
	v_add_f64 v[112:113], v[90:91], -v[114:115]
	v_mul_f64 v[88:89], v[120:121], v[88:89]
	v_add_f64 v[112:113], v[118:119], -v[112:113]
	v_add_f64 v[88:89], v[112:113], v[88:89]
	v_add_f64 v[112:113], v[90:91], v[88:89]
	v_add_f64 v[90:91], v[112:113], -v[90:91]
	v_add_f64 v[88:89], v[88:89], -v[90:91]
	v_mul_f64 v[90:91], v[112:113], v[112:113]
	v_pk_mov_b32 v[114:115], v[74:75], v[74:75] op_sel:[0,1]
	v_fmac_f64_e32 v[114:115], s[52:53], v[90:91]
	v_pk_mov_b32 v[116:117], v[76:77], v[76:77] op_sel:[0,1]
	v_fmac_f64_e32 v[116:117], v[90:91], v[114:115]
	;; [unrolled: 2-line block ×6, first 2 shown]
	v_cvt_f64_i32_e32 v[114:115], v128
	s_mov_b32 s54, s40
	v_mul_f64 v[118:119], v[114:115], s[54:55]
	v_fma_f64 v[120:121], v[114:115], s[54:55], -v[118:119]
	s_mov_b32 s60, s42
	v_fmac_f64_e32 v[120:121], s[60:61], v[114:115]
	v_add_f64 v[114:115], v[118:119], v[120:121]
	v_add_f64 v[118:119], v[114:115], -v[118:119]
	v_mul_f64 v[90:91], v[112:113], v[90:91]
	v_add_f64 v[118:119], v[120:121], -v[118:119]
	v_ldexp_f64 v[120:121], v[112:113], 1
	v_mul_f64 v[90:91], v[90:91], v[116:117]
	v_add_f64 v[112:113], v[120:121], v[90:91]
	v_add_f64 v[116:117], v[112:113], -v[120:121]
	v_ldexp_f64 v[88:89], v[88:89], 1
	v_add_f64 v[90:91], v[90:91], -v[116:117]
	v_add_f64 v[88:89], v[88:89], v[90:91]
	v_add_f64 v[90:91], v[112:113], v[88:89]
	v_add_f64 v[112:113], v[90:91], -v[112:113]
	v_add_f64 v[88:89], v[88:89], -v[112:113]
	v_add_f64 v[112:113], v[114:115], v[90:91]
	v_add_f64 v[116:117], v[112:113], -v[114:115]
	v_add_f64 v[120:121], v[112:113], -v[116:117]
	;; [unrolled: 1-line block ×4, first 2 shown]
	v_add_f64 v[90:91], v[90:91], v[114:115]
	v_add_f64 v[114:115], v[118:119], v[88:89]
	v_add_f64 v[116:117], v[114:115], -v[118:119]
	v_add_f64 v[90:91], v[114:115], v[90:91]
	v_add_f64 v[120:121], v[114:115], -v[116:117]
	;; [unrolled: 2-line block ×3, first 2 shown]
	v_add_f64 v[88:89], v[88:89], -v[116:117]
	v_add_f64 v[112:113], v[114:115], -v[112:113]
	v_add_f64 v[88:89], v[88:89], v[118:119]
	v_add_f64 v[90:91], v[90:91], -v[112:113]
	v_add_f64 v[88:89], v[88:89], v[90:91]
	v_add_f64 v[88:89], v[114:115], v[88:89]
	v_cmp_eq_f64_e32 vcc, s[62:63], v[86:87]
	v_cndmask_b32_e32 v88, v88, v86, vcc
	v_cndmask_b32_e32 v89, v89, v87, vcc
	v_cmp_ngt_f64_e32 vcc, -1.0, v[86:87]
	v_cndmask_b32_e32 v89, v110, v89, vcc
	v_cmp_nge_f64_e32 vcc, -1.0, v[86:87]
	v_cndmask_b32_e32 v88, 0, v88, vcc
	v_cmp_neq_f64_e32 vcc, -1.0, v[86:87]
	v_cndmask_b32_e32 v89, v111, v89, vcc
	v_add_f64 v[88:89], v[26:27], v[88:89]
.LBB3_120:                              ;   in Loop: Header=BB3_112 Depth=1
	s_or_b64 exec, exec, s[66:67]
	v_mov_b32_e32 v26, v88
	v_mov_b32_e32 v27, v89
	v_pk_mov_b32 v[86:87], v[88:89], v[88:89] op_sel:[0,1]
.LBB3_121:                              ;   in Loop: Header=BB3_112 Depth=1
	s_or_b64 exec, exec, s[64:65]
	s_waitcnt lgkmcnt(1)
	ds_bpermute_b32 v88, v98, v26
	s_waitcnt lgkmcnt(1)
	ds_bpermute_b32 v89, v98, v27
	v_cmp_le_u32_e32 vcc, v99, v29
	s_and_saveexec_b64 s[64:65], vcc
	s_cbranch_execz .LBB3_125
; %bb.122:                              ;   in Loop: Header=BB3_112 Depth=1
	s_waitcnt lgkmcnt(0)
	v_max_f64 v[26:27], v[88:89], v[88:89]
	v_max_f64 v[112:113], v[86:87], v[86:87]
	v_min_f64 v[90:91], v[26:27], v[112:113]
	v_cmp_u_f64_e32 vcc, v[88:89], v[88:89]
	v_max_f64 v[26:27], v[26:27], v[112:113]
	v_cndmask_b32_e32 v90, v90, v88, vcc
	v_cndmask_b32_e32 v91, v91, v89, vcc
	v_cmp_u_f64_e64 s[26:27], v[86:87], v[86:87]
	v_cndmask_b32_e32 v26, v26, v88, vcc
	v_cndmask_b32_e32 v27, v27, v89, vcc
	v_cndmask_b32_e64 v91, v91, v87, s[26:27]
	v_cndmask_b32_e64 v90, v90, v86, s[26:27]
	;; [unrolled: 1-line block ×4, first 2 shown]
	v_cmp_neq_f64_e32 vcc, v[90:91], v[26:27]
	v_cmp_class_f64_e64 s[26:27], v[90:91], s7
	s_or_b64 s[26:27], vcc, s[26:27]
	s_and_saveexec_b64 s[66:67], s[26:27]
	s_cbranch_execz .LBB3_124
; %bb.123:                              ;   in Loop: Header=BB3_112 Depth=1
	v_add_f64 v[86:87], v[90:91], -v[26:27]
	v_mul_f64 v[88:89], v[86:87], s[38:39]
	v_rndne_f64_e32 v[88:89], v[88:89]
	v_fma_f64 v[90:91], s[40:41], v[88:89], v[86:87]
	v_fmac_f64_e32 v[90:91], s[42:43], v[88:89]
	v_pk_mov_b32 v[112:113], v[56:57], v[56:57] op_sel:[0,1]
	v_fmac_f64_e32 v[112:113], s[44:45], v[90:91]
	v_pk_mov_b32 v[114:115], v[58:59], v[58:59] op_sel:[0,1]
	;; [unrolled: 2-line block ×9, first 2 shown]
	v_fmac_f64_e32 v[112:113], v[90:91], v[114:115]
	v_fma_f64 v[112:113], v[90:91], v[112:113], 1.0
	v_fma_f64 v[90:91], v[90:91], v[112:113], 1.0
	v_cvt_i32_f64_e32 v88, v[88:89]
	v_ldexp_f64 v[88:89], v[90:91], v88
	v_cmp_nlt_f64_e32 vcc, s[46:47], v[86:87]
	v_cmp_ngt_f64_e64 s[26:27], s[48:49], v[86:87]
	v_cndmask_b32_e32 v89, v109, v89, vcc
	s_and_b64 vcc, s[26:27], vcc
	v_cndmask_b32_e64 v87, 0, v89, s[26:27]
	v_cndmask_b32_e32 v86, 0, v88, vcc
	v_add_f64 v[88:89], v[86:87], 1.0
	v_add_f64 v[90:91], v[88:89], -1.0
	v_add_f64 v[112:113], v[90:91], -v[88:89]
	v_add_f64 v[112:113], v[112:113], 1.0
	v_add_f64 v[90:91], v[86:87], -v[90:91]
	v_add_f64 v[90:91], v[90:91], v[112:113]
	v_frexp_mant_f64_e32 v[112:113], v[88:89]
	v_frexp_exp_i32_f64_e32 v114, v[88:89]
	v_cmp_gt_f64_e32 vcc, s[50:51], v[112:113]
	v_subbrev_co_u32_e32 v128, vcc, 0, v114, vcc
	v_sub_u32_e32 v112, 0, v128
	v_ldexp_f64 v[88:89], v[88:89], v112
	v_ldexp_f64 v[90:91], v[90:91], v112
	v_add_f64 v[112:113], v[88:89], -1.0
	v_add_f64 v[118:119], v[88:89], 1.0
	v_add_f64 v[114:115], v[112:113], 1.0
	v_add_f64 v[120:121], v[118:119], -1.0
	v_add_f64 v[114:115], v[88:89], -v[114:115]
	v_add_f64 v[88:89], v[88:89], -v[120:121]
	v_add_f64 v[88:89], v[90:91], v[88:89]
	v_add_f64 v[114:115], v[90:91], v[114:115]
	;; [unrolled: 1-line block ×3, first 2 shown]
	v_rcp_f64_e32 v[120:121], v[90:91]
	v_add_f64 v[116:117], v[112:113], v[114:115]
	v_add_f64 v[112:113], v[116:117], -v[112:113]
	v_add_f64 v[112:113], v[114:115], -v[112:113]
	;; [unrolled: 1-line block ×4, first 2 shown]
	v_fma_f64 v[114:115], -v[90:91], v[120:121], 1.0
	v_fmac_f64_e32 v[120:121], v[114:115], v[120:121]
	v_fma_f64 v[114:115], -v[90:91], v[120:121], 1.0
	v_fmac_f64_e32 v[120:121], v[114:115], v[120:121]
	v_mul_f64 v[114:115], v[116:117], v[120:121]
	v_mul_f64 v[118:119], v[90:91], v[114:115]
	v_fma_f64 v[122:123], v[114:115], v[90:91], -v[118:119]
	v_fmac_f64_e32 v[122:123], v[114:115], v[88:89]
	v_add_f64 v[124:125], v[118:119], v[122:123]
	v_add_f64 v[126:127], v[116:117], -v[124:125]
	v_add_f64 v[116:117], v[116:117], -v[126:127]
	;; [unrolled: 1-line block ×4, first 2 shown]
	v_add_f64 v[112:113], v[112:113], v[116:117]
	v_add_f64 v[116:117], v[118:119], -v[122:123]
	v_add_f64 v[112:113], v[116:117], v[112:113]
	v_add_f64 v[116:117], v[126:127], v[112:113]
	v_add_f64 v[118:119], v[126:127], -v[116:117]
	v_add_f64 v[112:113], v[112:113], v[118:119]
	v_mul_f64 v[118:119], v[120:121], v[116:117]
	v_mul_f64 v[122:123], v[90:91], v[118:119]
	v_fma_f64 v[90:91], v[118:119], v[90:91], -v[122:123]
	v_fmac_f64_e32 v[90:91], v[118:119], v[88:89]
	v_add_f64 v[88:89], v[122:123], v[90:91]
	v_add_f64 v[124:125], v[116:117], -v[88:89]
	v_add_f64 v[116:117], v[116:117], -v[124:125]
	;; [unrolled: 1-line block ×4, first 2 shown]
	v_add_f64 v[88:89], v[112:113], v[88:89]
	v_add_f64 v[90:91], v[122:123], -v[90:91]
	v_add_f64 v[88:89], v[90:91], v[88:89]
	v_add_f64 v[90:91], v[114:115], v[118:119]
	;; [unrolled: 1-line block ×3, first 2 shown]
	v_add_f64 v[112:113], v[90:91], -v[114:115]
	v_mul_f64 v[88:89], v[120:121], v[88:89]
	v_add_f64 v[112:113], v[118:119], -v[112:113]
	v_add_f64 v[88:89], v[112:113], v[88:89]
	v_add_f64 v[112:113], v[90:91], v[88:89]
	v_add_f64 v[90:91], v[112:113], -v[90:91]
	v_add_f64 v[88:89], v[88:89], -v[90:91]
	v_mul_f64 v[90:91], v[112:113], v[112:113]
	v_pk_mov_b32 v[114:115], v[74:75], v[74:75] op_sel:[0,1]
	v_fmac_f64_e32 v[114:115], s[52:53], v[90:91]
	v_pk_mov_b32 v[116:117], v[76:77], v[76:77] op_sel:[0,1]
	v_fmac_f64_e32 v[116:117], v[90:91], v[114:115]
	;; [unrolled: 2-line block ×6, first 2 shown]
	v_cvt_f64_i32_e32 v[114:115], v128
	s_mov_b32 s54, s40
	v_mul_f64 v[118:119], v[114:115], s[54:55]
	v_fma_f64 v[120:121], v[114:115], s[54:55], -v[118:119]
	s_mov_b32 s60, s42
	v_fmac_f64_e32 v[120:121], s[60:61], v[114:115]
	v_add_f64 v[114:115], v[118:119], v[120:121]
	v_add_f64 v[118:119], v[114:115], -v[118:119]
	v_mul_f64 v[90:91], v[112:113], v[90:91]
	v_add_f64 v[118:119], v[120:121], -v[118:119]
	v_ldexp_f64 v[120:121], v[112:113], 1
	v_mul_f64 v[90:91], v[90:91], v[116:117]
	v_add_f64 v[112:113], v[120:121], v[90:91]
	v_add_f64 v[116:117], v[112:113], -v[120:121]
	v_ldexp_f64 v[88:89], v[88:89], 1
	v_add_f64 v[90:91], v[90:91], -v[116:117]
	v_add_f64 v[88:89], v[88:89], v[90:91]
	v_add_f64 v[90:91], v[112:113], v[88:89]
	v_add_f64 v[112:113], v[90:91], -v[112:113]
	v_add_f64 v[88:89], v[88:89], -v[112:113]
	v_add_f64 v[112:113], v[114:115], v[90:91]
	v_add_f64 v[116:117], v[112:113], -v[114:115]
	v_add_f64 v[120:121], v[112:113], -v[116:117]
	;; [unrolled: 1-line block ×4, first 2 shown]
	v_add_f64 v[90:91], v[90:91], v[114:115]
	v_add_f64 v[114:115], v[118:119], v[88:89]
	v_add_f64 v[116:117], v[114:115], -v[118:119]
	v_add_f64 v[90:91], v[114:115], v[90:91]
	v_add_f64 v[120:121], v[114:115], -v[116:117]
	;; [unrolled: 2-line block ×3, first 2 shown]
	v_add_f64 v[88:89], v[88:89], -v[116:117]
	v_add_f64 v[112:113], v[114:115], -v[112:113]
	v_add_f64 v[88:89], v[88:89], v[118:119]
	v_add_f64 v[90:91], v[90:91], -v[112:113]
	v_add_f64 v[88:89], v[88:89], v[90:91]
	v_add_f64 v[88:89], v[114:115], v[88:89]
	v_cmp_eq_f64_e32 vcc, s[62:63], v[86:87]
	v_cndmask_b32_e32 v88, v88, v86, vcc
	v_cndmask_b32_e32 v89, v89, v87, vcc
	v_cmp_ngt_f64_e32 vcc, -1.0, v[86:87]
	v_cndmask_b32_e32 v89, v110, v89, vcc
	v_cmp_nge_f64_e32 vcc, -1.0, v[86:87]
	v_cndmask_b32_e32 v88, 0, v88, vcc
	v_cmp_neq_f64_e32 vcc, -1.0, v[86:87]
	v_cndmask_b32_e32 v89, v111, v89, vcc
	v_add_f64 v[88:89], v[26:27], v[88:89]
.LBB3_124:                              ;   in Loop: Header=BB3_112 Depth=1
	s_or_b64 exec, exec, s[66:67]
	v_mov_b32_e32 v26, v88
	v_mov_b32_e32 v27, v89
	v_pk_mov_b32 v[86:87], v[88:89], v[88:89] op_sel:[0,1]
.LBB3_125:                              ;   in Loop: Header=BB3_112 Depth=1
	s_or_b64 exec, exec, s[64:65]
	s_waitcnt lgkmcnt(1)
	ds_bpermute_b32 v88, v100, v26
	s_waitcnt lgkmcnt(1)
	ds_bpermute_b32 v89, v100, v27
	v_cmp_le_u32_e32 vcc, v101, v29
	s_and_saveexec_b64 s[64:65], vcc
	s_cbranch_execz .LBB3_129
; %bb.126:                              ;   in Loop: Header=BB3_112 Depth=1
	s_waitcnt lgkmcnt(0)
	v_max_f64 v[26:27], v[88:89], v[88:89]
	v_max_f64 v[112:113], v[86:87], v[86:87]
	v_min_f64 v[90:91], v[26:27], v[112:113]
	v_cmp_u_f64_e32 vcc, v[88:89], v[88:89]
	v_max_f64 v[26:27], v[26:27], v[112:113]
	v_cndmask_b32_e32 v90, v90, v88, vcc
	v_cndmask_b32_e32 v91, v91, v89, vcc
	v_cmp_u_f64_e64 s[26:27], v[86:87], v[86:87]
	v_cndmask_b32_e32 v26, v26, v88, vcc
	v_cndmask_b32_e32 v27, v27, v89, vcc
	v_cndmask_b32_e64 v91, v91, v87, s[26:27]
	v_cndmask_b32_e64 v90, v90, v86, s[26:27]
	;; [unrolled: 1-line block ×4, first 2 shown]
	v_cmp_neq_f64_e32 vcc, v[90:91], v[26:27]
	v_cmp_class_f64_e64 s[26:27], v[90:91], s7
	s_or_b64 s[26:27], vcc, s[26:27]
	s_and_saveexec_b64 s[66:67], s[26:27]
	s_cbranch_execz .LBB3_128
; %bb.127:                              ;   in Loop: Header=BB3_112 Depth=1
	v_add_f64 v[86:87], v[90:91], -v[26:27]
	v_mul_f64 v[88:89], v[86:87], s[38:39]
	v_rndne_f64_e32 v[88:89], v[88:89]
	v_fma_f64 v[90:91], s[40:41], v[88:89], v[86:87]
	v_fmac_f64_e32 v[90:91], s[42:43], v[88:89]
	v_pk_mov_b32 v[112:113], v[56:57], v[56:57] op_sel:[0,1]
	v_fmac_f64_e32 v[112:113], s[44:45], v[90:91]
	v_pk_mov_b32 v[114:115], v[58:59], v[58:59] op_sel:[0,1]
	;; [unrolled: 2-line block ×9, first 2 shown]
	v_fmac_f64_e32 v[112:113], v[90:91], v[114:115]
	v_fma_f64 v[112:113], v[90:91], v[112:113], 1.0
	v_fma_f64 v[90:91], v[90:91], v[112:113], 1.0
	v_cvt_i32_f64_e32 v88, v[88:89]
	v_ldexp_f64 v[88:89], v[90:91], v88
	v_cmp_nlt_f64_e32 vcc, s[46:47], v[86:87]
	v_cmp_ngt_f64_e64 s[26:27], s[48:49], v[86:87]
	v_cndmask_b32_e32 v89, v109, v89, vcc
	s_and_b64 vcc, s[26:27], vcc
	v_cndmask_b32_e64 v87, 0, v89, s[26:27]
	v_cndmask_b32_e32 v86, 0, v88, vcc
	v_add_f64 v[88:89], v[86:87], 1.0
	v_add_f64 v[90:91], v[88:89], -1.0
	v_add_f64 v[112:113], v[90:91], -v[88:89]
	v_add_f64 v[112:113], v[112:113], 1.0
	v_add_f64 v[90:91], v[86:87], -v[90:91]
	v_add_f64 v[90:91], v[90:91], v[112:113]
	v_frexp_mant_f64_e32 v[112:113], v[88:89]
	v_frexp_exp_i32_f64_e32 v114, v[88:89]
	v_cmp_gt_f64_e32 vcc, s[50:51], v[112:113]
	v_subbrev_co_u32_e32 v128, vcc, 0, v114, vcc
	v_sub_u32_e32 v112, 0, v128
	v_ldexp_f64 v[88:89], v[88:89], v112
	v_ldexp_f64 v[90:91], v[90:91], v112
	v_add_f64 v[112:113], v[88:89], -1.0
	v_add_f64 v[118:119], v[88:89], 1.0
	v_add_f64 v[114:115], v[112:113], 1.0
	v_add_f64 v[120:121], v[118:119], -1.0
	v_add_f64 v[114:115], v[88:89], -v[114:115]
	v_add_f64 v[88:89], v[88:89], -v[120:121]
	v_add_f64 v[88:89], v[90:91], v[88:89]
	v_add_f64 v[114:115], v[90:91], v[114:115]
	;; [unrolled: 1-line block ×3, first 2 shown]
	v_rcp_f64_e32 v[120:121], v[90:91]
	v_add_f64 v[116:117], v[112:113], v[114:115]
	v_add_f64 v[112:113], v[116:117], -v[112:113]
	v_add_f64 v[112:113], v[114:115], -v[112:113]
	;; [unrolled: 1-line block ×4, first 2 shown]
	v_fma_f64 v[114:115], -v[90:91], v[120:121], 1.0
	v_fmac_f64_e32 v[120:121], v[114:115], v[120:121]
	v_fma_f64 v[114:115], -v[90:91], v[120:121], 1.0
	v_fmac_f64_e32 v[120:121], v[114:115], v[120:121]
	v_mul_f64 v[114:115], v[116:117], v[120:121]
	v_mul_f64 v[118:119], v[90:91], v[114:115]
	v_fma_f64 v[122:123], v[114:115], v[90:91], -v[118:119]
	v_fmac_f64_e32 v[122:123], v[114:115], v[88:89]
	v_add_f64 v[124:125], v[118:119], v[122:123]
	v_add_f64 v[126:127], v[116:117], -v[124:125]
	v_add_f64 v[116:117], v[116:117], -v[126:127]
	;; [unrolled: 1-line block ×4, first 2 shown]
	v_add_f64 v[112:113], v[112:113], v[116:117]
	v_add_f64 v[116:117], v[118:119], -v[122:123]
	v_add_f64 v[112:113], v[116:117], v[112:113]
	v_add_f64 v[116:117], v[126:127], v[112:113]
	v_add_f64 v[118:119], v[126:127], -v[116:117]
	v_add_f64 v[112:113], v[112:113], v[118:119]
	v_mul_f64 v[118:119], v[120:121], v[116:117]
	v_mul_f64 v[122:123], v[90:91], v[118:119]
	v_fma_f64 v[90:91], v[118:119], v[90:91], -v[122:123]
	v_fmac_f64_e32 v[90:91], v[118:119], v[88:89]
	v_add_f64 v[88:89], v[122:123], v[90:91]
	v_add_f64 v[124:125], v[116:117], -v[88:89]
	v_add_f64 v[116:117], v[116:117], -v[124:125]
	;; [unrolled: 1-line block ×4, first 2 shown]
	v_add_f64 v[88:89], v[112:113], v[88:89]
	v_add_f64 v[90:91], v[122:123], -v[90:91]
	v_add_f64 v[88:89], v[90:91], v[88:89]
	v_add_f64 v[90:91], v[114:115], v[118:119]
	;; [unrolled: 1-line block ×3, first 2 shown]
	v_add_f64 v[112:113], v[90:91], -v[114:115]
	v_mul_f64 v[88:89], v[120:121], v[88:89]
	v_add_f64 v[112:113], v[118:119], -v[112:113]
	v_add_f64 v[88:89], v[112:113], v[88:89]
	v_add_f64 v[112:113], v[90:91], v[88:89]
	v_add_f64 v[90:91], v[112:113], -v[90:91]
	v_add_f64 v[88:89], v[88:89], -v[90:91]
	v_mul_f64 v[90:91], v[112:113], v[112:113]
	v_pk_mov_b32 v[114:115], v[74:75], v[74:75] op_sel:[0,1]
	v_fmac_f64_e32 v[114:115], s[52:53], v[90:91]
	v_pk_mov_b32 v[116:117], v[76:77], v[76:77] op_sel:[0,1]
	v_fmac_f64_e32 v[116:117], v[90:91], v[114:115]
	;; [unrolled: 2-line block ×6, first 2 shown]
	v_cvt_f64_i32_e32 v[114:115], v128
	s_mov_b32 s54, s40
	v_mul_f64 v[118:119], v[114:115], s[54:55]
	v_fma_f64 v[120:121], v[114:115], s[54:55], -v[118:119]
	s_mov_b32 s60, s42
	v_fmac_f64_e32 v[120:121], s[60:61], v[114:115]
	v_add_f64 v[114:115], v[118:119], v[120:121]
	v_add_f64 v[118:119], v[114:115], -v[118:119]
	v_mul_f64 v[90:91], v[112:113], v[90:91]
	v_add_f64 v[118:119], v[120:121], -v[118:119]
	v_ldexp_f64 v[120:121], v[112:113], 1
	v_mul_f64 v[90:91], v[90:91], v[116:117]
	v_add_f64 v[112:113], v[120:121], v[90:91]
	v_add_f64 v[116:117], v[112:113], -v[120:121]
	v_ldexp_f64 v[88:89], v[88:89], 1
	v_add_f64 v[90:91], v[90:91], -v[116:117]
	v_add_f64 v[88:89], v[88:89], v[90:91]
	v_add_f64 v[90:91], v[112:113], v[88:89]
	v_add_f64 v[112:113], v[90:91], -v[112:113]
	v_add_f64 v[88:89], v[88:89], -v[112:113]
	v_add_f64 v[112:113], v[114:115], v[90:91]
	v_add_f64 v[116:117], v[112:113], -v[114:115]
	v_add_f64 v[120:121], v[112:113], -v[116:117]
	;; [unrolled: 1-line block ×4, first 2 shown]
	v_add_f64 v[90:91], v[90:91], v[114:115]
	v_add_f64 v[114:115], v[118:119], v[88:89]
	v_add_f64 v[116:117], v[114:115], -v[118:119]
	v_add_f64 v[90:91], v[114:115], v[90:91]
	v_add_f64 v[120:121], v[114:115], -v[116:117]
	;; [unrolled: 2-line block ×3, first 2 shown]
	v_add_f64 v[88:89], v[88:89], -v[116:117]
	v_add_f64 v[112:113], v[114:115], -v[112:113]
	v_add_f64 v[88:89], v[88:89], v[118:119]
	v_add_f64 v[90:91], v[90:91], -v[112:113]
	v_add_f64 v[88:89], v[88:89], v[90:91]
	v_add_f64 v[88:89], v[114:115], v[88:89]
	v_cmp_eq_f64_e32 vcc, s[62:63], v[86:87]
	v_cndmask_b32_e32 v88, v88, v86, vcc
	v_cndmask_b32_e32 v89, v89, v87, vcc
	v_cmp_ngt_f64_e32 vcc, -1.0, v[86:87]
	v_cndmask_b32_e32 v89, v110, v89, vcc
	v_cmp_nge_f64_e32 vcc, -1.0, v[86:87]
	v_cndmask_b32_e32 v88, 0, v88, vcc
	v_cmp_neq_f64_e32 vcc, -1.0, v[86:87]
	v_cndmask_b32_e32 v89, v111, v89, vcc
	v_add_f64 v[88:89], v[26:27], v[88:89]
.LBB3_128:                              ;   in Loop: Header=BB3_112 Depth=1
	s_or_b64 exec, exec, s[66:67]
	v_mov_b32_e32 v26, v88
	v_mov_b32_e32 v27, v89
	v_pk_mov_b32 v[86:87], v[88:89], v[88:89] op_sel:[0,1]
.LBB3_129:                              ;   in Loop: Header=BB3_112 Depth=1
	s_or_b64 exec, exec, s[64:65]
	s_waitcnt lgkmcnt(1)
	ds_bpermute_b32 v88, v102, v26
	s_waitcnt lgkmcnt(1)
	ds_bpermute_b32 v89, v102, v27
	v_cmp_le_u32_e32 vcc, v103, v29
	s_and_saveexec_b64 s[64:65], vcc
	s_cbranch_execz .LBB3_133
; %bb.130:                              ;   in Loop: Header=BB3_112 Depth=1
	s_waitcnt lgkmcnt(0)
	v_max_f64 v[26:27], v[88:89], v[88:89]
	v_max_f64 v[112:113], v[86:87], v[86:87]
	v_min_f64 v[90:91], v[26:27], v[112:113]
	v_cmp_u_f64_e32 vcc, v[88:89], v[88:89]
	v_max_f64 v[26:27], v[26:27], v[112:113]
	v_cndmask_b32_e32 v90, v90, v88, vcc
	v_cndmask_b32_e32 v91, v91, v89, vcc
	v_cmp_u_f64_e64 s[26:27], v[86:87], v[86:87]
	v_cndmask_b32_e32 v26, v26, v88, vcc
	v_cndmask_b32_e32 v27, v27, v89, vcc
	v_cndmask_b32_e64 v91, v91, v87, s[26:27]
	v_cndmask_b32_e64 v90, v90, v86, s[26:27]
	;; [unrolled: 1-line block ×4, first 2 shown]
	v_cmp_neq_f64_e32 vcc, v[90:91], v[26:27]
	v_cmp_class_f64_e64 s[26:27], v[90:91], s7
	s_or_b64 s[26:27], vcc, s[26:27]
	s_and_saveexec_b64 s[66:67], s[26:27]
	s_cbranch_execz .LBB3_132
; %bb.131:                              ;   in Loop: Header=BB3_112 Depth=1
	v_add_f64 v[86:87], v[90:91], -v[26:27]
	v_mul_f64 v[88:89], v[86:87], s[38:39]
	v_rndne_f64_e32 v[88:89], v[88:89]
	v_fma_f64 v[90:91], s[40:41], v[88:89], v[86:87]
	v_fmac_f64_e32 v[90:91], s[42:43], v[88:89]
	v_pk_mov_b32 v[112:113], v[56:57], v[56:57] op_sel:[0,1]
	v_fmac_f64_e32 v[112:113], s[44:45], v[90:91]
	v_pk_mov_b32 v[114:115], v[58:59], v[58:59] op_sel:[0,1]
	v_fmac_f64_e32 v[114:115], v[90:91], v[112:113]
	v_pk_mov_b32 v[112:113], v[60:61], v[60:61] op_sel:[0,1]
	v_fmac_f64_e32 v[112:113], v[90:91], v[114:115]
	v_pk_mov_b32 v[114:115], v[62:63], v[62:63] op_sel:[0,1]
	v_fmac_f64_e32 v[114:115], v[90:91], v[112:113]
	v_pk_mov_b32 v[112:113], v[64:65], v[64:65] op_sel:[0,1]
	v_fmac_f64_e32 v[112:113], v[90:91], v[114:115]
	v_pk_mov_b32 v[114:115], v[66:67], v[66:67] op_sel:[0,1]
	v_fmac_f64_e32 v[114:115], v[90:91], v[112:113]
	v_pk_mov_b32 v[112:113], v[68:69], v[68:69] op_sel:[0,1]
	v_fmac_f64_e32 v[112:113], v[90:91], v[114:115]
	v_pk_mov_b32 v[114:115], v[70:71], v[70:71] op_sel:[0,1]
	v_fmac_f64_e32 v[114:115], v[90:91], v[112:113]
	v_pk_mov_b32 v[112:113], v[72:73], v[72:73] op_sel:[0,1]
	v_fmac_f64_e32 v[112:113], v[90:91], v[114:115]
	v_fma_f64 v[112:113], v[90:91], v[112:113], 1.0
	v_fma_f64 v[90:91], v[90:91], v[112:113], 1.0
	v_cvt_i32_f64_e32 v88, v[88:89]
	v_ldexp_f64 v[88:89], v[90:91], v88
	v_cmp_nlt_f64_e32 vcc, s[46:47], v[86:87]
	v_cmp_ngt_f64_e64 s[26:27], s[48:49], v[86:87]
	v_cndmask_b32_e32 v89, v109, v89, vcc
	s_and_b64 vcc, s[26:27], vcc
	v_cndmask_b32_e64 v87, 0, v89, s[26:27]
	v_cndmask_b32_e32 v86, 0, v88, vcc
	v_add_f64 v[88:89], v[86:87], 1.0
	v_add_f64 v[90:91], v[88:89], -1.0
	v_add_f64 v[112:113], v[90:91], -v[88:89]
	v_add_f64 v[112:113], v[112:113], 1.0
	v_add_f64 v[90:91], v[86:87], -v[90:91]
	v_add_f64 v[90:91], v[90:91], v[112:113]
	v_frexp_mant_f64_e32 v[112:113], v[88:89]
	v_frexp_exp_i32_f64_e32 v114, v[88:89]
	v_cmp_gt_f64_e32 vcc, s[50:51], v[112:113]
	v_subbrev_co_u32_e32 v128, vcc, 0, v114, vcc
	v_sub_u32_e32 v112, 0, v128
	v_ldexp_f64 v[88:89], v[88:89], v112
	v_ldexp_f64 v[90:91], v[90:91], v112
	v_add_f64 v[112:113], v[88:89], -1.0
	v_add_f64 v[118:119], v[88:89], 1.0
	v_add_f64 v[114:115], v[112:113], 1.0
	v_add_f64 v[120:121], v[118:119], -1.0
	v_add_f64 v[114:115], v[88:89], -v[114:115]
	v_add_f64 v[88:89], v[88:89], -v[120:121]
	v_add_f64 v[88:89], v[90:91], v[88:89]
	v_add_f64 v[114:115], v[90:91], v[114:115]
	;; [unrolled: 1-line block ×3, first 2 shown]
	v_rcp_f64_e32 v[120:121], v[90:91]
	v_add_f64 v[116:117], v[112:113], v[114:115]
	v_add_f64 v[112:113], v[116:117], -v[112:113]
	v_add_f64 v[112:113], v[114:115], -v[112:113]
	;; [unrolled: 1-line block ×4, first 2 shown]
	v_fma_f64 v[114:115], -v[90:91], v[120:121], 1.0
	v_fmac_f64_e32 v[120:121], v[114:115], v[120:121]
	v_fma_f64 v[114:115], -v[90:91], v[120:121], 1.0
	v_fmac_f64_e32 v[120:121], v[114:115], v[120:121]
	v_mul_f64 v[114:115], v[116:117], v[120:121]
	v_mul_f64 v[118:119], v[90:91], v[114:115]
	v_fma_f64 v[122:123], v[114:115], v[90:91], -v[118:119]
	v_fmac_f64_e32 v[122:123], v[114:115], v[88:89]
	v_add_f64 v[124:125], v[118:119], v[122:123]
	v_add_f64 v[126:127], v[116:117], -v[124:125]
	v_add_f64 v[116:117], v[116:117], -v[126:127]
	;; [unrolled: 1-line block ×4, first 2 shown]
	v_add_f64 v[112:113], v[112:113], v[116:117]
	v_add_f64 v[116:117], v[118:119], -v[122:123]
	v_add_f64 v[112:113], v[116:117], v[112:113]
	v_add_f64 v[116:117], v[126:127], v[112:113]
	v_add_f64 v[118:119], v[126:127], -v[116:117]
	v_add_f64 v[112:113], v[112:113], v[118:119]
	v_mul_f64 v[118:119], v[120:121], v[116:117]
	v_mul_f64 v[122:123], v[90:91], v[118:119]
	v_fma_f64 v[90:91], v[118:119], v[90:91], -v[122:123]
	v_fmac_f64_e32 v[90:91], v[118:119], v[88:89]
	v_add_f64 v[88:89], v[122:123], v[90:91]
	v_add_f64 v[124:125], v[116:117], -v[88:89]
	v_add_f64 v[116:117], v[116:117], -v[124:125]
	;; [unrolled: 1-line block ×4, first 2 shown]
	v_add_f64 v[88:89], v[112:113], v[88:89]
	v_add_f64 v[90:91], v[122:123], -v[90:91]
	v_add_f64 v[88:89], v[90:91], v[88:89]
	v_add_f64 v[90:91], v[114:115], v[118:119]
	v_add_f64 v[88:89], v[124:125], v[88:89]
	v_add_f64 v[112:113], v[90:91], -v[114:115]
	v_mul_f64 v[88:89], v[120:121], v[88:89]
	v_add_f64 v[112:113], v[118:119], -v[112:113]
	v_add_f64 v[88:89], v[112:113], v[88:89]
	v_add_f64 v[112:113], v[90:91], v[88:89]
	v_add_f64 v[90:91], v[112:113], -v[90:91]
	v_add_f64 v[88:89], v[88:89], -v[90:91]
	v_mul_f64 v[90:91], v[112:113], v[112:113]
	v_pk_mov_b32 v[114:115], v[74:75], v[74:75] op_sel:[0,1]
	v_fmac_f64_e32 v[114:115], s[52:53], v[90:91]
	v_pk_mov_b32 v[116:117], v[76:77], v[76:77] op_sel:[0,1]
	v_fmac_f64_e32 v[116:117], v[90:91], v[114:115]
	;; [unrolled: 2-line block ×6, first 2 shown]
	v_cvt_f64_i32_e32 v[114:115], v128
	s_mov_b32 s54, s40
	v_mul_f64 v[118:119], v[114:115], s[54:55]
	v_fma_f64 v[120:121], v[114:115], s[54:55], -v[118:119]
	s_mov_b32 s60, s42
	v_fmac_f64_e32 v[120:121], s[60:61], v[114:115]
	v_add_f64 v[114:115], v[118:119], v[120:121]
	v_add_f64 v[118:119], v[114:115], -v[118:119]
	v_mul_f64 v[90:91], v[112:113], v[90:91]
	v_add_f64 v[118:119], v[120:121], -v[118:119]
	v_ldexp_f64 v[120:121], v[112:113], 1
	v_mul_f64 v[90:91], v[90:91], v[116:117]
	v_add_f64 v[112:113], v[120:121], v[90:91]
	v_add_f64 v[116:117], v[112:113], -v[120:121]
	v_ldexp_f64 v[88:89], v[88:89], 1
	v_add_f64 v[90:91], v[90:91], -v[116:117]
	v_add_f64 v[88:89], v[88:89], v[90:91]
	v_add_f64 v[90:91], v[112:113], v[88:89]
	v_add_f64 v[112:113], v[90:91], -v[112:113]
	v_add_f64 v[88:89], v[88:89], -v[112:113]
	v_add_f64 v[112:113], v[114:115], v[90:91]
	v_add_f64 v[116:117], v[112:113], -v[114:115]
	v_add_f64 v[120:121], v[112:113], -v[116:117]
	;; [unrolled: 1-line block ×4, first 2 shown]
	v_add_f64 v[90:91], v[90:91], v[114:115]
	v_add_f64 v[114:115], v[118:119], v[88:89]
	v_add_f64 v[116:117], v[114:115], -v[118:119]
	v_add_f64 v[90:91], v[114:115], v[90:91]
	v_add_f64 v[120:121], v[114:115], -v[116:117]
	;; [unrolled: 2-line block ×3, first 2 shown]
	v_add_f64 v[88:89], v[88:89], -v[116:117]
	v_add_f64 v[112:113], v[114:115], -v[112:113]
	v_add_f64 v[88:89], v[88:89], v[118:119]
	v_add_f64 v[90:91], v[90:91], -v[112:113]
	v_add_f64 v[88:89], v[88:89], v[90:91]
	v_add_f64 v[88:89], v[114:115], v[88:89]
	v_cmp_eq_f64_e32 vcc, s[62:63], v[86:87]
	v_cndmask_b32_e32 v88, v88, v86, vcc
	v_cndmask_b32_e32 v89, v89, v87, vcc
	v_cmp_ngt_f64_e32 vcc, -1.0, v[86:87]
	v_cndmask_b32_e32 v89, v110, v89, vcc
	v_cmp_nge_f64_e32 vcc, -1.0, v[86:87]
	v_cndmask_b32_e32 v88, 0, v88, vcc
	v_cmp_neq_f64_e32 vcc, -1.0, v[86:87]
	v_cndmask_b32_e32 v89, v111, v89, vcc
	v_add_f64 v[88:89], v[26:27], v[88:89]
.LBB3_132:                              ;   in Loop: Header=BB3_112 Depth=1
	s_or_b64 exec, exec, s[66:67]
	v_mov_b32_e32 v26, v88
	v_mov_b32_e32 v27, v89
	v_pk_mov_b32 v[86:87], v[88:89], v[88:89] op_sel:[0,1]
.LBB3_133:                              ;   in Loop: Header=BB3_112 Depth=1
	s_or_b64 exec, exec, s[64:65]
	s_waitcnt lgkmcnt(1)
	ds_bpermute_b32 v88, v104, v26
	s_waitcnt lgkmcnt(1)
	ds_bpermute_b32 v89, v104, v27
	v_cmp_le_u32_e32 vcc, v105, v29
	s_and_saveexec_b64 s[64:65], vcc
	s_cbranch_execz .LBB3_137
; %bb.134:                              ;   in Loop: Header=BB3_112 Depth=1
	s_waitcnt lgkmcnt(0)
	v_max_f64 v[26:27], v[88:89], v[88:89]
	v_max_f64 v[112:113], v[86:87], v[86:87]
	v_min_f64 v[90:91], v[26:27], v[112:113]
	v_cmp_u_f64_e32 vcc, v[88:89], v[88:89]
	v_max_f64 v[26:27], v[26:27], v[112:113]
	v_cndmask_b32_e32 v90, v90, v88, vcc
	v_cndmask_b32_e32 v91, v91, v89, vcc
	v_cmp_u_f64_e64 s[26:27], v[86:87], v[86:87]
	v_cndmask_b32_e32 v26, v26, v88, vcc
	v_cndmask_b32_e32 v27, v27, v89, vcc
	v_cndmask_b32_e64 v91, v91, v87, s[26:27]
	v_cndmask_b32_e64 v90, v90, v86, s[26:27]
	;; [unrolled: 1-line block ×4, first 2 shown]
	v_cmp_neq_f64_e32 vcc, v[90:91], v[26:27]
	v_cmp_class_f64_e64 s[26:27], v[90:91], s7
	s_or_b64 s[26:27], vcc, s[26:27]
	s_and_saveexec_b64 s[66:67], s[26:27]
	s_cbranch_execz .LBB3_136
; %bb.135:                              ;   in Loop: Header=BB3_112 Depth=1
	v_add_f64 v[86:87], v[90:91], -v[26:27]
	v_mul_f64 v[88:89], v[86:87], s[38:39]
	v_rndne_f64_e32 v[88:89], v[88:89]
	v_fma_f64 v[90:91], s[40:41], v[88:89], v[86:87]
	v_fmac_f64_e32 v[90:91], s[42:43], v[88:89]
	v_pk_mov_b32 v[112:113], v[56:57], v[56:57] op_sel:[0,1]
	v_fmac_f64_e32 v[112:113], s[44:45], v[90:91]
	v_pk_mov_b32 v[114:115], v[58:59], v[58:59] op_sel:[0,1]
	;; [unrolled: 2-line block ×9, first 2 shown]
	v_fmac_f64_e32 v[112:113], v[90:91], v[114:115]
	v_fma_f64 v[112:113], v[90:91], v[112:113], 1.0
	v_fma_f64 v[90:91], v[90:91], v[112:113], 1.0
	v_cvt_i32_f64_e32 v88, v[88:89]
	v_ldexp_f64 v[88:89], v[90:91], v88
	v_cmp_nlt_f64_e32 vcc, s[46:47], v[86:87]
	v_cmp_ngt_f64_e64 s[26:27], s[48:49], v[86:87]
	v_cndmask_b32_e32 v89, v109, v89, vcc
	s_and_b64 vcc, s[26:27], vcc
	v_cndmask_b32_e64 v87, 0, v89, s[26:27]
	v_cndmask_b32_e32 v86, 0, v88, vcc
	v_add_f64 v[88:89], v[86:87], 1.0
	v_add_f64 v[90:91], v[88:89], -1.0
	v_add_f64 v[112:113], v[90:91], -v[88:89]
	v_add_f64 v[112:113], v[112:113], 1.0
	v_add_f64 v[90:91], v[86:87], -v[90:91]
	v_add_f64 v[90:91], v[90:91], v[112:113]
	v_frexp_mant_f64_e32 v[112:113], v[88:89]
	v_frexp_exp_i32_f64_e32 v114, v[88:89]
	v_cmp_gt_f64_e32 vcc, s[50:51], v[112:113]
	v_subbrev_co_u32_e32 v128, vcc, 0, v114, vcc
	v_sub_u32_e32 v112, 0, v128
	v_ldexp_f64 v[88:89], v[88:89], v112
	v_ldexp_f64 v[90:91], v[90:91], v112
	v_add_f64 v[112:113], v[88:89], -1.0
	v_add_f64 v[118:119], v[88:89], 1.0
	v_add_f64 v[114:115], v[112:113], 1.0
	v_add_f64 v[120:121], v[118:119], -1.0
	v_add_f64 v[114:115], v[88:89], -v[114:115]
	v_add_f64 v[88:89], v[88:89], -v[120:121]
	v_add_f64 v[88:89], v[90:91], v[88:89]
	v_add_f64 v[114:115], v[90:91], v[114:115]
	;; [unrolled: 1-line block ×3, first 2 shown]
	v_rcp_f64_e32 v[120:121], v[90:91]
	v_add_f64 v[116:117], v[112:113], v[114:115]
	v_add_f64 v[112:113], v[116:117], -v[112:113]
	v_add_f64 v[112:113], v[114:115], -v[112:113]
	;; [unrolled: 1-line block ×4, first 2 shown]
	v_fma_f64 v[114:115], -v[90:91], v[120:121], 1.0
	v_fmac_f64_e32 v[120:121], v[114:115], v[120:121]
	v_fma_f64 v[114:115], -v[90:91], v[120:121], 1.0
	v_fmac_f64_e32 v[120:121], v[114:115], v[120:121]
	v_mul_f64 v[114:115], v[116:117], v[120:121]
	v_mul_f64 v[118:119], v[90:91], v[114:115]
	v_fma_f64 v[122:123], v[114:115], v[90:91], -v[118:119]
	v_fmac_f64_e32 v[122:123], v[114:115], v[88:89]
	v_add_f64 v[124:125], v[118:119], v[122:123]
	v_add_f64 v[126:127], v[116:117], -v[124:125]
	v_add_f64 v[116:117], v[116:117], -v[126:127]
	v_add_f64 v[118:119], v[124:125], -v[118:119]
	v_add_f64 v[116:117], v[116:117], -v[124:125]
	v_add_f64 v[112:113], v[112:113], v[116:117]
	v_add_f64 v[116:117], v[118:119], -v[122:123]
	v_add_f64 v[112:113], v[116:117], v[112:113]
	v_add_f64 v[116:117], v[126:127], v[112:113]
	v_add_f64 v[118:119], v[126:127], -v[116:117]
	v_add_f64 v[112:113], v[112:113], v[118:119]
	v_mul_f64 v[118:119], v[120:121], v[116:117]
	v_mul_f64 v[122:123], v[90:91], v[118:119]
	v_fma_f64 v[90:91], v[118:119], v[90:91], -v[122:123]
	v_fmac_f64_e32 v[90:91], v[118:119], v[88:89]
	v_add_f64 v[88:89], v[122:123], v[90:91]
	v_add_f64 v[124:125], v[116:117], -v[88:89]
	v_add_f64 v[116:117], v[116:117], -v[124:125]
	;; [unrolled: 1-line block ×4, first 2 shown]
	v_add_f64 v[88:89], v[112:113], v[88:89]
	v_add_f64 v[90:91], v[122:123], -v[90:91]
	v_add_f64 v[88:89], v[90:91], v[88:89]
	v_add_f64 v[90:91], v[114:115], v[118:119]
	;; [unrolled: 1-line block ×3, first 2 shown]
	v_add_f64 v[112:113], v[90:91], -v[114:115]
	v_mul_f64 v[88:89], v[120:121], v[88:89]
	v_add_f64 v[112:113], v[118:119], -v[112:113]
	v_add_f64 v[88:89], v[112:113], v[88:89]
	v_add_f64 v[112:113], v[90:91], v[88:89]
	v_add_f64 v[90:91], v[112:113], -v[90:91]
	v_add_f64 v[88:89], v[88:89], -v[90:91]
	v_mul_f64 v[90:91], v[112:113], v[112:113]
	v_pk_mov_b32 v[114:115], v[74:75], v[74:75] op_sel:[0,1]
	v_fmac_f64_e32 v[114:115], s[52:53], v[90:91]
	v_pk_mov_b32 v[116:117], v[76:77], v[76:77] op_sel:[0,1]
	v_fmac_f64_e32 v[116:117], v[90:91], v[114:115]
	;; [unrolled: 2-line block ×6, first 2 shown]
	v_cvt_f64_i32_e32 v[114:115], v128
	s_mov_b32 s54, s40
	v_mul_f64 v[118:119], v[114:115], s[54:55]
	v_fma_f64 v[120:121], v[114:115], s[54:55], -v[118:119]
	s_mov_b32 s60, s42
	v_fmac_f64_e32 v[120:121], s[60:61], v[114:115]
	v_add_f64 v[114:115], v[118:119], v[120:121]
	v_add_f64 v[118:119], v[114:115], -v[118:119]
	v_mul_f64 v[90:91], v[112:113], v[90:91]
	v_add_f64 v[118:119], v[120:121], -v[118:119]
	v_ldexp_f64 v[120:121], v[112:113], 1
	v_mul_f64 v[90:91], v[90:91], v[116:117]
	v_add_f64 v[112:113], v[120:121], v[90:91]
	v_add_f64 v[116:117], v[112:113], -v[120:121]
	v_ldexp_f64 v[88:89], v[88:89], 1
	v_add_f64 v[90:91], v[90:91], -v[116:117]
	v_add_f64 v[88:89], v[88:89], v[90:91]
	v_add_f64 v[90:91], v[112:113], v[88:89]
	v_add_f64 v[112:113], v[90:91], -v[112:113]
	v_add_f64 v[88:89], v[88:89], -v[112:113]
	v_add_f64 v[112:113], v[114:115], v[90:91]
	v_add_f64 v[116:117], v[112:113], -v[114:115]
	v_add_f64 v[120:121], v[112:113], -v[116:117]
	;; [unrolled: 1-line block ×4, first 2 shown]
	v_add_f64 v[90:91], v[90:91], v[114:115]
	v_add_f64 v[114:115], v[118:119], v[88:89]
	v_add_f64 v[116:117], v[114:115], -v[118:119]
	v_add_f64 v[90:91], v[114:115], v[90:91]
	v_add_f64 v[120:121], v[114:115], -v[116:117]
	v_add_f64 v[114:115], v[112:113], v[90:91]
	v_add_f64 v[118:119], v[118:119], -v[120:121]
	v_add_f64 v[88:89], v[88:89], -v[116:117]
	v_add_f64 v[112:113], v[114:115], -v[112:113]
	v_add_f64 v[88:89], v[88:89], v[118:119]
	v_add_f64 v[90:91], v[90:91], -v[112:113]
	v_add_f64 v[88:89], v[88:89], v[90:91]
	v_add_f64 v[88:89], v[114:115], v[88:89]
	v_cmp_eq_f64_e32 vcc, s[62:63], v[86:87]
	v_cndmask_b32_e32 v88, v88, v86, vcc
	v_cndmask_b32_e32 v89, v89, v87, vcc
	v_cmp_ngt_f64_e32 vcc, -1.0, v[86:87]
	v_cndmask_b32_e32 v89, v110, v89, vcc
	v_cmp_nge_f64_e32 vcc, -1.0, v[86:87]
	v_cndmask_b32_e32 v88, 0, v88, vcc
	v_cmp_neq_f64_e32 vcc, -1.0, v[86:87]
	v_cndmask_b32_e32 v89, v111, v89, vcc
	v_add_f64 v[88:89], v[26:27], v[88:89]
.LBB3_136:                              ;   in Loop: Header=BB3_112 Depth=1
	s_or_b64 exec, exec, s[66:67]
	v_mov_b32_e32 v26, v88
	v_mov_b32_e32 v27, v89
	v_pk_mov_b32 v[86:87], v[88:89], v[88:89] op_sel:[0,1]
.LBB3_137:                              ;   in Loop: Header=BB3_112 Depth=1
	s_or_b64 exec, exec, s[64:65]
	s_waitcnt lgkmcnt(1)
	ds_bpermute_b32 v88, v106, v26
	s_waitcnt lgkmcnt(1)
	ds_bpermute_b32 v89, v106, v27
	v_cmp_le_u32_e32 vcc, v107, v29
	s_and_saveexec_b64 s[64:65], vcc
	s_cbranch_execz .LBB3_141
; %bb.138:                              ;   in Loop: Header=BB3_112 Depth=1
	s_waitcnt lgkmcnt(0)
	v_max_f64 v[26:27], v[88:89], v[88:89]
	v_max_f64 v[112:113], v[86:87], v[86:87]
	v_min_f64 v[90:91], v[26:27], v[112:113]
	v_cmp_u_f64_e32 vcc, v[88:89], v[88:89]
	v_max_f64 v[26:27], v[26:27], v[112:113]
	v_cndmask_b32_e32 v29, v90, v88, vcc
	v_cndmask_b32_e32 v90, v91, v89, vcc
	v_cmp_u_f64_e64 s[26:27], v[86:87], v[86:87]
	v_cndmask_b32_e32 v26, v26, v88, vcc
	v_cndmask_b32_e32 v27, v27, v89, vcc
	v_cndmask_b32_e64 v91, v90, v87, s[26:27]
	v_cndmask_b32_e64 v90, v29, v86, s[26:27]
	;; [unrolled: 1-line block ×4, first 2 shown]
	v_cmp_neq_f64_e32 vcc, v[90:91], v[26:27]
	v_cmp_class_f64_e64 s[26:27], v[90:91], s7
	s_or_b64 s[26:27], vcc, s[26:27]
	s_and_saveexec_b64 s[66:67], s[26:27]
	s_cbranch_execz .LBB3_140
; %bb.139:                              ;   in Loop: Header=BB3_112 Depth=1
	v_add_f64 v[86:87], v[90:91], -v[26:27]
	v_mul_f64 v[88:89], v[86:87], s[38:39]
	v_rndne_f64_e32 v[88:89], v[88:89]
	v_fma_f64 v[90:91], s[40:41], v[88:89], v[86:87]
	v_fmac_f64_e32 v[90:91], s[42:43], v[88:89]
	v_pk_mov_b32 v[112:113], v[56:57], v[56:57] op_sel:[0,1]
	v_fmac_f64_e32 v[112:113], s[44:45], v[90:91]
	v_pk_mov_b32 v[114:115], v[58:59], v[58:59] op_sel:[0,1]
	;; [unrolled: 2-line block ×9, first 2 shown]
	v_fmac_f64_e32 v[112:113], v[90:91], v[114:115]
	v_fma_f64 v[112:113], v[90:91], v[112:113], 1.0
	v_fma_f64 v[90:91], v[90:91], v[112:113], 1.0
	v_cvt_i32_f64_e32 v29, v[88:89]
	v_ldexp_f64 v[88:89], v[90:91], v29
	v_cmp_nlt_f64_e32 vcc, s[46:47], v[86:87]
	v_cmp_ngt_f64_e64 s[26:27], s[48:49], v[86:87]
	v_cndmask_b32_e32 v29, v109, v89, vcc
	s_and_b64 vcc, s[26:27], vcc
	v_cndmask_b32_e64 v87, 0, v29, s[26:27]
	v_cndmask_b32_e32 v86, 0, v88, vcc
	v_add_f64 v[88:89], v[86:87], 1.0
	v_add_f64 v[90:91], v[88:89], -1.0
	v_add_f64 v[112:113], v[90:91], -v[88:89]
	v_add_f64 v[112:113], v[112:113], 1.0
	v_add_f64 v[90:91], v[86:87], -v[90:91]
	v_add_f64 v[90:91], v[90:91], v[112:113]
	v_frexp_mant_f64_e32 v[112:113], v[88:89]
	v_frexp_exp_i32_f64_e32 v29, v[88:89]
	v_cmp_gt_f64_e32 vcc, s[50:51], v[112:113]
	v_subbrev_co_u32_e32 v29, vcc, 0, v29, vcc
	v_sub_u32_e32 v112, 0, v29
	v_ldexp_f64 v[88:89], v[88:89], v112
	v_ldexp_f64 v[90:91], v[90:91], v112
	v_add_f64 v[112:113], v[88:89], -1.0
	v_add_f64 v[118:119], v[88:89], 1.0
	v_add_f64 v[114:115], v[112:113], 1.0
	v_add_f64 v[120:121], v[118:119], -1.0
	v_add_f64 v[114:115], v[88:89], -v[114:115]
	v_add_f64 v[88:89], v[88:89], -v[120:121]
	v_add_f64 v[88:89], v[90:91], v[88:89]
	v_add_f64 v[114:115], v[90:91], v[114:115]
	;; [unrolled: 1-line block ×3, first 2 shown]
	v_rcp_f64_e32 v[120:121], v[90:91]
	v_add_f64 v[116:117], v[112:113], v[114:115]
	v_add_f64 v[112:113], v[116:117], -v[112:113]
	v_add_f64 v[112:113], v[114:115], -v[112:113]
	;; [unrolled: 1-line block ×4, first 2 shown]
	v_fma_f64 v[114:115], -v[90:91], v[120:121], 1.0
	v_fmac_f64_e32 v[120:121], v[114:115], v[120:121]
	v_fma_f64 v[114:115], -v[90:91], v[120:121], 1.0
	v_fmac_f64_e32 v[120:121], v[114:115], v[120:121]
	v_mul_f64 v[114:115], v[116:117], v[120:121]
	v_mul_f64 v[118:119], v[90:91], v[114:115]
	v_fma_f64 v[122:123], v[114:115], v[90:91], -v[118:119]
	v_fmac_f64_e32 v[122:123], v[114:115], v[88:89]
	v_add_f64 v[124:125], v[118:119], v[122:123]
	v_add_f64 v[126:127], v[116:117], -v[124:125]
	v_add_f64 v[116:117], v[116:117], -v[126:127]
	;; [unrolled: 1-line block ×4, first 2 shown]
	v_add_f64 v[112:113], v[112:113], v[116:117]
	v_add_f64 v[116:117], v[118:119], -v[122:123]
	v_add_f64 v[112:113], v[116:117], v[112:113]
	v_add_f64 v[116:117], v[126:127], v[112:113]
	v_add_f64 v[118:119], v[126:127], -v[116:117]
	v_add_f64 v[112:113], v[112:113], v[118:119]
	v_mul_f64 v[118:119], v[120:121], v[116:117]
	v_mul_f64 v[122:123], v[90:91], v[118:119]
	v_fma_f64 v[90:91], v[118:119], v[90:91], -v[122:123]
	v_fmac_f64_e32 v[90:91], v[118:119], v[88:89]
	v_add_f64 v[88:89], v[122:123], v[90:91]
	v_add_f64 v[124:125], v[116:117], -v[88:89]
	v_add_f64 v[116:117], v[116:117], -v[124:125]
	;; [unrolled: 1-line block ×4, first 2 shown]
	v_add_f64 v[88:89], v[112:113], v[88:89]
	v_add_f64 v[90:91], v[122:123], -v[90:91]
	v_add_f64 v[88:89], v[90:91], v[88:89]
	v_add_f64 v[90:91], v[114:115], v[118:119]
	;; [unrolled: 1-line block ×3, first 2 shown]
	v_add_f64 v[112:113], v[90:91], -v[114:115]
	v_mul_f64 v[88:89], v[120:121], v[88:89]
	v_add_f64 v[112:113], v[118:119], -v[112:113]
	v_add_f64 v[88:89], v[112:113], v[88:89]
	v_add_f64 v[112:113], v[90:91], v[88:89]
	v_add_f64 v[90:91], v[112:113], -v[90:91]
	v_add_f64 v[88:89], v[88:89], -v[90:91]
	v_mul_f64 v[90:91], v[112:113], v[112:113]
	v_pk_mov_b32 v[114:115], v[74:75], v[74:75] op_sel:[0,1]
	v_fmac_f64_e32 v[114:115], s[52:53], v[90:91]
	v_pk_mov_b32 v[116:117], v[76:77], v[76:77] op_sel:[0,1]
	v_fmac_f64_e32 v[116:117], v[90:91], v[114:115]
	v_pk_mov_b32 v[114:115], v[78:79], v[78:79] op_sel:[0,1]
	v_fmac_f64_e32 v[114:115], v[90:91], v[116:117]
	v_pk_mov_b32 v[116:117], v[80:81], v[80:81] op_sel:[0,1]
	v_fmac_f64_e32 v[116:117], v[90:91], v[114:115]
	v_pk_mov_b32 v[114:115], v[82:83], v[82:83] op_sel:[0,1]
	v_fmac_f64_e32 v[114:115], v[90:91], v[116:117]
	v_pk_mov_b32 v[116:117], v[84:85], v[84:85] op_sel:[0,1]
	v_fmac_f64_e32 v[116:117], v[90:91], v[114:115]
	v_cvt_f64_i32_e32 v[114:115], v29
	s_mov_b32 s54, s40
	v_mul_f64 v[118:119], v[114:115], s[54:55]
	v_fma_f64 v[120:121], v[114:115], s[54:55], -v[118:119]
	s_mov_b32 s60, s42
	v_fmac_f64_e32 v[120:121], s[60:61], v[114:115]
	v_add_f64 v[114:115], v[118:119], v[120:121]
	v_add_f64 v[118:119], v[114:115], -v[118:119]
	v_mul_f64 v[90:91], v[112:113], v[90:91]
	v_add_f64 v[118:119], v[120:121], -v[118:119]
	v_ldexp_f64 v[120:121], v[112:113], 1
	v_mul_f64 v[90:91], v[90:91], v[116:117]
	v_add_f64 v[112:113], v[120:121], v[90:91]
	v_add_f64 v[116:117], v[112:113], -v[120:121]
	v_ldexp_f64 v[88:89], v[88:89], 1
	v_add_f64 v[90:91], v[90:91], -v[116:117]
	v_add_f64 v[88:89], v[88:89], v[90:91]
	v_add_f64 v[90:91], v[112:113], v[88:89]
	v_add_f64 v[112:113], v[90:91], -v[112:113]
	v_add_f64 v[88:89], v[88:89], -v[112:113]
	v_add_f64 v[112:113], v[114:115], v[90:91]
	v_add_f64 v[116:117], v[112:113], -v[114:115]
	v_add_f64 v[120:121], v[112:113], -v[116:117]
	;; [unrolled: 1-line block ×4, first 2 shown]
	v_add_f64 v[90:91], v[90:91], v[114:115]
	v_add_f64 v[114:115], v[118:119], v[88:89]
	v_add_f64 v[116:117], v[114:115], -v[118:119]
	v_add_f64 v[90:91], v[114:115], v[90:91]
	v_add_f64 v[120:121], v[114:115], -v[116:117]
	;; [unrolled: 2-line block ×3, first 2 shown]
	v_add_f64 v[88:89], v[88:89], -v[116:117]
	v_add_f64 v[112:113], v[114:115], -v[112:113]
	v_add_f64 v[88:89], v[88:89], v[118:119]
	v_add_f64 v[90:91], v[90:91], -v[112:113]
	v_add_f64 v[88:89], v[88:89], v[90:91]
	v_add_f64 v[88:89], v[114:115], v[88:89]
	v_cmp_eq_f64_e32 vcc, s[62:63], v[86:87]
	v_cndmask_b32_e32 v29, v88, v86, vcc
	v_cndmask_b32_e32 v88, v89, v87, vcc
	v_cmp_ngt_f64_e32 vcc, -1.0, v[86:87]
	v_cndmask_b32_e32 v89, v110, v88, vcc
	v_cmp_nge_f64_e32 vcc, -1.0, v[86:87]
	v_cndmask_b32_e32 v88, 0, v29, vcc
	v_cmp_neq_f64_e32 vcc, -1.0, v[86:87]
	v_cndmask_b32_e32 v89, v111, v89, vcc
	v_add_f64 v[88:89], v[26:27], v[88:89]
.LBB3_140:                              ;   in Loop: Header=BB3_112 Depth=1
	s_or_b64 exec, exec, s[66:67]
	v_pk_mov_b32 v[86:87], v[88:89], v[88:89] op_sel:[0,1]
.LBB3_141:                              ;   in Loop: Header=BB3_112 Depth=1
	s_or_b64 exec, exec, s[64:65]
	v_max_f64 v[26:27], v[54:55], v[54:55]
	v_max_f64 v[90:91], v[86:87], v[86:87]
	s_waitcnt lgkmcnt(0)
	v_min_f64 v[88:89], v[90:91], v[26:27]
	v_cmp_u_f64_e32 vcc, v[86:87], v[86:87]
	v_max_f64 v[26:27], v[90:91], v[26:27]
	v_cndmask_b32_e32 v29, v88, v86, vcc
	v_cndmask_b32_e32 v88, v89, v87, vcc
	v_cmp_u_f64_e64 s[26:27], v[54:55], v[54:55]
	v_cndmask_b32_e32 v26, v26, v86, vcc
	v_cndmask_b32_e32 v27, v27, v87, vcc
	v_cndmask_b32_e64 v89, v88, v55, s[26:27]
	v_cndmask_b32_e64 v88, v29, v54, s[26:27]
	;; [unrolled: 1-line block ×4, first 2 shown]
	v_cmp_neq_f64_e32 vcc, v[88:89], v[26:27]
	v_cmp_class_f64_e64 s[26:27], v[88:89], s7
	s_or_b64 s[26:27], vcc, s[26:27]
	s_and_saveexec_b64 s[64:65], s[26:27]
	s_xor_b64 s[64:65], exec, s[64:65]
	s_cbranch_execz .LBB3_111
; %bb.142:                              ;   in Loop: Header=BB3_112 Depth=1
	v_add_f64 v[86:87], v[88:89], -v[26:27]
	v_mul_f64 v[88:89], v[86:87], s[38:39]
	v_rndne_f64_e32 v[88:89], v[88:89]
	v_fma_f64 v[90:91], s[40:41], v[88:89], v[86:87]
	v_fmac_f64_e32 v[90:91], s[42:43], v[88:89]
	v_pk_mov_b32 v[112:113], v[56:57], v[56:57] op_sel:[0,1]
	v_fmac_f64_e32 v[112:113], s[44:45], v[90:91]
	v_pk_mov_b32 v[114:115], v[58:59], v[58:59] op_sel:[0,1]
	;; [unrolled: 2-line block ×9, first 2 shown]
	v_fmac_f64_e32 v[112:113], v[90:91], v[114:115]
	v_fma_f64 v[112:113], v[90:91], v[112:113], 1.0
	v_fma_f64 v[90:91], v[90:91], v[112:113], 1.0
	v_cvt_i32_f64_e32 v29, v[88:89]
	v_ldexp_f64 v[88:89], v[90:91], v29
	v_cmp_nlt_f64_e32 vcc, s[46:47], v[86:87]
	v_cmp_ngt_f64_e64 s[26:27], s[48:49], v[86:87]
	v_cndmask_b32_e32 v29, v109, v89, vcc
	s_and_b64 vcc, s[26:27], vcc
	v_cndmask_b32_e64 v87, 0, v29, s[26:27]
	v_cndmask_b32_e32 v86, 0, v88, vcc
	v_add_f64 v[88:89], v[86:87], 1.0
	v_add_f64 v[90:91], v[88:89], -1.0
	v_add_f64 v[112:113], v[90:91], -v[88:89]
	v_add_f64 v[112:113], v[112:113], 1.0
	v_add_f64 v[90:91], v[86:87], -v[90:91]
	v_add_f64 v[90:91], v[90:91], v[112:113]
	v_frexp_mant_f64_e32 v[112:113], v[88:89]
	v_frexp_exp_i32_f64_e32 v29, v[88:89]
	v_cmp_gt_f64_e32 vcc, s[50:51], v[112:113]
	v_subbrev_co_u32_e32 v29, vcc, 0, v29, vcc
	v_sub_u32_e32 v112, 0, v29
	v_ldexp_f64 v[88:89], v[88:89], v112
	v_ldexp_f64 v[90:91], v[90:91], v112
	v_add_f64 v[112:113], v[88:89], -1.0
	v_add_f64 v[118:119], v[88:89], 1.0
	v_add_f64 v[114:115], v[112:113], 1.0
	v_add_f64 v[120:121], v[118:119], -1.0
	v_add_f64 v[114:115], v[88:89], -v[114:115]
	v_add_f64 v[88:89], v[88:89], -v[120:121]
	v_add_f64 v[88:89], v[90:91], v[88:89]
	v_add_f64 v[114:115], v[90:91], v[114:115]
	;; [unrolled: 1-line block ×3, first 2 shown]
	v_rcp_f64_e32 v[120:121], v[90:91]
	v_add_f64 v[116:117], v[112:113], v[114:115]
	v_add_f64 v[112:113], v[116:117], -v[112:113]
	v_add_f64 v[112:113], v[114:115], -v[112:113]
	;; [unrolled: 1-line block ×4, first 2 shown]
	v_fma_f64 v[114:115], -v[90:91], v[120:121], 1.0
	v_fmac_f64_e32 v[120:121], v[114:115], v[120:121]
	v_fma_f64 v[114:115], -v[90:91], v[120:121], 1.0
	v_fmac_f64_e32 v[120:121], v[114:115], v[120:121]
	v_mul_f64 v[114:115], v[116:117], v[120:121]
	v_mul_f64 v[118:119], v[90:91], v[114:115]
	v_fma_f64 v[122:123], v[114:115], v[90:91], -v[118:119]
	v_fmac_f64_e32 v[122:123], v[114:115], v[88:89]
	v_add_f64 v[124:125], v[118:119], v[122:123]
	v_add_f64 v[126:127], v[116:117], -v[124:125]
	v_add_f64 v[116:117], v[116:117], -v[126:127]
	;; [unrolled: 1-line block ×4, first 2 shown]
	v_add_f64 v[112:113], v[112:113], v[116:117]
	v_add_f64 v[116:117], v[118:119], -v[122:123]
	v_add_f64 v[112:113], v[116:117], v[112:113]
	v_add_f64 v[116:117], v[126:127], v[112:113]
	v_add_f64 v[118:119], v[126:127], -v[116:117]
	v_add_f64 v[112:113], v[112:113], v[118:119]
	v_mul_f64 v[118:119], v[120:121], v[116:117]
	v_mul_f64 v[122:123], v[90:91], v[118:119]
	v_fma_f64 v[90:91], v[118:119], v[90:91], -v[122:123]
	v_fmac_f64_e32 v[90:91], v[118:119], v[88:89]
	v_add_f64 v[88:89], v[122:123], v[90:91]
	v_add_f64 v[124:125], v[116:117], -v[88:89]
	v_add_f64 v[116:117], v[116:117], -v[124:125]
	v_add_f64 v[122:123], v[88:89], -v[122:123]
	v_add_f64 v[88:89], v[116:117], -v[88:89]
	v_add_f64 v[88:89], v[112:113], v[88:89]
	v_add_f64 v[90:91], v[122:123], -v[90:91]
	v_add_f64 v[88:89], v[90:91], v[88:89]
	v_add_f64 v[90:91], v[114:115], v[118:119]
	;; [unrolled: 1-line block ×3, first 2 shown]
	v_add_f64 v[112:113], v[90:91], -v[114:115]
	v_mul_f64 v[88:89], v[120:121], v[88:89]
	v_add_f64 v[112:113], v[118:119], -v[112:113]
	v_add_f64 v[88:89], v[112:113], v[88:89]
	v_add_f64 v[112:113], v[90:91], v[88:89]
	v_add_f64 v[90:91], v[112:113], -v[90:91]
	v_add_f64 v[88:89], v[88:89], -v[90:91]
	v_mul_f64 v[90:91], v[112:113], v[112:113]
	v_pk_mov_b32 v[114:115], v[74:75], v[74:75] op_sel:[0,1]
	v_fmac_f64_e32 v[114:115], s[52:53], v[90:91]
	v_pk_mov_b32 v[116:117], v[76:77], v[76:77] op_sel:[0,1]
	v_fmac_f64_e32 v[116:117], v[90:91], v[114:115]
	;; [unrolled: 2-line block ×6, first 2 shown]
	v_cvt_f64_i32_e32 v[114:115], v29
	s_mov_b32 s54, s40
	v_mul_f64 v[118:119], v[114:115], s[54:55]
	v_fma_f64 v[120:121], v[114:115], s[54:55], -v[118:119]
	s_mov_b32 s60, s42
	v_fmac_f64_e32 v[120:121], s[60:61], v[114:115]
	v_add_f64 v[114:115], v[118:119], v[120:121]
	v_add_f64 v[118:119], v[114:115], -v[118:119]
	v_mul_f64 v[90:91], v[112:113], v[90:91]
	v_add_f64 v[118:119], v[120:121], -v[118:119]
	v_ldexp_f64 v[120:121], v[112:113], 1
	v_mul_f64 v[90:91], v[90:91], v[116:117]
	v_add_f64 v[112:113], v[120:121], v[90:91]
	v_add_f64 v[116:117], v[112:113], -v[120:121]
	v_ldexp_f64 v[88:89], v[88:89], 1
	v_add_f64 v[90:91], v[90:91], -v[116:117]
	v_add_f64 v[88:89], v[88:89], v[90:91]
	v_add_f64 v[90:91], v[112:113], v[88:89]
	v_add_f64 v[112:113], v[90:91], -v[112:113]
	v_add_f64 v[88:89], v[88:89], -v[112:113]
	v_add_f64 v[112:113], v[114:115], v[90:91]
	v_add_f64 v[116:117], v[112:113], -v[114:115]
	v_add_f64 v[120:121], v[112:113], -v[116:117]
	v_add_f64 v[114:115], v[114:115], -v[120:121]
	v_add_f64 v[90:91], v[90:91], -v[116:117]
	v_add_f64 v[90:91], v[90:91], v[114:115]
	v_add_f64 v[114:115], v[118:119], v[88:89]
	v_add_f64 v[116:117], v[114:115], -v[118:119]
	v_add_f64 v[90:91], v[114:115], v[90:91]
	v_add_f64 v[120:121], v[114:115], -v[116:117]
	;; [unrolled: 2-line block ×3, first 2 shown]
	v_add_f64 v[88:89], v[88:89], -v[116:117]
	v_add_f64 v[112:113], v[114:115], -v[112:113]
	v_add_f64 v[88:89], v[88:89], v[118:119]
	v_add_f64 v[90:91], v[90:91], -v[112:113]
	v_add_f64 v[88:89], v[88:89], v[90:91]
	v_add_f64 v[88:89], v[114:115], v[88:89]
	v_cmp_eq_f64_e32 vcc, s[62:63], v[86:87]
	v_cndmask_b32_e32 v29, v88, v86, vcc
	v_cndmask_b32_e32 v88, v89, v87, vcc
	v_cmp_ngt_f64_e32 vcc, -1.0, v[86:87]
	v_cndmask_b32_e32 v89, v110, v88, vcc
	v_cmp_nge_f64_e32 vcc, -1.0, v[86:87]
	v_cndmask_b32_e32 v88, 0, v29, vcc
	v_cmp_neq_f64_e32 vcc, -1.0, v[86:87]
	v_cndmask_b32_e32 v89, v111, v89, vcc
	v_add_f64 v[86:87], v[26:27], v[88:89]
	s_branch .LBB3_111
.LBB3_143:                              ;   in Loop: Header=BB3_112 Depth=1
                                        ; implicit-def: $vgpr86_vgpr87
                                        ; implicit-def: $vgpr28
	s_cbranch_execz .LBB3_112
; %bb.144:
	s_and_saveexec_b64 s[38:39], s[22:23]
	s_cbranch_execz .LBB3_148
; %bb.145:
	v_max_f64 v[24:25], v[22:23], v[22:23]
	v_max_f64 v[28:29], v[54:55], v[54:55]
	v_min_f64 v[26:27], v[28:29], v[24:25]
	v_cmp_u_f64_e32 vcc, v[54:55], v[54:55]
	v_max_f64 v[24:25], v[28:29], v[24:25]
	v_cndmask_b32_e32 v26, v26, v54, vcc
	v_cndmask_b32_e32 v27, v27, v55, vcc
	v_cmp_u_f64_e64 s[26:27], v[22:23], v[22:23]
	v_cndmask_b32_e32 v24, v24, v54, vcc
	v_cndmask_b32_e32 v25, v25, v55, vcc
	v_cndmask_b32_e64 v27, v27, v23, s[26:27]
	v_cndmask_b32_e64 v26, v26, v22, s[26:27]
	;; [unrolled: 1-line block ×4, first 2 shown]
	s_movk_i32 s7, 0x1f8
	v_cmp_neq_f64_e32 vcc, v[26:27], v[24:25]
	v_cmp_class_f64_e64 s[26:27], v[26:27], s7
	s_or_b64 s[26:27], vcc, s[26:27]
	v_pk_mov_b32 v[22:23], v[54:55], v[54:55] op_sel:[0,1]
	s_and_saveexec_b64 s[40:41], s[26:27]
	s_cbranch_execz .LBB3_147
; %bb.146:
	s_mov_b32 s26, 0x652b82fe
	v_add_f64 v[22:23], v[26:27], -v[24:25]
	s_mov_b32 s27, 0x3ff71547
	v_mul_f64 v[26:27], v[22:23], s[26:27]
	v_rndne_f64_e32 v[26:27], v[26:27]
	s_mov_b32 s43, 0xbfe62e42
	s_mov_b32 s42, 0xfefa39ef
	v_fma_f64 v[28:29], s[42:43], v[26:27], v[22:23]
	s_mov_b32 s45, 0xbc7abc9e
	s_mov_b32 s44, 0x3b39803f
	;; [unrolled: 1-line block ×3, first 2 shown]
	v_fmac_f64_e32 v[28:29], s[44:45], v[26:27]
	v_mov_b32_e32 v52, 0xfca7ab0c
	v_mov_b32_e32 v53, 0x3e928af3
	s_mov_b32 s27, 0x3e5ade15
	v_fmac_f64_e32 v[52:53], s[26:27], v[28:29]
	v_mov_b32_e32 v56, 0x623fde64
	v_mov_b32_e32 v57, 0x3ec71dee
	v_fmac_f64_e32 v[56:57], v[28:29], v[52:53]
	v_mov_b32_e32 v52, 0x7c89e6b0
	v_mov_b32_e32 v53, 0x3efa0199
	;; [unrolled: 3-line block ×8, first 2 shown]
	s_mov_b32 s26, 0
	v_fmac_f64_e32 v[52:53], v[28:29], v[56:57]
	s_mov_b32 s27, 0x40900000
	v_fma_f64 v[52:53], v[28:29], v[52:53], 1.0
	v_cmp_nlt_f64_e32 vcc, s[26:27], v[22:23]
	s_mov_b32 s26, 0
	v_fma_f64 v[28:29], v[28:29], v[52:53], 1.0
	v_cvt_i32_f64_e32 v26, v[26:27]
	s_mov_b32 s27, 0xc090cc00
	v_ldexp_f64 v[26:27], v[28:29], v26
	v_mov_b32_e32 v28, 0x7ff00000
	v_cmp_ngt_f64_e64 s[26:27], s[26:27], v[22:23]
	v_cndmask_b32_e32 v27, v28, v27, vcc
	s_and_b64 vcc, s[26:27], vcc
	v_cndmask_b32_e64 v23, 0, v27, s[26:27]
	v_cndmask_b32_e32 v22, 0, v26, vcc
	v_add_f64 v[26:27], v[22:23], 1.0
	v_add_f64 v[28:29], v[26:27], -1.0
	v_add_f64 v[52:53], v[28:29], -v[26:27]
	v_add_f64 v[52:53], v[52:53], 1.0
	v_add_f64 v[28:29], v[22:23], -v[28:29]
	s_mov_b32 s26, 0x55555555
	v_add_f64 v[28:29], v[28:29], v[52:53]
	v_frexp_mant_f64_e32 v[52:53], v[26:27]
	s_mov_b32 s27, 0x3fe55555
	v_frexp_exp_i32_f64_e32 v56, v[26:27]
	v_cmp_gt_f64_e32 vcc, s[26:27], v[52:53]
	v_subbrev_co_u32_e32 v70, vcc, 0, v56, vcc
	v_sub_u32_e32 v52, 0, v70
	v_ldexp_f64 v[26:27], v[26:27], v52
	v_ldexp_f64 v[28:29], v[28:29], v52
	v_add_f64 v[52:53], v[26:27], -1.0
	v_add_f64 v[60:61], v[26:27], 1.0
	v_add_f64 v[56:57], v[52:53], 1.0
	v_add_f64 v[62:63], v[60:61], -1.0
	v_add_f64 v[56:57], v[26:27], -v[56:57]
	v_add_f64 v[26:27], v[26:27], -v[62:63]
	v_add_f64 v[26:27], v[28:29], v[26:27]
	v_add_f64 v[56:57], v[28:29], v[56:57]
	;; [unrolled: 1-line block ×3, first 2 shown]
	v_rcp_f64_e32 v[62:63], v[28:29]
	v_add_f64 v[58:59], v[52:53], v[56:57]
	v_add_f64 v[52:53], v[58:59], -v[52:53]
	v_add_f64 v[52:53], v[56:57], -v[52:53]
	v_add_f64 v[56:57], v[28:29], -v[60:61]
	v_add_f64 v[26:27], v[26:27], -v[56:57]
	v_fma_f64 v[56:57], -v[28:29], v[62:63], 1.0
	v_fmac_f64_e32 v[62:63], v[56:57], v[62:63]
	v_fma_f64 v[56:57], -v[28:29], v[62:63], 1.0
	v_fmac_f64_e32 v[62:63], v[56:57], v[62:63]
	v_mul_f64 v[56:57], v[58:59], v[62:63]
	v_mul_f64 v[60:61], v[28:29], v[56:57]
	v_fma_f64 v[64:65], v[56:57], v[28:29], -v[60:61]
	v_fmac_f64_e32 v[64:65], v[56:57], v[26:27]
	v_add_f64 v[66:67], v[60:61], v[64:65]
	v_add_f64 v[68:69], v[58:59], -v[66:67]
	v_add_f64 v[58:59], v[58:59], -v[68:69]
	;; [unrolled: 1-line block ×4, first 2 shown]
	v_add_f64 v[52:53], v[52:53], v[58:59]
	v_add_f64 v[58:59], v[60:61], -v[64:65]
	v_add_f64 v[52:53], v[58:59], v[52:53]
	v_add_f64 v[58:59], v[68:69], v[52:53]
	v_add_f64 v[60:61], v[68:69], -v[58:59]
	v_add_f64 v[52:53], v[52:53], v[60:61]
	v_mul_f64 v[60:61], v[62:63], v[58:59]
	v_mul_f64 v[64:65], v[28:29], v[60:61]
	v_fma_f64 v[28:29], v[60:61], v[28:29], -v[64:65]
	v_fmac_f64_e32 v[28:29], v[60:61], v[26:27]
	v_add_f64 v[26:27], v[64:65], v[28:29]
	v_add_f64 v[66:67], v[58:59], -v[26:27]
	v_add_f64 v[58:59], v[58:59], -v[66:67]
	;; [unrolled: 1-line block ×4, first 2 shown]
	v_add_f64 v[26:27], v[52:53], v[26:27]
	v_add_f64 v[28:29], v[64:65], -v[28:29]
	v_add_f64 v[26:27], v[28:29], v[26:27]
	v_add_f64 v[28:29], v[56:57], v[60:61]
	;; [unrolled: 1-line block ×3, first 2 shown]
	v_add_f64 v[52:53], v[28:29], -v[56:57]
	v_mul_f64 v[26:27], v[62:63], v[26:27]
	v_add_f64 v[52:53], v[60:61], -v[52:53]
	v_add_f64 v[26:27], v[52:53], v[26:27]
	v_add_f64 v[52:53], v[28:29], v[26:27]
	v_add_f64 v[28:29], v[52:53], -v[28:29]
	s_mov_b32 s26, 0xbf559e2b
	v_add_f64 v[26:27], v[26:27], -v[28:29]
	v_mul_f64 v[28:29], v[52:53], v[52:53]
	v_mov_b32_e32 v56, 0x6b47b09a
	v_mov_b32_e32 v57, 0x3fc38538
	s_mov_b32 s27, 0x3fc3ab76
	v_fmac_f64_e32 v[56:57], s[26:27], v[28:29]
	v_mov_b32_e32 v58, 0xd7f4df2e
	v_mov_b32_e32 v59, 0x3fc7474d
	v_fmac_f64_e32 v[58:59], v[28:29], v[56:57]
	v_mov_b32_e32 v56, 0x16291751
	v_mov_b32_e32 v57, 0x3fcc71c0
	;; [unrolled: 3-line block ×5, first 2 shown]
	v_fmac_f64_e32 v[58:59], v[28:29], v[56:57]
	v_cvt_f64_i32_e32 v[56:57], v70
	s_mov_b32 s43, 0x3fe62e42
	v_mul_f64 v[60:61], v[56:57], s[42:43]
	v_fma_f64 v[62:63], v[56:57], s[42:43], -v[60:61]
	s_mov_b32 s45, 0x3c7abc9e
	v_fmac_f64_e32 v[62:63], s[44:45], v[56:57]
	v_add_f64 v[56:57], v[60:61], v[62:63]
	v_add_f64 v[60:61], v[56:57], -v[60:61]
	v_mul_f64 v[28:29], v[52:53], v[28:29]
	v_add_f64 v[60:61], v[62:63], -v[60:61]
	v_ldexp_f64 v[62:63], v[52:53], 1
	v_mul_f64 v[28:29], v[28:29], v[58:59]
	v_add_f64 v[52:53], v[62:63], v[28:29]
	v_add_f64 v[58:59], v[52:53], -v[62:63]
	v_ldexp_f64 v[26:27], v[26:27], 1
	v_add_f64 v[28:29], v[28:29], -v[58:59]
	v_add_f64 v[26:27], v[26:27], v[28:29]
	v_add_f64 v[28:29], v[52:53], v[26:27]
	v_add_f64 v[52:53], v[28:29], -v[52:53]
	v_add_f64 v[26:27], v[26:27], -v[52:53]
	v_add_f64 v[52:53], v[56:57], v[28:29]
	v_add_f64 v[58:59], v[52:53], -v[56:57]
	v_add_f64 v[62:63], v[52:53], -v[58:59]
	v_add_f64 v[56:57], v[56:57], -v[62:63]
	v_add_f64 v[28:29], v[28:29], -v[58:59]
	v_add_f64 v[28:29], v[28:29], v[56:57]
	v_add_f64 v[56:57], v[60:61], v[26:27]
	v_add_f64 v[58:59], v[56:57], -v[60:61]
	v_add_f64 v[28:29], v[56:57], v[28:29]
	v_add_f64 v[62:63], v[56:57], -v[58:59]
	;; [unrolled: 2-line block ×3, first 2 shown]
	v_add_f64 v[26:27], v[26:27], -v[58:59]
	v_add_f64 v[52:53], v[56:57], -v[52:53]
	v_add_f64 v[26:27], v[26:27], v[60:61]
	v_add_f64 v[28:29], v[28:29], -v[52:53]
	s_mov_b32 s26, 0
	v_add_f64 v[26:27], v[26:27], v[28:29]
	s_mov_b32 s27, 0x7ff00000
	v_add_f64 v[26:27], v[56:57], v[26:27]
	v_cmp_eq_f64_e32 vcc, s[26:27], v[22:23]
	v_cndmask_b32_e32 v26, v26, v22, vcc
	v_cndmask_b32_e32 v27, v27, v23, vcc
	v_mov_b32_e32 v28, 0x7ff80000
	v_cmp_ngt_f64_e32 vcc, -1.0, v[22:23]
	v_cndmask_b32_e32 v27, v28, v27, vcc
	v_cmp_nge_f64_e32 vcc, -1.0, v[22:23]
	v_cndmask_b32_e32 v26, 0, v26, vcc
	v_mov_b32_e32 v28, 0xfff00000
	v_cmp_neq_f64_e32 vcc, -1.0, v[22:23]
	v_cndmask_b32_e32 v27, v28, v27, vcc
	v_add_f64 v[22:23], v[24:25], v[26:27]
.LBB3_147:
	s_or_b64 exec, exec, s[40:41]
	s_add_i32 s6, s6, 64
	s_mov_b32 s7, 0
	s_lshl_b64 s[6:7], s[6:7], 4
	s_add_u32 s6, s58, s6
	s_addc_u32 s7, s59, s7
	v_mov_b32_e32 v24, 2
	v_mov_b32_e32 v25, 0
	v_pk_mov_b32 v[26:27], s[6:7], s[6:7] op_sel:[0,1]
	;;#ASMSTART
	global_store_dwordx4 v[26:27], v[22:25] off	
s_waitcnt vmcnt(0)
	;;#ASMEND
.LBB3_148:
	s_or_b64 exec, exec, s[38:39]
	v_cmp_eq_u32_e32 vcc, 0, v0
	s_and_b64 exec, exec, vcc
	s_cbranch_execz .LBB3_150
; %bb.149:
	v_mov_b32_e32 v22, 0
	ds_write_b64 v22, v[54:55] offset:8
.LBB3_150:
	s_or_b64 exec, exec, s[36:37]
	v_mov_b32_e32 v22, 0
	s_waitcnt lgkmcnt(0)
	s_barrier
	ds_read_b64 v[22:23], v22 offset:8
	v_cmp_ne_u32_e32 vcc, 0, v0
	v_pk_mov_b32 v[26:27], v[2:3], v[2:3] op_sel:[0,1]
	s_and_saveexec_b64 s[26:27], vcc
	s_cbranch_execz .LBB3_154
; %bb.151:
	v_cndmask_b32_e64 v27, v95, v51, s[22:23]
	v_cndmask_b32_e64 v26, v94, v50, s[22:23]
	v_max_f64 v[24:25], v[26:27], v[26:27]
	v_min_f64 v[28:29], v[24:25], v[48:49]
	v_cmp_u_f64_e32 vcc, v[26:27], v[26:27]
	v_max_f64 v[24:25], v[24:25], v[48:49]
	v_cndmask_b32_e32 v28, v28, v26, vcc
	v_cndmask_b32_e32 v29, v29, v27, vcc
	;; [unrolled: 1-line block ×4, first 2 shown]
	v_cndmask_b32_e64 v29, v29, v3, s[20:21]
	v_cndmask_b32_e64 v28, v28, v2, s[20:21]
	;; [unrolled: 1-line block ×4, first 2 shown]
	s_movk_i32 s6, 0x1f8
	v_cmp_neq_f64_e32 vcc, v[28:29], v[24:25]
	v_cmp_class_f64_e64 s[6:7], v[28:29], s6
	s_or_b64 s[6:7], vcc, s[6:7]
	s_and_saveexec_b64 s[20:21], s[6:7]
	s_cbranch_execz .LBB3_153
; %bb.152:
	s_mov_b32 s6, 0x652b82fe
	v_add_f64 v[26:27], v[28:29], -v[24:25]
	s_mov_b32 s7, 0x3ff71547
	v_mul_f64 v[28:29], v[26:27], s[6:7]
	v_rndne_f64_e32 v[28:29], v[28:29]
	s_mov_b32 s23, 0xbfe62e42
	s_mov_b32 s22, 0xfefa39ef
	v_fma_f64 v[48:49], s[22:23], v[28:29], v[26:27]
	s_mov_b32 s37, 0xbc7abc9e
	s_mov_b32 s36, 0x3b39803f
	;; [unrolled: 1-line block ×3, first 2 shown]
	v_fmac_f64_e32 v[48:49], s[36:37], v[28:29]
	v_mov_b32_e32 v50, 0xfca7ab0c
	v_mov_b32_e32 v51, 0x3e928af3
	s_mov_b32 s7, 0x3e5ade15
	v_fmac_f64_e32 v[50:51], s[6:7], v[48:49]
	v_mov_b32_e32 v52, 0x623fde64
	v_mov_b32_e32 v53, 0x3ec71dee
	v_fmac_f64_e32 v[52:53], v[48:49], v[50:51]
	v_mov_b32_e32 v50, 0x7c89e6b0
	v_mov_b32_e32 v51, 0x3efa0199
	v_fmac_f64_e32 v[50:51], v[48:49], v[52:53]
	v_mov_b32_e32 v52, 0x14761f6e
	v_mov_b32_e32 v53, 0x3f2a01a0
	v_fmac_f64_e32 v[52:53], v[48:49], v[50:51]
	v_mov_b32_e32 v50, 0x1852b7b0
	v_mov_b32_e32 v51, 0x3f56c16c
	v_fmac_f64_e32 v[50:51], v[48:49], v[52:53]
	v_mov_b32_e32 v52, 0x11122322
	v_mov_b32_e32 v53, 0x3f811111
	v_fmac_f64_e32 v[52:53], v[48:49], v[50:51]
	v_mov_b32_e32 v50, 0x555502a1
	v_mov_b32_e32 v51, 0x3fa55555
	v_fmac_f64_e32 v[50:51], v[48:49], v[52:53]
	v_mov_b32_e32 v52, 0x55555511
	v_mov_b32_e32 v53, 0x3fc55555
	v_fmac_f64_e32 v[52:53], v[48:49], v[50:51]
	v_mov_b32_e32 v50, 11
	v_mov_b32_e32 v51, 0x3fe00000
	s_mov_b32 s6, 0
	v_fmac_f64_e32 v[50:51], v[48:49], v[52:53]
	s_mov_b32 s7, 0x40900000
	v_fma_f64 v[50:51], v[48:49], v[50:51], 1.0
	v_cmp_nlt_f64_e32 vcc, s[6:7], v[26:27]
	s_mov_b32 s6, 0
	v_fma_f64 v[48:49], v[48:49], v[50:51], 1.0
	v_cvt_i32_f64_e32 v28, v[28:29]
	s_mov_b32 s7, 0xc090cc00
	v_ldexp_f64 v[28:29], v[48:49], v28
	v_mov_b32_e32 v48, 0x7ff00000
	v_cmp_ngt_f64_e64 s[6:7], s[6:7], v[26:27]
	v_cndmask_b32_e32 v29, v48, v29, vcc
	s_and_b64 vcc, s[6:7], vcc
	v_cndmask_b32_e64 v27, 0, v29, s[6:7]
	v_cndmask_b32_e32 v26, 0, v28, vcc
	v_add_f64 v[28:29], v[26:27], 1.0
	v_add_f64 v[48:49], v[28:29], -1.0
	v_add_f64 v[50:51], v[48:49], -v[28:29]
	v_add_f64 v[50:51], v[50:51], 1.0
	v_add_f64 v[48:49], v[26:27], -v[48:49]
	s_mov_b32 s6, 0x55555555
	v_add_f64 v[48:49], v[48:49], v[50:51]
	v_frexp_mant_f64_e32 v[50:51], v[28:29]
	s_mov_b32 s7, 0x3fe55555
	v_frexp_exp_i32_f64_e32 v52, v[28:29]
	v_cmp_gt_f64_e32 vcc, s[6:7], v[50:51]
	v_subbrev_co_u32_e32 v66, vcc, 0, v52, vcc
	v_sub_u32_e32 v50, 0, v66
	v_ldexp_f64 v[28:29], v[28:29], v50
	v_ldexp_f64 v[48:49], v[48:49], v50
	v_add_f64 v[50:51], v[28:29], -1.0
	v_add_f64 v[56:57], v[28:29], 1.0
	v_add_f64 v[52:53], v[50:51], 1.0
	v_add_f64 v[58:59], v[56:57], -1.0
	v_add_f64 v[52:53], v[28:29], -v[52:53]
	v_add_f64 v[28:29], v[28:29], -v[58:59]
	v_add_f64 v[28:29], v[48:49], v[28:29]
	v_add_f64 v[52:53], v[48:49], v[52:53]
	;; [unrolled: 1-line block ×3, first 2 shown]
	v_rcp_f64_e32 v[58:59], v[48:49]
	v_add_f64 v[54:55], v[50:51], v[52:53]
	v_add_f64 v[50:51], v[54:55], -v[50:51]
	v_add_f64 v[50:51], v[52:53], -v[50:51]
	;; [unrolled: 1-line block ×4, first 2 shown]
	v_fma_f64 v[52:53], -v[48:49], v[58:59], 1.0
	v_fmac_f64_e32 v[58:59], v[52:53], v[58:59]
	v_fma_f64 v[52:53], -v[48:49], v[58:59], 1.0
	v_fmac_f64_e32 v[58:59], v[52:53], v[58:59]
	v_mul_f64 v[52:53], v[54:55], v[58:59]
	v_mul_f64 v[56:57], v[48:49], v[52:53]
	v_fma_f64 v[60:61], v[52:53], v[48:49], -v[56:57]
	v_fmac_f64_e32 v[60:61], v[52:53], v[28:29]
	v_add_f64 v[62:63], v[56:57], v[60:61]
	v_add_f64 v[64:65], v[54:55], -v[62:63]
	v_add_f64 v[54:55], v[54:55], -v[64:65]
	;; [unrolled: 1-line block ×4, first 2 shown]
	v_add_f64 v[50:51], v[50:51], v[54:55]
	v_add_f64 v[54:55], v[56:57], -v[60:61]
	v_add_f64 v[50:51], v[54:55], v[50:51]
	v_add_f64 v[54:55], v[64:65], v[50:51]
	v_add_f64 v[56:57], v[64:65], -v[54:55]
	v_add_f64 v[50:51], v[50:51], v[56:57]
	v_mul_f64 v[56:57], v[58:59], v[54:55]
	v_mul_f64 v[60:61], v[48:49], v[56:57]
	v_fma_f64 v[48:49], v[56:57], v[48:49], -v[60:61]
	v_fmac_f64_e32 v[48:49], v[56:57], v[28:29]
	v_add_f64 v[28:29], v[60:61], v[48:49]
	v_add_f64 v[62:63], v[54:55], -v[28:29]
	v_add_f64 v[54:55], v[54:55], -v[62:63]
	;; [unrolled: 1-line block ×4, first 2 shown]
	v_add_f64 v[28:29], v[50:51], v[28:29]
	v_add_f64 v[48:49], v[60:61], -v[48:49]
	v_add_f64 v[28:29], v[48:49], v[28:29]
	v_add_f64 v[48:49], v[52:53], v[56:57]
	;; [unrolled: 1-line block ×3, first 2 shown]
	v_add_f64 v[50:51], v[48:49], -v[52:53]
	v_mul_f64 v[28:29], v[58:59], v[28:29]
	v_add_f64 v[50:51], v[56:57], -v[50:51]
	v_add_f64 v[28:29], v[50:51], v[28:29]
	v_add_f64 v[50:51], v[48:49], v[28:29]
	v_add_f64 v[48:49], v[50:51], -v[48:49]
	s_mov_b32 s6, 0xbf559e2b
	v_add_f64 v[28:29], v[28:29], -v[48:49]
	v_mul_f64 v[48:49], v[50:51], v[50:51]
	v_mov_b32_e32 v52, 0x6b47b09a
	v_mov_b32_e32 v53, 0x3fc38538
	s_mov_b32 s7, 0x3fc3ab76
	v_fmac_f64_e32 v[52:53], s[6:7], v[48:49]
	v_mov_b32_e32 v54, 0xd7f4df2e
	v_mov_b32_e32 v55, 0x3fc7474d
	v_fmac_f64_e32 v[54:55], v[48:49], v[52:53]
	v_mov_b32_e32 v52, 0x16291751
	v_mov_b32_e32 v53, 0x3fcc71c0
	;; [unrolled: 3-line block ×5, first 2 shown]
	v_fmac_f64_e32 v[54:55], v[48:49], v[52:53]
	v_cvt_f64_i32_e32 v[52:53], v66
	s_mov_b32 s23, 0x3fe62e42
	v_mul_f64 v[56:57], v[52:53], s[22:23]
	v_fma_f64 v[58:59], v[52:53], s[22:23], -v[56:57]
	s_mov_b32 s37, 0x3c7abc9e
	v_fmac_f64_e32 v[58:59], s[36:37], v[52:53]
	v_add_f64 v[52:53], v[56:57], v[58:59]
	v_add_f64 v[56:57], v[52:53], -v[56:57]
	v_mul_f64 v[48:49], v[50:51], v[48:49]
	v_add_f64 v[56:57], v[58:59], -v[56:57]
	v_ldexp_f64 v[58:59], v[50:51], 1
	v_mul_f64 v[48:49], v[48:49], v[54:55]
	v_add_f64 v[50:51], v[58:59], v[48:49]
	v_add_f64 v[54:55], v[50:51], -v[58:59]
	v_ldexp_f64 v[28:29], v[28:29], 1
	v_add_f64 v[48:49], v[48:49], -v[54:55]
	v_add_f64 v[28:29], v[28:29], v[48:49]
	v_add_f64 v[48:49], v[50:51], v[28:29]
	v_add_f64 v[50:51], v[48:49], -v[50:51]
	v_add_f64 v[28:29], v[28:29], -v[50:51]
	v_add_f64 v[50:51], v[52:53], v[48:49]
	v_add_f64 v[54:55], v[50:51], -v[52:53]
	v_add_f64 v[58:59], v[50:51], -v[54:55]
	;; [unrolled: 1-line block ×4, first 2 shown]
	v_add_f64 v[48:49], v[48:49], v[52:53]
	v_add_f64 v[52:53], v[56:57], v[28:29]
	v_add_f64 v[54:55], v[52:53], -v[56:57]
	v_add_f64 v[48:49], v[52:53], v[48:49]
	v_add_f64 v[58:59], v[52:53], -v[54:55]
	;; [unrolled: 2-line block ×3, first 2 shown]
	v_add_f64 v[28:29], v[28:29], -v[54:55]
	v_add_f64 v[50:51], v[52:53], -v[50:51]
	v_add_f64 v[28:29], v[28:29], v[56:57]
	v_add_f64 v[48:49], v[48:49], -v[50:51]
	s_mov_b32 s6, 0
	v_add_f64 v[28:29], v[28:29], v[48:49]
	s_mov_b32 s7, 0x7ff00000
	v_add_f64 v[28:29], v[52:53], v[28:29]
	v_cmp_eq_f64_e32 vcc, s[6:7], v[26:27]
	v_cndmask_b32_e32 v28, v28, v26, vcc
	v_cndmask_b32_e32 v29, v29, v27, vcc
	v_mov_b32_e32 v48, 0x7ff80000
	v_cmp_ngt_f64_e32 vcc, -1.0, v[26:27]
	v_cndmask_b32_e32 v29, v48, v29, vcc
	v_cmp_nge_f64_e32 vcc, -1.0, v[26:27]
	v_cndmask_b32_e32 v28, 0, v28, vcc
	v_mov_b32_e32 v48, 0xfff00000
	v_cmp_neq_f64_e32 vcc, -1.0, v[26:27]
	v_cndmask_b32_e32 v29, v48, v29, vcc
	v_add_f64 v[26:27], v[24:25], v[28:29]
.LBB3_153:
	s_or_b64 exec, exec, s[20:21]
.LBB3_154:
	s_or_b64 exec, exec, s[26:27]
	v_max_f64 v[24:25], v[26:27], v[26:27]
	s_waitcnt lgkmcnt(0)
	v_max_f64 v[48:49], v[22:23], v[22:23]
	v_min_f64 v[28:29], v[48:49], v[24:25]
	v_cmp_u_f64_e32 vcc, v[22:23], v[22:23]
	v_max_f64 v[24:25], v[48:49], v[24:25]
	v_cndmask_b32_e32 v28, v28, v22, vcc
	v_cndmask_b32_e32 v29, v29, v23, vcc
	v_cmp_u_f64_e64 s[6:7], v[26:27], v[26:27]
	v_cndmask_b32_e32 v24, v24, v22, vcc
	v_cndmask_b32_e32 v25, v25, v23, vcc
	v_cndmask_b32_e64 v29, v29, v27, s[6:7]
	v_cndmask_b32_e64 v28, v28, v26, s[6:7]
	;; [unrolled: 1-line block ×4, first 2 shown]
	s_movk_i32 s36, 0x1f8
	v_cmp_neq_f64_e32 vcc, v[28:29], v[24:25]
	v_cmp_class_f64_e64 s[6:7], v[28:29], s36
	s_or_b64 s[6:7], vcc, s[6:7]
	s_and_saveexec_b64 s[20:21], s[6:7]
	s_cbranch_execz .LBB3_156
; %bb.155:
	s_mov_b32 s6, 0x652b82fe
	v_add_f64 v[22:23], v[28:29], -v[24:25]
	s_mov_b32 s7, 0x3ff71547
	v_mul_f64 v[26:27], v[22:23], s[6:7]
	v_rndne_f64_e32 v[26:27], v[26:27]
	s_mov_b32 s23, 0xbfe62e42
	s_mov_b32 s22, 0xfefa39ef
	v_fma_f64 v[28:29], s[22:23], v[26:27], v[22:23]
	s_mov_b32 s27, 0xbc7abc9e
	s_mov_b32 s26, 0x3b39803f
	;; [unrolled: 1-line block ×3, first 2 shown]
	v_fmac_f64_e32 v[28:29], s[26:27], v[26:27]
	v_mov_b32_e32 v48, 0xfca7ab0c
	v_mov_b32_e32 v49, 0x3e928af3
	s_mov_b32 s7, 0x3e5ade15
	v_fmac_f64_e32 v[48:49], s[6:7], v[28:29]
	v_mov_b32_e32 v50, 0x623fde64
	v_mov_b32_e32 v51, 0x3ec71dee
	v_fmac_f64_e32 v[50:51], v[28:29], v[48:49]
	v_mov_b32_e32 v48, 0x7c89e6b0
	v_mov_b32_e32 v49, 0x3efa0199
	;; [unrolled: 3-line block ×8, first 2 shown]
	s_mov_b32 s6, 0
	v_fmac_f64_e32 v[48:49], v[28:29], v[50:51]
	s_mov_b32 s7, 0x40900000
	v_fma_f64 v[48:49], v[28:29], v[48:49], 1.0
	v_cmp_nlt_f64_e32 vcc, s[6:7], v[22:23]
	s_mov_b32 s6, 0
	v_fma_f64 v[28:29], v[28:29], v[48:49], 1.0
	v_cvt_i32_f64_e32 v26, v[26:27]
	s_mov_b32 s7, 0xc090cc00
	v_ldexp_f64 v[26:27], v[28:29], v26
	v_mov_b32_e32 v28, 0x7ff00000
	v_cmp_ngt_f64_e64 s[6:7], s[6:7], v[22:23]
	v_cndmask_b32_e32 v27, v28, v27, vcc
	s_and_b64 vcc, s[6:7], vcc
	v_cndmask_b32_e64 v23, 0, v27, s[6:7]
	v_cndmask_b32_e32 v22, 0, v26, vcc
	v_add_f64 v[26:27], v[22:23], 1.0
	v_add_f64 v[28:29], v[26:27], -1.0
	v_add_f64 v[48:49], v[28:29], -v[26:27]
	v_add_f64 v[48:49], v[48:49], 1.0
	v_add_f64 v[28:29], v[22:23], -v[28:29]
	s_mov_b32 s6, 0x55555555
	v_add_f64 v[28:29], v[28:29], v[48:49]
	v_frexp_mant_f64_e32 v[48:49], v[26:27]
	s_mov_b32 s7, 0x3fe55555
	v_frexp_exp_i32_f64_e32 v50, v[26:27]
	v_cmp_gt_f64_e32 vcc, s[6:7], v[48:49]
	v_subbrev_co_u32_e32 v64, vcc, 0, v50, vcc
	v_sub_u32_e32 v48, 0, v64
	v_ldexp_f64 v[26:27], v[26:27], v48
	v_ldexp_f64 v[28:29], v[28:29], v48
	v_add_f64 v[48:49], v[26:27], -1.0
	v_add_f64 v[54:55], v[26:27], 1.0
	v_add_f64 v[50:51], v[48:49], 1.0
	v_add_f64 v[56:57], v[54:55], -1.0
	v_add_f64 v[50:51], v[26:27], -v[50:51]
	v_add_f64 v[26:27], v[26:27], -v[56:57]
	v_add_f64 v[26:27], v[28:29], v[26:27]
	v_add_f64 v[50:51], v[28:29], v[50:51]
	v_add_f64 v[28:29], v[54:55], v[26:27]
	v_rcp_f64_e32 v[56:57], v[28:29]
	v_add_f64 v[52:53], v[48:49], v[50:51]
	v_add_f64 v[48:49], v[52:53], -v[48:49]
	v_add_f64 v[48:49], v[50:51], -v[48:49]
	;; [unrolled: 1-line block ×4, first 2 shown]
	v_fma_f64 v[50:51], -v[28:29], v[56:57], 1.0
	v_fmac_f64_e32 v[56:57], v[50:51], v[56:57]
	v_fma_f64 v[50:51], -v[28:29], v[56:57], 1.0
	v_fmac_f64_e32 v[56:57], v[50:51], v[56:57]
	v_mul_f64 v[50:51], v[52:53], v[56:57]
	v_mul_f64 v[54:55], v[28:29], v[50:51]
	v_fma_f64 v[58:59], v[50:51], v[28:29], -v[54:55]
	v_fmac_f64_e32 v[58:59], v[50:51], v[26:27]
	v_add_f64 v[60:61], v[54:55], v[58:59]
	v_add_f64 v[62:63], v[52:53], -v[60:61]
	v_add_f64 v[52:53], v[52:53], -v[62:63]
	;; [unrolled: 1-line block ×4, first 2 shown]
	v_add_f64 v[48:49], v[48:49], v[52:53]
	v_add_f64 v[52:53], v[54:55], -v[58:59]
	v_add_f64 v[48:49], v[52:53], v[48:49]
	v_add_f64 v[52:53], v[62:63], v[48:49]
	v_add_f64 v[54:55], v[62:63], -v[52:53]
	v_add_f64 v[48:49], v[48:49], v[54:55]
	v_mul_f64 v[54:55], v[56:57], v[52:53]
	v_mul_f64 v[58:59], v[28:29], v[54:55]
	v_fma_f64 v[28:29], v[54:55], v[28:29], -v[58:59]
	v_fmac_f64_e32 v[28:29], v[54:55], v[26:27]
	v_add_f64 v[26:27], v[58:59], v[28:29]
	v_add_f64 v[60:61], v[52:53], -v[26:27]
	v_add_f64 v[52:53], v[52:53], -v[60:61]
	;; [unrolled: 1-line block ×4, first 2 shown]
	v_add_f64 v[26:27], v[48:49], v[26:27]
	v_add_f64 v[28:29], v[58:59], -v[28:29]
	v_add_f64 v[26:27], v[28:29], v[26:27]
	v_add_f64 v[28:29], v[50:51], v[54:55]
	;; [unrolled: 1-line block ×3, first 2 shown]
	v_add_f64 v[48:49], v[28:29], -v[50:51]
	v_mul_f64 v[26:27], v[56:57], v[26:27]
	v_add_f64 v[48:49], v[54:55], -v[48:49]
	v_add_f64 v[26:27], v[48:49], v[26:27]
	v_add_f64 v[48:49], v[28:29], v[26:27]
	v_add_f64 v[28:29], v[48:49], -v[28:29]
	s_mov_b32 s6, 0xbf559e2b
	v_add_f64 v[26:27], v[26:27], -v[28:29]
	v_mul_f64 v[28:29], v[48:49], v[48:49]
	v_mov_b32_e32 v50, 0x6b47b09a
	v_mov_b32_e32 v51, 0x3fc38538
	s_mov_b32 s7, 0x3fc3ab76
	v_fmac_f64_e32 v[50:51], s[6:7], v[28:29]
	v_mov_b32_e32 v52, 0xd7f4df2e
	v_mov_b32_e32 v53, 0x3fc7474d
	v_fmac_f64_e32 v[52:53], v[28:29], v[50:51]
	v_mov_b32_e32 v50, 0x16291751
	v_mov_b32_e32 v51, 0x3fcc71c0
	;; [unrolled: 3-line block ×5, first 2 shown]
	v_fmac_f64_e32 v[52:53], v[28:29], v[50:51]
	v_cvt_f64_i32_e32 v[50:51], v64
	s_mov_b32 s23, 0x3fe62e42
	v_mul_f64 v[54:55], v[50:51], s[22:23]
	v_fma_f64 v[56:57], v[50:51], s[22:23], -v[54:55]
	s_mov_b32 s27, 0x3c7abc9e
	v_fmac_f64_e32 v[56:57], s[26:27], v[50:51]
	v_add_f64 v[50:51], v[54:55], v[56:57]
	v_add_f64 v[54:55], v[50:51], -v[54:55]
	v_mul_f64 v[28:29], v[48:49], v[28:29]
	v_add_f64 v[54:55], v[56:57], -v[54:55]
	v_ldexp_f64 v[56:57], v[48:49], 1
	v_mul_f64 v[28:29], v[28:29], v[52:53]
	v_add_f64 v[48:49], v[56:57], v[28:29]
	v_add_f64 v[52:53], v[48:49], -v[56:57]
	v_ldexp_f64 v[26:27], v[26:27], 1
	v_add_f64 v[28:29], v[28:29], -v[52:53]
	v_add_f64 v[26:27], v[26:27], v[28:29]
	v_add_f64 v[28:29], v[48:49], v[26:27]
	v_add_f64 v[48:49], v[28:29], -v[48:49]
	v_add_f64 v[26:27], v[26:27], -v[48:49]
	v_add_f64 v[48:49], v[50:51], v[28:29]
	v_add_f64 v[52:53], v[48:49], -v[50:51]
	v_add_f64 v[56:57], v[48:49], -v[52:53]
	;; [unrolled: 1-line block ×4, first 2 shown]
	v_add_f64 v[28:29], v[28:29], v[50:51]
	v_add_f64 v[50:51], v[54:55], v[26:27]
	v_add_f64 v[52:53], v[50:51], -v[54:55]
	v_add_f64 v[28:29], v[50:51], v[28:29]
	v_add_f64 v[56:57], v[50:51], -v[52:53]
	;; [unrolled: 2-line block ×3, first 2 shown]
	v_add_f64 v[26:27], v[26:27], -v[52:53]
	v_add_f64 v[48:49], v[50:51], -v[48:49]
	v_add_f64 v[26:27], v[26:27], v[54:55]
	v_add_f64 v[28:29], v[28:29], -v[48:49]
	s_mov_b32 s6, 0
	v_add_f64 v[26:27], v[26:27], v[28:29]
	s_mov_b32 s7, 0x7ff00000
	v_add_f64 v[26:27], v[50:51], v[26:27]
	v_cmp_eq_f64_e32 vcc, s[6:7], v[22:23]
	v_cndmask_b32_e32 v26, v26, v22, vcc
	v_cndmask_b32_e32 v27, v27, v23, vcc
	v_mov_b32_e32 v28, 0x7ff80000
	v_cmp_ngt_f64_e32 vcc, -1.0, v[22:23]
	v_cndmask_b32_e32 v27, v28, v27, vcc
	v_cmp_nge_f64_e32 vcc, -1.0, v[22:23]
	v_cndmask_b32_e32 v26, 0, v26, vcc
	v_mov_b32_e32 v28, 0xfff00000
	v_cmp_neq_f64_e32 vcc, -1.0, v[22:23]
	v_cndmask_b32_e32 v27, v28, v27, vcc
	v_add_f64 v[22:23], v[24:25], v[26:27]
.LBB3_156:
	s_or_b64 exec, exec, s[20:21]
	v_max_f64 v[24:25], v[22:23], v[22:23]
	v_min_f64 v[26:27], v[24:25], v[42:43]
	v_cmp_u_f64_e32 vcc, v[22:23], v[22:23]
	v_max_f64 v[24:25], v[24:25], v[42:43]
	v_cndmask_b32_e32 v26, v26, v22, vcc
	v_cndmask_b32_e32 v27, v27, v23, vcc
	v_cndmask_b32_e32 v24, v24, v22, vcc
	v_cndmask_b32_e32 v25, v25, v23, vcc
	v_cndmask_b32_e64 v29, v27, v5, s[0:1]
	v_cndmask_b32_e64 v28, v26, v4, s[0:1]
	;; [unrolled: 1-line block ×4, first 2 shown]
	v_cmp_neq_f64_e32 vcc, v[28:29], v[26:27]
	v_cmp_class_f64_e64 s[0:1], v[28:29], s36
	s_or_b64 s[0:1], vcc, s[0:1]
	v_pk_mov_b32 v[24:25], v[22:23], v[22:23] op_sel:[0,1]
	s_and_saveexec_b64 s[6:7], s[0:1]
	s_cbranch_execz .LBB3_158
; %bb.157:
	s_mov_b32 s0, 0x652b82fe
	v_add_f64 v[24:25], v[28:29], -v[26:27]
	s_mov_b32 s1, 0x3ff71547
	v_mul_f64 v[28:29], v[24:25], s[0:1]
	v_rndne_f64_e32 v[28:29], v[28:29]
	s_mov_b32 s21, 0xbfe62e42
	s_mov_b32 s20, 0xfefa39ef
	v_fma_f64 v[48:49], s[20:21], v[28:29], v[24:25]
	s_mov_b32 s23, 0xbc7abc9e
	s_mov_b32 s22, 0x3b39803f
	;; [unrolled: 1-line block ×3, first 2 shown]
	v_fmac_f64_e32 v[48:49], s[22:23], v[28:29]
	v_mov_b32_e32 v50, 0xfca7ab0c
	v_mov_b32_e32 v51, 0x3e928af3
	s_mov_b32 s1, 0x3e5ade15
	v_fmac_f64_e32 v[50:51], s[0:1], v[48:49]
	v_mov_b32_e32 v52, 0x623fde64
	v_mov_b32_e32 v53, 0x3ec71dee
	v_fmac_f64_e32 v[52:53], v[48:49], v[50:51]
	v_mov_b32_e32 v50, 0x7c89e6b0
	v_mov_b32_e32 v51, 0x3efa0199
	;; [unrolled: 3-line block ×8, first 2 shown]
	s_mov_b32 s0, 0
	v_fmac_f64_e32 v[50:51], v[48:49], v[52:53]
	s_mov_b32 s1, 0x40900000
	v_fma_f64 v[50:51], v[48:49], v[50:51], 1.0
	v_cmp_nlt_f64_e32 vcc, s[0:1], v[24:25]
	s_mov_b32 s0, 0
	v_fma_f64 v[48:49], v[48:49], v[50:51], 1.0
	v_cvt_i32_f64_e32 v28, v[28:29]
	s_mov_b32 s1, 0xc090cc00
	v_ldexp_f64 v[28:29], v[48:49], v28
	v_mov_b32_e32 v48, 0x7ff00000
	v_cmp_ngt_f64_e64 s[0:1], s[0:1], v[24:25]
	v_cndmask_b32_e32 v29, v48, v29, vcc
	s_and_b64 vcc, s[0:1], vcc
	v_cndmask_b32_e64 v25, 0, v29, s[0:1]
	v_cndmask_b32_e32 v24, 0, v28, vcc
	v_add_f64 v[28:29], v[24:25], 1.0
	v_add_f64 v[48:49], v[28:29], -1.0
	v_add_f64 v[50:51], v[48:49], -v[28:29]
	v_add_f64 v[50:51], v[50:51], 1.0
	v_add_f64 v[48:49], v[24:25], -v[48:49]
	s_mov_b32 s0, 0x55555555
	v_add_f64 v[48:49], v[48:49], v[50:51]
	v_frexp_mant_f64_e32 v[50:51], v[28:29]
	s_mov_b32 s1, 0x3fe55555
	v_frexp_exp_i32_f64_e32 v52, v[28:29]
	v_cmp_gt_f64_e32 vcc, s[0:1], v[50:51]
	v_subbrev_co_u32_e32 v66, vcc, 0, v52, vcc
	v_sub_u32_e32 v50, 0, v66
	v_ldexp_f64 v[28:29], v[28:29], v50
	v_ldexp_f64 v[48:49], v[48:49], v50
	v_add_f64 v[50:51], v[28:29], -1.0
	v_add_f64 v[56:57], v[28:29], 1.0
	v_add_f64 v[52:53], v[50:51], 1.0
	v_add_f64 v[58:59], v[56:57], -1.0
	v_add_f64 v[52:53], v[28:29], -v[52:53]
	v_add_f64 v[28:29], v[28:29], -v[58:59]
	v_add_f64 v[28:29], v[48:49], v[28:29]
	v_add_f64 v[52:53], v[48:49], v[52:53]
	;; [unrolled: 1-line block ×3, first 2 shown]
	v_rcp_f64_e32 v[58:59], v[48:49]
	v_add_f64 v[54:55], v[50:51], v[52:53]
	v_add_f64 v[50:51], v[54:55], -v[50:51]
	v_add_f64 v[50:51], v[52:53], -v[50:51]
	;; [unrolled: 1-line block ×4, first 2 shown]
	v_fma_f64 v[52:53], -v[48:49], v[58:59], 1.0
	v_fmac_f64_e32 v[58:59], v[52:53], v[58:59]
	v_fma_f64 v[52:53], -v[48:49], v[58:59], 1.0
	v_fmac_f64_e32 v[58:59], v[52:53], v[58:59]
	v_mul_f64 v[52:53], v[54:55], v[58:59]
	v_mul_f64 v[56:57], v[48:49], v[52:53]
	v_fma_f64 v[60:61], v[52:53], v[48:49], -v[56:57]
	v_fmac_f64_e32 v[60:61], v[52:53], v[28:29]
	v_add_f64 v[62:63], v[56:57], v[60:61]
	v_add_f64 v[64:65], v[54:55], -v[62:63]
	v_add_f64 v[54:55], v[54:55], -v[64:65]
	;; [unrolled: 1-line block ×4, first 2 shown]
	v_add_f64 v[50:51], v[50:51], v[54:55]
	v_add_f64 v[54:55], v[56:57], -v[60:61]
	v_add_f64 v[50:51], v[54:55], v[50:51]
	v_add_f64 v[54:55], v[64:65], v[50:51]
	v_add_f64 v[56:57], v[64:65], -v[54:55]
	v_add_f64 v[50:51], v[50:51], v[56:57]
	v_mul_f64 v[56:57], v[58:59], v[54:55]
	v_mul_f64 v[60:61], v[48:49], v[56:57]
	v_fma_f64 v[48:49], v[56:57], v[48:49], -v[60:61]
	v_fmac_f64_e32 v[48:49], v[56:57], v[28:29]
	v_add_f64 v[28:29], v[60:61], v[48:49]
	v_add_f64 v[62:63], v[54:55], -v[28:29]
	v_add_f64 v[54:55], v[54:55], -v[62:63]
	;; [unrolled: 1-line block ×4, first 2 shown]
	v_add_f64 v[28:29], v[50:51], v[28:29]
	v_add_f64 v[48:49], v[60:61], -v[48:49]
	v_add_f64 v[28:29], v[48:49], v[28:29]
	v_add_f64 v[48:49], v[52:53], v[56:57]
	v_add_f64 v[28:29], v[62:63], v[28:29]
	v_add_f64 v[50:51], v[48:49], -v[52:53]
	v_mul_f64 v[28:29], v[58:59], v[28:29]
	v_add_f64 v[50:51], v[56:57], -v[50:51]
	v_add_f64 v[28:29], v[50:51], v[28:29]
	v_add_f64 v[50:51], v[48:49], v[28:29]
	v_add_f64 v[48:49], v[50:51], -v[48:49]
	s_mov_b32 s0, 0xbf559e2b
	v_add_f64 v[28:29], v[28:29], -v[48:49]
	v_mul_f64 v[48:49], v[50:51], v[50:51]
	v_mov_b32_e32 v52, 0x6b47b09a
	v_mov_b32_e32 v53, 0x3fc38538
	s_mov_b32 s1, 0x3fc3ab76
	v_fmac_f64_e32 v[52:53], s[0:1], v[48:49]
	v_mov_b32_e32 v54, 0xd7f4df2e
	v_mov_b32_e32 v55, 0x3fc7474d
	v_fmac_f64_e32 v[54:55], v[48:49], v[52:53]
	v_mov_b32_e32 v52, 0x16291751
	v_mov_b32_e32 v53, 0x3fcc71c0
	v_fmac_f64_e32 v[52:53], v[48:49], v[54:55]
	v_mov_b32_e32 v54, 0x9b27acf1
	v_mov_b32_e32 v55, 0x3fd24924
	v_fmac_f64_e32 v[54:55], v[48:49], v[52:53]
	v_mov_b32_e32 v52, 0x998ef7b6
	v_mov_b32_e32 v53, 0x3fd99999
	v_fmac_f64_e32 v[52:53], v[48:49], v[54:55]
	v_mov_b32_e32 v54, 0x55555780
	v_mov_b32_e32 v55, 0x3fe55555
	v_fmac_f64_e32 v[54:55], v[48:49], v[52:53]
	v_cvt_f64_i32_e32 v[52:53], v66
	s_mov_b32 s21, 0x3fe62e42
	v_mul_f64 v[56:57], v[52:53], s[20:21]
	v_fma_f64 v[58:59], v[52:53], s[20:21], -v[56:57]
	s_mov_b32 s23, 0x3c7abc9e
	v_fmac_f64_e32 v[58:59], s[22:23], v[52:53]
	v_add_f64 v[52:53], v[56:57], v[58:59]
	v_add_f64 v[56:57], v[52:53], -v[56:57]
	v_mul_f64 v[48:49], v[50:51], v[48:49]
	v_add_f64 v[56:57], v[58:59], -v[56:57]
	v_ldexp_f64 v[58:59], v[50:51], 1
	v_mul_f64 v[48:49], v[48:49], v[54:55]
	v_add_f64 v[50:51], v[58:59], v[48:49]
	v_add_f64 v[54:55], v[50:51], -v[58:59]
	v_ldexp_f64 v[28:29], v[28:29], 1
	v_add_f64 v[48:49], v[48:49], -v[54:55]
	v_add_f64 v[28:29], v[28:29], v[48:49]
	v_add_f64 v[48:49], v[50:51], v[28:29]
	v_add_f64 v[50:51], v[48:49], -v[50:51]
	v_add_f64 v[28:29], v[28:29], -v[50:51]
	v_add_f64 v[50:51], v[52:53], v[48:49]
	v_add_f64 v[54:55], v[50:51], -v[52:53]
	v_add_f64 v[58:59], v[50:51], -v[54:55]
	;; [unrolled: 1-line block ×4, first 2 shown]
	v_add_f64 v[48:49], v[48:49], v[52:53]
	v_add_f64 v[52:53], v[56:57], v[28:29]
	v_add_f64 v[54:55], v[52:53], -v[56:57]
	v_add_f64 v[48:49], v[52:53], v[48:49]
	v_add_f64 v[58:59], v[52:53], -v[54:55]
	;; [unrolled: 2-line block ×3, first 2 shown]
	v_add_f64 v[28:29], v[28:29], -v[54:55]
	v_add_f64 v[50:51], v[52:53], -v[50:51]
	v_add_f64 v[28:29], v[28:29], v[56:57]
	v_add_f64 v[48:49], v[48:49], -v[50:51]
	s_mov_b32 s0, 0
	v_add_f64 v[28:29], v[28:29], v[48:49]
	s_mov_b32 s1, 0x7ff00000
	v_add_f64 v[28:29], v[52:53], v[28:29]
	v_cmp_eq_f64_e32 vcc, s[0:1], v[24:25]
	v_cndmask_b32_e32 v28, v28, v24, vcc
	v_cndmask_b32_e32 v29, v29, v25, vcc
	v_mov_b32_e32 v48, 0x7ff80000
	v_cmp_ngt_f64_e32 vcc, -1.0, v[24:25]
	v_cndmask_b32_e32 v29, v48, v29, vcc
	v_cmp_nge_f64_e32 vcc, -1.0, v[24:25]
	v_cndmask_b32_e32 v28, 0, v28, vcc
	v_mov_b32_e32 v48, 0xfff00000
	v_cmp_neq_f64_e32 vcc, -1.0, v[24:25]
	v_cndmask_b32_e32 v29, v48, v29, vcc
	v_add_f64 v[24:25], v[26:27], v[28:29]
.LBB3_158:
	s_or_b64 exec, exec, s[6:7]
	v_max_f64 v[26:27], v[24:25], v[24:25]
	v_min_f64 v[28:29], v[26:27], v[30:31]
	v_cmp_u_f64_e32 vcc, v[24:25], v[24:25]
	v_max_f64 v[26:27], v[26:27], v[30:31]
	v_cndmask_b32_e32 v28, v28, v24, vcc
	v_cndmask_b32_e32 v29, v29, v25, vcc
	;; [unrolled: 1-line block ×4, first 2 shown]
	v_cndmask_b32_e64 v49, v29, v19, s[2:3]
	v_cndmask_b32_e64 v48, v28, v18, s[2:3]
	;; [unrolled: 1-line block ×4, first 2 shown]
	s_movk_i32 s22, 0x1f8
	v_cmp_neq_f64_e32 vcc, v[48:49], v[28:29]
	v_cmp_class_f64_e64 s[0:1], v[48:49], s22
	s_or_b64 s[0:1], vcc, s[0:1]
	v_pk_mov_b32 v[26:27], v[24:25], v[24:25] op_sel:[0,1]
	s_and_saveexec_b64 s[2:3], s[0:1]
	s_cbranch_execz .LBB3_160
; %bb.159:
	s_mov_b32 s0, 0x652b82fe
	v_add_f64 v[26:27], v[48:49], -v[28:29]
	s_mov_b32 s1, 0x3ff71547
	v_mul_f64 v[30:31], v[26:27], s[0:1]
	v_rndne_f64_e32 v[30:31], v[30:31]
	s_mov_b32 s7, 0xbfe62e42
	s_mov_b32 s6, 0xfefa39ef
	v_fma_f64 v[48:49], s[6:7], v[30:31], v[26:27]
	s_mov_b32 s21, 0xbc7abc9e
	s_mov_b32 s20, 0x3b39803f
	;; [unrolled: 1-line block ×3, first 2 shown]
	v_fmac_f64_e32 v[48:49], s[20:21], v[30:31]
	v_mov_b32_e32 v50, 0xfca7ab0c
	v_mov_b32_e32 v51, 0x3e928af3
	s_mov_b32 s1, 0x3e5ade15
	v_fmac_f64_e32 v[50:51], s[0:1], v[48:49]
	v_mov_b32_e32 v52, 0x623fde64
	v_mov_b32_e32 v53, 0x3ec71dee
	v_fmac_f64_e32 v[52:53], v[48:49], v[50:51]
	v_mov_b32_e32 v50, 0x7c89e6b0
	v_mov_b32_e32 v51, 0x3efa0199
	;; [unrolled: 3-line block ×8, first 2 shown]
	s_mov_b32 s0, 0
	v_fmac_f64_e32 v[50:51], v[48:49], v[52:53]
	s_mov_b32 s1, 0x40900000
	v_fma_f64 v[50:51], v[48:49], v[50:51], 1.0
	v_cmp_nlt_f64_e32 vcc, s[0:1], v[26:27]
	s_mov_b32 s0, 0
	v_fma_f64 v[48:49], v[48:49], v[50:51], 1.0
	v_cvt_i32_f64_e32 v30, v[30:31]
	s_mov_b32 s1, 0xc090cc00
	v_ldexp_f64 v[30:31], v[48:49], v30
	v_mov_b32_e32 v48, 0x7ff00000
	v_cmp_ngt_f64_e64 s[0:1], s[0:1], v[26:27]
	v_cndmask_b32_e32 v31, v48, v31, vcc
	s_and_b64 vcc, s[0:1], vcc
	v_cndmask_b32_e64 v27, 0, v31, s[0:1]
	v_cndmask_b32_e32 v26, 0, v30, vcc
	v_add_f64 v[30:31], v[26:27], 1.0
	v_add_f64 v[48:49], v[30:31], -1.0
	v_add_f64 v[50:51], v[48:49], -v[30:31]
	v_add_f64 v[50:51], v[50:51], 1.0
	v_add_f64 v[48:49], v[26:27], -v[48:49]
	s_mov_b32 s0, 0x55555555
	v_add_f64 v[48:49], v[48:49], v[50:51]
	v_frexp_mant_f64_e32 v[50:51], v[30:31]
	s_mov_b32 s1, 0x3fe55555
	v_frexp_exp_i32_f64_e32 v52, v[30:31]
	v_cmp_gt_f64_e32 vcc, s[0:1], v[50:51]
	v_subbrev_co_u32_e32 v66, vcc, 0, v52, vcc
	v_sub_u32_e32 v50, 0, v66
	v_ldexp_f64 v[30:31], v[30:31], v50
	v_ldexp_f64 v[48:49], v[48:49], v50
	v_add_f64 v[50:51], v[30:31], -1.0
	v_add_f64 v[56:57], v[30:31], 1.0
	v_add_f64 v[52:53], v[50:51], 1.0
	v_add_f64 v[58:59], v[56:57], -1.0
	v_add_f64 v[52:53], v[30:31], -v[52:53]
	v_add_f64 v[30:31], v[30:31], -v[58:59]
	v_add_f64 v[30:31], v[48:49], v[30:31]
	v_add_f64 v[52:53], v[48:49], v[52:53]
	;; [unrolled: 1-line block ×3, first 2 shown]
	v_rcp_f64_e32 v[58:59], v[48:49]
	v_add_f64 v[54:55], v[50:51], v[52:53]
	v_add_f64 v[50:51], v[54:55], -v[50:51]
	v_add_f64 v[50:51], v[52:53], -v[50:51]
	;; [unrolled: 1-line block ×4, first 2 shown]
	v_fma_f64 v[52:53], -v[48:49], v[58:59], 1.0
	v_fmac_f64_e32 v[58:59], v[52:53], v[58:59]
	v_fma_f64 v[52:53], -v[48:49], v[58:59], 1.0
	v_fmac_f64_e32 v[58:59], v[52:53], v[58:59]
	v_mul_f64 v[52:53], v[54:55], v[58:59]
	v_mul_f64 v[56:57], v[48:49], v[52:53]
	v_fma_f64 v[60:61], v[52:53], v[48:49], -v[56:57]
	v_fmac_f64_e32 v[60:61], v[52:53], v[30:31]
	v_add_f64 v[62:63], v[56:57], v[60:61]
	v_add_f64 v[64:65], v[54:55], -v[62:63]
	v_add_f64 v[54:55], v[54:55], -v[64:65]
	v_add_f64 v[56:57], v[62:63], -v[56:57]
	v_add_f64 v[54:55], v[54:55], -v[62:63]
	v_add_f64 v[50:51], v[50:51], v[54:55]
	v_add_f64 v[54:55], v[56:57], -v[60:61]
	v_add_f64 v[50:51], v[54:55], v[50:51]
	v_add_f64 v[54:55], v[64:65], v[50:51]
	v_add_f64 v[56:57], v[64:65], -v[54:55]
	v_add_f64 v[50:51], v[50:51], v[56:57]
	v_mul_f64 v[56:57], v[58:59], v[54:55]
	v_mul_f64 v[60:61], v[48:49], v[56:57]
	v_fma_f64 v[48:49], v[56:57], v[48:49], -v[60:61]
	v_fmac_f64_e32 v[48:49], v[56:57], v[30:31]
	v_add_f64 v[30:31], v[60:61], v[48:49]
	v_add_f64 v[62:63], v[54:55], -v[30:31]
	v_add_f64 v[54:55], v[54:55], -v[62:63]
	;; [unrolled: 1-line block ×4, first 2 shown]
	v_add_f64 v[30:31], v[50:51], v[30:31]
	v_add_f64 v[48:49], v[60:61], -v[48:49]
	v_add_f64 v[30:31], v[48:49], v[30:31]
	v_add_f64 v[48:49], v[52:53], v[56:57]
	v_add_f64 v[30:31], v[62:63], v[30:31]
	v_add_f64 v[50:51], v[48:49], -v[52:53]
	v_mul_f64 v[30:31], v[58:59], v[30:31]
	v_add_f64 v[50:51], v[56:57], -v[50:51]
	v_add_f64 v[30:31], v[50:51], v[30:31]
	v_add_f64 v[50:51], v[48:49], v[30:31]
	v_add_f64 v[48:49], v[50:51], -v[48:49]
	s_mov_b32 s0, 0xbf559e2b
	v_add_f64 v[30:31], v[30:31], -v[48:49]
	v_mul_f64 v[48:49], v[50:51], v[50:51]
	v_mov_b32_e32 v52, 0x6b47b09a
	v_mov_b32_e32 v53, 0x3fc38538
	s_mov_b32 s1, 0x3fc3ab76
	v_fmac_f64_e32 v[52:53], s[0:1], v[48:49]
	v_mov_b32_e32 v54, 0xd7f4df2e
	v_mov_b32_e32 v55, 0x3fc7474d
	v_fmac_f64_e32 v[54:55], v[48:49], v[52:53]
	v_mov_b32_e32 v52, 0x16291751
	v_mov_b32_e32 v53, 0x3fcc71c0
	;; [unrolled: 3-line block ×5, first 2 shown]
	v_fmac_f64_e32 v[54:55], v[48:49], v[52:53]
	v_cvt_f64_i32_e32 v[52:53], v66
	s_mov_b32 s7, 0x3fe62e42
	v_mul_f64 v[56:57], v[52:53], s[6:7]
	v_fma_f64 v[58:59], v[52:53], s[6:7], -v[56:57]
	s_mov_b32 s21, 0x3c7abc9e
	v_fmac_f64_e32 v[58:59], s[20:21], v[52:53]
	v_add_f64 v[52:53], v[56:57], v[58:59]
	v_add_f64 v[56:57], v[52:53], -v[56:57]
	v_mul_f64 v[48:49], v[50:51], v[48:49]
	v_add_f64 v[56:57], v[58:59], -v[56:57]
	v_ldexp_f64 v[58:59], v[50:51], 1
	v_mul_f64 v[48:49], v[48:49], v[54:55]
	v_add_f64 v[50:51], v[58:59], v[48:49]
	v_add_f64 v[54:55], v[50:51], -v[58:59]
	v_ldexp_f64 v[30:31], v[30:31], 1
	v_add_f64 v[48:49], v[48:49], -v[54:55]
	v_add_f64 v[30:31], v[30:31], v[48:49]
	v_add_f64 v[48:49], v[50:51], v[30:31]
	v_add_f64 v[50:51], v[48:49], -v[50:51]
	v_add_f64 v[30:31], v[30:31], -v[50:51]
	v_add_f64 v[50:51], v[52:53], v[48:49]
	v_add_f64 v[54:55], v[50:51], -v[52:53]
	v_add_f64 v[58:59], v[50:51], -v[54:55]
	;; [unrolled: 1-line block ×4, first 2 shown]
	v_add_f64 v[48:49], v[48:49], v[52:53]
	v_add_f64 v[52:53], v[56:57], v[30:31]
	v_add_f64 v[54:55], v[52:53], -v[56:57]
	v_add_f64 v[48:49], v[52:53], v[48:49]
	v_add_f64 v[58:59], v[52:53], -v[54:55]
	;; [unrolled: 2-line block ×3, first 2 shown]
	v_add_f64 v[30:31], v[30:31], -v[54:55]
	v_add_f64 v[50:51], v[52:53], -v[50:51]
	v_add_f64 v[30:31], v[30:31], v[56:57]
	v_add_f64 v[48:49], v[48:49], -v[50:51]
	s_mov_b32 s0, 0
	v_add_f64 v[30:31], v[30:31], v[48:49]
	s_mov_b32 s1, 0x7ff00000
	v_add_f64 v[30:31], v[52:53], v[30:31]
	v_cmp_eq_f64_e32 vcc, s[0:1], v[26:27]
	v_cndmask_b32_e32 v30, v30, v26, vcc
	v_cndmask_b32_e32 v31, v31, v27, vcc
	v_mov_b32_e32 v48, 0x7ff80000
	v_cmp_ngt_f64_e32 vcc, -1.0, v[26:27]
	v_cndmask_b32_e32 v31, v48, v31, vcc
	v_cmp_nge_f64_e32 vcc, -1.0, v[26:27]
	v_cndmask_b32_e32 v30, 0, v30, vcc
	v_mov_b32_e32 v48, 0xfff00000
	v_cmp_neq_f64_e32 vcc, -1.0, v[26:27]
	v_cndmask_b32_e32 v31, v48, v31, vcc
	v_add_f64 v[26:27], v[28:29], v[30:31]
.LBB3_160:
	s_or_b64 exec, exec, s[2:3]
	v_max_f64 v[28:29], v[26:27], v[26:27]
	v_min_f64 v[30:31], v[28:29], v[32:33]
	v_cmp_u_f64_e32 vcc, v[26:27], v[26:27]
	v_max_f64 v[28:29], v[28:29], v[32:33]
	v_cndmask_b32_e32 v30, v30, v26, vcc
	v_cndmask_b32_e32 v31, v31, v27, vcc
	;; [unrolled: 1-line block ×4, first 2 shown]
	v_cndmask_b32_e64 v49, v31, v21, s[24:25]
	v_cndmask_b32_e64 v48, v30, v20, s[24:25]
	;; [unrolled: 1-line block ×4, first 2 shown]
	v_cmp_neq_f64_e32 vcc, v[48:49], v[30:31]
	v_cmp_class_f64_e64 s[0:1], v[48:49], s22
	s_or_b64 s[0:1], vcc, s[0:1]
	v_pk_mov_b32 v[28:29], v[26:27], v[26:27] op_sel:[0,1]
	s_and_saveexec_b64 s[2:3], s[0:1]
	s_cbranch_execz .LBB3_162
; %bb.161:
	s_mov_b32 s0, 0x652b82fe
	v_add_f64 v[28:29], v[48:49], -v[30:31]
	s_mov_b32 s1, 0x3ff71547
	v_mul_f64 v[32:33], v[28:29], s[0:1]
	v_rndne_f64_e32 v[32:33], v[32:33]
	s_mov_b32 s7, 0xbfe62e42
	s_mov_b32 s6, 0xfefa39ef
	v_fma_f64 v[48:49], s[6:7], v[32:33], v[28:29]
	s_mov_b32 s21, 0xbc7abc9e
	s_mov_b32 s20, 0x3b39803f
	;; [unrolled: 1-line block ×3, first 2 shown]
	v_fmac_f64_e32 v[48:49], s[20:21], v[32:33]
	v_mov_b32_e32 v50, 0xfca7ab0c
	v_mov_b32_e32 v51, 0x3e928af3
	s_mov_b32 s1, 0x3e5ade15
	v_fmac_f64_e32 v[50:51], s[0:1], v[48:49]
	v_mov_b32_e32 v52, 0x623fde64
	v_mov_b32_e32 v53, 0x3ec71dee
	v_fmac_f64_e32 v[52:53], v[48:49], v[50:51]
	v_mov_b32_e32 v50, 0x7c89e6b0
	v_mov_b32_e32 v51, 0x3efa0199
	;; [unrolled: 3-line block ×8, first 2 shown]
	s_mov_b32 s0, 0
	v_fmac_f64_e32 v[50:51], v[48:49], v[52:53]
	s_mov_b32 s1, 0x40900000
	v_fma_f64 v[50:51], v[48:49], v[50:51], 1.0
	v_cmp_nlt_f64_e32 vcc, s[0:1], v[28:29]
	s_mov_b32 s0, 0
	v_fma_f64 v[48:49], v[48:49], v[50:51], 1.0
	v_cvt_i32_f64_e32 v32, v[32:33]
	s_mov_b32 s1, 0xc090cc00
	v_ldexp_f64 v[32:33], v[48:49], v32
	v_mov_b32_e32 v48, 0x7ff00000
	v_cmp_ngt_f64_e64 s[0:1], s[0:1], v[28:29]
	v_cndmask_b32_e32 v33, v48, v33, vcc
	s_and_b64 vcc, s[0:1], vcc
	v_cndmask_b32_e64 v29, 0, v33, s[0:1]
	v_cndmask_b32_e32 v28, 0, v32, vcc
	v_add_f64 v[32:33], v[28:29], 1.0
	v_add_f64 v[48:49], v[32:33], -1.0
	v_add_f64 v[50:51], v[48:49], -v[32:33]
	v_add_f64 v[50:51], v[50:51], 1.0
	v_add_f64 v[48:49], v[28:29], -v[48:49]
	s_mov_b32 s0, 0x55555555
	v_add_f64 v[48:49], v[48:49], v[50:51]
	v_frexp_mant_f64_e32 v[50:51], v[32:33]
	s_mov_b32 s1, 0x3fe55555
	v_frexp_exp_i32_f64_e32 v52, v[32:33]
	v_cmp_gt_f64_e32 vcc, s[0:1], v[50:51]
	v_subbrev_co_u32_e32 v66, vcc, 0, v52, vcc
	v_sub_u32_e32 v50, 0, v66
	v_ldexp_f64 v[32:33], v[32:33], v50
	v_ldexp_f64 v[48:49], v[48:49], v50
	v_add_f64 v[50:51], v[32:33], -1.0
	v_add_f64 v[56:57], v[32:33], 1.0
	v_add_f64 v[52:53], v[50:51], 1.0
	v_add_f64 v[58:59], v[56:57], -1.0
	v_add_f64 v[52:53], v[32:33], -v[52:53]
	v_add_f64 v[32:33], v[32:33], -v[58:59]
	v_add_f64 v[32:33], v[48:49], v[32:33]
	v_add_f64 v[52:53], v[48:49], v[52:53]
	;; [unrolled: 1-line block ×3, first 2 shown]
	v_rcp_f64_e32 v[58:59], v[48:49]
	v_add_f64 v[54:55], v[50:51], v[52:53]
	v_add_f64 v[50:51], v[54:55], -v[50:51]
	v_add_f64 v[50:51], v[52:53], -v[50:51]
	v_add_f64 v[52:53], v[48:49], -v[56:57]
	v_add_f64 v[32:33], v[32:33], -v[52:53]
	v_fma_f64 v[52:53], -v[48:49], v[58:59], 1.0
	v_fmac_f64_e32 v[58:59], v[52:53], v[58:59]
	v_fma_f64 v[52:53], -v[48:49], v[58:59], 1.0
	v_fmac_f64_e32 v[58:59], v[52:53], v[58:59]
	v_mul_f64 v[52:53], v[54:55], v[58:59]
	v_mul_f64 v[56:57], v[48:49], v[52:53]
	v_fma_f64 v[60:61], v[52:53], v[48:49], -v[56:57]
	v_fmac_f64_e32 v[60:61], v[52:53], v[32:33]
	v_add_f64 v[62:63], v[56:57], v[60:61]
	v_add_f64 v[64:65], v[54:55], -v[62:63]
	v_add_f64 v[54:55], v[54:55], -v[64:65]
	;; [unrolled: 1-line block ×4, first 2 shown]
	v_add_f64 v[50:51], v[50:51], v[54:55]
	v_add_f64 v[54:55], v[56:57], -v[60:61]
	v_add_f64 v[50:51], v[54:55], v[50:51]
	v_add_f64 v[54:55], v[64:65], v[50:51]
	v_add_f64 v[56:57], v[64:65], -v[54:55]
	v_add_f64 v[50:51], v[50:51], v[56:57]
	v_mul_f64 v[56:57], v[58:59], v[54:55]
	v_mul_f64 v[60:61], v[48:49], v[56:57]
	v_fma_f64 v[48:49], v[56:57], v[48:49], -v[60:61]
	v_fmac_f64_e32 v[48:49], v[56:57], v[32:33]
	v_add_f64 v[32:33], v[60:61], v[48:49]
	v_add_f64 v[62:63], v[54:55], -v[32:33]
	v_add_f64 v[54:55], v[54:55], -v[62:63]
	;; [unrolled: 1-line block ×4, first 2 shown]
	v_add_f64 v[32:33], v[50:51], v[32:33]
	v_add_f64 v[48:49], v[60:61], -v[48:49]
	v_add_f64 v[32:33], v[48:49], v[32:33]
	v_add_f64 v[48:49], v[52:53], v[56:57]
	;; [unrolled: 1-line block ×3, first 2 shown]
	v_add_f64 v[50:51], v[48:49], -v[52:53]
	v_mul_f64 v[32:33], v[58:59], v[32:33]
	v_add_f64 v[50:51], v[56:57], -v[50:51]
	v_add_f64 v[32:33], v[50:51], v[32:33]
	v_add_f64 v[50:51], v[48:49], v[32:33]
	v_add_f64 v[48:49], v[50:51], -v[48:49]
	s_mov_b32 s0, 0xbf559e2b
	v_add_f64 v[32:33], v[32:33], -v[48:49]
	v_mul_f64 v[48:49], v[50:51], v[50:51]
	v_mov_b32_e32 v52, 0x6b47b09a
	v_mov_b32_e32 v53, 0x3fc38538
	s_mov_b32 s1, 0x3fc3ab76
	v_fmac_f64_e32 v[52:53], s[0:1], v[48:49]
	v_mov_b32_e32 v54, 0xd7f4df2e
	v_mov_b32_e32 v55, 0x3fc7474d
	v_fmac_f64_e32 v[54:55], v[48:49], v[52:53]
	v_mov_b32_e32 v52, 0x16291751
	v_mov_b32_e32 v53, 0x3fcc71c0
	;; [unrolled: 3-line block ×5, first 2 shown]
	v_fmac_f64_e32 v[54:55], v[48:49], v[52:53]
	v_cvt_f64_i32_e32 v[52:53], v66
	s_mov_b32 s7, 0x3fe62e42
	v_mul_f64 v[56:57], v[52:53], s[6:7]
	v_fma_f64 v[58:59], v[52:53], s[6:7], -v[56:57]
	s_mov_b32 s21, 0x3c7abc9e
	v_fmac_f64_e32 v[58:59], s[20:21], v[52:53]
	v_add_f64 v[52:53], v[56:57], v[58:59]
	v_add_f64 v[56:57], v[52:53], -v[56:57]
	v_mul_f64 v[48:49], v[50:51], v[48:49]
	v_add_f64 v[56:57], v[58:59], -v[56:57]
	v_ldexp_f64 v[58:59], v[50:51], 1
	v_mul_f64 v[48:49], v[48:49], v[54:55]
	v_add_f64 v[50:51], v[58:59], v[48:49]
	v_add_f64 v[54:55], v[50:51], -v[58:59]
	v_ldexp_f64 v[32:33], v[32:33], 1
	v_add_f64 v[48:49], v[48:49], -v[54:55]
	v_add_f64 v[32:33], v[32:33], v[48:49]
	v_add_f64 v[48:49], v[50:51], v[32:33]
	v_add_f64 v[50:51], v[48:49], -v[50:51]
	v_add_f64 v[32:33], v[32:33], -v[50:51]
	v_add_f64 v[50:51], v[52:53], v[48:49]
	v_add_f64 v[54:55], v[50:51], -v[52:53]
	v_add_f64 v[58:59], v[50:51], -v[54:55]
	;; [unrolled: 1-line block ×4, first 2 shown]
	v_add_f64 v[48:49], v[48:49], v[52:53]
	v_add_f64 v[52:53], v[56:57], v[32:33]
	v_add_f64 v[54:55], v[52:53], -v[56:57]
	v_add_f64 v[48:49], v[52:53], v[48:49]
	v_add_f64 v[58:59], v[52:53], -v[54:55]
	;; [unrolled: 2-line block ×3, first 2 shown]
	v_add_f64 v[32:33], v[32:33], -v[54:55]
	v_add_f64 v[50:51], v[52:53], -v[50:51]
	v_add_f64 v[32:33], v[32:33], v[56:57]
	v_add_f64 v[48:49], v[48:49], -v[50:51]
	s_mov_b32 s0, 0
	v_add_f64 v[32:33], v[32:33], v[48:49]
	s_mov_b32 s1, 0x7ff00000
	v_add_f64 v[32:33], v[52:53], v[32:33]
	v_cmp_eq_f64_e32 vcc, s[0:1], v[28:29]
	v_cndmask_b32_e32 v32, v32, v28, vcc
	v_cndmask_b32_e32 v33, v33, v29, vcc
	v_mov_b32_e32 v48, 0x7ff80000
	v_cmp_ngt_f64_e32 vcc, -1.0, v[28:29]
	v_cndmask_b32_e32 v33, v48, v33, vcc
	v_cmp_nge_f64_e32 vcc, -1.0, v[28:29]
	v_cndmask_b32_e32 v32, 0, v32, vcc
	v_mov_b32_e32 v48, 0xfff00000
	v_cmp_neq_f64_e32 vcc, -1.0, v[28:29]
	v_cndmask_b32_e32 v33, v48, v33, vcc
	v_add_f64 v[28:29], v[30:31], v[32:33]
.LBB3_162:
	s_or_b64 exec, exec, s[2:3]
	v_max_f64 v[30:31], v[28:29], v[28:29]
	v_min_f64 v[32:33], v[30:31], v[34:35]
	v_cmp_u_f64_e32 vcc, v[28:29], v[28:29]
	v_max_f64 v[30:31], v[30:31], v[34:35]
	v_cndmask_b32_e32 v32, v32, v28, vcc
	v_cndmask_b32_e32 v33, v33, v29, vcc
	;; [unrolled: 1-line block ×4, first 2 shown]
	v_cndmask_b32_e64 v49, v33, v15, s[8:9]
	v_cndmask_b32_e64 v48, v32, v14, s[8:9]
	;; [unrolled: 1-line block ×4, first 2 shown]
	s_movk_i32 s20, 0x1f8
	v_cmp_neq_f64_e32 vcc, v[48:49], v[32:33]
	v_cmp_class_f64_e64 s[0:1], v[48:49], s20
	s_or_b64 s[0:1], vcc, s[0:1]
	v_pk_mov_b32 v[30:31], v[28:29], v[28:29] op_sel:[0,1]
	s_and_saveexec_b64 s[2:3], s[0:1]
	s_cbranch_execz .LBB3_164
; %bb.163:
	s_mov_b32 s0, 0x652b82fe
	v_add_f64 v[30:31], v[48:49], -v[32:33]
	s_mov_b32 s1, 0x3ff71547
	v_mul_f64 v[34:35], v[30:31], s[0:1]
	v_rndne_f64_e32 v[34:35], v[34:35]
	s_mov_b32 s7, 0xbfe62e42
	s_mov_b32 s6, 0xfefa39ef
	v_fma_f64 v[48:49], s[6:7], v[34:35], v[30:31]
	s_mov_b32 s9, 0xbc7abc9e
	s_mov_b32 s8, 0x3b39803f
	s_mov_b32 s0, 0x6a5dcb37
	v_fmac_f64_e32 v[48:49], s[8:9], v[34:35]
	v_mov_b32_e32 v50, 0xfca7ab0c
	v_mov_b32_e32 v51, 0x3e928af3
	s_mov_b32 s1, 0x3e5ade15
	v_fmac_f64_e32 v[50:51], s[0:1], v[48:49]
	v_mov_b32_e32 v52, 0x623fde64
	v_mov_b32_e32 v53, 0x3ec71dee
	v_fmac_f64_e32 v[52:53], v[48:49], v[50:51]
	v_mov_b32_e32 v50, 0x7c89e6b0
	v_mov_b32_e32 v51, 0x3efa0199
	;; [unrolled: 3-line block ×8, first 2 shown]
	s_mov_b32 s0, 0
	v_fmac_f64_e32 v[50:51], v[48:49], v[52:53]
	s_mov_b32 s1, 0x40900000
	v_fma_f64 v[50:51], v[48:49], v[50:51], 1.0
	v_cmp_nlt_f64_e32 vcc, s[0:1], v[30:31]
	s_mov_b32 s0, 0
	v_fma_f64 v[48:49], v[48:49], v[50:51], 1.0
	v_cvt_i32_f64_e32 v34, v[34:35]
	s_mov_b32 s1, 0xc090cc00
	v_ldexp_f64 v[34:35], v[48:49], v34
	v_mov_b32_e32 v48, 0x7ff00000
	v_cmp_ngt_f64_e64 s[0:1], s[0:1], v[30:31]
	v_cndmask_b32_e32 v35, v48, v35, vcc
	s_and_b64 vcc, s[0:1], vcc
	v_cndmask_b32_e64 v31, 0, v35, s[0:1]
	v_cndmask_b32_e32 v30, 0, v34, vcc
	v_add_f64 v[34:35], v[30:31], 1.0
	v_add_f64 v[48:49], v[34:35], -1.0
	v_add_f64 v[50:51], v[48:49], -v[34:35]
	v_add_f64 v[50:51], v[50:51], 1.0
	v_add_f64 v[48:49], v[30:31], -v[48:49]
	s_mov_b32 s0, 0x55555555
	v_add_f64 v[48:49], v[48:49], v[50:51]
	v_frexp_mant_f64_e32 v[50:51], v[34:35]
	s_mov_b32 s1, 0x3fe55555
	v_frexp_exp_i32_f64_e32 v52, v[34:35]
	v_cmp_gt_f64_e32 vcc, s[0:1], v[50:51]
	v_subbrev_co_u32_e32 v66, vcc, 0, v52, vcc
	v_sub_u32_e32 v50, 0, v66
	v_ldexp_f64 v[34:35], v[34:35], v50
	v_ldexp_f64 v[48:49], v[48:49], v50
	v_add_f64 v[50:51], v[34:35], -1.0
	v_add_f64 v[56:57], v[34:35], 1.0
	v_add_f64 v[52:53], v[50:51], 1.0
	v_add_f64 v[58:59], v[56:57], -1.0
	v_add_f64 v[52:53], v[34:35], -v[52:53]
	v_add_f64 v[34:35], v[34:35], -v[58:59]
	v_add_f64 v[34:35], v[48:49], v[34:35]
	v_add_f64 v[52:53], v[48:49], v[52:53]
	;; [unrolled: 1-line block ×3, first 2 shown]
	v_rcp_f64_e32 v[58:59], v[48:49]
	v_add_f64 v[54:55], v[50:51], v[52:53]
	v_add_f64 v[50:51], v[54:55], -v[50:51]
	v_add_f64 v[50:51], v[52:53], -v[50:51]
	;; [unrolled: 1-line block ×4, first 2 shown]
	v_fma_f64 v[52:53], -v[48:49], v[58:59], 1.0
	v_fmac_f64_e32 v[58:59], v[52:53], v[58:59]
	v_fma_f64 v[52:53], -v[48:49], v[58:59], 1.0
	v_fmac_f64_e32 v[58:59], v[52:53], v[58:59]
	v_mul_f64 v[52:53], v[54:55], v[58:59]
	v_mul_f64 v[56:57], v[48:49], v[52:53]
	v_fma_f64 v[60:61], v[52:53], v[48:49], -v[56:57]
	v_fmac_f64_e32 v[60:61], v[52:53], v[34:35]
	v_add_f64 v[62:63], v[56:57], v[60:61]
	v_add_f64 v[64:65], v[54:55], -v[62:63]
	v_add_f64 v[54:55], v[54:55], -v[64:65]
	;; [unrolled: 1-line block ×4, first 2 shown]
	v_add_f64 v[50:51], v[50:51], v[54:55]
	v_add_f64 v[54:55], v[56:57], -v[60:61]
	v_add_f64 v[50:51], v[54:55], v[50:51]
	v_add_f64 v[54:55], v[64:65], v[50:51]
	v_add_f64 v[56:57], v[64:65], -v[54:55]
	v_add_f64 v[50:51], v[50:51], v[56:57]
	v_mul_f64 v[56:57], v[58:59], v[54:55]
	v_mul_f64 v[60:61], v[48:49], v[56:57]
	v_fma_f64 v[48:49], v[56:57], v[48:49], -v[60:61]
	v_fmac_f64_e32 v[48:49], v[56:57], v[34:35]
	v_add_f64 v[34:35], v[60:61], v[48:49]
	v_add_f64 v[62:63], v[54:55], -v[34:35]
	v_add_f64 v[54:55], v[54:55], -v[62:63]
	;; [unrolled: 1-line block ×4, first 2 shown]
	v_add_f64 v[34:35], v[50:51], v[34:35]
	v_add_f64 v[48:49], v[60:61], -v[48:49]
	v_add_f64 v[34:35], v[48:49], v[34:35]
	v_add_f64 v[48:49], v[52:53], v[56:57]
	;; [unrolled: 1-line block ×3, first 2 shown]
	v_add_f64 v[50:51], v[48:49], -v[52:53]
	v_mul_f64 v[34:35], v[58:59], v[34:35]
	v_add_f64 v[50:51], v[56:57], -v[50:51]
	v_add_f64 v[34:35], v[50:51], v[34:35]
	v_add_f64 v[50:51], v[48:49], v[34:35]
	v_add_f64 v[48:49], v[50:51], -v[48:49]
	s_mov_b32 s0, 0xbf559e2b
	v_add_f64 v[34:35], v[34:35], -v[48:49]
	v_mul_f64 v[48:49], v[50:51], v[50:51]
	v_mov_b32_e32 v52, 0x6b47b09a
	v_mov_b32_e32 v53, 0x3fc38538
	s_mov_b32 s1, 0x3fc3ab76
	v_fmac_f64_e32 v[52:53], s[0:1], v[48:49]
	v_mov_b32_e32 v54, 0xd7f4df2e
	v_mov_b32_e32 v55, 0x3fc7474d
	v_fmac_f64_e32 v[54:55], v[48:49], v[52:53]
	v_mov_b32_e32 v52, 0x16291751
	v_mov_b32_e32 v53, 0x3fcc71c0
	;; [unrolled: 3-line block ×5, first 2 shown]
	v_fmac_f64_e32 v[54:55], v[48:49], v[52:53]
	v_cvt_f64_i32_e32 v[52:53], v66
	s_mov_b32 s7, 0x3fe62e42
	v_mul_f64 v[56:57], v[52:53], s[6:7]
	v_fma_f64 v[58:59], v[52:53], s[6:7], -v[56:57]
	s_mov_b32 s9, 0x3c7abc9e
	v_fmac_f64_e32 v[58:59], s[8:9], v[52:53]
	v_add_f64 v[52:53], v[56:57], v[58:59]
	v_add_f64 v[56:57], v[52:53], -v[56:57]
	v_mul_f64 v[48:49], v[50:51], v[48:49]
	v_add_f64 v[56:57], v[58:59], -v[56:57]
	v_ldexp_f64 v[58:59], v[50:51], 1
	v_mul_f64 v[48:49], v[48:49], v[54:55]
	v_add_f64 v[50:51], v[58:59], v[48:49]
	v_add_f64 v[54:55], v[50:51], -v[58:59]
	v_ldexp_f64 v[34:35], v[34:35], 1
	v_add_f64 v[48:49], v[48:49], -v[54:55]
	v_add_f64 v[34:35], v[34:35], v[48:49]
	v_add_f64 v[48:49], v[50:51], v[34:35]
	v_add_f64 v[50:51], v[48:49], -v[50:51]
	v_add_f64 v[34:35], v[34:35], -v[50:51]
	v_add_f64 v[50:51], v[52:53], v[48:49]
	v_add_f64 v[54:55], v[50:51], -v[52:53]
	v_add_f64 v[58:59], v[50:51], -v[54:55]
	;; [unrolled: 1-line block ×4, first 2 shown]
	v_add_f64 v[48:49], v[48:49], v[52:53]
	v_add_f64 v[52:53], v[56:57], v[34:35]
	v_add_f64 v[54:55], v[52:53], -v[56:57]
	v_add_f64 v[48:49], v[52:53], v[48:49]
	v_add_f64 v[58:59], v[52:53], -v[54:55]
	;; [unrolled: 2-line block ×3, first 2 shown]
	v_add_f64 v[34:35], v[34:35], -v[54:55]
	v_add_f64 v[50:51], v[52:53], -v[50:51]
	v_add_f64 v[34:35], v[34:35], v[56:57]
	v_add_f64 v[48:49], v[48:49], -v[50:51]
	s_mov_b32 s0, 0
	v_add_f64 v[34:35], v[34:35], v[48:49]
	s_mov_b32 s1, 0x7ff00000
	v_add_f64 v[34:35], v[52:53], v[34:35]
	v_cmp_eq_f64_e32 vcc, s[0:1], v[30:31]
	v_cndmask_b32_e32 v34, v34, v30, vcc
	v_cndmask_b32_e32 v35, v35, v31, vcc
	v_mov_b32_e32 v48, 0x7ff80000
	v_cmp_ngt_f64_e32 vcc, -1.0, v[30:31]
	v_cndmask_b32_e32 v35, v48, v35, vcc
	v_cmp_nge_f64_e32 vcc, -1.0, v[30:31]
	v_cndmask_b32_e32 v34, 0, v34, vcc
	v_mov_b32_e32 v48, 0xfff00000
	v_cmp_neq_f64_e32 vcc, -1.0, v[30:31]
	v_cndmask_b32_e32 v35, v48, v35, vcc
	v_add_f64 v[30:31], v[32:33], v[34:35]
.LBB3_164:
	s_or_b64 exec, exec, s[2:3]
	v_max_f64 v[32:33], v[30:31], v[30:31]
	v_min_f64 v[34:35], v[32:33], v[36:37]
	v_cmp_u_f64_e32 vcc, v[30:31], v[30:31]
	v_max_f64 v[32:33], v[32:33], v[36:37]
	v_cndmask_b32_e32 v34, v34, v30, vcc
	v_cndmask_b32_e32 v35, v35, v31, vcc
	;; [unrolled: 1-line block ×4, first 2 shown]
	v_cndmask_b32_e64 v49, v35, v17, s[10:11]
	v_cndmask_b32_e64 v48, v34, v16, s[10:11]
	;; [unrolled: 1-line block ×4, first 2 shown]
	v_cmp_neq_f64_e32 vcc, v[48:49], v[34:35]
	v_cmp_class_f64_e64 s[0:1], v[48:49], s20
	s_or_b64 s[0:1], vcc, s[0:1]
	v_pk_mov_b32 v[32:33], v[30:31], v[30:31] op_sel:[0,1]
	s_and_saveexec_b64 s[2:3], s[0:1]
	s_cbranch_execz .LBB3_166
; %bb.165:
	s_mov_b32 s0, 0x652b82fe
	v_add_f64 v[32:33], v[48:49], -v[34:35]
	s_mov_b32 s1, 0x3ff71547
	v_mul_f64 v[36:37], v[32:33], s[0:1]
	v_rndne_f64_e32 v[36:37], v[36:37]
	s_mov_b32 s7, 0xbfe62e42
	s_mov_b32 s6, 0xfefa39ef
	v_fma_f64 v[48:49], s[6:7], v[36:37], v[32:33]
	s_mov_b32 s9, 0xbc7abc9e
	s_mov_b32 s8, 0x3b39803f
	;; [unrolled: 1-line block ×3, first 2 shown]
	v_fmac_f64_e32 v[48:49], s[8:9], v[36:37]
	v_mov_b32_e32 v50, 0xfca7ab0c
	v_mov_b32_e32 v51, 0x3e928af3
	s_mov_b32 s1, 0x3e5ade15
	v_fmac_f64_e32 v[50:51], s[0:1], v[48:49]
	v_mov_b32_e32 v52, 0x623fde64
	v_mov_b32_e32 v53, 0x3ec71dee
	v_fmac_f64_e32 v[52:53], v[48:49], v[50:51]
	v_mov_b32_e32 v50, 0x7c89e6b0
	v_mov_b32_e32 v51, 0x3efa0199
	;; [unrolled: 3-line block ×8, first 2 shown]
	s_mov_b32 s0, 0
	v_fmac_f64_e32 v[50:51], v[48:49], v[52:53]
	s_mov_b32 s1, 0x40900000
	v_fma_f64 v[50:51], v[48:49], v[50:51], 1.0
	v_cmp_nlt_f64_e32 vcc, s[0:1], v[32:33]
	s_mov_b32 s0, 0
	v_fma_f64 v[48:49], v[48:49], v[50:51], 1.0
	v_cvt_i32_f64_e32 v36, v[36:37]
	s_mov_b32 s1, 0xc090cc00
	v_ldexp_f64 v[36:37], v[48:49], v36
	v_mov_b32_e32 v48, 0x7ff00000
	v_cmp_ngt_f64_e64 s[0:1], s[0:1], v[32:33]
	v_cndmask_b32_e32 v37, v48, v37, vcc
	s_and_b64 vcc, s[0:1], vcc
	v_cndmask_b32_e64 v33, 0, v37, s[0:1]
	v_cndmask_b32_e32 v32, 0, v36, vcc
	v_add_f64 v[36:37], v[32:33], 1.0
	v_add_f64 v[48:49], v[36:37], -1.0
	v_add_f64 v[50:51], v[48:49], -v[36:37]
	v_add_f64 v[50:51], v[50:51], 1.0
	v_add_f64 v[48:49], v[32:33], -v[48:49]
	s_mov_b32 s0, 0x55555555
	v_add_f64 v[48:49], v[48:49], v[50:51]
	v_frexp_mant_f64_e32 v[50:51], v[36:37]
	s_mov_b32 s1, 0x3fe55555
	v_frexp_exp_i32_f64_e32 v52, v[36:37]
	v_cmp_gt_f64_e32 vcc, s[0:1], v[50:51]
	v_subbrev_co_u32_e32 v66, vcc, 0, v52, vcc
	v_sub_u32_e32 v50, 0, v66
	v_ldexp_f64 v[36:37], v[36:37], v50
	v_ldexp_f64 v[48:49], v[48:49], v50
	v_add_f64 v[50:51], v[36:37], -1.0
	v_add_f64 v[56:57], v[36:37], 1.0
	v_add_f64 v[52:53], v[50:51], 1.0
	v_add_f64 v[58:59], v[56:57], -1.0
	v_add_f64 v[52:53], v[36:37], -v[52:53]
	v_add_f64 v[36:37], v[36:37], -v[58:59]
	v_add_f64 v[36:37], v[48:49], v[36:37]
	v_add_f64 v[52:53], v[48:49], v[52:53]
	v_add_f64 v[48:49], v[56:57], v[36:37]
	v_rcp_f64_e32 v[58:59], v[48:49]
	v_add_f64 v[54:55], v[50:51], v[52:53]
	v_add_f64 v[50:51], v[54:55], -v[50:51]
	v_add_f64 v[50:51], v[52:53], -v[50:51]
	;; [unrolled: 1-line block ×4, first 2 shown]
	v_fma_f64 v[52:53], -v[48:49], v[58:59], 1.0
	v_fmac_f64_e32 v[58:59], v[52:53], v[58:59]
	v_fma_f64 v[52:53], -v[48:49], v[58:59], 1.0
	v_fmac_f64_e32 v[58:59], v[52:53], v[58:59]
	v_mul_f64 v[52:53], v[54:55], v[58:59]
	v_mul_f64 v[56:57], v[48:49], v[52:53]
	v_fma_f64 v[60:61], v[52:53], v[48:49], -v[56:57]
	v_fmac_f64_e32 v[60:61], v[52:53], v[36:37]
	v_add_f64 v[62:63], v[56:57], v[60:61]
	v_add_f64 v[64:65], v[54:55], -v[62:63]
	v_add_f64 v[54:55], v[54:55], -v[64:65]
	v_add_f64 v[56:57], v[62:63], -v[56:57]
	v_add_f64 v[54:55], v[54:55], -v[62:63]
	v_add_f64 v[50:51], v[50:51], v[54:55]
	v_add_f64 v[54:55], v[56:57], -v[60:61]
	v_add_f64 v[50:51], v[54:55], v[50:51]
	v_add_f64 v[54:55], v[64:65], v[50:51]
	v_add_f64 v[56:57], v[64:65], -v[54:55]
	v_add_f64 v[50:51], v[50:51], v[56:57]
	v_mul_f64 v[56:57], v[58:59], v[54:55]
	v_mul_f64 v[60:61], v[48:49], v[56:57]
	v_fma_f64 v[48:49], v[56:57], v[48:49], -v[60:61]
	v_fmac_f64_e32 v[48:49], v[56:57], v[36:37]
	v_add_f64 v[36:37], v[60:61], v[48:49]
	v_add_f64 v[62:63], v[54:55], -v[36:37]
	v_add_f64 v[54:55], v[54:55], -v[62:63]
	;; [unrolled: 1-line block ×4, first 2 shown]
	v_add_f64 v[36:37], v[50:51], v[36:37]
	v_add_f64 v[48:49], v[60:61], -v[48:49]
	v_add_f64 v[36:37], v[48:49], v[36:37]
	v_add_f64 v[48:49], v[52:53], v[56:57]
	v_add_f64 v[36:37], v[62:63], v[36:37]
	v_add_f64 v[50:51], v[48:49], -v[52:53]
	v_mul_f64 v[36:37], v[58:59], v[36:37]
	v_add_f64 v[50:51], v[56:57], -v[50:51]
	v_add_f64 v[36:37], v[50:51], v[36:37]
	v_add_f64 v[50:51], v[48:49], v[36:37]
	v_add_f64 v[48:49], v[50:51], -v[48:49]
	s_mov_b32 s0, 0xbf559e2b
	v_add_f64 v[36:37], v[36:37], -v[48:49]
	v_mul_f64 v[48:49], v[50:51], v[50:51]
	v_mov_b32_e32 v52, 0x6b47b09a
	v_mov_b32_e32 v53, 0x3fc38538
	s_mov_b32 s1, 0x3fc3ab76
	v_fmac_f64_e32 v[52:53], s[0:1], v[48:49]
	v_mov_b32_e32 v54, 0xd7f4df2e
	v_mov_b32_e32 v55, 0x3fc7474d
	v_fmac_f64_e32 v[54:55], v[48:49], v[52:53]
	v_mov_b32_e32 v52, 0x16291751
	v_mov_b32_e32 v53, 0x3fcc71c0
	;; [unrolled: 3-line block ×5, first 2 shown]
	v_fmac_f64_e32 v[54:55], v[48:49], v[52:53]
	v_cvt_f64_i32_e32 v[52:53], v66
	s_mov_b32 s7, 0x3fe62e42
	v_mul_f64 v[56:57], v[52:53], s[6:7]
	v_fma_f64 v[58:59], v[52:53], s[6:7], -v[56:57]
	s_mov_b32 s9, 0x3c7abc9e
	v_fmac_f64_e32 v[58:59], s[8:9], v[52:53]
	v_add_f64 v[52:53], v[56:57], v[58:59]
	v_add_f64 v[56:57], v[52:53], -v[56:57]
	v_mul_f64 v[48:49], v[50:51], v[48:49]
	v_add_f64 v[56:57], v[58:59], -v[56:57]
	v_ldexp_f64 v[58:59], v[50:51], 1
	v_mul_f64 v[48:49], v[48:49], v[54:55]
	v_add_f64 v[50:51], v[58:59], v[48:49]
	v_add_f64 v[54:55], v[50:51], -v[58:59]
	v_ldexp_f64 v[36:37], v[36:37], 1
	v_add_f64 v[48:49], v[48:49], -v[54:55]
	v_add_f64 v[36:37], v[36:37], v[48:49]
	v_add_f64 v[48:49], v[50:51], v[36:37]
	v_add_f64 v[50:51], v[48:49], -v[50:51]
	v_add_f64 v[36:37], v[36:37], -v[50:51]
	v_add_f64 v[50:51], v[52:53], v[48:49]
	v_add_f64 v[54:55], v[50:51], -v[52:53]
	v_add_f64 v[58:59], v[50:51], -v[54:55]
	;; [unrolled: 1-line block ×4, first 2 shown]
	v_add_f64 v[48:49], v[48:49], v[52:53]
	v_add_f64 v[52:53], v[56:57], v[36:37]
	v_add_f64 v[54:55], v[52:53], -v[56:57]
	v_add_f64 v[48:49], v[52:53], v[48:49]
	v_add_f64 v[58:59], v[52:53], -v[54:55]
	;; [unrolled: 2-line block ×3, first 2 shown]
	v_add_f64 v[36:37], v[36:37], -v[54:55]
	v_add_f64 v[50:51], v[52:53], -v[50:51]
	v_add_f64 v[36:37], v[36:37], v[56:57]
	v_add_f64 v[48:49], v[48:49], -v[50:51]
	s_mov_b32 s0, 0
	v_add_f64 v[36:37], v[36:37], v[48:49]
	s_mov_b32 s1, 0x7ff00000
	v_add_f64 v[36:37], v[52:53], v[36:37]
	v_cmp_eq_f64_e32 vcc, s[0:1], v[32:33]
	v_cndmask_b32_e32 v36, v36, v32, vcc
	v_cndmask_b32_e32 v37, v37, v33, vcc
	v_mov_b32_e32 v48, 0x7ff80000
	v_cmp_ngt_f64_e32 vcc, -1.0, v[32:33]
	v_cndmask_b32_e32 v37, v48, v37, vcc
	v_cmp_nge_f64_e32 vcc, -1.0, v[32:33]
	v_cndmask_b32_e32 v36, 0, v36, vcc
	v_mov_b32_e32 v48, 0xfff00000
	v_cmp_neq_f64_e32 vcc, -1.0, v[32:33]
	v_cndmask_b32_e32 v37, v48, v37, vcc
	v_add_f64 v[32:33], v[34:35], v[36:37]
.LBB3_166:
	s_or_b64 exec, exec, s[2:3]
	v_max_f64 v[34:35], v[32:33], v[32:33]
	v_min_f64 v[36:37], v[34:35], v[38:39]
	v_cmp_u_f64_e32 vcc, v[32:33], v[32:33]
	v_max_f64 v[34:35], v[34:35], v[38:39]
	v_cndmask_b32_e32 v36, v36, v32, vcc
	v_cndmask_b32_e32 v37, v37, v33, vcc
	;; [unrolled: 1-line block ×4, first 2 shown]
	v_cndmask_b32_e64 v49, v37, v11, s[12:13]
	v_cndmask_b32_e64 v48, v36, v10, s[12:13]
	;; [unrolled: 1-line block ×4, first 2 shown]
	s_movk_i32 s10, 0x1f8
	v_cmp_neq_f64_e32 vcc, v[48:49], v[36:37]
	v_cmp_class_f64_e64 s[0:1], v[48:49], s10
	s_or_b64 s[0:1], vcc, s[0:1]
	v_pk_mov_b32 v[34:35], v[32:33], v[32:33] op_sel:[0,1]
	s_and_saveexec_b64 s[2:3], s[0:1]
	s_cbranch_execz .LBB3_168
; %bb.167:
	s_mov_b32 s0, 0x652b82fe
	v_add_f64 v[34:35], v[48:49], -v[36:37]
	s_mov_b32 s1, 0x3ff71547
	v_mul_f64 v[38:39], v[34:35], s[0:1]
	v_rndne_f64_e32 v[38:39], v[38:39]
	s_mov_b32 s7, 0xbfe62e42
	s_mov_b32 s6, 0xfefa39ef
	v_fma_f64 v[48:49], s[6:7], v[38:39], v[34:35]
	s_mov_b32 s9, 0xbc7abc9e
	s_mov_b32 s8, 0x3b39803f
	;; [unrolled: 1-line block ×3, first 2 shown]
	v_fmac_f64_e32 v[48:49], s[8:9], v[38:39]
	v_mov_b32_e32 v50, 0xfca7ab0c
	v_mov_b32_e32 v51, 0x3e928af3
	s_mov_b32 s1, 0x3e5ade15
	v_fmac_f64_e32 v[50:51], s[0:1], v[48:49]
	v_mov_b32_e32 v52, 0x623fde64
	v_mov_b32_e32 v53, 0x3ec71dee
	v_fmac_f64_e32 v[52:53], v[48:49], v[50:51]
	v_mov_b32_e32 v50, 0x7c89e6b0
	v_mov_b32_e32 v51, 0x3efa0199
	;; [unrolled: 3-line block ×8, first 2 shown]
	s_mov_b32 s0, 0
	v_fmac_f64_e32 v[50:51], v[48:49], v[52:53]
	s_mov_b32 s1, 0x40900000
	v_fma_f64 v[50:51], v[48:49], v[50:51], 1.0
	v_cmp_nlt_f64_e32 vcc, s[0:1], v[34:35]
	s_mov_b32 s0, 0
	v_fma_f64 v[48:49], v[48:49], v[50:51], 1.0
	v_cvt_i32_f64_e32 v38, v[38:39]
	s_mov_b32 s1, 0xc090cc00
	v_ldexp_f64 v[38:39], v[48:49], v38
	v_mov_b32_e32 v48, 0x7ff00000
	v_cmp_ngt_f64_e64 s[0:1], s[0:1], v[34:35]
	v_cndmask_b32_e32 v39, v48, v39, vcc
	s_and_b64 vcc, s[0:1], vcc
	v_cndmask_b32_e64 v35, 0, v39, s[0:1]
	v_cndmask_b32_e32 v34, 0, v38, vcc
	v_add_f64 v[38:39], v[34:35], 1.0
	v_add_f64 v[48:49], v[38:39], -1.0
	v_add_f64 v[50:51], v[48:49], -v[38:39]
	v_add_f64 v[50:51], v[50:51], 1.0
	v_add_f64 v[48:49], v[34:35], -v[48:49]
	s_mov_b32 s0, 0x55555555
	v_add_f64 v[48:49], v[48:49], v[50:51]
	v_frexp_mant_f64_e32 v[50:51], v[38:39]
	s_mov_b32 s1, 0x3fe55555
	v_frexp_exp_i32_f64_e32 v52, v[38:39]
	v_cmp_gt_f64_e32 vcc, s[0:1], v[50:51]
	v_subbrev_co_u32_e32 v66, vcc, 0, v52, vcc
	v_sub_u32_e32 v50, 0, v66
	v_ldexp_f64 v[38:39], v[38:39], v50
	v_ldexp_f64 v[48:49], v[48:49], v50
	v_add_f64 v[50:51], v[38:39], -1.0
	v_add_f64 v[56:57], v[38:39], 1.0
	v_add_f64 v[52:53], v[50:51], 1.0
	v_add_f64 v[58:59], v[56:57], -1.0
	v_add_f64 v[52:53], v[38:39], -v[52:53]
	v_add_f64 v[38:39], v[38:39], -v[58:59]
	v_add_f64 v[38:39], v[48:49], v[38:39]
	v_add_f64 v[52:53], v[48:49], v[52:53]
	;; [unrolled: 1-line block ×3, first 2 shown]
	v_rcp_f64_e32 v[58:59], v[48:49]
	v_add_f64 v[54:55], v[50:51], v[52:53]
	v_add_f64 v[50:51], v[54:55], -v[50:51]
	v_add_f64 v[50:51], v[52:53], -v[50:51]
	;; [unrolled: 1-line block ×4, first 2 shown]
	v_fma_f64 v[52:53], -v[48:49], v[58:59], 1.0
	v_fmac_f64_e32 v[58:59], v[52:53], v[58:59]
	v_fma_f64 v[52:53], -v[48:49], v[58:59], 1.0
	v_fmac_f64_e32 v[58:59], v[52:53], v[58:59]
	v_mul_f64 v[52:53], v[54:55], v[58:59]
	v_mul_f64 v[56:57], v[48:49], v[52:53]
	v_fma_f64 v[60:61], v[52:53], v[48:49], -v[56:57]
	v_fmac_f64_e32 v[60:61], v[52:53], v[38:39]
	v_add_f64 v[62:63], v[56:57], v[60:61]
	v_add_f64 v[64:65], v[54:55], -v[62:63]
	v_add_f64 v[54:55], v[54:55], -v[64:65]
	;; [unrolled: 1-line block ×4, first 2 shown]
	v_add_f64 v[50:51], v[50:51], v[54:55]
	v_add_f64 v[54:55], v[56:57], -v[60:61]
	v_add_f64 v[50:51], v[54:55], v[50:51]
	v_add_f64 v[54:55], v[64:65], v[50:51]
	v_add_f64 v[56:57], v[64:65], -v[54:55]
	v_add_f64 v[50:51], v[50:51], v[56:57]
	v_mul_f64 v[56:57], v[58:59], v[54:55]
	v_mul_f64 v[60:61], v[48:49], v[56:57]
	v_fma_f64 v[48:49], v[56:57], v[48:49], -v[60:61]
	v_fmac_f64_e32 v[48:49], v[56:57], v[38:39]
	v_add_f64 v[38:39], v[60:61], v[48:49]
	v_add_f64 v[62:63], v[54:55], -v[38:39]
	v_add_f64 v[54:55], v[54:55], -v[62:63]
	;; [unrolled: 1-line block ×4, first 2 shown]
	v_add_f64 v[38:39], v[50:51], v[38:39]
	v_add_f64 v[48:49], v[60:61], -v[48:49]
	v_add_f64 v[38:39], v[48:49], v[38:39]
	v_add_f64 v[48:49], v[52:53], v[56:57]
	;; [unrolled: 1-line block ×3, first 2 shown]
	v_add_f64 v[50:51], v[48:49], -v[52:53]
	v_mul_f64 v[38:39], v[58:59], v[38:39]
	v_add_f64 v[50:51], v[56:57], -v[50:51]
	v_add_f64 v[38:39], v[50:51], v[38:39]
	v_add_f64 v[50:51], v[48:49], v[38:39]
	v_add_f64 v[48:49], v[50:51], -v[48:49]
	s_mov_b32 s0, 0xbf559e2b
	v_add_f64 v[38:39], v[38:39], -v[48:49]
	v_mul_f64 v[48:49], v[50:51], v[50:51]
	v_mov_b32_e32 v52, 0x6b47b09a
	v_mov_b32_e32 v53, 0x3fc38538
	s_mov_b32 s1, 0x3fc3ab76
	v_fmac_f64_e32 v[52:53], s[0:1], v[48:49]
	v_mov_b32_e32 v54, 0xd7f4df2e
	v_mov_b32_e32 v55, 0x3fc7474d
	v_fmac_f64_e32 v[54:55], v[48:49], v[52:53]
	v_mov_b32_e32 v52, 0x16291751
	v_mov_b32_e32 v53, 0x3fcc71c0
	;; [unrolled: 3-line block ×5, first 2 shown]
	v_fmac_f64_e32 v[54:55], v[48:49], v[52:53]
	v_cvt_f64_i32_e32 v[52:53], v66
	s_mov_b32 s7, 0x3fe62e42
	v_mul_f64 v[56:57], v[52:53], s[6:7]
	v_fma_f64 v[58:59], v[52:53], s[6:7], -v[56:57]
	s_mov_b32 s9, 0x3c7abc9e
	v_fmac_f64_e32 v[58:59], s[8:9], v[52:53]
	v_add_f64 v[52:53], v[56:57], v[58:59]
	v_add_f64 v[56:57], v[52:53], -v[56:57]
	v_mul_f64 v[48:49], v[50:51], v[48:49]
	v_add_f64 v[56:57], v[58:59], -v[56:57]
	v_ldexp_f64 v[58:59], v[50:51], 1
	v_mul_f64 v[48:49], v[48:49], v[54:55]
	v_add_f64 v[50:51], v[58:59], v[48:49]
	v_add_f64 v[54:55], v[50:51], -v[58:59]
	v_ldexp_f64 v[38:39], v[38:39], 1
	v_add_f64 v[48:49], v[48:49], -v[54:55]
	v_add_f64 v[38:39], v[38:39], v[48:49]
	v_add_f64 v[48:49], v[50:51], v[38:39]
	v_add_f64 v[50:51], v[48:49], -v[50:51]
	v_add_f64 v[38:39], v[38:39], -v[50:51]
	v_add_f64 v[50:51], v[52:53], v[48:49]
	v_add_f64 v[54:55], v[50:51], -v[52:53]
	v_add_f64 v[58:59], v[50:51], -v[54:55]
	;; [unrolled: 1-line block ×4, first 2 shown]
	v_add_f64 v[48:49], v[48:49], v[52:53]
	v_add_f64 v[52:53], v[56:57], v[38:39]
	v_add_f64 v[54:55], v[52:53], -v[56:57]
	v_add_f64 v[48:49], v[52:53], v[48:49]
	v_add_f64 v[58:59], v[52:53], -v[54:55]
	;; [unrolled: 2-line block ×3, first 2 shown]
	v_add_f64 v[38:39], v[38:39], -v[54:55]
	v_add_f64 v[50:51], v[52:53], -v[50:51]
	v_add_f64 v[38:39], v[38:39], v[56:57]
	v_add_f64 v[48:49], v[48:49], -v[50:51]
	s_mov_b32 s0, 0
	v_add_f64 v[38:39], v[38:39], v[48:49]
	s_mov_b32 s1, 0x7ff00000
	v_add_f64 v[38:39], v[52:53], v[38:39]
	v_cmp_eq_f64_e32 vcc, s[0:1], v[34:35]
	v_cndmask_b32_e32 v38, v38, v34, vcc
	v_cndmask_b32_e32 v39, v39, v35, vcc
	v_mov_b32_e32 v48, 0x7ff80000
	v_cmp_ngt_f64_e32 vcc, -1.0, v[34:35]
	v_cndmask_b32_e32 v39, v48, v39, vcc
	v_cmp_nge_f64_e32 vcc, -1.0, v[34:35]
	v_cndmask_b32_e32 v38, 0, v38, vcc
	v_mov_b32_e32 v48, 0xfff00000
	v_cmp_neq_f64_e32 vcc, -1.0, v[34:35]
	v_cndmask_b32_e32 v39, v48, v39, vcc
	v_add_f64 v[34:35], v[36:37], v[38:39]
.LBB3_168:
	s_or_b64 exec, exec, s[2:3]
	v_max_f64 v[36:37], v[34:35], v[34:35]
	v_min_f64 v[38:39], v[36:37], v[40:41]
	v_cmp_u_f64_e32 vcc, v[34:35], v[34:35]
	v_max_f64 v[36:37], v[36:37], v[40:41]
	v_cndmask_b32_e32 v38, v38, v34, vcc
	v_cndmask_b32_e32 v39, v39, v35, vcc
	;; [unrolled: 1-line block ×4, first 2 shown]
	v_cndmask_b32_e64 v49, v39, v13, s[14:15]
	v_cndmask_b32_e64 v48, v38, v12, s[14:15]
	;; [unrolled: 1-line block ×4, first 2 shown]
	v_cmp_neq_f64_e32 vcc, v[48:49], v[38:39]
	v_cmp_class_f64_e64 s[0:1], v[48:49], s10
	s_or_b64 s[0:1], vcc, s[0:1]
	v_pk_mov_b32 v[36:37], v[34:35], v[34:35] op_sel:[0,1]
	s_and_saveexec_b64 s[2:3], s[0:1]
	s_cbranch_execz .LBB3_170
; %bb.169:
	s_mov_b32 s0, 0x652b82fe
	v_add_f64 v[36:37], v[48:49], -v[38:39]
	s_mov_b32 s1, 0x3ff71547
	v_mul_f64 v[40:41], v[36:37], s[0:1]
	v_rndne_f64_e32 v[40:41], v[40:41]
	s_mov_b32 s7, 0xbfe62e42
	s_mov_b32 s6, 0xfefa39ef
	v_fma_f64 v[48:49], s[6:7], v[40:41], v[36:37]
	s_mov_b32 s9, 0xbc7abc9e
	s_mov_b32 s8, 0x3b39803f
	;; [unrolled: 1-line block ×3, first 2 shown]
	v_fmac_f64_e32 v[48:49], s[8:9], v[40:41]
	v_mov_b32_e32 v50, 0xfca7ab0c
	v_mov_b32_e32 v51, 0x3e928af3
	s_mov_b32 s1, 0x3e5ade15
	v_fmac_f64_e32 v[50:51], s[0:1], v[48:49]
	v_mov_b32_e32 v52, 0x623fde64
	v_mov_b32_e32 v53, 0x3ec71dee
	v_fmac_f64_e32 v[52:53], v[48:49], v[50:51]
	v_mov_b32_e32 v50, 0x7c89e6b0
	v_mov_b32_e32 v51, 0x3efa0199
	;; [unrolled: 3-line block ×8, first 2 shown]
	s_mov_b32 s0, 0
	v_fmac_f64_e32 v[50:51], v[48:49], v[52:53]
	s_mov_b32 s1, 0x40900000
	v_fma_f64 v[50:51], v[48:49], v[50:51], 1.0
	v_cmp_nlt_f64_e32 vcc, s[0:1], v[36:37]
	s_mov_b32 s0, 0
	v_fma_f64 v[48:49], v[48:49], v[50:51], 1.0
	v_cvt_i32_f64_e32 v40, v[40:41]
	s_mov_b32 s1, 0xc090cc00
	v_ldexp_f64 v[40:41], v[48:49], v40
	v_mov_b32_e32 v48, 0x7ff00000
	v_cmp_ngt_f64_e64 s[0:1], s[0:1], v[36:37]
	v_cndmask_b32_e32 v41, v48, v41, vcc
	s_and_b64 vcc, s[0:1], vcc
	v_cndmask_b32_e64 v37, 0, v41, s[0:1]
	v_cndmask_b32_e32 v36, 0, v40, vcc
	v_add_f64 v[40:41], v[36:37], 1.0
	v_add_f64 v[48:49], v[40:41], -1.0
	v_add_f64 v[50:51], v[48:49], -v[40:41]
	v_add_f64 v[50:51], v[50:51], 1.0
	v_add_f64 v[48:49], v[36:37], -v[48:49]
	s_mov_b32 s0, 0x55555555
	v_add_f64 v[48:49], v[48:49], v[50:51]
	v_frexp_mant_f64_e32 v[50:51], v[40:41]
	s_mov_b32 s1, 0x3fe55555
	v_frexp_exp_i32_f64_e32 v52, v[40:41]
	v_cmp_gt_f64_e32 vcc, s[0:1], v[50:51]
	v_subbrev_co_u32_e32 v66, vcc, 0, v52, vcc
	v_sub_u32_e32 v50, 0, v66
	v_ldexp_f64 v[40:41], v[40:41], v50
	v_ldexp_f64 v[48:49], v[48:49], v50
	v_add_f64 v[50:51], v[40:41], -1.0
	v_add_f64 v[56:57], v[40:41], 1.0
	v_add_f64 v[52:53], v[50:51], 1.0
	v_add_f64 v[58:59], v[56:57], -1.0
	v_add_f64 v[52:53], v[40:41], -v[52:53]
	v_add_f64 v[40:41], v[40:41], -v[58:59]
	v_add_f64 v[40:41], v[48:49], v[40:41]
	v_add_f64 v[52:53], v[48:49], v[52:53]
	;; [unrolled: 1-line block ×3, first 2 shown]
	v_rcp_f64_e32 v[58:59], v[48:49]
	v_add_f64 v[54:55], v[50:51], v[52:53]
	v_add_f64 v[50:51], v[54:55], -v[50:51]
	v_add_f64 v[50:51], v[52:53], -v[50:51]
	;; [unrolled: 1-line block ×4, first 2 shown]
	v_fma_f64 v[52:53], -v[48:49], v[58:59], 1.0
	v_fmac_f64_e32 v[58:59], v[52:53], v[58:59]
	v_fma_f64 v[52:53], -v[48:49], v[58:59], 1.0
	v_fmac_f64_e32 v[58:59], v[52:53], v[58:59]
	v_mul_f64 v[52:53], v[54:55], v[58:59]
	v_mul_f64 v[56:57], v[48:49], v[52:53]
	v_fma_f64 v[60:61], v[52:53], v[48:49], -v[56:57]
	v_fmac_f64_e32 v[60:61], v[52:53], v[40:41]
	v_add_f64 v[62:63], v[56:57], v[60:61]
	v_add_f64 v[64:65], v[54:55], -v[62:63]
	v_add_f64 v[54:55], v[54:55], -v[64:65]
	;; [unrolled: 1-line block ×4, first 2 shown]
	v_add_f64 v[50:51], v[50:51], v[54:55]
	v_add_f64 v[54:55], v[56:57], -v[60:61]
	v_add_f64 v[50:51], v[54:55], v[50:51]
	v_add_f64 v[54:55], v[64:65], v[50:51]
	v_add_f64 v[56:57], v[64:65], -v[54:55]
	v_add_f64 v[50:51], v[50:51], v[56:57]
	v_mul_f64 v[56:57], v[58:59], v[54:55]
	v_mul_f64 v[60:61], v[48:49], v[56:57]
	v_fma_f64 v[48:49], v[56:57], v[48:49], -v[60:61]
	v_fmac_f64_e32 v[48:49], v[56:57], v[40:41]
	v_add_f64 v[40:41], v[60:61], v[48:49]
	v_add_f64 v[62:63], v[54:55], -v[40:41]
	v_add_f64 v[54:55], v[54:55], -v[62:63]
	;; [unrolled: 1-line block ×4, first 2 shown]
	v_add_f64 v[40:41], v[50:51], v[40:41]
	v_add_f64 v[48:49], v[60:61], -v[48:49]
	v_add_f64 v[40:41], v[48:49], v[40:41]
	v_add_f64 v[48:49], v[52:53], v[56:57]
	v_add_f64 v[40:41], v[62:63], v[40:41]
	v_add_f64 v[50:51], v[48:49], -v[52:53]
	v_mul_f64 v[40:41], v[58:59], v[40:41]
	v_add_f64 v[50:51], v[56:57], -v[50:51]
	v_add_f64 v[40:41], v[50:51], v[40:41]
	v_add_f64 v[50:51], v[48:49], v[40:41]
	v_add_f64 v[48:49], v[50:51], -v[48:49]
	s_mov_b32 s0, 0xbf559e2b
	v_add_f64 v[40:41], v[40:41], -v[48:49]
	v_mul_f64 v[48:49], v[50:51], v[50:51]
	v_mov_b32_e32 v52, 0x6b47b09a
	v_mov_b32_e32 v53, 0x3fc38538
	s_mov_b32 s1, 0x3fc3ab76
	v_fmac_f64_e32 v[52:53], s[0:1], v[48:49]
	v_mov_b32_e32 v54, 0xd7f4df2e
	v_mov_b32_e32 v55, 0x3fc7474d
	v_fmac_f64_e32 v[54:55], v[48:49], v[52:53]
	v_mov_b32_e32 v52, 0x16291751
	v_mov_b32_e32 v53, 0x3fcc71c0
	;; [unrolled: 3-line block ×5, first 2 shown]
	v_fmac_f64_e32 v[54:55], v[48:49], v[52:53]
	v_cvt_f64_i32_e32 v[52:53], v66
	s_mov_b32 s7, 0x3fe62e42
	v_mul_f64 v[56:57], v[52:53], s[6:7]
	v_fma_f64 v[58:59], v[52:53], s[6:7], -v[56:57]
	s_mov_b32 s9, 0x3c7abc9e
	v_fmac_f64_e32 v[58:59], s[8:9], v[52:53]
	v_add_f64 v[52:53], v[56:57], v[58:59]
	v_add_f64 v[56:57], v[52:53], -v[56:57]
	v_mul_f64 v[48:49], v[50:51], v[48:49]
	v_add_f64 v[56:57], v[58:59], -v[56:57]
	v_ldexp_f64 v[58:59], v[50:51], 1
	v_mul_f64 v[48:49], v[48:49], v[54:55]
	v_add_f64 v[50:51], v[58:59], v[48:49]
	v_add_f64 v[54:55], v[50:51], -v[58:59]
	v_ldexp_f64 v[40:41], v[40:41], 1
	v_add_f64 v[48:49], v[48:49], -v[54:55]
	v_add_f64 v[40:41], v[40:41], v[48:49]
	v_add_f64 v[48:49], v[50:51], v[40:41]
	v_add_f64 v[50:51], v[48:49], -v[50:51]
	v_add_f64 v[40:41], v[40:41], -v[50:51]
	v_add_f64 v[50:51], v[52:53], v[48:49]
	v_add_f64 v[54:55], v[50:51], -v[52:53]
	v_add_f64 v[58:59], v[50:51], -v[54:55]
	;; [unrolled: 1-line block ×4, first 2 shown]
	v_add_f64 v[48:49], v[48:49], v[52:53]
	v_add_f64 v[52:53], v[56:57], v[40:41]
	v_add_f64 v[54:55], v[52:53], -v[56:57]
	v_add_f64 v[48:49], v[52:53], v[48:49]
	v_add_f64 v[58:59], v[52:53], -v[54:55]
	;; [unrolled: 2-line block ×3, first 2 shown]
	v_add_f64 v[40:41], v[40:41], -v[54:55]
	v_add_f64 v[50:51], v[52:53], -v[50:51]
	v_add_f64 v[40:41], v[40:41], v[56:57]
	v_add_f64 v[48:49], v[48:49], -v[50:51]
	s_mov_b32 s0, 0
	v_add_f64 v[40:41], v[40:41], v[48:49]
	s_mov_b32 s1, 0x7ff00000
	v_add_f64 v[40:41], v[52:53], v[40:41]
	v_cmp_eq_f64_e32 vcc, s[0:1], v[36:37]
	v_cndmask_b32_e32 v40, v40, v36, vcc
	v_cndmask_b32_e32 v41, v41, v37, vcc
	v_mov_b32_e32 v48, 0x7ff80000
	v_cmp_ngt_f64_e32 vcc, -1.0, v[36:37]
	v_cndmask_b32_e32 v41, v48, v41, vcc
	v_cmp_nge_f64_e32 vcc, -1.0, v[36:37]
	v_cndmask_b32_e32 v40, 0, v40, vcc
	v_mov_b32_e32 v48, 0xfff00000
	v_cmp_neq_f64_e32 vcc, -1.0, v[36:37]
	v_cndmask_b32_e32 v41, v48, v41, vcc
	v_add_f64 v[36:37], v[38:39], v[40:41]
.LBB3_170:
	s_or_b64 exec, exec, s[2:3]
	v_max_f64 v[38:39], v[36:37], v[36:37]
	v_min_f64 v[40:41], v[38:39], v[44:45]
	v_cmp_u_f64_e32 vcc, v[36:37], v[36:37]
	v_max_f64 v[38:39], v[38:39], v[44:45]
	v_cndmask_b32_e32 v40, v40, v36, vcc
	v_cndmask_b32_e32 v41, v41, v37, vcc
	;; [unrolled: 1-line block ×4, first 2 shown]
	v_cndmask_b32_e64 v49, v41, v7, s[16:17]
	v_cndmask_b32_e64 v48, v40, v6, s[16:17]
	;; [unrolled: 1-line block ×4, first 2 shown]
	v_cmp_neq_f64_e32 vcc, v[48:49], v[40:41]
	v_cmp_class_f64_e64 s[0:1], v[48:49], s10
	s_or_b64 s[0:1], vcc, s[0:1]
	v_pk_mov_b32 v[38:39], v[36:37], v[36:37] op_sel:[0,1]
	s_and_saveexec_b64 s[2:3], s[0:1]
	s_cbranch_execz .LBB3_172
; %bb.171:
	s_mov_b32 s0, 0x652b82fe
	v_add_f64 v[38:39], v[48:49], -v[40:41]
	s_mov_b32 s1, 0x3ff71547
	v_mul_f64 v[44:45], v[38:39], s[0:1]
	v_rndne_f64_e32 v[44:45], v[44:45]
	s_mov_b32 s7, 0xbfe62e42
	s_mov_b32 s6, 0xfefa39ef
	v_fma_f64 v[48:49], s[6:7], v[44:45], v[38:39]
	s_mov_b32 s9, 0xbc7abc9e
	s_mov_b32 s8, 0x3b39803f
	;; [unrolled: 1-line block ×3, first 2 shown]
	v_fmac_f64_e32 v[48:49], s[8:9], v[44:45]
	v_mov_b32_e32 v50, 0xfca7ab0c
	v_mov_b32_e32 v51, 0x3e928af3
	s_mov_b32 s1, 0x3e5ade15
	v_fmac_f64_e32 v[50:51], s[0:1], v[48:49]
	v_mov_b32_e32 v52, 0x623fde64
	v_mov_b32_e32 v53, 0x3ec71dee
	v_fmac_f64_e32 v[52:53], v[48:49], v[50:51]
	v_mov_b32_e32 v50, 0x7c89e6b0
	v_mov_b32_e32 v51, 0x3efa0199
	;; [unrolled: 3-line block ×8, first 2 shown]
	s_mov_b32 s0, 0
	v_fmac_f64_e32 v[50:51], v[48:49], v[52:53]
	s_mov_b32 s1, 0x40900000
	v_fma_f64 v[50:51], v[48:49], v[50:51], 1.0
	v_cmp_nlt_f64_e32 vcc, s[0:1], v[38:39]
	s_mov_b32 s0, 0
	v_fma_f64 v[48:49], v[48:49], v[50:51], 1.0
	v_cvt_i32_f64_e32 v44, v[44:45]
	s_mov_b32 s1, 0xc090cc00
	v_ldexp_f64 v[44:45], v[48:49], v44
	v_mov_b32_e32 v48, 0x7ff00000
	v_cmp_ngt_f64_e64 s[0:1], s[0:1], v[38:39]
	v_cndmask_b32_e32 v45, v48, v45, vcc
	s_and_b64 vcc, s[0:1], vcc
	v_cndmask_b32_e64 v39, 0, v45, s[0:1]
	v_cndmask_b32_e32 v38, 0, v44, vcc
	v_add_f64 v[44:45], v[38:39], 1.0
	v_add_f64 v[48:49], v[44:45], -1.0
	v_add_f64 v[50:51], v[48:49], -v[44:45]
	v_add_f64 v[50:51], v[50:51], 1.0
	v_add_f64 v[48:49], v[38:39], -v[48:49]
	s_mov_b32 s0, 0x55555555
	v_add_f64 v[48:49], v[48:49], v[50:51]
	v_frexp_mant_f64_e32 v[50:51], v[44:45]
	s_mov_b32 s1, 0x3fe55555
	v_frexp_exp_i32_f64_e32 v52, v[44:45]
	v_cmp_gt_f64_e32 vcc, s[0:1], v[50:51]
	v_subbrev_co_u32_e32 v66, vcc, 0, v52, vcc
	v_sub_u32_e32 v50, 0, v66
	v_ldexp_f64 v[44:45], v[44:45], v50
	v_ldexp_f64 v[48:49], v[48:49], v50
	v_add_f64 v[50:51], v[44:45], -1.0
	v_add_f64 v[56:57], v[44:45], 1.0
	v_add_f64 v[52:53], v[50:51], 1.0
	v_add_f64 v[58:59], v[56:57], -1.0
	v_add_f64 v[52:53], v[44:45], -v[52:53]
	v_add_f64 v[44:45], v[44:45], -v[58:59]
	v_add_f64 v[44:45], v[48:49], v[44:45]
	v_add_f64 v[52:53], v[48:49], v[52:53]
	;; [unrolled: 1-line block ×3, first 2 shown]
	v_rcp_f64_e32 v[58:59], v[48:49]
	v_add_f64 v[54:55], v[50:51], v[52:53]
	v_add_f64 v[50:51], v[54:55], -v[50:51]
	v_add_f64 v[50:51], v[52:53], -v[50:51]
	;; [unrolled: 1-line block ×4, first 2 shown]
	v_fma_f64 v[52:53], -v[48:49], v[58:59], 1.0
	v_fmac_f64_e32 v[58:59], v[52:53], v[58:59]
	v_fma_f64 v[52:53], -v[48:49], v[58:59], 1.0
	v_fmac_f64_e32 v[58:59], v[52:53], v[58:59]
	v_mul_f64 v[52:53], v[54:55], v[58:59]
	v_mul_f64 v[56:57], v[48:49], v[52:53]
	v_fma_f64 v[60:61], v[52:53], v[48:49], -v[56:57]
	v_fmac_f64_e32 v[60:61], v[52:53], v[44:45]
	v_add_f64 v[62:63], v[56:57], v[60:61]
	v_add_f64 v[64:65], v[54:55], -v[62:63]
	v_add_f64 v[54:55], v[54:55], -v[64:65]
	;; [unrolled: 1-line block ×4, first 2 shown]
	v_add_f64 v[50:51], v[50:51], v[54:55]
	v_add_f64 v[54:55], v[56:57], -v[60:61]
	v_add_f64 v[50:51], v[54:55], v[50:51]
	v_add_f64 v[54:55], v[64:65], v[50:51]
	v_add_f64 v[56:57], v[64:65], -v[54:55]
	v_add_f64 v[50:51], v[50:51], v[56:57]
	v_mul_f64 v[56:57], v[58:59], v[54:55]
	v_mul_f64 v[60:61], v[48:49], v[56:57]
	v_fma_f64 v[48:49], v[56:57], v[48:49], -v[60:61]
	v_fmac_f64_e32 v[48:49], v[56:57], v[44:45]
	v_add_f64 v[44:45], v[60:61], v[48:49]
	v_add_f64 v[62:63], v[54:55], -v[44:45]
	v_add_f64 v[54:55], v[54:55], -v[62:63]
	;; [unrolled: 1-line block ×4, first 2 shown]
	v_add_f64 v[44:45], v[50:51], v[44:45]
	v_add_f64 v[48:49], v[60:61], -v[48:49]
	v_add_f64 v[44:45], v[48:49], v[44:45]
	v_add_f64 v[48:49], v[52:53], v[56:57]
	;; [unrolled: 1-line block ×3, first 2 shown]
	v_add_f64 v[50:51], v[48:49], -v[52:53]
	v_mul_f64 v[44:45], v[58:59], v[44:45]
	v_add_f64 v[50:51], v[56:57], -v[50:51]
	v_add_f64 v[44:45], v[50:51], v[44:45]
	v_add_f64 v[50:51], v[48:49], v[44:45]
	v_add_f64 v[48:49], v[50:51], -v[48:49]
	s_mov_b32 s0, 0xbf559e2b
	v_add_f64 v[44:45], v[44:45], -v[48:49]
	v_mul_f64 v[48:49], v[50:51], v[50:51]
	v_mov_b32_e32 v52, 0x6b47b09a
	v_mov_b32_e32 v53, 0x3fc38538
	s_mov_b32 s1, 0x3fc3ab76
	v_fmac_f64_e32 v[52:53], s[0:1], v[48:49]
	v_mov_b32_e32 v54, 0xd7f4df2e
	v_mov_b32_e32 v55, 0x3fc7474d
	v_fmac_f64_e32 v[54:55], v[48:49], v[52:53]
	v_mov_b32_e32 v52, 0x16291751
	v_mov_b32_e32 v53, 0x3fcc71c0
	;; [unrolled: 3-line block ×5, first 2 shown]
	v_fmac_f64_e32 v[54:55], v[48:49], v[52:53]
	v_cvt_f64_i32_e32 v[52:53], v66
	s_mov_b32 s7, 0x3fe62e42
	v_mul_f64 v[56:57], v[52:53], s[6:7]
	v_fma_f64 v[58:59], v[52:53], s[6:7], -v[56:57]
	s_mov_b32 s9, 0x3c7abc9e
	v_fmac_f64_e32 v[58:59], s[8:9], v[52:53]
	v_add_f64 v[52:53], v[56:57], v[58:59]
	v_add_f64 v[56:57], v[52:53], -v[56:57]
	v_mul_f64 v[48:49], v[50:51], v[48:49]
	v_add_f64 v[56:57], v[58:59], -v[56:57]
	v_ldexp_f64 v[58:59], v[50:51], 1
	v_mul_f64 v[48:49], v[48:49], v[54:55]
	v_add_f64 v[50:51], v[58:59], v[48:49]
	v_add_f64 v[54:55], v[50:51], -v[58:59]
	v_ldexp_f64 v[44:45], v[44:45], 1
	v_add_f64 v[48:49], v[48:49], -v[54:55]
	v_add_f64 v[44:45], v[44:45], v[48:49]
	v_add_f64 v[48:49], v[50:51], v[44:45]
	v_add_f64 v[50:51], v[48:49], -v[50:51]
	v_add_f64 v[44:45], v[44:45], -v[50:51]
	v_add_f64 v[50:51], v[52:53], v[48:49]
	v_add_f64 v[54:55], v[50:51], -v[52:53]
	v_add_f64 v[58:59], v[50:51], -v[54:55]
	;; [unrolled: 1-line block ×4, first 2 shown]
	v_add_f64 v[48:49], v[48:49], v[52:53]
	v_add_f64 v[52:53], v[56:57], v[44:45]
	v_add_f64 v[54:55], v[52:53], -v[56:57]
	v_add_f64 v[48:49], v[52:53], v[48:49]
	v_add_f64 v[58:59], v[52:53], -v[54:55]
	;; [unrolled: 2-line block ×3, first 2 shown]
	v_add_f64 v[44:45], v[44:45], -v[54:55]
	v_add_f64 v[50:51], v[52:53], -v[50:51]
	v_add_f64 v[44:45], v[44:45], v[56:57]
	v_add_f64 v[48:49], v[48:49], -v[50:51]
	s_mov_b32 s0, 0
	v_add_f64 v[44:45], v[44:45], v[48:49]
	s_mov_b32 s1, 0x7ff00000
	v_add_f64 v[44:45], v[52:53], v[44:45]
	v_cmp_eq_f64_e32 vcc, s[0:1], v[38:39]
	v_cndmask_b32_e32 v44, v44, v38, vcc
	v_cndmask_b32_e32 v45, v45, v39, vcc
	v_mov_b32_e32 v48, 0x7ff80000
	v_cmp_ngt_f64_e32 vcc, -1.0, v[38:39]
	v_cndmask_b32_e32 v45, v48, v45, vcc
	v_cmp_nge_f64_e32 vcc, -1.0, v[38:39]
	v_cndmask_b32_e32 v44, 0, v44, vcc
	v_mov_b32_e32 v48, 0xfff00000
	v_cmp_neq_f64_e32 vcc, -1.0, v[38:39]
	v_cndmask_b32_e32 v45, v48, v45, vcc
	v_add_f64 v[38:39], v[40:41], v[44:45]
.LBB3_172:
	s_or_b64 exec, exec, s[2:3]
	v_max_f64 v[40:41], v[38:39], v[38:39]
	v_min_f64 v[44:45], v[40:41], v[46:47]
	v_cmp_u_f64_e32 vcc, v[38:39], v[38:39]
	v_max_f64 v[40:41], v[40:41], v[46:47]
	v_cndmask_b32_e32 v44, v44, v38, vcc
	v_cndmask_b32_e32 v45, v45, v39, vcc
	v_cndmask_b32_e32 v40, v40, v38, vcc
	v_cndmask_b32_e32 v41, v41, v39, vcc
	v_cndmask_b32_e64 v49, v45, v9, s[18:19]
	v_cndmask_b32_e64 v48, v44, v8, s[18:19]
	;; [unrolled: 1-line block ×4, first 2 shown]
	v_cmp_neq_f64_e32 vcc, v[48:49], v[44:45]
	v_cmp_class_f64_e64 s[0:1], v[48:49], s10
	s_or_b64 s[0:1], vcc, s[0:1]
	v_pk_mov_b32 v[40:41], v[38:39], v[38:39] op_sel:[0,1]
	s_and_saveexec_b64 s[2:3], s[0:1]
	s_cbranch_execz .LBB3_174
; %bb.173:
	s_mov_b32 s0, 0x652b82fe
	v_add_f64 v[40:41], v[48:49], -v[44:45]
	s_mov_b32 s1, 0x3ff71547
	v_mul_f64 v[46:47], v[40:41], s[0:1]
	v_rndne_f64_e32 v[46:47], v[46:47]
	s_mov_b32 s7, 0xbfe62e42
	s_mov_b32 s6, 0xfefa39ef
	v_fma_f64 v[48:49], s[6:7], v[46:47], v[40:41]
	s_mov_b32 s9, 0xbc7abc9e
	s_mov_b32 s8, 0x3b39803f
	;; [unrolled: 1-line block ×3, first 2 shown]
	v_fmac_f64_e32 v[48:49], s[8:9], v[46:47]
	v_mov_b32_e32 v50, 0xfca7ab0c
	v_mov_b32_e32 v51, 0x3e928af3
	s_mov_b32 s1, 0x3e5ade15
	v_fmac_f64_e32 v[50:51], s[0:1], v[48:49]
	v_mov_b32_e32 v52, 0x623fde64
	v_mov_b32_e32 v53, 0x3ec71dee
	v_fmac_f64_e32 v[52:53], v[48:49], v[50:51]
	v_mov_b32_e32 v50, 0x7c89e6b0
	v_mov_b32_e32 v51, 0x3efa0199
	;; [unrolled: 3-line block ×8, first 2 shown]
	s_mov_b32 s0, 0
	v_fmac_f64_e32 v[50:51], v[48:49], v[52:53]
	s_mov_b32 s1, 0x40900000
	v_fma_f64 v[50:51], v[48:49], v[50:51], 1.0
	v_cmp_nlt_f64_e32 vcc, s[0:1], v[40:41]
	s_mov_b32 s0, 0
	v_fma_f64 v[48:49], v[48:49], v[50:51], 1.0
	v_cvt_i32_f64_e32 v46, v[46:47]
	s_mov_b32 s1, 0xc090cc00
	v_ldexp_f64 v[46:47], v[48:49], v46
	v_mov_b32_e32 v48, 0x7ff00000
	v_cmp_ngt_f64_e64 s[0:1], s[0:1], v[40:41]
	v_cndmask_b32_e32 v47, v48, v47, vcc
	s_and_b64 vcc, s[0:1], vcc
	v_cndmask_b32_e64 v41, 0, v47, s[0:1]
	v_cndmask_b32_e32 v40, 0, v46, vcc
	v_add_f64 v[46:47], v[40:41], 1.0
	v_add_f64 v[48:49], v[46:47], -1.0
	v_add_f64 v[50:51], v[48:49], -v[46:47]
	v_add_f64 v[50:51], v[50:51], 1.0
	v_add_f64 v[48:49], v[40:41], -v[48:49]
	s_mov_b32 s0, 0x55555555
	v_add_f64 v[48:49], v[48:49], v[50:51]
	v_frexp_mant_f64_e32 v[50:51], v[46:47]
	s_mov_b32 s1, 0x3fe55555
	v_frexp_exp_i32_f64_e32 v52, v[46:47]
	v_cmp_gt_f64_e32 vcc, s[0:1], v[50:51]
	v_subbrev_co_u32_e32 v66, vcc, 0, v52, vcc
	v_sub_u32_e32 v50, 0, v66
	v_ldexp_f64 v[46:47], v[46:47], v50
	v_ldexp_f64 v[48:49], v[48:49], v50
	v_add_f64 v[50:51], v[46:47], -1.0
	v_add_f64 v[56:57], v[46:47], 1.0
	v_add_f64 v[52:53], v[50:51], 1.0
	v_add_f64 v[58:59], v[56:57], -1.0
	v_add_f64 v[52:53], v[46:47], -v[52:53]
	v_add_f64 v[46:47], v[46:47], -v[58:59]
	v_add_f64 v[46:47], v[48:49], v[46:47]
	v_add_f64 v[52:53], v[48:49], v[52:53]
	;; [unrolled: 1-line block ×3, first 2 shown]
	v_rcp_f64_e32 v[58:59], v[48:49]
	v_add_f64 v[54:55], v[50:51], v[52:53]
	v_add_f64 v[50:51], v[54:55], -v[50:51]
	v_add_f64 v[50:51], v[52:53], -v[50:51]
	;; [unrolled: 1-line block ×4, first 2 shown]
	v_fma_f64 v[52:53], -v[48:49], v[58:59], 1.0
	v_fmac_f64_e32 v[58:59], v[52:53], v[58:59]
	v_fma_f64 v[52:53], -v[48:49], v[58:59], 1.0
	v_fmac_f64_e32 v[58:59], v[52:53], v[58:59]
	v_mul_f64 v[52:53], v[54:55], v[58:59]
	v_mul_f64 v[56:57], v[48:49], v[52:53]
	v_fma_f64 v[60:61], v[52:53], v[48:49], -v[56:57]
	v_fmac_f64_e32 v[60:61], v[52:53], v[46:47]
	v_add_f64 v[62:63], v[56:57], v[60:61]
	v_add_f64 v[64:65], v[54:55], -v[62:63]
	v_add_f64 v[54:55], v[54:55], -v[64:65]
	;; [unrolled: 1-line block ×4, first 2 shown]
	v_add_f64 v[50:51], v[50:51], v[54:55]
	v_add_f64 v[54:55], v[56:57], -v[60:61]
	v_add_f64 v[50:51], v[54:55], v[50:51]
	v_add_f64 v[54:55], v[64:65], v[50:51]
	v_add_f64 v[56:57], v[64:65], -v[54:55]
	v_add_f64 v[50:51], v[50:51], v[56:57]
	v_mul_f64 v[56:57], v[58:59], v[54:55]
	v_mul_f64 v[60:61], v[48:49], v[56:57]
	v_fma_f64 v[48:49], v[56:57], v[48:49], -v[60:61]
	v_fmac_f64_e32 v[48:49], v[56:57], v[46:47]
	v_add_f64 v[46:47], v[60:61], v[48:49]
	v_add_f64 v[62:63], v[54:55], -v[46:47]
	v_add_f64 v[54:55], v[54:55], -v[62:63]
	;; [unrolled: 1-line block ×4, first 2 shown]
	v_add_f64 v[46:47], v[50:51], v[46:47]
	v_add_f64 v[48:49], v[60:61], -v[48:49]
	v_add_f64 v[46:47], v[48:49], v[46:47]
	v_add_f64 v[48:49], v[52:53], v[56:57]
	;; [unrolled: 1-line block ×3, first 2 shown]
	v_add_f64 v[50:51], v[48:49], -v[52:53]
	v_mul_f64 v[46:47], v[58:59], v[46:47]
	v_add_f64 v[50:51], v[56:57], -v[50:51]
	v_add_f64 v[46:47], v[50:51], v[46:47]
	v_add_f64 v[50:51], v[48:49], v[46:47]
	v_add_f64 v[48:49], v[50:51], -v[48:49]
	s_mov_b32 s0, 0xbf559e2b
	v_add_f64 v[46:47], v[46:47], -v[48:49]
	v_mul_f64 v[48:49], v[50:51], v[50:51]
	v_mov_b32_e32 v52, 0x6b47b09a
	v_mov_b32_e32 v53, 0x3fc38538
	s_mov_b32 s1, 0x3fc3ab76
	v_fmac_f64_e32 v[52:53], s[0:1], v[48:49]
	v_mov_b32_e32 v54, 0xd7f4df2e
	v_mov_b32_e32 v55, 0x3fc7474d
	v_fmac_f64_e32 v[54:55], v[48:49], v[52:53]
	v_mov_b32_e32 v52, 0x16291751
	v_mov_b32_e32 v53, 0x3fcc71c0
	;; [unrolled: 3-line block ×5, first 2 shown]
	v_fmac_f64_e32 v[54:55], v[48:49], v[52:53]
	v_cvt_f64_i32_e32 v[52:53], v66
	s_mov_b32 s7, 0x3fe62e42
	v_mul_f64 v[56:57], v[52:53], s[6:7]
	v_fma_f64 v[58:59], v[52:53], s[6:7], -v[56:57]
	s_mov_b32 s9, 0x3c7abc9e
	v_fmac_f64_e32 v[58:59], s[8:9], v[52:53]
	v_add_f64 v[52:53], v[56:57], v[58:59]
	v_add_f64 v[56:57], v[52:53], -v[56:57]
	v_mul_f64 v[48:49], v[50:51], v[48:49]
	v_add_f64 v[56:57], v[58:59], -v[56:57]
	v_ldexp_f64 v[58:59], v[50:51], 1
	v_mul_f64 v[48:49], v[48:49], v[54:55]
	v_add_f64 v[50:51], v[58:59], v[48:49]
	v_add_f64 v[54:55], v[50:51], -v[58:59]
	v_ldexp_f64 v[46:47], v[46:47], 1
	v_add_f64 v[48:49], v[48:49], -v[54:55]
	v_add_f64 v[46:47], v[46:47], v[48:49]
	v_add_f64 v[48:49], v[50:51], v[46:47]
	v_add_f64 v[50:51], v[48:49], -v[50:51]
	v_add_f64 v[46:47], v[46:47], -v[50:51]
	v_add_f64 v[50:51], v[52:53], v[48:49]
	v_add_f64 v[54:55], v[50:51], -v[52:53]
	v_add_f64 v[58:59], v[50:51], -v[54:55]
	;; [unrolled: 1-line block ×4, first 2 shown]
	v_add_f64 v[48:49], v[48:49], v[52:53]
	v_add_f64 v[52:53], v[56:57], v[46:47]
	v_add_f64 v[54:55], v[52:53], -v[56:57]
	v_add_f64 v[48:49], v[52:53], v[48:49]
	v_add_f64 v[58:59], v[52:53], -v[54:55]
	;; [unrolled: 2-line block ×3, first 2 shown]
	v_add_f64 v[46:47], v[46:47], -v[54:55]
	v_add_f64 v[50:51], v[52:53], -v[50:51]
	v_add_f64 v[46:47], v[46:47], v[56:57]
	v_add_f64 v[48:49], v[48:49], -v[50:51]
	s_mov_b32 s0, 0
	v_add_f64 v[46:47], v[46:47], v[48:49]
	s_mov_b32 s1, 0x7ff00000
	v_add_f64 v[46:47], v[52:53], v[46:47]
	v_cmp_eq_f64_e32 vcc, s[0:1], v[40:41]
	v_cndmask_b32_e32 v46, v46, v40, vcc
	v_cndmask_b32_e32 v47, v47, v41, vcc
	v_mov_b32_e32 v48, 0x7ff80000
	v_cmp_ngt_f64_e32 vcc, -1.0, v[40:41]
	v_cndmask_b32_e32 v47, v48, v47, vcc
	v_cmp_nge_f64_e32 vcc, -1.0, v[40:41]
	v_cndmask_b32_e32 v46, 0, v46, vcc
	v_mov_b32_e32 v48, 0xfff00000
	v_cmp_neq_f64_e32 vcc, -1.0, v[40:41]
	v_cndmask_b32_e32 v47, v48, v47, vcc
	v_add_f64 v[40:41], v[44:45], v[46:47]
.LBB3_174:
	s_or_b64 exec, exec, s[2:3]
	s_load_dwordx8 s[36:43], s[4:5], 0x40
	s_branch .LBB3_259
.LBB3_175:
                                        ; implicit-def: $vgpr40_vgpr41
                                        ; implicit-def: $vgpr36_vgpr37
                                        ; implicit-def: $vgpr32_vgpr33
                                        ; implicit-def: $vgpr28_vgpr29
                                        ; implicit-def: $vgpr24_vgpr25
	s_load_dwordx8 s[36:43], s[4:5], 0x40
	s_cbranch_execz .LBB3_259
; %bb.176:
	s_waitcnt lgkmcnt(0)
	s_cmp_lg_u64 s[40:41], 0
	s_cselect_b64 s[2:3], -1, 0
	v_cmp_eq_u32_e64 s[0:1], 0, v0
	v_cmp_ne_u32_e32 vcc, 0, v0
	s_and_b64 s[0:1], s[0:1], s[2:3]
	s_and_saveexec_b64 s[4:5], s[0:1]
	s_cbranch_execz .LBB3_180
; %bb.177:
	v_mov_b32_e32 v22, 0
	global_load_dwordx2 v[22:23], v22, s[36:37]
	v_max_f64 v[24:25], v[2:3], v[2:3]
	s_movk_i32 s2, 0x1f8
	s_waitcnt vmcnt(0)
	v_max_f64 v[26:27], v[22:23], v[22:23]
	v_min_f64 v[28:29], v[26:27], v[24:25]
	v_max_f64 v[24:25], v[26:27], v[24:25]
	v_cmp_u_f64_e64 s[0:1], v[22:23], v[22:23]
	v_cndmask_b32_e64 v26, v28, v22, s[0:1]
	v_cndmask_b32_e64 v27, v29, v23, s[0:1]
	;; [unrolled: 1-line block ×4, first 2 shown]
	v_cmp_u_f64_e64 s[0:1], v[2:3], v[2:3]
	v_cndmask_b32_e64 v25, v27, v3, s[0:1]
	v_cndmask_b32_e64 v24, v26, v2, s[0:1]
	;; [unrolled: 1-line block ×4, first 2 shown]
	v_cmp_neq_f64_e64 s[0:1], v[24:25], v[2:3]
	v_cmp_class_f64_e64 s[2:3], v[24:25], s2
	s_or_b64 s[0:1], s[0:1], s[2:3]
	s_and_saveexec_b64 s[6:7], s[0:1]
	s_cbranch_execz .LBB3_179
; %bb.178:
	s_mov_b32 s0, 0x652b82fe
	v_add_f64 v[22:23], v[24:25], -v[2:3]
	s_mov_b32 s1, 0x3ff71547
	v_mul_f64 v[24:25], v[22:23], s[0:1]
	v_rndne_f64_e32 v[24:25], v[24:25]
	s_mov_b32 s9, 0xbfe62e42
	s_mov_b32 s8, 0xfefa39ef
	v_fma_f64 v[26:27], s[8:9], v[24:25], v[22:23]
	s_mov_b32 s11, 0xbc7abc9e
	s_mov_b32 s10, 0x3b39803f
	;; [unrolled: 1-line block ×3, first 2 shown]
	v_fmac_f64_e32 v[26:27], s[10:11], v[24:25]
	v_mov_b32_e32 v28, 0xfca7ab0c
	v_mov_b32_e32 v29, 0x3e928af3
	s_mov_b32 s1, 0x3e5ade15
	v_fmac_f64_e32 v[28:29], s[0:1], v[26:27]
	v_mov_b32_e32 v30, 0x623fde64
	v_mov_b32_e32 v31, 0x3ec71dee
	v_fmac_f64_e32 v[30:31], v[26:27], v[28:29]
	v_mov_b32_e32 v28, 0x7c89e6b0
	v_mov_b32_e32 v29, 0x3efa0199
	;; [unrolled: 3-line block ×8, first 2 shown]
	v_fmac_f64_e32 v[28:29], v[26:27], v[30:31]
	v_fma_f64 v[28:29], v[26:27], v[28:29], 1.0
	s_mov_b32 s0, 0
	s_mov_b32 s2, 0
	v_fma_f64 v[26:27], v[26:27], v[28:29], 1.0
	v_cvt_i32_f64_e32 v24, v[24:25]
	s_mov_b32 s1, 0x40900000
	s_mov_b32 s3, 0xc090cc00
	v_ldexp_f64 v[24:25], v[26:27], v24
	v_mov_b32_e32 v26, 0x7ff00000
	v_cmp_nlt_f64_e64 s[0:1], s[0:1], v[22:23]
	v_cmp_ngt_f64_e64 s[2:3], s[2:3], v[22:23]
	v_cndmask_b32_e64 v25, v26, v25, s[0:1]
	s_and_b64 s[0:1], s[2:3], s[0:1]
	v_cndmask_b32_e64 v23, 0, v25, s[2:3]
	v_cndmask_b32_e64 v22, 0, v24, s[0:1]
	v_add_f64 v[24:25], v[22:23], 1.0
	v_add_f64 v[26:27], v[24:25], -1.0
	v_add_f64 v[28:29], v[26:27], -v[24:25]
	v_add_f64 v[28:29], v[28:29], 1.0
	v_add_f64 v[26:27], v[22:23], -v[26:27]
	s_mov_b32 s0, 0x55555555
	v_add_f64 v[26:27], v[26:27], v[28:29]
	v_frexp_mant_f64_e32 v[28:29], v[24:25]
	s_mov_b32 s1, 0x3fe55555
	v_frexp_exp_i32_f64_e32 v30, v[24:25]
	v_cmp_gt_f64_e64 s[0:1], s[0:1], v[28:29]
	v_subbrev_co_u32_e64 v46, s[0:1], 0, v30, s[0:1]
	v_sub_u32_e32 v28, 0, v46
	v_ldexp_f64 v[24:25], v[24:25], v28
	v_ldexp_f64 v[26:27], v[26:27], v28
	v_add_f64 v[28:29], v[24:25], -1.0
	v_add_f64 v[34:35], v[24:25], 1.0
	v_add_f64 v[30:31], v[28:29], 1.0
	v_add_f64 v[36:37], v[34:35], -1.0
	v_add_f64 v[30:31], v[24:25], -v[30:31]
	v_add_f64 v[24:25], v[24:25], -v[36:37]
	v_add_f64 v[24:25], v[26:27], v[24:25]
	v_add_f64 v[30:31], v[26:27], v[30:31]
	v_add_f64 v[26:27], v[34:35], v[24:25]
	v_rcp_f64_e32 v[36:37], v[26:27]
	v_add_f64 v[32:33], v[28:29], v[30:31]
	v_add_f64 v[28:29], v[32:33], -v[28:29]
	v_add_f64 v[28:29], v[30:31], -v[28:29]
	v_add_f64 v[30:31], v[26:27], -v[34:35]
	v_add_f64 v[24:25], v[24:25], -v[30:31]
	v_fma_f64 v[30:31], -v[26:27], v[36:37], 1.0
	v_fmac_f64_e32 v[36:37], v[30:31], v[36:37]
	v_fma_f64 v[30:31], -v[26:27], v[36:37], 1.0
	v_fmac_f64_e32 v[36:37], v[30:31], v[36:37]
	v_mul_f64 v[30:31], v[32:33], v[36:37]
	v_mul_f64 v[34:35], v[26:27], v[30:31]
	v_fma_f64 v[38:39], v[30:31], v[26:27], -v[34:35]
	v_fmac_f64_e32 v[38:39], v[30:31], v[24:25]
	v_add_f64 v[40:41], v[34:35], v[38:39]
	v_add_f64 v[44:45], v[32:33], -v[40:41]
	v_add_f64 v[32:33], v[32:33], -v[44:45]
	;; [unrolled: 1-line block ×4, first 2 shown]
	v_add_f64 v[28:29], v[28:29], v[32:33]
	v_add_f64 v[32:33], v[34:35], -v[38:39]
	v_add_f64 v[28:29], v[32:33], v[28:29]
	v_add_f64 v[32:33], v[44:45], v[28:29]
	v_add_f64 v[34:35], v[44:45], -v[32:33]
	v_add_f64 v[28:29], v[28:29], v[34:35]
	v_mul_f64 v[34:35], v[36:37], v[32:33]
	v_mul_f64 v[38:39], v[26:27], v[34:35]
	v_fma_f64 v[26:27], v[34:35], v[26:27], -v[38:39]
	v_fmac_f64_e32 v[26:27], v[34:35], v[24:25]
	v_add_f64 v[24:25], v[38:39], v[26:27]
	v_add_f64 v[40:41], v[32:33], -v[24:25]
	v_add_f64 v[32:33], v[32:33], -v[40:41]
	;; [unrolled: 1-line block ×4, first 2 shown]
	v_add_f64 v[24:25], v[28:29], v[24:25]
	v_add_f64 v[26:27], v[38:39], -v[26:27]
	v_add_f64 v[24:25], v[26:27], v[24:25]
	v_add_f64 v[26:27], v[30:31], v[34:35]
	;; [unrolled: 1-line block ×3, first 2 shown]
	v_add_f64 v[28:29], v[26:27], -v[30:31]
	v_mul_f64 v[24:25], v[36:37], v[24:25]
	v_add_f64 v[28:29], v[34:35], -v[28:29]
	v_add_f64 v[24:25], v[28:29], v[24:25]
	v_add_f64 v[28:29], v[26:27], v[24:25]
	v_add_f64 v[26:27], v[28:29], -v[26:27]
	s_mov_b32 s0, 0xbf559e2b
	v_add_f64 v[24:25], v[24:25], -v[26:27]
	v_mul_f64 v[26:27], v[28:29], v[28:29]
	v_mov_b32_e32 v30, 0x6b47b09a
	v_mov_b32_e32 v31, 0x3fc38538
	s_mov_b32 s1, 0x3fc3ab76
	v_fmac_f64_e32 v[30:31], s[0:1], v[26:27]
	v_mov_b32_e32 v32, 0xd7f4df2e
	v_mov_b32_e32 v33, 0x3fc7474d
	v_fmac_f64_e32 v[32:33], v[26:27], v[30:31]
	v_mov_b32_e32 v30, 0x16291751
	v_mov_b32_e32 v31, 0x3fcc71c0
	;; [unrolled: 3-line block ×5, first 2 shown]
	v_fmac_f64_e32 v[32:33], v[26:27], v[30:31]
	v_cvt_f64_i32_e32 v[30:31], v46
	s_mov_b32 s9, 0x3fe62e42
	v_mul_f64 v[34:35], v[30:31], s[8:9]
	v_fma_f64 v[36:37], v[30:31], s[8:9], -v[34:35]
	s_mov_b32 s11, 0x3c7abc9e
	v_fmac_f64_e32 v[36:37], s[10:11], v[30:31]
	v_add_f64 v[30:31], v[34:35], v[36:37]
	v_add_f64 v[34:35], v[30:31], -v[34:35]
	v_mul_f64 v[26:27], v[28:29], v[26:27]
	v_add_f64 v[34:35], v[36:37], -v[34:35]
	v_ldexp_f64 v[36:37], v[28:29], 1
	v_mul_f64 v[26:27], v[26:27], v[32:33]
	v_add_f64 v[28:29], v[36:37], v[26:27]
	v_add_f64 v[32:33], v[28:29], -v[36:37]
	v_ldexp_f64 v[24:25], v[24:25], 1
	v_add_f64 v[26:27], v[26:27], -v[32:33]
	v_add_f64 v[24:25], v[24:25], v[26:27]
	v_add_f64 v[26:27], v[28:29], v[24:25]
	v_add_f64 v[28:29], v[26:27], -v[28:29]
	v_add_f64 v[24:25], v[24:25], -v[28:29]
	v_add_f64 v[28:29], v[30:31], v[26:27]
	v_add_f64 v[32:33], v[28:29], -v[30:31]
	v_add_f64 v[36:37], v[28:29], -v[32:33]
	;; [unrolled: 1-line block ×4, first 2 shown]
	v_add_f64 v[26:27], v[26:27], v[30:31]
	v_add_f64 v[30:31], v[34:35], v[24:25]
	v_add_f64 v[32:33], v[30:31], -v[34:35]
	v_add_f64 v[26:27], v[30:31], v[26:27]
	v_add_f64 v[36:37], v[30:31], -v[32:33]
	;; [unrolled: 2-line block ×3, first 2 shown]
	v_add_f64 v[24:25], v[24:25], -v[32:33]
	v_add_f64 v[28:29], v[30:31], -v[28:29]
	v_add_f64 v[24:25], v[24:25], v[34:35]
	v_add_f64 v[26:27], v[26:27], -v[28:29]
	s_mov_b32 s0, 0
	v_add_f64 v[24:25], v[24:25], v[26:27]
	s_mov_b32 s1, 0x7ff00000
	v_add_f64 v[24:25], v[30:31], v[24:25]
	v_cmp_eq_f64_e64 s[0:1], s[0:1], v[22:23]
	v_cndmask_b32_e64 v24, v24, v22, s[0:1]
	v_cndmask_b32_e64 v25, v25, v23, s[0:1]
	v_mov_b32_e32 v26, 0x7ff80000
	v_cmp_ngt_f64_e64 s[0:1], -1.0, v[22:23]
	v_cndmask_b32_e64 v25, v26, v25, s[0:1]
	v_cmp_nge_f64_e64 s[0:1], -1.0, v[22:23]
	v_cndmask_b32_e64 v24, 0, v24, s[0:1]
	v_mov_b32_e32 v26, 0xfff00000
	v_cmp_neq_f64_e64 s[0:1], -1.0, v[22:23]
	v_cndmask_b32_e64 v25, v26, v25, s[0:1]
	v_add_f64 v[22:23], v[2:3], v[24:25]
.LBB3_179:
	s_or_b64 exec, exec, s[6:7]
	v_pk_mov_b32 v[2:3], v[22:23], v[22:23] op_sel:[0,1]
.LBB3_180:
	s_or_b64 exec, exec, s[4:5]
	v_max_f64 v[24:25], v[2:3], v[2:3]
	v_min_f64 v[26:27], v[24:25], v[42:43]
	v_cmp_u_f64_e64 s[18:19], v[2:3], v[2:3]
	v_cndmask_b32_e64 v22, v26, v2, s[18:19]
	v_cndmask_b32_e64 v23, v27, v3, s[18:19]
	v_cmp_u_f64_e64 s[0:1], v[4:5], v[4:5]
	v_max_f64 v[44:45], v[24:25], v[42:43]
	v_cndmask_b32_e64 v29, v23, v5, s[0:1]
	v_cndmask_b32_e64 v28, v22, v4, s[0:1]
	;; [unrolled: 1-line block ×6, first 2 shown]
	s_movk_i32 s12, 0x1f8
	v_cmp_neq_f64_e64 s[2:3], v[28:29], v[22:23]
	v_cmp_class_f64_e64 s[4:5], v[28:29], s12
	s_or_b64 s[2:3], s[2:3], s[4:5]
	v_pk_mov_b32 v[46:47], v[2:3], v[2:3] op_sel:[0,1]
	s_and_saveexec_b64 s[6:7], s[2:3]
	s_cbranch_execz .LBB3_182
; %bb.181:
	s_mov_b32 s2, 0x652b82fe
	v_add_f64 v[28:29], v[28:29], -v[22:23]
	s_mov_b32 s3, 0x3ff71547
	v_mul_f64 v[30:31], v[28:29], s[2:3]
	v_rndne_f64_e32 v[30:31], v[30:31]
	s_mov_b32 s9, 0xbfe62e42
	s_mov_b32 s8, 0xfefa39ef
	v_fma_f64 v[32:33], s[8:9], v[30:31], v[28:29]
	s_mov_b32 s11, 0xbc7abc9e
	s_mov_b32 s10, 0x3b39803f
	s_mov_b32 s2, 0x6a5dcb37
	v_fmac_f64_e32 v[32:33], s[10:11], v[30:31]
	v_mov_b32_e32 v34, 0xfca7ab0c
	v_mov_b32_e32 v35, 0x3e928af3
	s_mov_b32 s3, 0x3e5ade15
	v_fmac_f64_e32 v[34:35], s[2:3], v[32:33]
	v_mov_b32_e32 v36, 0x623fde64
	v_mov_b32_e32 v37, 0x3ec71dee
	v_fmac_f64_e32 v[36:37], v[32:33], v[34:35]
	v_mov_b32_e32 v34, 0x7c89e6b0
	v_mov_b32_e32 v35, 0x3efa0199
	v_fmac_f64_e32 v[34:35], v[32:33], v[36:37]
	v_mov_b32_e32 v36, 0x14761f6e
	v_mov_b32_e32 v37, 0x3f2a01a0
	v_fmac_f64_e32 v[36:37], v[32:33], v[34:35]
	v_mov_b32_e32 v34, 0x1852b7b0
	v_mov_b32_e32 v35, 0x3f56c16c
	v_fmac_f64_e32 v[34:35], v[32:33], v[36:37]
	v_mov_b32_e32 v36, 0x11122322
	v_mov_b32_e32 v37, 0x3f811111
	v_fmac_f64_e32 v[36:37], v[32:33], v[34:35]
	v_mov_b32_e32 v34, 0x555502a1
	v_mov_b32_e32 v35, 0x3fa55555
	v_fmac_f64_e32 v[34:35], v[32:33], v[36:37]
	v_mov_b32_e32 v36, 0x55555511
	v_mov_b32_e32 v37, 0x3fc55555
	v_fmac_f64_e32 v[36:37], v[32:33], v[34:35]
	v_mov_b32_e32 v34, 11
	v_mov_b32_e32 v35, 0x3fe00000
	v_fmac_f64_e32 v[34:35], v[32:33], v[36:37]
	v_fma_f64 v[34:35], v[32:33], v[34:35], 1.0
	s_mov_b32 s2, 0
	s_mov_b32 s4, 0
	v_fma_f64 v[32:33], v[32:33], v[34:35], 1.0
	v_cvt_i32_f64_e32 v30, v[30:31]
	s_mov_b32 s3, 0x40900000
	s_mov_b32 s5, 0xc090cc00
	v_ldexp_f64 v[30:31], v[32:33], v30
	v_mov_b32_e32 v32, 0x7ff00000
	v_cmp_nlt_f64_e64 s[2:3], s[2:3], v[28:29]
	v_cmp_ngt_f64_e64 s[4:5], s[4:5], v[28:29]
	v_cndmask_b32_e64 v31, v32, v31, s[2:3]
	s_and_b64 s[2:3], s[4:5], s[2:3]
	v_cndmask_b32_e64 v29, 0, v31, s[4:5]
	v_cndmask_b32_e64 v28, 0, v30, s[2:3]
	v_add_f64 v[30:31], v[28:29], 1.0
	v_add_f64 v[32:33], v[30:31], -1.0
	v_add_f64 v[34:35], v[32:33], -v[30:31]
	v_add_f64 v[34:35], v[34:35], 1.0
	v_add_f64 v[32:33], v[28:29], -v[32:33]
	s_mov_b32 s2, 0x55555555
	v_add_f64 v[32:33], v[32:33], v[34:35]
	v_frexp_mant_f64_e32 v[34:35], v[30:31]
	s_mov_b32 s3, 0x3fe55555
	v_frexp_exp_i32_f64_e32 v36, v[30:31]
	v_cmp_gt_f64_e64 s[2:3], s[2:3], v[34:35]
	v_subbrev_co_u32_e64 v54, s[2:3], 0, v36, s[2:3]
	v_sub_u32_e32 v34, 0, v54
	v_ldexp_f64 v[30:31], v[30:31], v34
	v_ldexp_f64 v[32:33], v[32:33], v34
	v_add_f64 v[34:35], v[30:31], -1.0
	v_add_f64 v[40:41], v[30:31], 1.0
	v_add_f64 v[36:37], v[34:35], 1.0
	v_add_f64 v[46:47], v[40:41], -1.0
	v_add_f64 v[36:37], v[30:31], -v[36:37]
	v_add_f64 v[30:31], v[30:31], -v[46:47]
	v_add_f64 v[30:31], v[32:33], v[30:31]
	v_add_f64 v[36:37], v[32:33], v[36:37]
	;; [unrolled: 1-line block ×3, first 2 shown]
	v_rcp_f64_e32 v[46:47], v[32:33]
	v_add_f64 v[38:39], v[34:35], v[36:37]
	v_add_f64 v[34:35], v[38:39], -v[34:35]
	v_add_f64 v[34:35], v[36:37], -v[34:35]
	;; [unrolled: 1-line block ×4, first 2 shown]
	v_fma_f64 v[36:37], -v[32:33], v[46:47], 1.0
	v_fmac_f64_e32 v[46:47], v[36:37], v[46:47]
	v_fma_f64 v[36:37], -v[32:33], v[46:47], 1.0
	v_fmac_f64_e32 v[46:47], v[36:37], v[46:47]
	v_mul_f64 v[36:37], v[38:39], v[46:47]
	v_mul_f64 v[40:41], v[32:33], v[36:37]
	v_fma_f64 v[48:49], v[36:37], v[32:33], -v[40:41]
	v_fmac_f64_e32 v[48:49], v[36:37], v[30:31]
	v_add_f64 v[50:51], v[40:41], v[48:49]
	v_add_f64 v[52:53], v[38:39], -v[50:51]
	v_add_f64 v[38:39], v[38:39], -v[52:53]
	;; [unrolled: 1-line block ×4, first 2 shown]
	v_add_f64 v[34:35], v[34:35], v[38:39]
	v_add_f64 v[38:39], v[40:41], -v[48:49]
	v_add_f64 v[34:35], v[38:39], v[34:35]
	v_add_f64 v[38:39], v[52:53], v[34:35]
	v_add_f64 v[40:41], v[52:53], -v[38:39]
	v_add_f64 v[34:35], v[34:35], v[40:41]
	v_mul_f64 v[40:41], v[46:47], v[38:39]
	v_mul_f64 v[48:49], v[32:33], v[40:41]
	v_fma_f64 v[32:33], v[40:41], v[32:33], -v[48:49]
	v_fmac_f64_e32 v[32:33], v[40:41], v[30:31]
	v_add_f64 v[30:31], v[48:49], v[32:33]
	v_add_f64 v[50:51], v[38:39], -v[30:31]
	v_add_f64 v[38:39], v[38:39], -v[50:51]
	;; [unrolled: 1-line block ×4, first 2 shown]
	v_add_f64 v[30:31], v[34:35], v[30:31]
	v_add_f64 v[32:33], v[48:49], -v[32:33]
	v_add_f64 v[30:31], v[32:33], v[30:31]
	v_add_f64 v[32:33], v[36:37], v[40:41]
	;; [unrolled: 1-line block ×3, first 2 shown]
	v_add_f64 v[34:35], v[32:33], -v[36:37]
	v_mul_f64 v[30:31], v[46:47], v[30:31]
	v_add_f64 v[34:35], v[40:41], -v[34:35]
	v_add_f64 v[30:31], v[34:35], v[30:31]
	v_add_f64 v[34:35], v[32:33], v[30:31]
	v_add_f64 v[32:33], v[34:35], -v[32:33]
	s_mov_b32 s2, 0xbf559e2b
	v_add_f64 v[30:31], v[30:31], -v[32:33]
	v_mul_f64 v[32:33], v[34:35], v[34:35]
	v_mov_b32_e32 v36, 0x6b47b09a
	v_mov_b32_e32 v37, 0x3fc38538
	s_mov_b32 s3, 0x3fc3ab76
	v_fmac_f64_e32 v[36:37], s[2:3], v[32:33]
	v_mov_b32_e32 v38, 0xd7f4df2e
	v_mov_b32_e32 v39, 0x3fc7474d
	v_fmac_f64_e32 v[38:39], v[32:33], v[36:37]
	v_mov_b32_e32 v36, 0x16291751
	v_mov_b32_e32 v37, 0x3fcc71c0
	;; [unrolled: 3-line block ×5, first 2 shown]
	v_fmac_f64_e32 v[38:39], v[32:33], v[36:37]
	v_cvt_f64_i32_e32 v[36:37], v54
	s_mov_b32 s9, 0x3fe62e42
	v_mul_f64 v[40:41], v[36:37], s[8:9]
	v_fma_f64 v[46:47], v[36:37], s[8:9], -v[40:41]
	s_mov_b32 s11, 0x3c7abc9e
	v_fmac_f64_e32 v[46:47], s[10:11], v[36:37]
	v_add_f64 v[36:37], v[40:41], v[46:47]
	v_add_f64 v[40:41], v[36:37], -v[40:41]
	v_mul_f64 v[32:33], v[34:35], v[32:33]
	v_add_f64 v[40:41], v[46:47], -v[40:41]
	v_ldexp_f64 v[46:47], v[34:35], 1
	v_mul_f64 v[32:33], v[32:33], v[38:39]
	v_add_f64 v[34:35], v[46:47], v[32:33]
	v_add_f64 v[38:39], v[34:35], -v[46:47]
	v_ldexp_f64 v[30:31], v[30:31], 1
	v_add_f64 v[32:33], v[32:33], -v[38:39]
	v_add_f64 v[30:31], v[30:31], v[32:33]
	v_add_f64 v[32:33], v[34:35], v[30:31]
	v_add_f64 v[34:35], v[32:33], -v[34:35]
	v_add_f64 v[30:31], v[30:31], -v[34:35]
	v_add_f64 v[34:35], v[36:37], v[32:33]
	v_add_f64 v[38:39], v[34:35], -v[36:37]
	v_add_f64 v[46:47], v[34:35], -v[38:39]
	;; [unrolled: 1-line block ×4, first 2 shown]
	v_add_f64 v[32:33], v[32:33], v[36:37]
	v_add_f64 v[36:37], v[40:41], v[30:31]
	v_add_f64 v[38:39], v[36:37], -v[40:41]
	v_add_f64 v[32:33], v[36:37], v[32:33]
	v_add_f64 v[46:47], v[36:37], -v[38:39]
	;; [unrolled: 2-line block ×3, first 2 shown]
	v_add_f64 v[30:31], v[30:31], -v[38:39]
	v_add_f64 v[34:35], v[36:37], -v[34:35]
	v_add_f64 v[30:31], v[30:31], v[40:41]
	v_add_f64 v[32:33], v[32:33], -v[34:35]
	s_mov_b32 s2, 0
	v_add_f64 v[30:31], v[30:31], v[32:33]
	s_mov_b32 s3, 0x7ff00000
	v_add_f64 v[30:31], v[36:37], v[30:31]
	v_cmp_eq_f64_e64 s[2:3], s[2:3], v[28:29]
	v_cndmask_b32_e64 v30, v30, v28, s[2:3]
	v_cndmask_b32_e64 v31, v31, v29, s[2:3]
	v_mov_b32_e32 v32, 0x7ff80000
	v_cmp_ngt_f64_e64 s[2:3], -1.0, v[28:29]
	v_cndmask_b32_e64 v31, v32, v31, s[2:3]
	v_cmp_nge_f64_e64 s[2:3], -1.0, v[28:29]
	v_cndmask_b32_e64 v30, 0, v30, s[2:3]
	v_mov_b32_e32 v32, 0xfff00000
	v_cmp_neq_f64_e64 s[2:3], -1.0, v[28:29]
	v_cndmask_b32_e64 v31, v32, v31, s[2:3]
	v_add_f64 v[46:47], v[22:23], v[30:31]
.LBB3_182:
	s_or_b64 exec, exec, s[6:7]
	v_max_f64 v[22:23], v[18:19], v[18:19]
	v_max_f64 v[28:29], v[46:47], v[46:47]
	v_min_f64 v[30:31], v[28:29], v[22:23]
	v_cmp_u_f64_e64 s[4:5], v[46:47], v[46:47]
	v_max_f64 v[28:29], v[28:29], v[22:23]
	v_cndmask_b32_e64 v30, v30, v46, s[4:5]
	v_cndmask_b32_e64 v31, v31, v47, s[4:5]
	v_cmp_u_f64_e64 s[2:3], v[18:19], v[18:19]
	v_cndmask_b32_e64 v28, v28, v46, s[4:5]
	v_cndmask_b32_e64 v29, v29, v47, s[4:5]
	v_cndmask_b32_e64 v31, v31, v19, s[2:3]
	v_cndmask_b32_e64 v30, v30, v18, s[2:3]
	v_cndmask_b32_e64 v29, v29, v19, s[2:3]
	v_cndmask_b32_e64 v28, v28, v18, s[2:3]
	v_cmp_neq_f64_e64 s[4:5], v[30:31], v[28:29]
	v_cmp_class_f64_e64 s[6:7], v[30:31], s12
	s_or_b64 s[4:5], s[4:5], s[6:7]
	s_and_saveexec_b64 s[8:9], s[4:5]
	s_cbranch_execz .LBB3_184
; %bb.183:
	s_mov_b32 s4, 0x652b82fe
	v_add_f64 v[30:31], v[30:31], -v[28:29]
	s_mov_b32 s5, 0x3ff71547
	v_mul_f64 v[32:33], v[30:31], s[4:5]
	v_rndne_f64_e32 v[32:33], v[32:33]
	s_mov_b32 s11, 0xbfe62e42
	s_mov_b32 s10, 0xfefa39ef
	v_fma_f64 v[34:35], s[10:11], v[32:33], v[30:31]
	s_mov_b32 s13, 0xbc7abc9e
	s_mov_b32 s12, 0x3b39803f
	;; [unrolled: 1-line block ×3, first 2 shown]
	v_fmac_f64_e32 v[34:35], s[12:13], v[32:33]
	v_mov_b32_e32 v36, 0xfca7ab0c
	v_mov_b32_e32 v37, 0x3e928af3
	s_mov_b32 s5, 0x3e5ade15
	v_fmac_f64_e32 v[36:37], s[4:5], v[34:35]
	v_mov_b32_e32 v38, 0x623fde64
	v_mov_b32_e32 v39, 0x3ec71dee
	v_fmac_f64_e32 v[38:39], v[34:35], v[36:37]
	v_mov_b32_e32 v36, 0x7c89e6b0
	v_mov_b32_e32 v37, 0x3efa0199
	;; [unrolled: 3-line block ×8, first 2 shown]
	v_fmac_f64_e32 v[36:37], v[34:35], v[38:39]
	v_fma_f64 v[36:37], v[34:35], v[36:37], 1.0
	s_mov_b32 s4, 0
	s_mov_b32 s6, 0
	v_fma_f64 v[34:35], v[34:35], v[36:37], 1.0
	v_cvt_i32_f64_e32 v32, v[32:33]
	s_mov_b32 s5, 0x40900000
	s_mov_b32 s7, 0xc090cc00
	v_ldexp_f64 v[32:33], v[34:35], v32
	v_mov_b32_e32 v34, 0x7ff00000
	v_cmp_nlt_f64_e64 s[4:5], s[4:5], v[30:31]
	v_cmp_ngt_f64_e64 s[6:7], s[6:7], v[30:31]
	v_cndmask_b32_e64 v33, v34, v33, s[4:5]
	s_and_b64 s[4:5], s[6:7], s[4:5]
	v_cndmask_b32_e64 v31, 0, v33, s[6:7]
	v_cndmask_b32_e64 v30, 0, v32, s[4:5]
	v_add_f64 v[32:33], v[30:31], 1.0
	v_add_f64 v[34:35], v[32:33], -1.0
	v_add_f64 v[36:37], v[34:35], -v[32:33]
	v_add_f64 v[36:37], v[36:37], 1.0
	v_add_f64 v[34:35], v[30:31], -v[34:35]
	s_mov_b32 s4, 0x55555555
	v_add_f64 v[34:35], v[34:35], v[36:37]
	v_frexp_mant_f64_e32 v[36:37], v[32:33]
	s_mov_b32 s5, 0x3fe55555
	v_frexp_exp_i32_f64_e32 v38, v[32:33]
	v_cmp_gt_f64_e64 s[4:5], s[4:5], v[36:37]
	v_subbrev_co_u32_e64 v56, s[4:5], 0, v38, s[4:5]
	v_sub_u32_e32 v36, 0, v56
	v_ldexp_f64 v[32:33], v[32:33], v36
	v_ldexp_f64 v[34:35], v[34:35], v36
	v_add_f64 v[36:37], v[32:33], -1.0
	v_add_f64 v[46:47], v[32:33], 1.0
	v_add_f64 v[38:39], v[36:37], 1.0
	v_add_f64 v[48:49], v[46:47], -1.0
	v_add_f64 v[38:39], v[32:33], -v[38:39]
	v_add_f64 v[32:33], v[32:33], -v[48:49]
	v_add_f64 v[32:33], v[34:35], v[32:33]
	v_add_f64 v[38:39], v[34:35], v[38:39]
	;; [unrolled: 1-line block ×3, first 2 shown]
	v_rcp_f64_e32 v[48:49], v[34:35]
	v_add_f64 v[40:41], v[36:37], v[38:39]
	v_add_f64 v[36:37], v[40:41], -v[36:37]
	v_add_f64 v[36:37], v[38:39], -v[36:37]
	;; [unrolled: 1-line block ×4, first 2 shown]
	v_fma_f64 v[38:39], -v[34:35], v[48:49], 1.0
	v_fmac_f64_e32 v[48:49], v[38:39], v[48:49]
	v_fma_f64 v[38:39], -v[34:35], v[48:49], 1.0
	v_fmac_f64_e32 v[48:49], v[38:39], v[48:49]
	v_mul_f64 v[38:39], v[40:41], v[48:49]
	v_mul_f64 v[46:47], v[34:35], v[38:39]
	v_fma_f64 v[50:51], v[38:39], v[34:35], -v[46:47]
	v_fmac_f64_e32 v[50:51], v[38:39], v[32:33]
	v_add_f64 v[52:53], v[46:47], v[50:51]
	v_add_f64 v[54:55], v[40:41], -v[52:53]
	v_add_f64 v[40:41], v[40:41], -v[54:55]
	v_add_f64 v[46:47], v[52:53], -v[46:47]
	v_add_f64 v[40:41], v[40:41], -v[52:53]
	v_add_f64 v[36:37], v[36:37], v[40:41]
	v_add_f64 v[40:41], v[46:47], -v[50:51]
	v_add_f64 v[36:37], v[40:41], v[36:37]
	v_add_f64 v[40:41], v[54:55], v[36:37]
	v_add_f64 v[46:47], v[54:55], -v[40:41]
	v_add_f64 v[36:37], v[36:37], v[46:47]
	v_mul_f64 v[46:47], v[48:49], v[40:41]
	v_mul_f64 v[50:51], v[34:35], v[46:47]
	v_fma_f64 v[34:35], v[46:47], v[34:35], -v[50:51]
	v_fmac_f64_e32 v[34:35], v[46:47], v[32:33]
	v_add_f64 v[32:33], v[50:51], v[34:35]
	v_add_f64 v[52:53], v[40:41], -v[32:33]
	v_add_f64 v[40:41], v[40:41], -v[52:53]
	;; [unrolled: 1-line block ×4, first 2 shown]
	v_add_f64 v[32:33], v[36:37], v[32:33]
	v_add_f64 v[34:35], v[50:51], -v[34:35]
	v_add_f64 v[32:33], v[34:35], v[32:33]
	v_add_f64 v[34:35], v[38:39], v[46:47]
	;; [unrolled: 1-line block ×3, first 2 shown]
	v_add_f64 v[36:37], v[34:35], -v[38:39]
	v_mul_f64 v[32:33], v[48:49], v[32:33]
	v_add_f64 v[36:37], v[46:47], -v[36:37]
	v_add_f64 v[32:33], v[36:37], v[32:33]
	v_add_f64 v[36:37], v[34:35], v[32:33]
	v_add_f64 v[34:35], v[36:37], -v[34:35]
	s_mov_b32 s4, 0xbf559e2b
	v_add_f64 v[32:33], v[32:33], -v[34:35]
	v_mul_f64 v[34:35], v[36:37], v[36:37]
	v_mov_b32_e32 v38, 0x6b47b09a
	v_mov_b32_e32 v39, 0x3fc38538
	s_mov_b32 s5, 0x3fc3ab76
	v_fmac_f64_e32 v[38:39], s[4:5], v[34:35]
	v_mov_b32_e32 v40, 0xd7f4df2e
	v_mov_b32_e32 v41, 0x3fc7474d
	v_fmac_f64_e32 v[40:41], v[34:35], v[38:39]
	v_mov_b32_e32 v38, 0x16291751
	v_mov_b32_e32 v39, 0x3fcc71c0
	;; [unrolled: 3-line block ×5, first 2 shown]
	v_fmac_f64_e32 v[40:41], v[34:35], v[38:39]
	v_cvt_f64_i32_e32 v[38:39], v56
	s_mov_b32 s11, 0x3fe62e42
	v_mul_f64 v[46:47], v[38:39], s[10:11]
	v_fma_f64 v[48:49], v[38:39], s[10:11], -v[46:47]
	s_mov_b32 s13, 0x3c7abc9e
	v_fmac_f64_e32 v[48:49], s[12:13], v[38:39]
	v_add_f64 v[38:39], v[46:47], v[48:49]
	v_add_f64 v[46:47], v[38:39], -v[46:47]
	v_mul_f64 v[34:35], v[36:37], v[34:35]
	v_add_f64 v[46:47], v[48:49], -v[46:47]
	v_ldexp_f64 v[48:49], v[36:37], 1
	v_mul_f64 v[34:35], v[34:35], v[40:41]
	v_add_f64 v[36:37], v[48:49], v[34:35]
	v_add_f64 v[40:41], v[36:37], -v[48:49]
	v_ldexp_f64 v[32:33], v[32:33], 1
	v_add_f64 v[34:35], v[34:35], -v[40:41]
	v_add_f64 v[32:33], v[32:33], v[34:35]
	v_add_f64 v[34:35], v[36:37], v[32:33]
	v_add_f64 v[36:37], v[34:35], -v[36:37]
	v_add_f64 v[32:33], v[32:33], -v[36:37]
	v_add_f64 v[36:37], v[38:39], v[34:35]
	v_add_f64 v[40:41], v[36:37], -v[38:39]
	v_add_f64 v[48:49], v[36:37], -v[40:41]
	;; [unrolled: 1-line block ×4, first 2 shown]
	v_add_f64 v[34:35], v[34:35], v[38:39]
	v_add_f64 v[38:39], v[46:47], v[32:33]
	v_add_f64 v[40:41], v[38:39], -v[46:47]
	v_add_f64 v[34:35], v[38:39], v[34:35]
	v_add_f64 v[48:49], v[38:39], -v[40:41]
	;; [unrolled: 2-line block ×3, first 2 shown]
	v_add_f64 v[32:33], v[32:33], -v[40:41]
	v_add_f64 v[36:37], v[38:39], -v[36:37]
	v_add_f64 v[32:33], v[32:33], v[46:47]
	v_add_f64 v[34:35], v[34:35], -v[36:37]
	s_mov_b32 s4, 0
	v_add_f64 v[32:33], v[32:33], v[34:35]
	s_mov_b32 s5, 0x7ff00000
	v_add_f64 v[32:33], v[38:39], v[32:33]
	v_cmp_eq_f64_e64 s[4:5], s[4:5], v[30:31]
	v_cndmask_b32_e64 v32, v32, v30, s[4:5]
	v_cndmask_b32_e64 v33, v33, v31, s[4:5]
	v_mov_b32_e32 v34, 0x7ff80000
	v_cmp_ngt_f64_e64 s[4:5], -1.0, v[30:31]
	v_cndmask_b32_e64 v33, v34, v33, s[4:5]
	v_cmp_nge_f64_e64 s[4:5], -1.0, v[30:31]
	v_cndmask_b32_e64 v32, 0, v32, s[4:5]
	v_mov_b32_e32 v34, 0xfff00000
	v_cmp_neq_f64_e64 s[4:5], -1.0, v[30:31]
	v_cndmask_b32_e64 v33, v34, v33, s[4:5]
	v_add_f64 v[46:47], v[28:29], v[32:33]
.LBB3_184:
	s_or_b64 exec, exec, s[8:9]
	v_max_f64 v[28:29], v[20:21], v[20:21]
	v_max_f64 v[30:31], v[46:47], v[46:47]
	v_min_f64 v[32:33], v[30:31], v[28:29]
	v_cmp_u_f64_e64 s[6:7], v[46:47], v[46:47]
	v_max_f64 v[30:31], v[30:31], v[28:29]
	v_cndmask_b32_e64 v32, v32, v46, s[6:7]
	v_cndmask_b32_e64 v33, v33, v47, s[6:7]
	v_cmp_u_f64_e64 s[4:5], v[20:21], v[20:21]
	v_cndmask_b32_e64 v30, v30, v46, s[6:7]
	v_cndmask_b32_e64 v31, v31, v47, s[6:7]
	;; [unrolled: 1-line block ×6, first 2 shown]
	s_movk_i32 s16, 0x1f8
	v_cmp_neq_f64_e64 s[6:7], v[32:33], v[30:31]
	v_cmp_class_f64_e64 s[8:9], v[32:33], s16
	s_or_b64 s[6:7], s[6:7], s[8:9]
	s_and_saveexec_b64 s[10:11], s[6:7]
	s_cbranch_execz .LBB3_186
; %bb.185:
	s_mov_b32 s6, 0x652b82fe
	v_add_f64 v[32:33], v[32:33], -v[30:31]
	s_mov_b32 s7, 0x3ff71547
	v_mul_f64 v[34:35], v[32:33], s[6:7]
	v_rndne_f64_e32 v[34:35], v[34:35]
	s_mov_b32 s13, 0xbfe62e42
	s_mov_b32 s12, 0xfefa39ef
	v_fma_f64 v[36:37], s[12:13], v[34:35], v[32:33]
	s_mov_b32 s15, 0xbc7abc9e
	s_mov_b32 s14, 0x3b39803f
	;; [unrolled: 1-line block ×3, first 2 shown]
	v_fmac_f64_e32 v[36:37], s[14:15], v[34:35]
	v_mov_b32_e32 v38, 0xfca7ab0c
	v_mov_b32_e32 v39, 0x3e928af3
	s_mov_b32 s7, 0x3e5ade15
	v_fmac_f64_e32 v[38:39], s[6:7], v[36:37]
	v_mov_b32_e32 v40, 0x623fde64
	v_mov_b32_e32 v41, 0x3ec71dee
	v_fmac_f64_e32 v[40:41], v[36:37], v[38:39]
	v_mov_b32_e32 v38, 0x7c89e6b0
	v_mov_b32_e32 v39, 0x3efa0199
	;; [unrolled: 3-line block ×8, first 2 shown]
	v_fmac_f64_e32 v[38:39], v[36:37], v[40:41]
	v_fma_f64 v[38:39], v[36:37], v[38:39], 1.0
	s_mov_b32 s6, 0
	s_mov_b32 s8, 0
	v_fma_f64 v[36:37], v[36:37], v[38:39], 1.0
	v_cvt_i32_f64_e32 v34, v[34:35]
	s_mov_b32 s7, 0x40900000
	s_mov_b32 s9, 0xc090cc00
	v_ldexp_f64 v[34:35], v[36:37], v34
	v_mov_b32_e32 v36, 0x7ff00000
	v_cmp_nlt_f64_e64 s[6:7], s[6:7], v[32:33]
	v_cmp_ngt_f64_e64 s[8:9], s[8:9], v[32:33]
	v_cndmask_b32_e64 v35, v36, v35, s[6:7]
	s_and_b64 s[6:7], s[8:9], s[6:7]
	v_cndmask_b32_e64 v33, 0, v35, s[8:9]
	v_cndmask_b32_e64 v32, 0, v34, s[6:7]
	v_add_f64 v[34:35], v[32:33], 1.0
	v_add_f64 v[36:37], v[34:35], -1.0
	v_add_f64 v[38:39], v[36:37], -v[34:35]
	v_add_f64 v[38:39], v[38:39], 1.0
	v_add_f64 v[36:37], v[32:33], -v[36:37]
	s_mov_b32 s6, 0x55555555
	v_add_f64 v[36:37], v[36:37], v[38:39]
	v_frexp_mant_f64_e32 v[38:39], v[34:35]
	s_mov_b32 s7, 0x3fe55555
	v_frexp_exp_i32_f64_e32 v40, v[34:35]
	v_cmp_gt_f64_e64 s[6:7], s[6:7], v[38:39]
	v_subbrev_co_u32_e64 v58, s[6:7], 0, v40, s[6:7]
	v_sub_u32_e32 v38, 0, v58
	v_ldexp_f64 v[34:35], v[34:35], v38
	v_ldexp_f64 v[36:37], v[36:37], v38
	v_add_f64 v[38:39], v[34:35], -1.0
	v_add_f64 v[48:49], v[34:35], 1.0
	v_add_f64 v[40:41], v[38:39], 1.0
	v_add_f64 v[50:51], v[48:49], -1.0
	v_add_f64 v[40:41], v[34:35], -v[40:41]
	v_add_f64 v[34:35], v[34:35], -v[50:51]
	v_add_f64 v[34:35], v[36:37], v[34:35]
	v_add_f64 v[40:41], v[36:37], v[40:41]
	;; [unrolled: 1-line block ×3, first 2 shown]
	v_rcp_f64_e32 v[50:51], v[36:37]
	v_add_f64 v[46:47], v[38:39], v[40:41]
	v_add_f64 v[38:39], v[46:47], -v[38:39]
	v_add_f64 v[38:39], v[40:41], -v[38:39]
	;; [unrolled: 1-line block ×4, first 2 shown]
	v_fma_f64 v[40:41], -v[36:37], v[50:51], 1.0
	v_fmac_f64_e32 v[50:51], v[40:41], v[50:51]
	v_fma_f64 v[40:41], -v[36:37], v[50:51], 1.0
	v_fmac_f64_e32 v[50:51], v[40:41], v[50:51]
	v_mul_f64 v[40:41], v[46:47], v[50:51]
	v_mul_f64 v[48:49], v[36:37], v[40:41]
	v_fma_f64 v[52:53], v[40:41], v[36:37], -v[48:49]
	v_fmac_f64_e32 v[52:53], v[40:41], v[34:35]
	v_add_f64 v[54:55], v[48:49], v[52:53]
	v_add_f64 v[56:57], v[46:47], -v[54:55]
	v_add_f64 v[46:47], v[46:47], -v[56:57]
	;; [unrolled: 1-line block ×4, first 2 shown]
	v_add_f64 v[38:39], v[38:39], v[46:47]
	v_add_f64 v[46:47], v[48:49], -v[52:53]
	v_add_f64 v[38:39], v[46:47], v[38:39]
	v_add_f64 v[46:47], v[56:57], v[38:39]
	v_add_f64 v[48:49], v[56:57], -v[46:47]
	v_add_f64 v[38:39], v[38:39], v[48:49]
	v_mul_f64 v[48:49], v[50:51], v[46:47]
	v_mul_f64 v[52:53], v[36:37], v[48:49]
	v_fma_f64 v[36:37], v[48:49], v[36:37], -v[52:53]
	v_fmac_f64_e32 v[36:37], v[48:49], v[34:35]
	v_add_f64 v[34:35], v[52:53], v[36:37]
	v_add_f64 v[54:55], v[46:47], -v[34:35]
	v_add_f64 v[46:47], v[46:47], -v[54:55]
	;; [unrolled: 1-line block ×4, first 2 shown]
	v_add_f64 v[34:35], v[38:39], v[34:35]
	v_add_f64 v[36:37], v[52:53], -v[36:37]
	v_add_f64 v[34:35], v[36:37], v[34:35]
	v_add_f64 v[36:37], v[40:41], v[48:49]
	;; [unrolled: 1-line block ×3, first 2 shown]
	v_add_f64 v[38:39], v[36:37], -v[40:41]
	v_mul_f64 v[34:35], v[50:51], v[34:35]
	v_add_f64 v[38:39], v[48:49], -v[38:39]
	v_add_f64 v[34:35], v[38:39], v[34:35]
	v_add_f64 v[38:39], v[36:37], v[34:35]
	v_add_f64 v[36:37], v[38:39], -v[36:37]
	s_mov_b32 s6, 0xbf559e2b
	v_add_f64 v[34:35], v[34:35], -v[36:37]
	v_mul_f64 v[36:37], v[38:39], v[38:39]
	v_mov_b32_e32 v40, 0x6b47b09a
	v_mov_b32_e32 v41, 0x3fc38538
	s_mov_b32 s7, 0x3fc3ab76
	v_fmac_f64_e32 v[40:41], s[6:7], v[36:37]
	v_mov_b32_e32 v46, 0xd7f4df2e
	v_mov_b32_e32 v47, 0x3fc7474d
	v_fmac_f64_e32 v[46:47], v[36:37], v[40:41]
	v_mov_b32_e32 v40, 0x16291751
	v_mov_b32_e32 v41, 0x3fcc71c0
	;; [unrolled: 3-line block ×5, first 2 shown]
	v_fmac_f64_e32 v[46:47], v[36:37], v[40:41]
	v_cvt_f64_i32_e32 v[40:41], v58
	s_mov_b32 s13, 0x3fe62e42
	v_mul_f64 v[48:49], v[40:41], s[12:13]
	v_fma_f64 v[50:51], v[40:41], s[12:13], -v[48:49]
	s_mov_b32 s15, 0x3c7abc9e
	v_fmac_f64_e32 v[50:51], s[14:15], v[40:41]
	v_add_f64 v[40:41], v[48:49], v[50:51]
	v_add_f64 v[48:49], v[40:41], -v[48:49]
	v_mul_f64 v[36:37], v[38:39], v[36:37]
	v_add_f64 v[48:49], v[50:51], -v[48:49]
	v_ldexp_f64 v[50:51], v[38:39], 1
	v_mul_f64 v[36:37], v[36:37], v[46:47]
	v_add_f64 v[38:39], v[50:51], v[36:37]
	v_add_f64 v[46:47], v[38:39], -v[50:51]
	v_ldexp_f64 v[34:35], v[34:35], 1
	v_add_f64 v[36:37], v[36:37], -v[46:47]
	v_add_f64 v[34:35], v[34:35], v[36:37]
	v_add_f64 v[36:37], v[38:39], v[34:35]
	v_add_f64 v[38:39], v[36:37], -v[38:39]
	v_add_f64 v[34:35], v[34:35], -v[38:39]
	v_add_f64 v[38:39], v[40:41], v[36:37]
	v_add_f64 v[46:47], v[38:39], -v[40:41]
	v_add_f64 v[50:51], v[38:39], -v[46:47]
	;; [unrolled: 1-line block ×4, first 2 shown]
	v_add_f64 v[36:37], v[36:37], v[40:41]
	v_add_f64 v[40:41], v[48:49], v[34:35]
	v_add_f64 v[46:47], v[40:41], -v[48:49]
	v_add_f64 v[36:37], v[40:41], v[36:37]
	v_add_f64 v[50:51], v[40:41], -v[46:47]
	;; [unrolled: 2-line block ×3, first 2 shown]
	v_add_f64 v[34:35], v[34:35], -v[46:47]
	v_add_f64 v[38:39], v[40:41], -v[38:39]
	v_add_f64 v[34:35], v[34:35], v[48:49]
	v_add_f64 v[36:37], v[36:37], -v[38:39]
	s_mov_b32 s6, 0
	v_add_f64 v[34:35], v[34:35], v[36:37]
	s_mov_b32 s7, 0x7ff00000
	v_add_f64 v[34:35], v[40:41], v[34:35]
	v_cmp_eq_f64_e64 s[6:7], s[6:7], v[32:33]
	v_cndmask_b32_e64 v34, v34, v32, s[6:7]
	v_cndmask_b32_e64 v35, v35, v33, s[6:7]
	v_mov_b32_e32 v36, 0x7ff80000
	v_cmp_ngt_f64_e64 s[6:7], -1.0, v[32:33]
	v_cndmask_b32_e64 v35, v36, v35, s[6:7]
	v_cmp_nge_f64_e64 s[6:7], -1.0, v[32:33]
	v_cndmask_b32_e64 v34, 0, v34, s[6:7]
	v_mov_b32_e32 v36, 0xfff00000
	v_cmp_neq_f64_e64 s[6:7], -1.0, v[32:33]
	v_cndmask_b32_e64 v35, v36, v35, s[6:7]
	v_add_f64 v[46:47], v[30:31], v[34:35]
.LBB3_186:
	s_or_b64 exec, exec, s[10:11]
	v_max_f64 v[30:31], v[14:15], v[14:15]
	v_max_f64 v[32:33], v[46:47], v[46:47]
	v_min_f64 v[34:35], v[32:33], v[30:31]
	v_cmp_u_f64_e64 s[8:9], v[46:47], v[46:47]
	v_max_f64 v[32:33], v[32:33], v[30:31]
	v_cndmask_b32_e64 v34, v34, v46, s[8:9]
	v_cndmask_b32_e64 v35, v35, v47, s[8:9]
	v_cmp_u_f64_e64 s[6:7], v[14:15], v[14:15]
	v_cndmask_b32_e64 v32, v32, v46, s[8:9]
	v_cndmask_b32_e64 v33, v33, v47, s[8:9]
	;; [unrolled: 1-line block ×6, first 2 shown]
	v_cmp_neq_f64_e64 s[8:9], v[34:35], v[32:33]
	v_cmp_class_f64_e64 s[10:11], v[34:35], s16
	s_or_b64 s[8:9], s[8:9], s[10:11]
	s_and_saveexec_b64 s[12:13], s[8:9]
	s_cbranch_execz .LBB3_188
; %bb.187:
	s_mov_b32 s8, 0x652b82fe
	v_add_f64 v[34:35], v[34:35], -v[32:33]
	s_mov_b32 s9, 0x3ff71547
	v_mul_f64 v[36:37], v[34:35], s[8:9]
	v_rndne_f64_e32 v[36:37], v[36:37]
	s_mov_b32 s15, 0xbfe62e42
	s_mov_b32 s14, 0xfefa39ef
	v_fma_f64 v[38:39], s[14:15], v[36:37], v[34:35]
	s_mov_b32 s17, 0xbc7abc9e
	s_mov_b32 s16, 0x3b39803f
	;; [unrolled: 1-line block ×3, first 2 shown]
	v_fmac_f64_e32 v[38:39], s[16:17], v[36:37]
	v_mov_b32_e32 v40, 0xfca7ab0c
	v_mov_b32_e32 v41, 0x3e928af3
	s_mov_b32 s9, 0x3e5ade15
	v_fmac_f64_e32 v[40:41], s[8:9], v[38:39]
	v_mov_b32_e32 v46, 0x623fde64
	v_mov_b32_e32 v47, 0x3ec71dee
	v_fmac_f64_e32 v[46:47], v[38:39], v[40:41]
	v_mov_b32_e32 v40, 0x7c89e6b0
	v_mov_b32_e32 v41, 0x3efa0199
	;; [unrolled: 3-line block ×8, first 2 shown]
	v_fmac_f64_e32 v[40:41], v[38:39], v[46:47]
	v_fma_f64 v[40:41], v[38:39], v[40:41], 1.0
	s_mov_b32 s8, 0
	s_mov_b32 s10, 0
	v_fma_f64 v[38:39], v[38:39], v[40:41], 1.0
	v_cvt_i32_f64_e32 v36, v[36:37]
	s_mov_b32 s9, 0x40900000
	s_mov_b32 s11, 0xc090cc00
	v_ldexp_f64 v[36:37], v[38:39], v36
	v_mov_b32_e32 v38, 0x7ff00000
	v_cmp_nlt_f64_e64 s[8:9], s[8:9], v[34:35]
	v_cmp_ngt_f64_e64 s[10:11], s[10:11], v[34:35]
	v_cndmask_b32_e64 v37, v38, v37, s[8:9]
	s_and_b64 s[8:9], s[10:11], s[8:9]
	v_cndmask_b32_e64 v35, 0, v37, s[10:11]
	v_cndmask_b32_e64 v34, 0, v36, s[8:9]
	v_add_f64 v[36:37], v[34:35], 1.0
	v_add_f64 v[38:39], v[36:37], -1.0
	v_add_f64 v[40:41], v[38:39], -v[36:37]
	v_add_f64 v[40:41], v[40:41], 1.0
	v_add_f64 v[38:39], v[34:35], -v[38:39]
	s_mov_b32 s8, 0x55555555
	v_add_f64 v[38:39], v[38:39], v[40:41]
	v_frexp_mant_f64_e32 v[40:41], v[36:37]
	s_mov_b32 s9, 0x3fe55555
	v_frexp_exp_i32_f64_e32 v46, v[36:37]
	v_cmp_gt_f64_e64 s[8:9], s[8:9], v[40:41]
	v_subbrev_co_u32_e64 v60, s[8:9], 0, v46, s[8:9]
	v_sub_u32_e32 v40, 0, v60
	v_ldexp_f64 v[36:37], v[36:37], v40
	v_ldexp_f64 v[38:39], v[38:39], v40
	v_add_f64 v[40:41], v[36:37], -1.0
	v_add_f64 v[50:51], v[36:37], 1.0
	v_add_f64 v[46:47], v[40:41], 1.0
	v_add_f64 v[52:53], v[50:51], -1.0
	v_add_f64 v[46:47], v[36:37], -v[46:47]
	v_add_f64 v[36:37], v[36:37], -v[52:53]
	v_add_f64 v[36:37], v[38:39], v[36:37]
	v_add_f64 v[46:47], v[38:39], v[46:47]
	v_add_f64 v[38:39], v[50:51], v[36:37]
	v_rcp_f64_e32 v[52:53], v[38:39]
	v_add_f64 v[48:49], v[40:41], v[46:47]
	v_add_f64 v[40:41], v[48:49], -v[40:41]
	v_add_f64 v[40:41], v[46:47], -v[40:41]
	v_add_f64 v[46:47], v[38:39], -v[50:51]
	v_add_f64 v[36:37], v[36:37], -v[46:47]
	v_fma_f64 v[46:47], -v[38:39], v[52:53], 1.0
	v_fmac_f64_e32 v[52:53], v[46:47], v[52:53]
	v_fma_f64 v[46:47], -v[38:39], v[52:53], 1.0
	v_fmac_f64_e32 v[52:53], v[46:47], v[52:53]
	v_mul_f64 v[46:47], v[48:49], v[52:53]
	v_mul_f64 v[50:51], v[38:39], v[46:47]
	v_fma_f64 v[54:55], v[46:47], v[38:39], -v[50:51]
	v_fmac_f64_e32 v[54:55], v[46:47], v[36:37]
	v_add_f64 v[56:57], v[50:51], v[54:55]
	v_add_f64 v[58:59], v[48:49], -v[56:57]
	v_add_f64 v[48:49], v[48:49], -v[58:59]
	;; [unrolled: 1-line block ×4, first 2 shown]
	v_add_f64 v[40:41], v[40:41], v[48:49]
	v_add_f64 v[48:49], v[50:51], -v[54:55]
	v_add_f64 v[40:41], v[48:49], v[40:41]
	v_add_f64 v[48:49], v[58:59], v[40:41]
	v_add_f64 v[50:51], v[58:59], -v[48:49]
	v_add_f64 v[40:41], v[40:41], v[50:51]
	v_mul_f64 v[50:51], v[52:53], v[48:49]
	v_mul_f64 v[54:55], v[38:39], v[50:51]
	v_fma_f64 v[38:39], v[50:51], v[38:39], -v[54:55]
	v_fmac_f64_e32 v[38:39], v[50:51], v[36:37]
	v_add_f64 v[36:37], v[54:55], v[38:39]
	v_add_f64 v[56:57], v[48:49], -v[36:37]
	v_add_f64 v[48:49], v[48:49], -v[56:57]
	;; [unrolled: 1-line block ×4, first 2 shown]
	v_add_f64 v[36:37], v[40:41], v[36:37]
	v_add_f64 v[38:39], v[54:55], -v[38:39]
	v_add_f64 v[36:37], v[38:39], v[36:37]
	v_add_f64 v[38:39], v[46:47], v[50:51]
	;; [unrolled: 1-line block ×3, first 2 shown]
	v_add_f64 v[40:41], v[38:39], -v[46:47]
	v_mul_f64 v[36:37], v[52:53], v[36:37]
	v_add_f64 v[40:41], v[50:51], -v[40:41]
	v_add_f64 v[36:37], v[40:41], v[36:37]
	v_add_f64 v[40:41], v[38:39], v[36:37]
	v_add_f64 v[38:39], v[40:41], -v[38:39]
	s_mov_b32 s8, 0xbf559e2b
	v_add_f64 v[36:37], v[36:37], -v[38:39]
	v_mul_f64 v[38:39], v[40:41], v[40:41]
	v_mov_b32_e32 v46, 0x6b47b09a
	v_mov_b32_e32 v47, 0x3fc38538
	s_mov_b32 s9, 0x3fc3ab76
	v_fmac_f64_e32 v[46:47], s[8:9], v[38:39]
	v_mov_b32_e32 v48, 0xd7f4df2e
	v_mov_b32_e32 v49, 0x3fc7474d
	v_fmac_f64_e32 v[48:49], v[38:39], v[46:47]
	v_mov_b32_e32 v46, 0x16291751
	v_mov_b32_e32 v47, 0x3fcc71c0
	;; [unrolled: 3-line block ×5, first 2 shown]
	v_fmac_f64_e32 v[48:49], v[38:39], v[46:47]
	v_cvt_f64_i32_e32 v[46:47], v60
	s_mov_b32 s15, 0x3fe62e42
	v_mul_f64 v[50:51], v[46:47], s[14:15]
	v_fma_f64 v[52:53], v[46:47], s[14:15], -v[50:51]
	s_mov_b32 s17, 0x3c7abc9e
	v_fmac_f64_e32 v[52:53], s[16:17], v[46:47]
	v_add_f64 v[46:47], v[50:51], v[52:53]
	v_add_f64 v[50:51], v[46:47], -v[50:51]
	v_mul_f64 v[38:39], v[40:41], v[38:39]
	v_add_f64 v[50:51], v[52:53], -v[50:51]
	v_ldexp_f64 v[52:53], v[40:41], 1
	v_mul_f64 v[38:39], v[38:39], v[48:49]
	v_add_f64 v[40:41], v[52:53], v[38:39]
	v_add_f64 v[48:49], v[40:41], -v[52:53]
	v_ldexp_f64 v[36:37], v[36:37], 1
	v_add_f64 v[38:39], v[38:39], -v[48:49]
	v_add_f64 v[36:37], v[36:37], v[38:39]
	v_add_f64 v[38:39], v[40:41], v[36:37]
	v_add_f64 v[40:41], v[38:39], -v[40:41]
	v_add_f64 v[36:37], v[36:37], -v[40:41]
	v_add_f64 v[40:41], v[46:47], v[38:39]
	v_add_f64 v[48:49], v[40:41], -v[46:47]
	v_add_f64 v[52:53], v[40:41], -v[48:49]
	;; [unrolled: 1-line block ×4, first 2 shown]
	v_add_f64 v[38:39], v[38:39], v[46:47]
	v_add_f64 v[46:47], v[50:51], v[36:37]
	v_add_f64 v[48:49], v[46:47], -v[50:51]
	v_add_f64 v[38:39], v[46:47], v[38:39]
	v_add_f64 v[52:53], v[46:47], -v[48:49]
	;; [unrolled: 2-line block ×3, first 2 shown]
	v_add_f64 v[36:37], v[36:37], -v[48:49]
	v_add_f64 v[40:41], v[46:47], -v[40:41]
	v_add_f64 v[36:37], v[36:37], v[50:51]
	v_add_f64 v[38:39], v[38:39], -v[40:41]
	s_mov_b32 s8, 0
	v_add_f64 v[36:37], v[36:37], v[38:39]
	s_mov_b32 s9, 0x7ff00000
	v_add_f64 v[36:37], v[46:47], v[36:37]
	v_cmp_eq_f64_e64 s[8:9], s[8:9], v[34:35]
	v_cndmask_b32_e64 v36, v36, v34, s[8:9]
	v_cndmask_b32_e64 v37, v37, v35, s[8:9]
	v_mov_b32_e32 v38, 0x7ff80000
	v_cmp_ngt_f64_e64 s[8:9], -1.0, v[34:35]
	v_cndmask_b32_e64 v37, v38, v37, s[8:9]
	v_cmp_nge_f64_e64 s[8:9], -1.0, v[34:35]
	v_cndmask_b32_e64 v36, 0, v36, s[8:9]
	v_mov_b32_e32 v38, 0xfff00000
	v_cmp_neq_f64_e64 s[8:9], -1.0, v[34:35]
	v_cndmask_b32_e64 v37, v38, v37, s[8:9]
	v_add_f64 v[46:47], v[32:33], v[36:37]
.LBB3_188:
	s_or_b64 exec, exec, s[12:13]
	v_max_f64 v[32:33], v[16:17], v[16:17]
	v_max_f64 v[34:35], v[46:47], v[46:47]
	v_min_f64 v[36:37], v[34:35], v[32:33]
	v_cmp_u_f64_e64 s[10:11], v[46:47], v[46:47]
	v_max_f64 v[34:35], v[34:35], v[32:33]
	v_cndmask_b32_e64 v36, v36, v46, s[10:11]
	v_cndmask_b32_e64 v37, v37, v47, s[10:11]
	v_cmp_u_f64_e64 s[8:9], v[16:17], v[16:17]
	v_cndmask_b32_e64 v34, v34, v46, s[10:11]
	v_cndmask_b32_e64 v35, v35, v47, s[10:11]
	;; [unrolled: 1-line block ×6, first 2 shown]
	s_movk_i32 s22, 0x1f8
	v_cmp_neq_f64_e64 s[10:11], v[36:37], v[34:35]
	v_cmp_class_f64_e64 s[12:13], v[36:37], s22
	s_or_b64 s[10:11], s[10:11], s[12:13]
	s_and_saveexec_b64 s[14:15], s[10:11]
	s_cbranch_execz .LBB3_190
; %bb.189:
	s_mov_b32 s10, 0x652b82fe
	v_add_f64 v[36:37], v[36:37], -v[34:35]
	s_mov_b32 s11, 0x3ff71547
	v_mul_f64 v[38:39], v[36:37], s[10:11]
	v_rndne_f64_e32 v[38:39], v[38:39]
	s_mov_b32 s17, 0xbfe62e42
	s_mov_b32 s16, 0xfefa39ef
	v_fma_f64 v[40:41], s[16:17], v[38:39], v[36:37]
	s_mov_b32 s21, 0xbc7abc9e
	s_mov_b32 s20, 0x3b39803f
	;; [unrolled: 1-line block ×3, first 2 shown]
	v_fmac_f64_e32 v[40:41], s[20:21], v[38:39]
	v_mov_b32_e32 v46, 0xfca7ab0c
	v_mov_b32_e32 v47, 0x3e928af3
	s_mov_b32 s11, 0x3e5ade15
	v_fmac_f64_e32 v[46:47], s[10:11], v[40:41]
	v_mov_b32_e32 v48, 0x623fde64
	v_mov_b32_e32 v49, 0x3ec71dee
	v_fmac_f64_e32 v[48:49], v[40:41], v[46:47]
	v_mov_b32_e32 v46, 0x7c89e6b0
	v_mov_b32_e32 v47, 0x3efa0199
	;; [unrolled: 3-line block ×8, first 2 shown]
	v_fmac_f64_e32 v[46:47], v[40:41], v[48:49]
	v_fma_f64 v[46:47], v[40:41], v[46:47], 1.0
	s_mov_b32 s10, 0
	s_mov_b32 s12, 0
	v_fma_f64 v[40:41], v[40:41], v[46:47], 1.0
	v_cvt_i32_f64_e32 v38, v[38:39]
	s_mov_b32 s11, 0x40900000
	s_mov_b32 s13, 0xc090cc00
	v_ldexp_f64 v[38:39], v[40:41], v38
	v_mov_b32_e32 v40, 0x7ff00000
	v_cmp_nlt_f64_e64 s[10:11], s[10:11], v[36:37]
	v_cmp_ngt_f64_e64 s[12:13], s[12:13], v[36:37]
	v_cndmask_b32_e64 v39, v40, v39, s[10:11]
	s_and_b64 s[10:11], s[12:13], s[10:11]
	v_cndmask_b32_e64 v37, 0, v39, s[12:13]
	v_cndmask_b32_e64 v36, 0, v38, s[10:11]
	v_add_f64 v[38:39], v[36:37], 1.0
	v_add_f64 v[40:41], v[38:39], -1.0
	v_add_f64 v[46:47], v[40:41], -v[38:39]
	v_add_f64 v[46:47], v[46:47], 1.0
	v_add_f64 v[40:41], v[36:37], -v[40:41]
	s_mov_b32 s10, 0x55555555
	v_add_f64 v[40:41], v[40:41], v[46:47]
	v_frexp_mant_f64_e32 v[46:47], v[38:39]
	s_mov_b32 s11, 0x3fe55555
	v_frexp_exp_i32_f64_e32 v48, v[38:39]
	v_cmp_gt_f64_e64 s[10:11], s[10:11], v[46:47]
	v_subbrev_co_u32_e64 v62, s[10:11], 0, v48, s[10:11]
	v_sub_u32_e32 v46, 0, v62
	v_ldexp_f64 v[38:39], v[38:39], v46
	v_ldexp_f64 v[40:41], v[40:41], v46
	v_add_f64 v[46:47], v[38:39], -1.0
	v_add_f64 v[52:53], v[38:39], 1.0
	v_add_f64 v[48:49], v[46:47], 1.0
	v_add_f64 v[54:55], v[52:53], -1.0
	v_add_f64 v[48:49], v[38:39], -v[48:49]
	v_add_f64 v[38:39], v[38:39], -v[54:55]
	v_add_f64 v[38:39], v[40:41], v[38:39]
	v_add_f64 v[48:49], v[40:41], v[48:49]
	;; [unrolled: 1-line block ×3, first 2 shown]
	v_rcp_f64_e32 v[54:55], v[40:41]
	v_add_f64 v[50:51], v[46:47], v[48:49]
	v_add_f64 v[46:47], v[50:51], -v[46:47]
	v_add_f64 v[46:47], v[48:49], -v[46:47]
	;; [unrolled: 1-line block ×4, first 2 shown]
	v_fma_f64 v[48:49], -v[40:41], v[54:55], 1.0
	v_fmac_f64_e32 v[54:55], v[48:49], v[54:55]
	v_fma_f64 v[48:49], -v[40:41], v[54:55], 1.0
	v_fmac_f64_e32 v[54:55], v[48:49], v[54:55]
	v_mul_f64 v[48:49], v[50:51], v[54:55]
	v_mul_f64 v[52:53], v[40:41], v[48:49]
	v_fma_f64 v[56:57], v[48:49], v[40:41], -v[52:53]
	v_fmac_f64_e32 v[56:57], v[48:49], v[38:39]
	v_add_f64 v[58:59], v[52:53], v[56:57]
	v_add_f64 v[60:61], v[50:51], -v[58:59]
	v_add_f64 v[50:51], v[50:51], -v[60:61]
	;; [unrolled: 1-line block ×4, first 2 shown]
	v_add_f64 v[46:47], v[46:47], v[50:51]
	v_add_f64 v[50:51], v[52:53], -v[56:57]
	v_add_f64 v[46:47], v[50:51], v[46:47]
	v_add_f64 v[50:51], v[60:61], v[46:47]
	v_add_f64 v[52:53], v[60:61], -v[50:51]
	v_add_f64 v[46:47], v[46:47], v[52:53]
	v_mul_f64 v[52:53], v[54:55], v[50:51]
	v_mul_f64 v[56:57], v[40:41], v[52:53]
	v_fma_f64 v[40:41], v[52:53], v[40:41], -v[56:57]
	v_fmac_f64_e32 v[40:41], v[52:53], v[38:39]
	v_add_f64 v[38:39], v[56:57], v[40:41]
	v_add_f64 v[58:59], v[50:51], -v[38:39]
	v_add_f64 v[50:51], v[50:51], -v[58:59]
	;; [unrolled: 1-line block ×4, first 2 shown]
	v_add_f64 v[38:39], v[46:47], v[38:39]
	v_add_f64 v[40:41], v[56:57], -v[40:41]
	v_add_f64 v[38:39], v[40:41], v[38:39]
	v_add_f64 v[40:41], v[48:49], v[52:53]
	;; [unrolled: 1-line block ×3, first 2 shown]
	v_add_f64 v[46:47], v[40:41], -v[48:49]
	v_mul_f64 v[38:39], v[54:55], v[38:39]
	v_add_f64 v[46:47], v[52:53], -v[46:47]
	v_add_f64 v[38:39], v[46:47], v[38:39]
	v_add_f64 v[46:47], v[40:41], v[38:39]
	v_add_f64 v[40:41], v[46:47], -v[40:41]
	s_mov_b32 s10, 0xbf559e2b
	v_add_f64 v[38:39], v[38:39], -v[40:41]
	v_mul_f64 v[40:41], v[46:47], v[46:47]
	v_mov_b32_e32 v48, 0x6b47b09a
	v_mov_b32_e32 v49, 0x3fc38538
	s_mov_b32 s11, 0x3fc3ab76
	v_fmac_f64_e32 v[48:49], s[10:11], v[40:41]
	v_mov_b32_e32 v50, 0xd7f4df2e
	v_mov_b32_e32 v51, 0x3fc7474d
	v_fmac_f64_e32 v[50:51], v[40:41], v[48:49]
	v_mov_b32_e32 v48, 0x16291751
	v_mov_b32_e32 v49, 0x3fcc71c0
	;; [unrolled: 3-line block ×5, first 2 shown]
	v_fmac_f64_e32 v[50:51], v[40:41], v[48:49]
	v_cvt_f64_i32_e32 v[48:49], v62
	s_mov_b32 s17, 0x3fe62e42
	v_mul_f64 v[52:53], v[48:49], s[16:17]
	v_fma_f64 v[54:55], v[48:49], s[16:17], -v[52:53]
	s_mov_b32 s21, 0x3c7abc9e
	v_fmac_f64_e32 v[54:55], s[20:21], v[48:49]
	v_add_f64 v[48:49], v[52:53], v[54:55]
	v_add_f64 v[52:53], v[48:49], -v[52:53]
	v_mul_f64 v[40:41], v[46:47], v[40:41]
	v_add_f64 v[52:53], v[54:55], -v[52:53]
	v_ldexp_f64 v[54:55], v[46:47], 1
	v_mul_f64 v[40:41], v[40:41], v[50:51]
	v_add_f64 v[46:47], v[54:55], v[40:41]
	v_add_f64 v[50:51], v[46:47], -v[54:55]
	v_ldexp_f64 v[38:39], v[38:39], 1
	v_add_f64 v[40:41], v[40:41], -v[50:51]
	v_add_f64 v[38:39], v[38:39], v[40:41]
	v_add_f64 v[40:41], v[46:47], v[38:39]
	v_add_f64 v[46:47], v[40:41], -v[46:47]
	v_add_f64 v[38:39], v[38:39], -v[46:47]
	v_add_f64 v[46:47], v[48:49], v[40:41]
	v_add_f64 v[50:51], v[46:47], -v[48:49]
	v_add_f64 v[54:55], v[46:47], -v[50:51]
	;; [unrolled: 1-line block ×4, first 2 shown]
	v_add_f64 v[40:41], v[40:41], v[48:49]
	v_add_f64 v[48:49], v[52:53], v[38:39]
	v_add_f64 v[50:51], v[48:49], -v[52:53]
	v_add_f64 v[40:41], v[48:49], v[40:41]
	v_add_f64 v[54:55], v[48:49], -v[50:51]
	;; [unrolled: 2-line block ×3, first 2 shown]
	v_add_f64 v[38:39], v[38:39], -v[50:51]
	v_add_f64 v[46:47], v[48:49], -v[46:47]
	v_add_f64 v[38:39], v[38:39], v[52:53]
	v_add_f64 v[40:41], v[40:41], -v[46:47]
	s_mov_b32 s10, 0
	v_add_f64 v[38:39], v[38:39], v[40:41]
	s_mov_b32 s11, 0x7ff00000
	v_add_f64 v[38:39], v[48:49], v[38:39]
	v_cmp_eq_f64_e64 s[10:11], s[10:11], v[36:37]
	v_cndmask_b32_e64 v38, v38, v36, s[10:11]
	v_cndmask_b32_e64 v39, v39, v37, s[10:11]
	v_mov_b32_e32 v40, 0x7ff80000
	v_cmp_ngt_f64_e64 s[10:11], -1.0, v[36:37]
	v_cndmask_b32_e64 v39, v40, v39, s[10:11]
	v_cmp_nge_f64_e64 s[10:11], -1.0, v[36:37]
	v_cndmask_b32_e64 v38, 0, v38, s[10:11]
	v_mov_b32_e32 v40, 0xfff00000
	v_cmp_neq_f64_e64 s[10:11], -1.0, v[36:37]
	v_cndmask_b32_e64 v39, v40, v39, s[10:11]
	v_add_f64 v[46:47], v[34:35], v[38:39]
.LBB3_190:
	s_or_b64 exec, exec, s[14:15]
	v_max_f64 v[34:35], v[10:11], v[10:11]
	v_max_f64 v[36:37], v[46:47], v[46:47]
	v_min_f64 v[38:39], v[36:37], v[34:35]
	v_cmp_u_f64_e64 s[12:13], v[46:47], v[46:47]
	v_max_f64 v[36:37], v[36:37], v[34:35]
	v_cndmask_b32_e64 v38, v38, v46, s[12:13]
	v_cndmask_b32_e64 v39, v39, v47, s[12:13]
	v_cmp_u_f64_e64 s[10:11], v[10:11], v[10:11]
	v_cndmask_b32_e64 v36, v36, v46, s[12:13]
	v_cndmask_b32_e64 v37, v37, v47, s[12:13]
	;; [unrolled: 1-line block ×6, first 2 shown]
	v_cmp_neq_f64_e64 s[12:13], v[38:39], v[36:37]
	v_cmp_class_f64_e64 s[14:15], v[38:39], s22
	s_or_b64 s[12:13], s[12:13], s[14:15]
	s_and_saveexec_b64 s[16:17], s[12:13]
	s_cbranch_execz .LBB3_192
; %bb.191:
	s_mov_b32 s12, 0x652b82fe
	v_add_f64 v[38:39], v[38:39], -v[36:37]
	s_mov_b32 s13, 0x3ff71547
	v_mul_f64 v[40:41], v[38:39], s[12:13]
	v_rndne_f64_e32 v[40:41], v[40:41]
	s_mov_b32 s21, 0xbfe62e42
	s_mov_b32 s20, 0xfefa39ef
	v_fma_f64 v[46:47], s[20:21], v[40:41], v[38:39]
	s_mov_b32 s23, 0xbc7abc9e
	s_mov_b32 s22, 0x3b39803f
	s_mov_b32 s12, 0x6a5dcb37
	v_fmac_f64_e32 v[46:47], s[22:23], v[40:41]
	v_mov_b32_e32 v48, 0xfca7ab0c
	v_mov_b32_e32 v49, 0x3e928af3
	s_mov_b32 s13, 0x3e5ade15
	v_fmac_f64_e32 v[48:49], s[12:13], v[46:47]
	v_mov_b32_e32 v50, 0x623fde64
	v_mov_b32_e32 v51, 0x3ec71dee
	v_fmac_f64_e32 v[50:51], v[46:47], v[48:49]
	v_mov_b32_e32 v48, 0x7c89e6b0
	v_mov_b32_e32 v49, 0x3efa0199
	;; [unrolled: 3-line block ×8, first 2 shown]
	v_fmac_f64_e32 v[48:49], v[46:47], v[50:51]
	v_fma_f64 v[48:49], v[46:47], v[48:49], 1.0
	s_mov_b32 s12, 0
	s_mov_b32 s14, 0
	v_fma_f64 v[46:47], v[46:47], v[48:49], 1.0
	v_cvt_i32_f64_e32 v40, v[40:41]
	s_mov_b32 s13, 0x40900000
	s_mov_b32 s15, 0xc090cc00
	v_ldexp_f64 v[40:41], v[46:47], v40
	v_mov_b32_e32 v46, 0x7ff00000
	v_cmp_nlt_f64_e64 s[12:13], s[12:13], v[38:39]
	v_cmp_ngt_f64_e64 s[14:15], s[14:15], v[38:39]
	v_cndmask_b32_e64 v41, v46, v41, s[12:13]
	s_and_b64 s[12:13], s[14:15], s[12:13]
	v_cndmask_b32_e64 v39, 0, v41, s[14:15]
	v_cndmask_b32_e64 v38, 0, v40, s[12:13]
	v_add_f64 v[40:41], v[38:39], 1.0
	v_add_f64 v[46:47], v[40:41], -1.0
	v_add_f64 v[48:49], v[46:47], -v[40:41]
	v_add_f64 v[48:49], v[48:49], 1.0
	v_add_f64 v[46:47], v[38:39], -v[46:47]
	s_mov_b32 s12, 0x55555555
	v_add_f64 v[46:47], v[46:47], v[48:49]
	v_frexp_mant_f64_e32 v[48:49], v[40:41]
	s_mov_b32 s13, 0x3fe55555
	v_frexp_exp_i32_f64_e32 v50, v[40:41]
	v_cmp_gt_f64_e64 s[12:13], s[12:13], v[48:49]
	v_subbrev_co_u32_e64 v64, s[12:13], 0, v50, s[12:13]
	v_sub_u32_e32 v48, 0, v64
	v_ldexp_f64 v[40:41], v[40:41], v48
	v_ldexp_f64 v[46:47], v[46:47], v48
	v_add_f64 v[48:49], v[40:41], -1.0
	v_add_f64 v[54:55], v[40:41], 1.0
	v_add_f64 v[50:51], v[48:49], 1.0
	v_add_f64 v[56:57], v[54:55], -1.0
	v_add_f64 v[50:51], v[40:41], -v[50:51]
	v_add_f64 v[40:41], v[40:41], -v[56:57]
	v_add_f64 v[40:41], v[46:47], v[40:41]
	v_add_f64 v[50:51], v[46:47], v[50:51]
	v_add_f64 v[46:47], v[54:55], v[40:41]
	v_rcp_f64_e32 v[56:57], v[46:47]
	v_add_f64 v[52:53], v[48:49], v[50:51]
	v_add_f64 v[48:49], v[52:53], -v[48:49]
	v_add_f64 v[48:49], v[50:51], -v[48:49]
	;; [unrolled: 1-line block ×4, first 2 shown]
	v_fma_f64 v[50:51], -v[46:47], v[56:57], 1.0
	v_fmac_f64_e32 v[56:57], v[50:51], v[56:57]
	v_fma_f64 v[50:51], -v[46:47], v[56:57], 1.0
	v_fmac_f64_e32 v[56:57], v[50:51], v[56:57]
	v_mul_f64 v[50:51], v[52:53], v[56:57]
	v_mul_f64 v[54:55], v[46:47], v[50:51]
	v_fma_f64 v[58:59], v[50:51], v[46:47], -v[54:55]
	v_fmac_f64_e32 v[58:59], v[50:51], v[40:41]
	v_add_f64 v[60:61], v[54:55], v[58:59]
	v_add_f64 v[62:63], v[52:53], -v[60:61]
	v_add_f64 v[52:53], v[52:53], -v[62:63]
	;; [unrolled: 1-line block ×4, first 2 shown]
	v_add_f64 v[48:49], v[48:49], v[52:53]
	v_add_f64 v[52:53], v[54:55], -v[58:59]
	v_add_f64 v[48:49], v[52:53], v[48:49]
	v_add_f64 v[52:53], v[62:63], v[48:49]
	v_add_f64 v[54:55], v[62:63], -v[52:53]
	v_add_f64 v[48:49], v[48:49], v[54:55]
	v_mul_f64 v[54:55], v[56:57], v[52:53]
	v_mul_f64 v[58:59], v[46:47], v[54:55]
	v_fma_f64 v[46:47], v[54:55], v[46:47], -v[58:59]
	v_fmac_f64_e32 v[46:47], v[54:55], v[40:41]
	v_add_f64 v[40:41], v[58:59], v[46:47]
	v_add_f64 v[60:61], v[52:53], -v[40:41]
	v_add_f64 v[52:53], v[52:53], -v[60:61]
	;; [unrolled: 1-line block ×4, first 2 shown]
	v_add_f64 v[40:41], v[48:49], v[40:41]
	v_add_f64 v[46:47], v[58:59], -v[46:47]
	v_add_f64 v[40:41], v[46:47], v[40:41]
	v_add_f64 v[46:47], v[50:51], v[54:55]
	;; [unrolled: 1-line block ×3, first 2 shown]
	v_add_f64 v[48:49], v[46:47], -v[50:51]
	v_mul_f64 v[40:41], v[56:57], v[40:41]
	v_add_f64 v[48:49], v[54:55], -v[48:49]
	v_add_f64 v[40:41], v[48:49], v[40:41]
	v_add_f64 v[48:49], v[46:47], v[40:41]
	v_add_f64 v[46:47], v[48:49], -v[46:47]
	s_mov_b32 s12, 0xbf559e2b
	v_add_f64 v[40:41], v[40:41], -v[46:47]
	v_mul_f64 v[46:47], v[48:49], v[48:49]
	v_mov_b32_e32 v50, 0x6b47b09a
	v_mov_b32_e32 v51, 0x3fc38538
	s_mov_b32 s13, 0x3fc3ab76
	v_fmac_f64_e32 v[50:51], s[12:13], v[46:47]
	v_mov_b32_e32 v52, 0xd7f4df2e
	v_mov_b32_e32 v53, 0x3fc7474d
	v_fmac_f64_e32 v[52:53], v[46:47], v[50:51]
	v_mov_b32_e32 v50, 0x16291751
	v_mov_b32_e32 v51, 0x3fcc71c0
	v_fmac_f64_e32 v[50:51], v[46:47], v[52:53]
	v_mov_b32_e32 v52, 0x9b27acf1
	v_mov_b32_e32 v53, 0x3fd24924
	v_fmac_f64_e32 v[52:53], v[46:47], v[50:51]
	v_mov_b32_e32 v50, 0x998ef7b6
	v_mov_b32_e32 v51, 0x3fd99999
	v_fmac_f64_e32 v[50:51], v[46:47], v[52:53]
	v_mov_b32_e32 v52, 0x55555780
	v_mov_b32_e32 v53, 0x3fe55555
	v_fmac_f64_e32 v[52:53], v[46:47], v[50:51]
	v_cvt_f64_i32_e32 v[50:51], v64
	s_mov_b32 s21, 0x3fe62e42
	v_mul_f64 v[54:55], v[50:51], s[20:21]
	v_fma_f64 v[56:57], v[50:51], s[20:21], -v[54:55]
	s_mov_b32 s23, 0x3c7abc9e
	v_fmac_f64_e32 v[56:57], s[22:23], v[50:51]
	v_add_f64 v[50:51], v[54:55], v[56:57]
	v_add_f64 v[54:55], v[50:51], -v[54:55]
	v_mul_f64 v[46:47], v[48:49], v[46:47]
	v_add_f64 v[54:55], v[56:57], -v[54:55]
	v_ldexp_f64 v[56:57], v[48:49], 1
	v_mul_f64 v[46:47], v[46:47], v[52:53]
	v_add_f64 v[48:49], v[56:57], v[46:47]
	v_add_f64 v[52:53], v[48:49], -v[56:57]
	v_ldexp_f64 v[40:41], v[40:41], 1
	v_add_f64 v[46:47], v[46:47], -v[52:53]
	v_add_f64 v[40:41], v[40:41], v[46:47]
	v_add_f64 v[46:47], v[48:49], v[40:41]
	v_add_f64 v[48:49], v[46:47], -v[48:49]
	v_add_f64 v[40:41], v[40:41], -v[48:49]
	v_add_f64 v[48:49], v[50:51], v[46:47]
	v_add_f64 v[52:53], v[48:49], -v[50:51]
	v_add_f64 v[56:57], v[48:49], -v[52:53]
	;; [unrolled: 1-line block ×4, first 2 shown]
	v_add_f64 v[46:47], v[46:47], v[50:51]
	v_add_f64 v[50:51], v[54:55], v[40:41]
	v_add_f64 v[52:53], v[50:51], -v[54:55]
	v_add_f64 v[46:47], v[50:51], v[46:47]
	v_add_f64 v[56:57], v[50:51], -v[52:53]
	v_add_f64 v[50:51], v[48:49], v[46:47]
	v_add_f64 v[54:55], v[54:55], -v[56:57]
	v_add_f64 v[40:41], v[40:41], -v[52:53]
	v_add_f64 v[48:49], v[50:51], -v[48:49]
	v_add_f64 v[40:41], v[40:41], v[54:55]
	v_add_f64 v[46:47], v[46:47], -v[48:49]
	s_mov_b32 s12, 0
	v_add_f64 v[40:41], v[40:41], v[46:47]
	s_mov_b32 s13, 0x7ff00000
	v_add_f64 v[40:41], v[50:51], v[40:41]
	v_cmp_eq_f64_e64 s[12:13], s[12:13], v[38:39]
	v_cndmask_b32_e64 v40, v40, v38, s[12:13]
	v_cndmask_b32_e64 v41, v41, v39, s[12:13]
	v_mov_b32_e32 v46, 0x7ff80000
	v_cmp_ngt_f64_e64 s[12:13], -1.0, v[38:39]
	v_cndmask_b32_e64 v41, v46, v41, s[12:13]
	v_cmp_nge_f64_e64 s[12:13], -1.0, v[38:39]
	v_cndmask_b32_e64 v40, 0, v40, s[12:13]
	v_mov_b32_e32 v46, 0xfff00000
	v_cmp_neq_f64_e64 s[12:13], -1.0, v[38:39]
	v_cndmask_b32_e64 v41, v46, v41, s[12:13]
	v_add_f64 v[46:47], v[36:37], v[40:41]
.LBB3_192:
	s_or_b64 exec, exec, s[16:17]
	v_max_f64 v[36:37], v[12:13], v[12:13]
	v_max_f64 v[38:39], v[46:47], v[46:47]
	v_min_f64 v[40:41], v[38:39], v[36:37]
	v_cmp_u_f64_e64 s[14:15], v[46:47], v[46:47]
	v_max_f64 v[38:39], v[38:39], v[36:37]
	v_cndmask_b32_e64 v40, v40, v46, s[14:15]
	v_cndmask_b32_e64 v41, v41, v47, s[14:15]
	v_cmp_u_f64_e64 s[12:13], v[12:13], v[12:13]
	v_cndmask_b32_e64 v38, v38, v46, s[14:15]
	v_cndmask_b32_e64 v39, v39, v47, s[14:15]
	;; [unrolled: 1-line block ×6, first 2 shown]
	s_movk_i32 s26, 0x1f8
	v_cmp_neq_f64_e64 s[14:15], v[40:41], v[38:39]
	v_cmp_class_f64_e64 s[16:17], v[40:41], s26
	s_or_b64 s[14:15], s[14:15], s[16:17]
	s_and_saveexec_b64 s[20:21], s[14:15]
	s_cbranch_execz .LBB3_194
; %bb.193:
	s_mov_b32 s14, 0x652b82fe
	v_add_f64 v[40:41], v[40:41], -v[38:39]
	s_mov_b32 s15, 0x3ff71547
	v_mul_f64 v[46:47], v[40:41], s[14:15]
	v_rndne_f64_e32 v[46:47], v[46:47]
	s_mov_b32 s23, 0xbfe62e42
	s_mov_b32 s22, 0xfefa39ef
	v_fma_f64 v[48:49], s[22:23], v[46:47], v[40:41]
	s_mov_b32 s25, 0xbc7abc9e
	s_mov_b32 s24, 0x3b39803f
	;; [unrolled: 1-line block ×3, first 2 shown]
	v_fmac_f64_e32 v[48:49], s[24:25], v[46:47]
	v_mov_b32_e32 v50, 0xfca7ab0c
	v_mov_b32_e32 v51, 0x3e928af3
	s_mov_b32 s15, 0x3e5ade15
	v_fmac_f64_e32 v[50:51], s[14:15], v[48:49]
	v_mov_b32_e32 v52, 0x623fde64
	v_mov_b32_e32 v53, 0x3ec71dee
	v_fmac_f64_e32 v[52:53], v[48:49], v[50:51]
	v_mov_b32_e32 v50, 0x7c89e6b0
	v_mov_b32_e32 v51, 0x3efa0199
	;; [unrolled: 3-line block ×8, first 2 shown]
	v_fmac_f64_e32 v[50:51], v[48:49], v[52:53]
	v_fma_f64 v[50:51], v[48:49], v[50:51], 1.0
	s_mov_b32 s14, 0
	s_mov_b32 s16, 0
	v_fma_f64 v[48:49], v[48:49], v[50:51], 1.0
	v_cvt_i32_f64_e32 v46, v[46:47]
	s_mov_b32 s15, 0x40900000
	s_mov_b32 s17, 0xc090cc00
	v_ldexp_f64 v[46:47], v[48:49], v46
	v_mov_b32_e32 v48, 0x7ff00000
	v_cmp_nlt_f64_e64 s[14:15], s[14:15], v[40:41]
	v_cmp_ngt_f64_e64 s[16:17], s[16:17], v[40:41]
	v_cndmask_b32_e64 v47, v48, v47, s[14:15]
	s_and_b64 s[14:15], s[16:17], s[14:15]
	v_cndmask_b32_e64 v41, 0, v47, s[16:17]
	v_cndmask_b32_e64 v40, 0, v46, s[14:15]
	v_add_f64 v[46:47], v[40:41], 1.0
	v_add_f64 v[48:49], v[46:47], -1.0
	v_add_f64 v[50:51], v[48:49], -v[46:47]
	v_add_f64 v[50:51], v[50:51], 1.0
	v_add_f64 v[48:49], v[40:41], -v[48:49]
	s_mov_b32 s14, 0x55555555
	v_add_f64 v[48:49], v[48:49], v[50:51]
	v_frexp_mant_f64_e32 v[50:51], v[46:47]
	s_mov_b32 s15, 0x3fe55555
	v_frexp_exp_i32_f64_e32 v52, v[46:47]
	v_cmp_gt_f64_e64 s[14:15], s[14:15], v[50:51]
	v_subbrev_co_u32_e64 v66, s[14:15], 0, v52, s[14:15]
	v_sub_u32_e32 v50, 0, v66
	v_ldexp_f64 v[46:47], v[46:47], v50
	v_ldexp_f64 v[48:49], v[48:49], v50
	v_add_f64 v[50:51], v[46:47], -1.0
	v_add_f64 v[56:57], v[46:47], 1.0
	v_add_f64 v[52:53], v[50:51], 1.0
	v_add_f64 v[58:59], v[56:57], -1.0
	v_add_f64 v[52:53], v[46:47], -v[52:53]
	v_add_f64 v[46:47], v[46:47], -v[58:59]
	v_add_f64 v[46:47], v[48:49], v[46:47]
	v_add_f64 v[52:53], v[48:49], v[52:53]
	;; [unrolled: 1-line block ×3, first 2 shown]
	v_rcp_f64_e32 v[58:59], v[48:49]
	v_add_f64 v[54:55], v[50:51], v[52:53]
	v_add_f64 v[50:51], v[54:55], -v[50:51]
	v_add_f64 v[50:51], v[52:53], -v[50:51]
	;; [unrolled: 1-line block ×4, first 2 shown]
	v_fma_f64 v[52:53], -v[48:49], v[58:59], 1.0
	v_fmac_f64_e32 v[58:59], v[52:53], v[58:59]
	v_fma_f64 v[52:53], -v[48:49], v[58:59], 1.0
	v_fmac_f64_e32 v[58:59], v[52:53], v[58:59]
	v_mul_f64 v[52:53], v[54:55], v[58:59]
	v_mul_f64 v[56:57], v[48:49], v[52:53]
	v_fma_f64 v[60:61], v[52:53], v[48:49], -v[56:57]
	v_fmac_f64_e32 v[60:61], v[52:53], v[46:47]
	v_add_f64 v[62:63], v[56:57], v[60:61]
	v_add_f64 v[64:65], v[54:55], -v[62:63]
	v_add_f64 v[54:55], v[54:55], -v[64:65]
	;; [unrolled: 1-line block ×4, first 2 shown]
	v_add_f64 v[50:51], v[50:51], v[54:55]
	v_add_f64 v[54:55], v[56:57], -v[60:61]
	v_add_f64 v[50:51], v[54:55], v[50:51]
	v_add_f64 v[54:55], v[64:65], v[50:51]
	v_add_f64 v[56:57], v[64:65], -v[54:55]
	v_add_f64 v[50:51], v[50:51], v[56:57]
	v_mul_f64 v[56:57], v[58:59], v[54:55]
	v_mul_f64 v[60:61], v[48:49], v[56:57]
	v_fma_f64 v[48:49], v[56:57], v[48:49], -v[60:61]
	v_fmac_f64_e32 v[48:49], v[56:57], v[46:47]
	v_add_f64 v[46:47], v[60:61], v[48:49]
	v_add_f64 v[62:63], v[54:55], -v[46:47]
	v_add_f64 v[54:55], v[54:55], -v[62:63]
	;; [unrolled: 1-line block ×4, first 2 shown]
	v_add_f64 v[46:47], v[50:51], v[46:47]
	v_add_f64 v[48:49], v[60:61], -v[48:49]
	v_add_f64 v[46:47], v[48:49], v[46:47]
	v_add_f64 v[48:49], v[52:53], v[56:57]
	;; [unrolled: 1-line block ×3, first 2 shown]
	v_add_f64 v[50:51], v[48:49], -v[52:53]
	v_mul_f64 v[46:47], v[58:59], v[46:47]
	v_add_f64 v[50:51], v[56:57], -v[50:51]
	v_add_f64 v[46:47], v[50:51], v[46:47]
	v_add_f64 v[50:51], v[48:49], v[46:47]
	v_add_f64 v[48:49], v[50:51], -v[48:49]
	s_mov_b32 s14, 0xbf559e2b
	v_add_f64 v[46:47], v[46:47], -v[48:49]
	v_mul_f64 v[48:49], v[50:51], v[50:51]
	v_mov_b32_e32 v52, 0x6b47b09a
	v_mov_b32_e32 v53, 0x3fc38538
	s_mov_b32 s15, 0x3fc3ab76
	v_fmac_f64_e32 v[52:53], s[14:15], v[48:49]
	v_mov_b32_e32 v54, 0xd7f4df2e
	v_mov_b32_e32 v55, 0x3fc7474d
	v_fmac_f64_e32 v[54:55], v[48:49], v[52:53]
	v_mov_b32_e32 v52, 0x16291751
	v_mov_b32_e32 v53, 0x3fcc71c0
	;; [unrolled: 3-line block ×5, first 2 shown]
	v_fmac_f64_e32 v[54:55], v[48:49], v[52:53]
	v_cvt_f64_i32_e32 v[52:53], v66
	s_mov_b32 s23, 0x3fe62e42
	v_mul_f64 v[56:57], v[52:53], s[22:23]
	v_fma_f64 v[58:59], v[52:53], s[22:23], -v[56:57]
	s_mov_b32 s25, 0x3c7abc9e
	v_fmac_f64_e32 v[58:59], s[24:25], v[52:53]
	v_add_f64 v[52:53], v[56:57], v[58:59]
	v_add_f64 v[56:57], v[52:53], -v[56:57]
	v_mul_f64 v[48:49], v[50:51], v[48:49]
	v_add_f64 v[56:57], v[58:59], -v[56:57]
	v_ldexp_f64 v[58:59], v[50:51], 1
	v_mul_f64 v[48:49], v[48:49], v[54:55]
	v_add_f64 v[50:51], v[58:59], v[48:49]
	v_add_f64 v[54:55], v[50:51], -v[58:59]
	v_ldexp_f64 v[46:47], v[46:47], 1
	v_add_f64 v[48:49], v[48:49], -v[54:55]
	v_add_f64 v[46:47], v[46:47], v[48:49]
	v_add_f64 v[48:49], v[50:51], v[46:47]
	v_add_f64 v[50:51], v[48:49], -v[50:51]
	v_add_f64 v[46:47], v[46:47], -v[50:51]
	v_add_f64 v[50:51], v[52:53], v[48:49]
	v_add_f64 v[54:55], v[50:51], -v[52:53]
	v_add_f64 v[58:59], v[50:51], -v[54:55]
	v_add_f64 v[52:53], v[52:53], -v[58:59]
	v_add_f64 v[48:49], v[48:49], -v[54:55]
	v_add_f64 v[48:49], v[48:49], v[52:53]
	v_add_f64 v[52:53], v[56:57], v[46:47]
	v_add_f64 v[54:55], v[52:53], -v[56:57]
	v_add_f64 v[48:49], v[52:53], v[48:49]
	v_add_f64 v[58:59], v[52:53], -v[54:55]
	;; [unrolled: 2-line block ×3, first 2 shown]
	v_add_f64 v[46:47], v[46:47], -v[54:55]
	v_add_f64 v[50:51], v[52:53], -v[50:51]
	v_add_f64 v[46:47], v[46:47], v[56:57]
	v_add_f64 v[48:49], v[48:49], -v[50:51]
	s_mov_b32 s14, 0
	v_add_f64 v[46:47], v[46:47], v[48:49]
	s_mov_b32 s15, 0x7ff00000
	v_add_f64 v[46:47], v[52:53], v[46:47]
	v_cmp_eq_f64_e64 s[14:15], s[14:15], v[40:41]
	v_cndmask_b32_e64 v46, v46, v40, s[14:15]
	v_cndmask_b32_e64 v47, v47, v41, s[14:15]
	v_mov_b32_e32 v48, 0x7ff80000
	v_cmp_ngt_f64_e64 s[14:15], -1.0, v[40:41]
	v_cndmask_b32_e64 v47, v48, v47, s[14:15]
	v_cmp_nge_f64_e64 s[14:15], -1.0, v[40:41]
	v_cndmask_b32_e64 v46, 0, v46, s[14:15]
	v_mov_b32_e32 v48, 0xfff00000
	v_cmp_neq_f64_e64 s[14:15], -1.0, v[40:41]
	v_cndmask_b32_e64 v47, v48, v47, s[14:15]
	v_add_f64 v[46:47], v[38:39], v[46:47]
.LBB3_194:
	s_or_b64 exec, exec, s[20:21]
	v_max_f64 v[38:39], v[6:7], v[6:7]
	v_max_f64 v[40:41], v[46:47], v[46:47]
	v_min_f64 v[48:49], v[40:41], v[38:39]
	v_cmp_u_f64_e64 s[16:17], v[46:47], v[46:47]
	v_max_f64 v[40:41], v[40:41], v[38:39]
	v_cndmask_b32_e64 v48, v48, v46, s[16:17]
	v_cndmask_b32_e64 v49, v49, v47, s[16:17]
	v_cmp_u_f64_e64 s[14:15], v[6:7], v[6:7]
	v_cndmask_b32_e64 v40, v40, v46, s[16:17]
	v_cndmask_b32_e64 v41, v41, v47, s[16:17]
	;; [unrolled: 1-line block ×6, first 2 shown]
	v_cmp_neq_f64_e64 s[16:17], v[48:49], v[40:41]
	v_cmp_class_f64_e64 s[20:21], v[48:49], s26
	s_or_b64 s[16:17], s[16:17], s[20:21]
	s_and_saveexec_b64 s[22:23], s[16:17]
	s_cbranch_execz .LBB3_196
; %bb.195:
	s_mov_b32 s16, 0x652b82fe
	v_add_f64 v[46:47], v[48:49], -v[40:41]
	s_mov_b32 s17, 0x3ff71547
	v_mul_f64 v[48:49], v[46:47], s[16:17]
	v_rndne_f64_e32 v[48:49], v[48:49]
	s_mov_b32 s25, 0xbfe62e42
	s_mov_b32 s24, 0xfefa39ef
	v_fma_f64 v[50:51], s[24:25], v[48:49], v[46:47]
	s_mov_b32 s27, 0xbc7abc9e
	s_mov_b32 s26, 0x3b39803f
	s_mov_b32 s16, 0x6a5dcb37
	v_fmac_f64_e32 v[50:51], s[26:27], v[48:49]
	v_mov_b32_e32 v52, 0xfca7ab0c
	v_mov_b32_e32 v53, 0x3e928af3
	s_mov_b32 s17, 0x3e5ade15
	v_fmac_f64_e32 v[52:53], s[16:17], v[50:51]
	v_mov_b32_e32 v54, 0x623fde64
	v_mov_b32_e32 v55, 0x3ec71dee
	v_fmac_f64_e32 v[54:55], v[50:51], v[52:53]
	v_mov_b32_e32 v52, 0x7c89e6b0
	v_mov_b32_e32 v53, 0x3efa0199
	;; [unrolled: 3-line block ×8, first 2 shown]
	v_fmac_f64_e32 v[52:53], v[50:51], v[54:55]
	v_fma_f64 v[52:53], v[50:51], v[52:53], 1.0
	s_mov_b32 s16, 0
	s_mov_b32 s20, 0
	v_fma_f64 v[50:51], v[50:51], v[52:53], 1.0
	v_cvt_i32_f64_e32 v48, v[48:49]
	s_mov_b32 s17, 0x40900000
	s_mov_b32 s21, 0xc090cc00
	v_ldexp_f64 v[48:49], v[50:51], v48
	v_mov_b32_e32 v50, 0x7ff00000
	v_cmp_nlt_f64_e64 s[16:17], s[16:17], v[46:47]
	v_cmp_ngt_f64_e64 s[20:21], s[20:21], v[46:47]
	v_cndmask_b32_e64 v49, v50, v49, s[16:17]
	s_and_b64 s[16:17], s[20:21], s[16:17]
	v_cndmask_b32_e64 v47, 0, v49, s[20:21]
	v_cndmask_b32_e64 v46, 0, v48, s[16:17]
	v_add_f64 v[48:49], v[46:47], 1.0
	v_add_f64 v[50:51], v[48:49], -1.0
	v_add_f64 v[52:53], v[50:51], -v[48:49]
	v_add_f64 v[52:53], v[52:53], 1.0
	v_add_f64 v[50:51], v[46:47], -v[50:51]
	s_mov_b32 s16, 0x55555555
	v_add_f64 v[50:51], v[50:51], v[52:53]
	v_frexp_mant_f64_e32 v[52:53], v[48:49]
	s_mov_b32 s17, 0x3fe55555
	v_frexp_exp_i32_f64_e32 v54, v[48:49]
	v_cmp_gt_f64_e64 s[16:17], s[16:17], v[52:53]
	v_subbrev_co_u32_e64 v68, s[16:17], 0, v54, s[16:17]
	v_sub_u32_e32 v52, 0, v68
	v_ldexp_f64 v[48:49], v[48:49], v52
	v_ldexp_f64 v[50:51], v[50:51], v52
	v_add_f64 v[52:53], v[48:49], -1.0
	v_add_f64 v[58:59], v[48:49], 1.0
	v_add_f64 v[54:55], v[52:53], 1.0
	v_add_f64 v[60:61], v[58:59], -1.0
	v_add_f64 v[54:55], v[48:49], -v[54:55]
	v_add_f64 v[48:49], v[48:49], -v[60:61]
	v_add_f64 v[48:49], v[50:51], v[48:49]
	v_add_f64 v[54:55], v[50:51], v[54:55]
	;; [unrolled: 1-line block ×3, first 2 shown]
	v_rcp_f64_e32 v[60:61], v[50:51]
	v_add_f64 v[56:57], v[52:53], v[54:55]
	v_add_f64 v[52:53], v[56:57], -v[52:53]
	v_add_f64 v[52:53], v[54:55], -v[52:53]
	;; [unrolled: 1-line block ×4, first 2 shown]
	v_fma_f64 v[54:55], -v[50:51], v[60:61], 1.0
	v_fmac_f64_e32 v[60:61], v[54:55], v[60:61]
	v_fma_f64 v[54:55], -v[50:51], v[60:61], 1.0
	v_fmac_f64_e32 v[60:61], v[54:55], v[60:61]
	v_mul_f64 v[54:55], v[56:57], v[60:61]
	v_mul_f64 v[58:59], v[50:51], v[54:55]
	v_fma_f64 v[62:63], v[54:55], v[50:51], -v[58:59]
	v_fmac_f64_e32 v[62:63], v[54:55], v[48:49]
	v_add_f64 v[64:65], v[58:59], v[62:63]
	v_add_f64 v[66:67], v[56:57], -v[64:65]
	v_add_f64 v[56:57], v[56:57], -v[66:67]
	;; [unrolled: 1-line block ×4, first 2 shown]
	v_add_f64 v[52:53], v[52:53], v[56:57]
	v_add_f64 v[56:57], v[58:59], -v[62:63]
	v_add_f64 v[52:53], v[56:57], v[52:53]
	v_add_f64 v[56:57], v[66:67], v[52:53]
	v_add_f64 v[58:59], v[66:67], -v[56:57]
	v_add_f64 v[52:53], v[52:53], v[58:59]
	v_mul_f64 v[58:59], v[60:61], v[56:57]
	v_mul_f64 v[62:63], v[50:51], v[58:59]
	v_fma_f64 v[50:51], v[58:59], v[50:51], -v[62:63]
	v_fmac_f64_e32 v[50:51], v[58:59], v[48:49]
	v_add_f64 v[48:49], v[62:63], v[50:51]
	v_add_f64 v[64:65], v[56:57], -v[48:49]
	v_add_f64 v[56:57], v[56:57], -v[64:65]
	;; [unrolled: 1-line block ×4, first 2 shown]
	v_add_f64 v[48:49], v[52:53], v[48:49]
	v_add_f64 v[50:51], v[62:63], -v[50:51]
	v_add_f64 v[48:49], v[50:51], v[48:49]
	v_add_f64 v[50:51], v[54:55], v[58:59]
	;; [unrolled: 1-line block ×3, first 2 shown]
	v_add_f64 v[52:53], v[50:51], -v[54:55]
	v_mul_f64 v[48:49], v[60:61], v[48:49]
	v_add_f64 v[52:53], v[58:59], -v[52:53]
	v_add_f64 v[48:49], v[52:53], v[48:49]
	v_add_f64 v[52:53], v[50:51], v[48:49]
	v_add_f64 v[50:51], v[52:53], -v[50:51]
	s_mov_b32 s16, 0xbf559e2b
	v_add_f64 v[48:49], v[48:49], -v[50:51]
	v_mul_f64 v[50:51], v[52:53], v[52:53]
	v_mov_b32_e32 v54, 0x6b47b09a
	v_mov_b32_e32 v55, 0x3fc38538
	s_mov_b32 s17, 0x3fc3ab76
	v_fmac_f64_e32 v[54:55], s[16:17], v[50:51]
	v_mov_b32_e32 v56, 0xd7f4df2e
	v_mov_b32_e32 v57, 0x3fc7474d
	v_fmac_f64_e32 v[56:57], v[50:51], v[54:55]
	v_mov_b32_e32 v54, 0x16291751
	v_mov_b32_e32 v55, 0x3fcc71c0
	;; [unrolled: 3-line block ×5, first 2 shown]
	v_fmac_f64_e32 v[56:57], v[50:51], v[54:55]
	v_cvt_f64_i32_e32 v[54:55], v68
	s_mov_b32 s25, 0x3fe62e42
	v_mul_f64 v[58:59], v[54:55], s[24:25]
	v_fma_f64 v[60:61], v[54:55], s[24:25], -v[58:59]
	s_mov_b32 s27, 0x3c7abc9e
	v_fmac_f64_e32 v[60:61], s[26:27], v[54:55]
	v_add_f64 v[54:55], v[58:59], v[60:61]
	v_add_f64 v[58:59], v[54:55], -v[58:59]
	v_mul_f64 v[50:51], v[52:53], v[50:51]
	v_add_f64 v[58:59], v[60:61], -v[58:59]
	v_ldexp_f64 v[60:61], v[52:53], 1
	v_mul_f64 v[50:51], v[50:51], v[56:57]
	v_add_f64 v[52:53], v[60:61], v[50:51]
	v_add_f64 v[56:57], v[52:53], -v[60:61]
	v_ldexp_f64 v[48:49], v[48:49], 1
	v_add_f64 v[50:51], v[50:51], -v[56:57]
	v_add_f64 v[48:49], v[48:49], v[50:51]
	v_add_f64 v[50:51], v[52:53], v[48:49]
	v_add_f64 v[52:53], v[50:51], -v[52:53]
	v_add_f64 v[48:49], v[48:49], -v[52:53]
	v_add_f64 v[52:53], v[54:55], v[50:51]
	v_add_f64 v[56:57], v[52:53], -v[54:55]
	v_add_f64 v[60:61], v[52:53], -v[56:57]
	;; [unrolled: 1-line block ×4, first 2 shown]
	v_add_f64 v[50:51], v[50:51], v[54:55]
	v_add_f64 v[54:55], v[58:59], v[48:49]
	v_add_f64 v[56:57], v[54:55], -v[58:59]
	v_add_f64 v[50:51], v[54:55], v[50:51]
	v_add_f64 v[60:61], v[54:55], -v[56:57]
	;; [unrolled: 2-line block ×3, first 2 shown]
	v_add_f64 v[48:49], v[48:49], -v[56:57]
	v_add_f64 v[52:53], v[54:55], -v[52:53]
	v_add_f64 v[48:49], v[48:49], v[58:59]
	v_add_f64 v[50:51], v[50:51], -v[52:53]
	s_mov_b32 s16, 0
	v_add_f64 v[48:49], v[48:49], v[50:51]
	s_mov_b32 s17, 0x7ff00000
	v_add_f64 v[48:49], v[54:55], v[48:49]
	v_cmp_eq_f64_e64 s[16:17], s[16:17], v[46:47]
	v_cndmask_b32_e64 v48, v48, v46, s[16:17]
	v_cndmask_b32_e64 v49, v49, v47, s[16:17]
	v_mov_b32_e32 v50, 0x7ff80000
	v_cmp_ngt_f64_e64 s[16:17], -1.0, v[46:47]
	v_cndmask_b32_e64 v49, v50, v49, s[16:17]
	v_cmp_nge_f64_e64 s[16:17], -1.0, v[46:47]
	v_cndmask_b32_e64 v48, 0, v48, s[16:17]
	v_mov_b32_e32 v50, 0xfff00000
	v_cmp_neq_f64_e64 s[16:17], -1.0, v[46:47]
	v_cndmask_b32_e64 v49, v50, v49, s[16:17]
	v_add_f64 v[46:47], v[40:41], v[48:49]
.LBB3_196:
	s_or_b64 exec, exec, s[22:23]
	v_max_f64 v[40:41], v[8:9], v[8:9]
	v_max_f64 v[48:49], v[46:47], v[46:47]
	v_min_f64 v[50:51], v[48:49], v[40:41]
	v_cmp_u_f64_e64 s[20:21], v[46:47], v[46:47]
	v_max_f64 v[48:49], v[48:49], v[40:41]
	v_cndmask_b32_e64 v50, v50, v46, s[20:21]
	v_cndmask_b32_e64 v51, v51, v47, s[20:21]
	v_cmp_u_f64_e64 s[16:17], v[8:9], v[8:9]
	v_cndmask_b32_e64 v48, v48, v46, s[20:21]
	v_cndmask_b32_e64 v49, v49, v47, s[20:21]
	;; [unrolled: 1-line block ×6, first 2 shown]
	s_movk_i32 s22, 0x1f8
	v_cmp_neq_f64_e64 s[20:21], v[50:51], v[48:49]
	v_cmp_class_f64_e64 s[22:23], v[50:51], s22
	s_or_b64 s[20:21], s[20:21], s[22:23]
	s_and_saveexec_b64 s[24:25], s[20:21]
	s_cbranch_execz .LBB3_198
; %bb.197:
	s_mov_b32 s20, 0x652b82fe
	v_add_f64 v[46:47], v[50:51], -v[48:49]
	s_mov_b32 s21, 0x3ff71547
	v_mul_f64 v[50:51], v[46:47], s[20:21]
	v_rndne_f64_e32 v[50:51], v[50:51]
	s_mov_b32 s27, 0xbfe62e42
	s_mov_b32 s26, 0xfefa39ef
	v_fma_f64 v[52:53], s[26:27], v[50:51], v[46:47]
	s_mov_b32 s37, 0xbc7abc9e
	s_mov_b32 s36, 0x3b39803f
	;; [unrolled: 1-line block ×3, first 2 shown]
	v_fmac_f64_e32 v[52:53], s[36:37], v[50:51]
	v_mov_b32_e32 v54, 0xfca7ab0c
	v_mov_b32_e32 v55, 0x3e928af3
	s_mov_b32 s21, 0x3e5ade15
	v_fmac_f64_e32 v[54:55], s[20:21], v[52:53]
	v_mov_b32_e32 v56, 0x623fde64
	v_mov_b32_e32 v57, 0x3ec71dee
	v_fmac_f64_e32 v[56:57], v[52:53], v[54:55]
	v_mov_b32_e32 v54, 0x7c89e6b0
	v_mov_b32_e32 v55, 0x3efa0199
	v_fmac_f64_e32 v[54:55], v[52:53], v[56:57]
	v_mov_b32_e32 v56, 0x14761f6e
	v_mov_b32_e32 v57, 0x3f2a01a0
	v_fmac_f64_e32 v[56:57], v[52:53], v[54:55]
	v_mov_b32_e32 v54, 0x1852b7b0
	v_mov_b32_e32 v55, 0x3f56c16c
	v_fmac_f64_e32 v[54:55], v[52:53], v[56:57]
	v_mov_b32_e32 v56, 0x11122322
	v_mov_b32_e32 v57, 0x3f811111
	v_fmac_f64_e32 v[56:57], v[52:53], v[54:55]
	v_mov_b32_e32 v54, 0x555502a1
	v_mov_b32_e32 v55, 0x3fa55555
	v_fmac_f64_e32 v[54:55], v[52:53], v[56:57]
	v_mov_b32_e32 v56, 0x55555511
	v_mov_b32_e32 v57, 0x3fc55555
	v_fmac_f64_e32 v[56:57], v[52:53], v[54:55]
	v_mov_b32_e32 v54, 11
	v_mov_b32_e32 v55, 0x3fe00000
	v_fmac_f64_e32 v[54:55], v[52:53], v[56:57]
	v_fma_f64 v[54:55], v[52:53], v[54:55], 1.0
	s_mov_b32 s20, 0
	s_mov_b32 s22, 0
	v_fma_f64 v[52:53], v[52:53], v[54:55], 1.0
	v_cvt_i32_f64_e32 v50, v[50:51]
	s_mov_b32 s21, 0x40900000
	s_mov_b32 s23, 0xc090cc00
	v_ldexp_f64 v[50:51], v[52:53], v50
	v_mov_b32_e32 v52, 0x7ff00000
	v_cmp_nlt_f64_e64 s[20:21], s[20:21], v[46:47]
	v_cmp_ngt_f64_e64 s[22:23], s[22:23], v[46:47]
	v_cndmask_b32_e64 v51, v52, v51, s[20:21]
	s_and_b64 s[20:21], s[22:23], s[20:21]
	v_cndmask_b32_e64 v47, 0, v51, s[22:23]
	v_cndmask_b32_e64 v46, 0, v50, s[20:21]
	v_add_f64 v[50:51], v[46:47], 1.0
	v_add_f64 v[52:53], v[50:51], -1.0
	v_add_f64 v[54:55], v[52:53], -v[50:51]
	v_add_f64 v[54:55], v[54:55], 1.0
	v_add_f64 v[52:53], v[46:47], -v[52:53]
	s_mov_b32 s20, 0x55555555
	v_add_f64 v[52:53], v[52:53], v[54:55]
	v_frexp_mant_f64_e32 v[54:55], v[50:51]
	s_mov_b32 s21, 0x3fe55555
	v_frexp_exp_i32_f64_e32 v56, v[50:51]
	v_cmp_gt_f64_e64 s[20:21], s[20:21], v[54:55]
	v_subbrev_co_u32_e64 v70, s[20:21], 0, v56, s[20:21]
	v_sub_u32_e32 v54, 0, v70
	v_ldexp_f64 v[50:51], v[50:51], v54
	v_ldexp_f64 v[52:53], v[52:53], v54
	v_add_f64 v[54:55], v[50:51], -1.0
	v_add_f64 v[60:61], v[50:51], 1.0
	v_add_f64 v[56:57], v[54:55], 1.0
	v_add_f64 v[62:63], v[60:61], -1.0
	v_add_f64 v[56:57], v[50:51], -v[56:57]
	v_add_f64 v[50:51], v[50:51], -v[62:63]
	v_add_f64 v[50:51], v[52:53], v[50:51]
	v_add_f64 v[56:57], v[52:53], v[56:57]
	;; [unrolled: 1-line block ×3, first 2 shown]
	v_rcp_f64_e32 v[62:63], v[52:53]
	v_add_f64 v[58:59], v[54:55], v[56:57]
	v_add_f64 v[54:55], v[58:59], -v[54:55]
	v_add_f64 v[54:55], v[56:57], -v[54:55]
	;; [unrolled: 1-line block ×4, first 2 shown]
	v_fma_f64 v[56:57], -v[52:53], v[62:63], 1.0
	v_fmac_f64_e32 v[62:63], v[56:57], v[62:63]
	v_fma_f64 v[56:57], -v[52:53], v[62:63], 1.0
	v_fmac_f64_e32 v[62:63], v[56:57], v[62:63]
	v_mul_f64 v[56:57], v[58:59], v[62:63]
	v_mul_f64 v[60:61], v[52:53], v[56:57]
	v_fma_f64 v[64:65], v[56:57], v[52:53], -v[60:61]
	v_fmac_f64_e32 v[64:65], v[56:57], v[50:51]
	v_add_f64 v[66:67], v[60:61], v[64:65]
	v_add_f64 v[68:69], v[58:59], -v[66:67]
	v_add_f64 v[58:59], v[58:59], -v[68:69]
	;; [unrolled: 1-line block ×4, first 2 shown]
	v_add_f64 v[54:55], v[54:55], v[58:59]
	v_add_f64 v[58:59], v[60:61], -v[64:65]
	v_add_f64 v[54:55], v[58:59], v[54:55]
	v_add_f64 v[58:59], v[68:69], v[54:55]
	v_add_f64 v[60:61], v[68:69], -v[58:59]
	v_add_f64 v[54:55], v[54:55], v[60:61]
	v_mul_f64 v[60:61], v[62:63], v[58:59]
	v_mul_f64 v[64:65], v[52:53], v[60:61]
	v_fma_f64 v[52:53], v[60:61], v[52:53], -v[64:65]
	v_fmac_f64_e32 v[52:53], v[60:61], v[50:51]
	v_add_f64 v[50:51], v[64:65], v[52:53]
	v_add_f64 v[66:67], v[58:59], -v[50:51]
	v_add_f64 v[58:59], v[58:59], -v[66:67]
	;; [unrolled: 1-line block ×4, first 2 shown]
	v_add_f64 v[50:51], v[54:55], v[50:51]
	v_add_f64 v[52:53], v[64:65], -v[52:53]
	v_add_f64 v[50:51], v[52:53], v[50:51]
	v_add_f64 v[52:53], v[56:57], v[60:61]
	;; [unrolled: 1-line block ×3, first 2 shown]
	v_add_f64 v[54:55], v[52:53], -v[56:57]
	v_mul_f64 v[50:51], v[62:63], v[50:51]
	v_add_f64 v[54:55], v[60:61], -v[54:55]
	v_add_f64 v[50:51], v[54:55], v[50:51]
	v_add_f64 v[54:55], v[52:53], v[50:51]
	v_add_f64 v[52:53], v[54:55], -v[52:53]
	s_mov_b32 s20, 0xbf559e2b
	v_add_f64 v[50:51], v[50:51], -v[52:53]
	v_mul_f64 v[52:53], v[54:55], v[54:55]
	v_mov_b32_e32 v56, 0x6b47b09a
	v_mov_b32_e32 v57, 0x3fc38538
	s_mov_b32 s21, 0x3fc3ab76
	v_fmac_f64_e32 v[56:57], s[20:21], v[52:53]
	v_mov_b32_e32 v58, 0xd7f4df2e
	v_mov_b32_e32 v59, 0x3fc7474d
	v_fmac_f64_e32 v[58:59], v[52:53], v[56:57]
	v_mov_b32_e32 v56, 0x16291751
	v_mov_b32_e32 v57, 0x3fcc71c0
	;; [unrolled: 3-line block ×5, first 2 shown]
	v_fmac_f64_e32 v[58:59], v[52:53], v[56:57]
	v_cvt_f64_i32_e32 v[56:57], v70
	s_mov_b32 s27, 0x3fe62e42
	v_mul_f64 v[60:61], v[56:57], s[26:27]
	v_fma_f64 v[62:63], v[56:57], s[26:27], -v[60:61]
	s_mov_b32 s37, 0x3c7abc9e
	v_fmac_f64_e32 v[62:63], s[36:37], v[56:57]
	v_add_f64 v[56:57], v[60:61], v[62:63]
	v_add_f64 v[60:61], v[56:57], -v[60:61]
	v_mul_f64 v[52:53], v[54:55], v[52:53]
	v_add_f64 v[60:61], v[62:63], -v[60:61]
	v_ldexp_f64 v[62:63], v[54:55], 1
	v_mul_f64 v[52:53], v[52:53], v[58:59]
	v_add_f64 v[54:55], v[62:63], v[52:53]
	v_add_f64 v[58:59], v[54:55], -v[62:63]
	v_ldexp_f64 v[50:51], v[50:51], 1
	v_add_f64 v[52:53], v[52:53], -v[58:59]
	v_add_f64 v[50:51], v[50:51], v[52:53]
	v_add_f64 v[52:53], v[54:55], v[50:51]
	v_add_f64 v[54:55], v[52:53], -v[54:55]
	v_add_f64 v[50:51], v[50:51], -v[54:55]
	v_add_f64 v[54:55], v[56:57], v[52:53]
	v_add_f64 v[58:59], v[54:55], -v[56:57]
	v_add_f64 v[62:63], v[54:55], -v[58:59]
	v_add_f64 v[56:57], v[56:57], -v[62:63]
	v_add_f64 v[52:53], v[52:53], -v[58:59]
	v_add_f64 v[52:53], v[52:53], v[56:57]
	v_add_f64 v[56:57], v[60:61], v[50:51]
	v_add_f64 v[58:59], v[56:57], -v[60:61]
	v_add_f64 v[52:53], v[56:57], v[52:53]
	v_add_f64 v[62:63], v[56:57], -v[58:59]
	;; [unrolled: 2-line block ×3, first 2 shown]
	v_add_f64 v[50:51], v[50:51], -v[58:59]
	v_add_f64 v[54:55], v[56:57], -v[54:55]
	v_add_f64 v[50:51], v[50:51], v[60:61]
	v_add_f64 v[52:53], v[52:53], -v[54:55]
	s_mov_b32 s20, 0
	v_add_f64 v[50:51], v[50:51], v[52:53]
	s_mov_b32 s21, 0x7ff00000
	v_add_f64 v[50:51], v[56:57], v[50:51]
	v_cmp_eq_f64_e64 s[20:21], s[20:21], v[46:47]
	v_cndmask_b32_e64 v50, v50, v46, s[20:21]
	v_cndmask_b32_e64 v51, v51, v47, s[20:21]
	v_mov_b32_e32 v52, 0x7ff80000
	v_cmp_ngt_f64_e64 s[20:21], -1.0, v[46:47]
	v_cndmask_b32_e64 v51, v52, v51, s[20:21]
	v_cmp_nge_f64_e64 s[20:21], -1.0, v[46:47]
	v_cndmask_b32_e64 v50, 0, v50, s[20:21]
	v_mov_b32_e32 v52, 0xfff00000
	v_cmp_neq_f64_e64 s[20:21], -1.0, v[46:47]
	v_cndmask_b32_e64 v51, v52, v51, s[20:21]
	v_add_f64 v[46:47], v[48:49], v[50:51]
.LBB3_198:
	s_or_b64 exec, exec, s[24:25]
	v_mbcnt_lo_u32_b32 v48, -1, 0
	v_mbcnt_hi_u32_b32 v54, -1, v48
	v_and_b32_e32 v52, 15, v54
	v_mov_b32_dpp v48, v46 row_shr:1 row_mask:0xf bank_mask:0xf
	v_mov_b32_dpp v49, v47 row_shr:1 row_mask:0xf bank_mask:0xf
	v_cmp_ne_u32_e64 s[20:21], 0, v52
	v_mov_b32_e32 v50, v46
	v_mov_b32_e32 v51, v47
	s_and_saveexec_b64 s[24:25], s[20:21]
	s_cbranch_execz .LBB3_202
; %bb.199:
	v_max_f64 v[56:57], v[48:49], v[48:49]
	v_max_f64 v[58:59], v[46:47], v[46:47]
	v_min_f64 v[50:51], v[56:57], v[58:59]
	v_cmp_u_f64_e64 s[20:21], v[48:49], v[48:49]
	v_max_f64 v[56:57], v[56:57], v[58:59]
	v_cndmask_b32_e64 v50, v50, v48, s[20:21]
	v_cndmask_b32_e64 v51, v51, v49, s[20:21]
	v_cmp_u_f64_e64 s[22:23], v[46:47], v[46:47]
	v_cndmask_b32_e64 v53, v56, v48, s[20:21]
	v_cndmask_b32_e64 v55, v57, v49, s[20:21]
	;; [unrolled: 1-line block ×6, first 2 shown]
	s_movk_i32 s22, 0x1f8
	v_cmp_neq_f64_e64 s[20:21], v[50:51], v[46:47]
	v_cmp_class_f64_e64 s[22:23], v[50:51], s22
	s_or_b64 s[20:21], s[20:21], s[22:23]
	s_and_saveexec_b64 s[26:27], s[20:21]
	s_cbranch_execz .LBB3_201
; %bb.200:
	s_mov_b32 s20, 0x652b82fe
	v_add_f64 v[48:49], v[50:51], -v[46:47]
	s_mov_b32 s21, 0x3ff71547
	v_mul_f64 v[50:51], v[48:49], s[20:21]
	v_rndne_f64_e32 v[50:51], v[50:51]
	s_mov_b32 s37, 0xbfe62e42
	s_mov_b32 s36, 0xfefa39ef
	v_fma_f64 v[56:57], s[36:37], v[50:51], v[48:49]
	s_mov_b32 s41, 0xbc7abc9e
	s_mov_b32 s40, 0x3b39803f
	;; [unrolled: 1-line block ×3, first 2 shown]
	v_fmac_f64_e32 v[56:57], s[40:41], v[50:51]
	v_mov_b32_e32 v58, 0xfca7ab0c
	v_mov_b32_e32 v59, 0x3e928af3
	s_mov_b32 s21, 0x3e5ade15
	v_fmac_f64_e32 v[58:59], s[20:21], v[56:57]
	v_mov_b32_e32 v60, 0x623fde64
	v_mov_b32_e32 v61, 0x3ec71dee
	v_fmac_f64_e32 v[60:61], v[56:57], v[58:59]
	v_mov_b32_e32 v58, 0x7c89e6b0
	v_mov_b32_e32 v59, 0x3efa0199
	;; [unrolled: 3-line block ×8, first 2 shown]
	v_fmac_f64_e32 v[58:59], v[56:57], v[60:61]
	v_fma_f64 v[58:59], v[56:57], v[58:59], 1.0
	s_mov_b32 s20, 0
	s_mov_b32 s22, 0
	v_fma_f64 v[56:57], v[56:57], v[58:59], 1.0
	v_cvt_i32_f64_e32 v50, v[50:51]
	s_mov_b32 s21, 0x40900000
	s_mov_b32 s23, 0xc090cc00
	v_ldexp_f64 v[50:51], v[56:57], v50
	v_mov_b32_e32 v53, 0x7ff00000
	v_cmp_nlt_f64_e64 s[20:21], s[20:21], v[48:49]
	v_cmp_ngt_f64_e64 s[22:23], s[22:23], v[48:49]
	v_cndmask_b32_e64 v51, v53, v51, s[20:21]
	s_and_b64 s[20:21], s[22:23], s[20:21]
	v_cndmask_b32_e64 v49, 0, v51, s[22:23]
	v_cndmask_b32_e64 v48, 0, v50, s[20:21]
	v_add_f64 v[50:51], v[48:49], 1.0
	v_add_f64 v[56:57], v[50:51], -1.0
	v_add_f64 v[58:59], v[56:57], -v[50:51]
	v_add_f64 v[58:59], v[58:59], 1.0
	v_add_f64 v[56:57], v[48:49], -v[56:57]
	s_mov_b32 s20, 0x55555555
	v_add_f64 v[56:57], v[56:57], v[58:59]
	v_frexp_mant_f64_e32 v[58:59], v[50:51]
	s_mov_b32 s21, 0x3fe55555
	v_frexp_exp_i32_f64_e32 v53, v[50:51]
	v_cmp_gt_f64_e64 s[20:21], s[20:21], v[58:59]
	v_subbrev_co_u32_e64 v53, s[20:21], 0, v53, s[20:21]
	v_sub_u32_e32 v55, 0, v53
	v_ldexp_f64 v[50:51], v[50:51], v55
	v_add_f64 v[58:59], v[50:51], -1.0
	v_add_f64 v[64:65], v[50:51], 1.0
	v_add_f64 v[60:61], v[58:59], 1.0
	v_add_f64 v[66:67], v[64:65], -1.0
	v_ldexp_f64 v[56:57], v[56:57], v55
	v_add_f64 v[60:61], v[50:51], -v[60:61]
	v_add_f64 v[50:51], v[50:51], -v[66:67]
	v_add_f64 v[50:51], v[56:57], v[50:51]
	v_add_f64 v[60:61], v[56:57], v[60:61]
	;; [unrolled: 1-line block ×3, first 2 shown]
	v_rcp_f64_e32 v[66:67], v[56:57]
	v_add_f64 v[62:63], v[58:59], v[60:61]
	v_add_f64 v[58:59], v[62:63], -v[58:59]
	v_add_f64 v[58:59], v[60:61], -v[58:59]
	;; [unrolled: 1-line block ×4, first 2 shown]
	v_fma_f64 v[60:61], -v[56:57], v[66:67], 1.0
	v_fmac_f64_e32 v[66:67], v[60:61], v[66:67]
	v_fma_f64 v[60:61], -v[56:57], v[66:67], 1.0
	v_fmac_f64_e32 v[66:67], v[60:61], v[66:67]
	v_mul_f64 v[60:61], v[62:63], v[66:67]
	v_mul_f64 v[64:65], v[56:57], v[60:61]
	v_fma_f64 v[68:69], v[60:61], v[56:57], -v[64:65]
	v_fmac_f64_e32 v[68:69], v[60:61], v[50:51]
	v_add_f64 v[70:71], v[64:65], v[68:69]
	v_add_f64 v[72:73], v[62:63], -v[70:71]
	v_add_f64 v[62:63], v[62:63], -v[72:73]
	;; [unrolled: 1-line block ×4, first 2 shown]
	v_add_f64 v[58:59], v[58:59], v[62:63]
	v_add_f64 v[62:63], v[64:65], -v[68:69]
	v_add_f64 v[58:59], v[62:63], v[58:59]
	v_add_f64 v[62:63], v[72:73], v[58:59]
	v_add_f64 v[64:65], v[72:73], -v[62:63]
	v_add_f64 v[58:59], v[58:59], v[64:65]
	v_mul_f64 v[64:65], v[66:67], v[62:63]
	v_mul_f64 v[68:69], v[56:57], v[64:65]
	v_fma_f64 v[56:57], v[64:65], v[56:57], -v[68:69]
	v_fmac_f64_e32 v[56:57], v[64:65], v[50:51]
	v_add_f64 v[50:51], v[68:69], v[56:57]
	v_add_f64 v[70:71], v[62:63], -v[50:51]
	v_add_f64 v[62:63], v[62:63], -v[70:71]
	;; [unrolled: 1-line block ×4, first 2 shown]
	v_add_f64 v[50:51], v[58:59], v[50:51]
	v_add_f64 v[56:57], v[68:69], -v[56:57]
	v_add_f64 v[50:51], v[56:57], v[50:51]
	v_add_f64 v[56:57], v[60:61], v[64:65]
	;; [unrolled: 1-line block ×3, first 2 shown]
	v_add_f64 v[58:59], v[56:57], -v[60:61]
	v_mul_f64 v[50:51], v[66:67], v[50:51]
	v_add_f64 v[58:59], v[64:65], -v[58:59]
	v_add_f64 v[50:51], v[58:59], v[50:51]
	v_add_f64 v[58:59], v[56:57], v[50:51]
	v_add_f64 v[56:57], v[58:59], -v[56:57]
	s_mov_b32 s20, 0xbf559e2b
	v_add_f64 v[50:51], v[50:51], -v[56:57]
	v_mul_f64 v[56:57], v[58:59], v[58:59]
	v_mov_b32_e32 v60, 0x6b47b09a
	v_mov_b32_e32 v61, 0x3fc38538
	s_mov_b32 s21, 0x3fc3ab76
	v_fmac_f64_e32 v[60:61], s[20:21], v[56:57]
	v_mov_b32_e32 v62, 0xd7f4df2e
	v_mov_b32_e32 v63, 0x3fc7474d
	v_fmac_f64_e32 v[62:63], v[56:57], v[60:61]
	v_mov_b32_e32 v60, 0x16291751
	v_mov_b32_e32 v61, 0x3fcc71c0
	;; [unrolled: 3-line block ×5, first 2 shown]
	v_fmac_f64_e32 v[62:63], v[56:57], v[60:61]
	v_cvt_f64_i32_e32 v[60:61], v53
	s_mov_b32 s37, 0x3fe62e42
	v_mul_f64 v[64:65], v[60:61], s[36:37]
	v_fma_f64 v[66:67], v[60:61], s[36:37], -v[64:65]
	s_mov_b32 s41, 0x3c7abc9e
	v_fmac_f64_e32 v[66:67], s[40:41], v[60:61]
	v_add_f64 v[60:61], v[64:65], v[66:67]
	v_add_f64 v[64:65], v[60:61], -v[64:65]
	v_mul_f64 v[56:57], v[58:59], v[56:57]
	v_add_f64 v[64:65], v[66:67], -v[64:65]
	v_ldexp_f64 v[66:67], v[58:59], 1
	v_mul_f64 v[56:57], v[56:57], v[62:63]
	v_add_f64 v[58:59], v[66:67], v[56:57]
	v_add_f64 v[62:63], v[58:59], -v[66:67]
	v_ldexp_f64 v[50:51], v[50:51], 1
	v_add_f64 v[56:57], v[56:57], -v[62:63]
	v_add_f64 v[50:51], v[50:51], v[56:57]
	v_add_f64 v[56:57], v[58:59], v[50:51]
	v_add_f64 v[58:59], v[56:57], -v[58:59]
	v_add_f64 v[50:51], v[50:51], -v[58:59]
	v_add_f64 v[58:59], v[60:61], v[56:57]
	v_add_f64 v[62:63], v[58:59], -v[60:61]
	v_add_f64 v[66:67], v[58:59], -v[62:63]
	;; [unrolled: 1-line block ×4, first 2 shown]
	v_add_f64 v[56:57], v[56:57], v[60:61]
	v_add_f64 v[60:61], v[64:65], v[50:51]
	v_add_f64 v[62:63], v[60:61], -v[64:65]
	v_add_f64 v[56:57], v[60:61], v[56:57]
	v_add_f64 v[66:67], v[60:61], -v[62:63]
	;; [unrolled: 2-line block ×3, first 2 shown]
	v_add_f64 v[50:51], v[50:51], -v[62:63]
	v_add_f64 v[58:59], v[60:61], -v[58:59]
	v_add_f64 v[50:51], v[50:51], v[64:65]
	v_add_f64 v[56:57], v[56:57], -v[58:59]
	s_mov_b32 s20, 0
	v_add_f64 v[50:51], v[50:51], v[56:57]
	s_mov_b32 s21, 0x7ff00000
	v_add_f64 v[50:51], v[60:61], v[50:51]
	v_cmp_eq_f64_e64 s[20:21], s[20:21], v[48:49]
	v_cndmask_b32_e64 v50, v50, v48, s[20:21]
	v_cndmask_b32_e64 v51, v51, v49, s[20:21]
	v_mov_b32_e32 v53, 0x7ff80000
	v_cmp_ngt_f64_e64 s[20:21], -1.0, v[48:49]
	v_cndmask_b32_e64 v51, v53, v51, s[20:21]
	v_cmp_nge_f64_e64 s[20:21], -1.0, v[48:49]
	v_cndmask_b32_e64 v50, 0, v50, s[20:21]
	v_mov_b32_e32 v53, 0xfff00000
	v_cmp_neq_f64_e64 s[20:21], -1.0, v[48:49]
	v_cndmask_b32_e64 v51, v53, v51, s[20:21]
	v_add_f64 v[48:49], v[46:47], v[50:51]
.LBB3_201:
	s_or_b64 exec, exec, s[26:27]
	v_mov_b32_e32 v50, v48
	v_mov_b32_e32 v51, v49
	v_pk_mov_b32 v[46:47], v[48:49], v[48:49] op_sel:[0,1]
.LBB3_202:
	s_or_b64 exec, exec, s[24:25]
	v_mov_b32_dpp v48, v50 row_shr:2 row_mask:0xf bank_mask:0xf
	v_mov_b32_dpp v49, v51 row_shr:2 row_mask:0xf bank_mask:0xf
	v_cmp_lt_u32_e64 s[20:21], 1, v52
	s_and_saveexec_b64 s[24:25], s[20:21]
	s_cbranch_execz .LBB3_206
; %bb.203:
	v_max_f64 v[56:57], v[48:49], v[48:49]
	v_max_f64 v[58:59], v[46:47], v[46:47]
	v_min_f64 v[50:51], v[56:57], v[58:59]
	v_cmp_u_f64_e64 s[20:21], v[48:49], v[48:49]
	v_max_f64 v[56:57], v[56:57], v[58:59]
	v_cndmask_b32_e64 v50, v50, v48, s[20:21]
	v_cndmask_b32_e64 v51, v51, v49, s[20:21]
	v_cmp_u_f64_e64 s[22:23], v[46:47], v[46:47]
	v_cndmask_b32_e64 v53, v56, v48, s[20:21]
	v_cndmask_b32_e64 v55, v57, v49, s[20:21]
	;; [unrolled: 1-line block ×6, first 2 shown]
	s_movk_i32 s22, 0x1f8
	v_cmp_neq_f64_e64 s[20:21], v[50:51], v[46:47]
	v_cmp_class_f64_e64 s[22:23], v[50:51], s22
	s_or_b64 s[20:21], s[20:21], s[22:23]
	s_and_saveexec_b64 s[26:27], s[20:21]
	s_cbranch_execz .LBB3_205
; %bb.204:
	s_mov_b32 s20, 0x652b82fe
	v_add_f64 v[48:49], v[50:51], -v[46:47]
	s_mov_b32 s21, 0x3ff71547
	v_mul_f64 v[50:51], v[48:49], s[20:21]
	v_rndne_f64_e32 v[50:51], v[50:51]
	s_mov_b32 s37, 0xbfe62e42
	s_mov_b32 s36, 0xfefa39ef
	v_fma_f64 v[56:57], s[36:37], v[50:51], v[48:49]
	s_mov_b32 s41, 0xbc7abc9e
	s_mov_b32 s40, 0x3b39803f
	;; [unrolled: 1-line block ×3, first 2 shown]
	v_fmac_f64_e32 v[56:57], s[40:41], v[50:51]
	v_mov_b32_e32 v58, 0xfca7ab0c
	v_mov_b32_e32 v59, 0x3e928af3
	s_mov_b32 s21, 0x3e5ade15
	v_fmac_f64_e32 v[58:59], s[20:21], v[56:57]
	v_mov_b32_e32 v60, 0x623fde64
	v_mov_b32_e32 v61, 0x3ec71dee
	v_fmac_f64_e32 v[60:61], v[56:57], v[58:59]
	v_mov_b32_e32 v58, 0x7c89e6b0
	v_mov_b32_e32 v59, 0x3efa0199
	;; [unrolled: 3-line block ×8, first 2 shown]
	v_fmac_f64_e32 v[58:59], v[56:57], v[60:61]
	v_fma_f64 v[58:59], v[56:57], v[58:59], 1.0
	s_mov_b32 s20, 0
	s_mov_b32 s22, 0
	v_fma_f64 v[56:57], v[56:57], v[58:59], 1.0
	v_cvt_i32_f64_e32 v50, v[50:51]
	s_mov_b32 s21, 0x40900000
	s_mov_b32 s23, 0xc090cc00
	v_ldexp_f64 v[50:51], v[56:57], v50
	v_mov_b32_e32 v53, 0x7ff00000
	v_cmp_nlt_f64_e64 s[20:21], s[20:21], v[48:49]
	v_cmp_ngt_f64_e64 s[22:23], s[22:23], v[48:49]
	v_cndmask_b32_e64 v51, v53, v51, s[20:21]
	s_and_b64 s[20:21], s[22:23], s[20:21]
	v_cndmask_b32_e64 v49, 0, v51, s[22:23]
	v_cndmask_b32_e64 v48, 0, v50, s[20:21]
	v_add_f64 v[50:51], v[48:49], 1.0
	v_add_f64 v[56:57], v[50:51], -1.0
	v_add_f64 v[58:59], v[56:57], -v[50:51]
	v_add_f64 v[58:59], v[58:59], 1.0
	v_add_f64 v[56:57], v[48:49], -v[56:57]
	s_mov_b32 s20, 0x55555555
	v_add_f64 v[56:57], v[56:57], v[58:59]
	v_frexp_mant_f64_e32 v[58:59], v[50:51]
	s_mov_b32 s21, 0x3fe55555
	v_frexp_exp_i32_f64_e32 v53, v[50:51]
	v_cmp_gt_f64_e64 s[20:21], s[20:21], v[58:59]
	v_subbrev_co_u32_e64 v53, s[20:21], 0, v53, s[20:21]
	v_sub_u32_e32 v55, 0, v53
	v_ldexp_f64 v[50:51], v[50:51], v55
	v_add_f64 v[58:59], v[50:51], -1.0
	v_add_f64 v[64:65], v[50:51], 1.0
	v_add_f64 v[60:61], v[58:59], 1.0
	v_add_f64 v[66:67], v[64:65], -1.0
	v_ldexp_f64 v[56:57], v[56:57], v55
	v_add_f64 v[60:61], v[50:51], -v[60:61]
	v_add_f64 v[50:51], v[50:51], -v[66:67]
	v_add_f64 v[50:51], v[56:57], v[50:51]
	v_add_f64 v[60:61], v[56:57], v[60:61]
	;; [unrolled: 1-line block ×3, first 2 shown]
	v_rcp_f64_e32 v[66:67], v[56:57]
	v_add_f64 v[62:63], v[58:59], v[60:61]
	v_add_f64 v[58:59], v[62:63], -v[58:59]
	v_add_f64 v[58:59], v[60:61], -v[58:59]
	;; [unrolled: 1-line block ×4, first 2 shown]
	v_fma_f64 v[60:61], -v[56:57], v[66:67], 1.0
	v_fmac_f64_e32 v[66:67], v[60:61], v[66:67]
	v_fma_f64 v[60:61], -v[56:57], v[66:67], 1.0
	v_fmac_f64_e32 v[66:67], v[60:61], v[66:67]
	v_mul_f64 v[60:61], v[62:63], v[66:67]
	v_mul_f64 v[64:65], v[56:57], v[60:61]
	v_fma_f64 v[68:69], v[60:61], v[56:57], -v[64:65]
	v_fmac_f64_e32 v[68:69], v[60:61], v[50:51]
	v_add_f64 v[70:71], v[64:65], v[68:69]
	v_add_f64 v[72:73], v[62:63], -v[70:71]
	v_add_f64 v[62:63], v[62:63], -v[72:73]
	;; [unrolled: 1-line block ×4, first 2 shown]
	v_add_f64 v[58:59], v[58:59], v[62:63]
	v_add_f64 v[62:63], v[64:65], -v[68:69]
	v_add_f64 v[58:59], v[62:63], v[58:59]
	v_add_f64 v[62:63], v[72:73], v[58:59]
	v_add_f64 v[64:65], v[72:73], -v[62:63]
	v_add_f64 v[58:59], v[58:59], v[64:65]
	v_mul_f64 v[64:65], v[66:67], v[62:63]
	v_mul_f64 v[68:69], v[56:57], v[64:65]
	v_fma_f64 v[56:57], v[64:65], v[56:57], -v[68:69]
	v_fmac_f64_e32 v[56:57], v[64:65], v[50:51]
	v_add_f64 v[50:51], v[68:69], v[56:57]
	v_add_f64 v[70:71], v[62:63], -v[50:51]
	v_add_f64 v[62:63], v[62:63], -v[70:71]
	;; [unrolled: 1-line block ×4, first 2 shown]
	v_add_f64 v[50:51], v[58:59], v[50:51]
	v_add_f64 v[56:57], v[68:69], -v[56:57]
	v_add_f64 v[50:51], v[56:57], v[50:51]
	v_add_f64 v[56:57], v[60:61], v[64:65]
	;; [unrolled: 1-line block ×3, first 2 shown]
	v_add_f64 v[58:59], v[56:57], -v[60:61]
	v_mul_f64 v[50:51], v[66:67], v[50:51]
	v_add_f64 v[58:59], v[64:65], -v[58:59]
	v_add_f64 v[50:51], v[58:59], v[50:51]
	v_add_f64 v[58:59], v[56:57], v[50:51]
	v_add_f64 v[56:57], v[58:59], -v[56:57]
	s_mov_b32 s20, 0xbf559e2b
	v_add_f64 v[50:51], v[50:51], -v[56:57]
	v_mul_f64 v[56:57], v[58:59], v[58:59]
	v_mov_b32_e32 v60, 0x6b47b09a
	v_mov_b32_e32 v61, 0x3fc38538
	s_mov_b32 s21, 0x3fc3ab76
	v_fmac_f64_e32 v[60:61], s[20:21], v[56:57]
	v_mov_b32_e32 v62, 0xd7f4df2e
	v_mov_b32_e32 v63, 0x3fc7474d
	v_fmac_f64_e32 v[62:63], v[56:57], v[60:61]
	v_mov_b32_e32 v60, 0x16291751
	v_mov_b32_e32 v61, 0x3fcc71c0
	;; [unrolled: 3-line block ×5, first 2 shown]
	v_fmac_f64_e32 v[62:63], v[56:57], v[60:61]
	v_cvt_f64_i32_e32 v[60:61], v53
	s_mov_b32 s37, 0x3fe62e42
	v_mul_f64 v[64:65], v[60:61], s[36:37]
	v_fma_f64 v[66:67], v[60:61], s[36:37], -v[64:65]
	s_mov_b32 s41, 0x3c7abc9e
	v_fmac_f64_e32 v[66:67], s[40:41], v[60:61]
	v_add_f64 v[60:61], v[64:65], v[66:67]
	v_add_f64 v[64:65], v[60:61], -v[64:65]
	v_mul_f64 v[56:57], v[58:59], v[56:57]
	v_add_f64 v[64:65], v[66:67], -v[64:65]
	v_ldexp_f64 v[66:67], v[58:59], 1
	v_mul_f64 v[56:57], v[56:57], v[62:63]
	v_add_f64 v[58:59], v[66:67], v[56:57]
	v_add_f64 v[62:63], v[58:59], -v[66:67]
	v_ldexp_f64 v[50:51], v[50:51], 1
	v_add_f64 v[56:57], v[56:57], -v[62:63]
	v_add_f64 v[50:51], v[50:51], v[56:57]
	v_add_f64 v[56:57], v[58:59], v[50:51]
	v_add_f64 v[58:59], v[56:57], -v[58:59]
	v_add_f64 v[50:51], v[50:51], -v[58:59]
	v_add_f64 v[58:59], v[60:61], v[56:57]
	v_add_f64 v[62:63], v[58:59], -v[60:61]
	v_add_f64 v[66:67], v[58:59], -v[62:63]
	;; [unrolled: 1-line block ×4, first 2 shown]
	v_add_f64 v[56:57], v[56:57], v[60:61]
	v_add_f64 v[60:61], v[64:65], v[50:51]
	v_add_f64 v[62:63], v[60:61], -v[64:65]
	v_add_f64 v[56:57], v[60:61], v[56:57]
	v_add_f64 v[66:67], v[60:61], -v[62:63]
	;; [unrolled: 2-line block ×3, first 2 shown]
	v_add_f64 v[50:51], v[50:51], -v[62:63]
	v_add_f64 v[58:59], v[60:61], -v[58:59]
	v_add_f64 v[50:51], v[50:51], v[64:65]
	v_add_f64 v[56:57], v[56:57], -v[58:59]
	s_mov_b32 s20, 0
	v_add_f64 v[50:51], v[50:51], v[56:57]
	s_mov_b32 s21, 0x7ff00000
	v_add_f64 v[50:51], v[60:61], v[50:51]
	v_cmp_eq_f64_e64 s[20:21], s[20:21], v[48:49]
	v_cndmask_b32_e64 v50, v50, v48, s[20:21]
	v_cndmask_b32_e64 v51, v51, v49, s[20:21]
	v_mov_b32_e32 v53, 0x7ff80000
	v_cmp_ngt_f64_e64 s[20:21], -1.0, v[48:49]
	v_cndmask_b32_e64 v51, v53, v51, s[20:21]
	v_cmp_nge_f64_e64 s[20:21], -1.0, v[48:49]
	v_cndmask_b32_e64 v50, 0, v50, s[20:21]
	v_mov_b32_e32 v53, 0xfff00000
	v_cmp_neq_f64_e64 s[20:21], -1.0, v[48:49]
	v_cndmask_b32_e64 v51, v53, v51, s[20:21]
	v_add_f64 v[48:49], v[46:47], v[50:51]
.LBB3_205:
	s_or_b64 exec, exec, s[26:27]
	v_pk_mov_b32 v[46:47], v[48:49], v[48:49] op_sel:[0,1]
	v_mov_b32_e32 v50, v48
	v_mov_b32_e32 v51, v49
.LBB3_206:
	s_or_b64 exec, exec, s[24:25]
	v_mov_b32_dpp v48, v50 row_shr:4 row_mask:0xf bank_mask:0xf
	v_mov_b32_dpp v49, v51 row_shr:4 row_mask:0xf bank_mask:0xf
	v_cmp_lt_u32_e64 s[20:21], 3, v52
	s_and_saveexec_b64 s[24:25], s[20:21]
	s_cbranch_execz .LBB3_210
; %bb.207:
	v_max_f64 v[56:57], v[48:49], v[48:49]
	v_max_f64 v[58:59], v[46:47], v[46:47]
	v_min_f64 v[50:51], v[56:57], v[58:59]
	v_cmp_u_f64_e64 s[20:21], v[48:49], v[48:49]
	v_max_f64 v[56:57], v[56:57], v[58:59]
	v_cndmask_b32_e64 v50, v50, v48, s[20:21]
	v_cndmask_b32_e64 v51, v51, v49, s[20:21]
	v_cmp_u_f64_e64 s[22:23], v[46:47], v[46:47]
	v_cndmask_b32_e64 v53, v56, v48, s[20:21]
	v_cndmask_b32_e64 v55, v57, v49, s[20:21]
	;; [unrolled: 1-line block ×6, first 2 shown]
	s_movk_i32 s22, 0x1f8
	v_cmp_neq_f64_e64 s[20:21], v[50:51], v[46:47]
	v_cmp_class_f64_e64 s[22:23], v[50:51], s22
	s_or_b64 s[20:21], s[20:21], s[22:23]
	s_and_saveexec_b64 s[26:27], s[20:21]
	s_cbranch_execz .LBB3_209
; %bb.208:
	s_mov_b32 s20, 0x652b82fe
	v_add_f64 v[48:49], v[50:51], -v[46:47]
	s_mov_b32 s21, 0x3ff71547
	v_mul_f64 v[50:51], v[48:49], s[20:21]
	v_rndne_f64_e32 v[50:51], v[50:51]
	s_mov_b32 s37, 0xbfe62e42
	s_mov_b32 s36, 0xfefa39ef
	v_fma_f64 v[56:57], s[36:37], v[50:51], v[48:49]
	s_mov_b32 s41, 0xbc7abc9e
	s_mov_b32 s40, 0x3b39803f
	;; [unrolled: 1-line block ×3, first 2 shown]
	v_fmac_f64_e32 v[56:57], s[40:41], v[50:51]
	v_mov_b32_e32 v58, 0xfca7ab0c
	v_mov_b32_e32 v59, 0x3e928af3
	s_mov_b32 s21, 0x3e5ade15
	v_fmac_f64_e32 v[58:59], s[20:21], v[56:57]
	v_mov_b32_e32 v60, 0x623fde64
	v_mov_b32_e32 v61, 0x3ec71dee
	v_fmac_f64_e32 v[60:61], v[56:57], v[58:59]
	v_mov_b32_e32 v58, 0x7c89e6b0
	v_mov_b32_e32 v59, 0x3efa0199
	;; [unrolled: 3-line block ×8, first 2 shown]
	v_fmac_f64_e32 v[58:59], v[56:57], v[60:61]
	v_fma_f64 v[58:59], v[56:57], v[58:59], 1.0
	s_mov_b32 s20, 0
	s_mov_b32 s22, 0
	v_fma_f64 v[56:57], v[56:57], v[58:59], 1.0
	v_cvt_i32_f64_e32 v50, v[50:51]
	s_mov_b32 s21, 0x40900000
	s_mov_b32 s23, 0xc090cc00
	v_ldexp_f64 v[50:51], v[56:57], v50
	v_mov_b32_e32 v53, 0x7ff00000
	v_cmp_nlt_f64_e64 s[20:21], s[20:21], v[48:49]
	v_cmp_ngt_f64_e64 s[22:23], s[22:23], v[48:49]
	v_cndmask_b32_e64 v51, v53, v51, s[20:21]
	s_and_b64 s[20:21], s[22:23], s[20:21]
	v_cndmask_b32_e64 v49, 0, v51, s[22:23]
	v_cndmask_b32_e64 v48, 0, v50, s[20:21]
	v_add_f64 v[50:51], v[48:49], 1.0
	v_add_f64 v[56:57], v[50:51], -1.0
	v_add_f64 v[58:59], v[56:57], -v[50:51]
	v_add_f64 v[58:59], v[58:59], 1.0
	v_add_f64 v[56:57], v[48:49], -v[56:57]
	s_mov_b32 s20, 0x55555555
	v_add_f64 v[56:57], v[56:57], v[58:59]
	v_frexp_mant_f64_e32 v[58:59], v[50:51]
	s_mov_b32 s21, 0x3fe55555
	v_frexp_exp_i32_f64_e32 v53, v[50:51]
	v_cmp_gt_f64_e64 s[20:21], s[20:21], v[58:59]
	v_subbrev_co_u32_e64 v53, s[20:21], 0, v53, s[20:21]
	v_sub_u32_e32 v55, 0, v53
	v_ldexp_f64 v[50:51], v[50:51], v55
	v_add_f64 v[58:59], v[50:51], -1.0
	v_add_f64 v[64:65], v[50:51], 1.0
	v_add_f64 v[60:61], v[58:59], 1.0
	v_add_f64 v[66:67], v[64:65], -1.0
	v_ldexp_f64 v[56:57], v[56:57], v55
	v_add_f64 v[60:61], v[50:51], -v[60:61]
	v_add_f64 v[50:51], v[50:51], -v[66:67]
	v_add_f64 v[50:51], v[56:57], v[50:51]
	v_add_f64 v[60:61], v[56:57], v[60:61]
	;; [unrolled: 1-line block ×3, first 2 shown]
	v_rcp_f64_e32 v[66:67], v[56:57]
	v_add_f64 v[62:63], v[58:59], v[60:61]
	v_add_f64 v[58:59], v[62:63], -v[58:59]
	v_add_f64 v[58:59], v[60:61], -v[58:59]
	;; [unrolled: 1-line block ×4, first 2 shown]
	v_fma_f64 v[60:61], -v[56:57], v[66:67], 1.0
	v_fmac_f64_e32 v[66:67], v[60:61], v[66:67]
	v_fma_f64 v[60:61], -v[56:57], v[66:67], 1.0
	v_fmac_f64_e32 v[66:67], v[60:61], v[66:67]
	v_mul_f64 v[60:61], v[62:63], v[66:67]
	v_mul_f64 v[64:65], v[56:57], v[60:61]
	v_fma_f64 v[68:69], v[60:61], v[56:57], -v[64:65]
	v_fmac_f64_e32 v[68:69], v[60:61], v[50:51]
	v_add_f64 v[70:71], v[64:65], v[68:69]
	v_add_f64 v[72:73], v[62:63], -v[70:71]
	v_add_f64 v[62:63], v[62:63], -v[72:73]
	;; [unrolled: 1-line block ×4, first 2 shown]
	v_add_f64 v[58:59], v[58:59], v[62:63]
	v_add_f64 v[62:63], v[64:65], -v[68:69]
	v_add_f64 v[58:59], v[62:63], v[58:59]
	v_add_f64 v[62:63], v[72:73], v[58:59]
	v_add_f64 v[64:65], v[72:73], -v[62:63]
	v_add_f64 v[58:59], v[58:59], v[64:65]
	v_mul_f64 v[64:65], v[66:67], v[62:63]
	v_mul_f64 v[68:69], v[56:57], v[64:65]
	v_fma_f64 v[56:57], v[64:65], v[56:57], -v[68:69]
	v_fmac_f64_e32 v[56:57], v[64:65], v[50:51]
	v_add_f64 v[50:51], v[68:69], v[56:57]
	v_add_f64 v[70:71], v[62:63], -v[50:51]
	v_add_f64 v[62:63], v[62:63], -v[70:71]
	;; [unrolled: 1-line block ×4, first 2 shown]
	v_add_f64 v[50:51], v[58:59], v[50:51]
	v_add_f64 v[56:57], v[68:69], -v[56:57]
	v_add_f64 v[50:51], v[56:57], v[50:51]
	v_add_f64 v[56:57], v[60:61], v[64:65]
	;; [unrolled: 1-line block ×3, first 2 shown]
	v_add_f64 v[58:59], v[56:57], -v[60:61]
	v_mul_f64 v[50:51], v[66:67], v[50:51]
	v_add_f64 v[58:59], v[64:65], -v[58:59]
	v_add_f64 v[50:51], v[58:59], v[50:51]
	v_add_f64 v[58:59], v[56:57], v[50:51]
	v_add_f64 v[56:57], v[58:59], -v[56:57]
	s_mov_b32 s20, 0xbf559e2b
	v_add_f64 v[50:51], v[50:51], -v[56:57]
	v_mul_f64 v[56:57], v[58:59], v[58:59]
	v_mov_b32_e32 v60, 0x6b47b09a
	v_mov_b32_e32 v61, 0x3fc38538
	s_mov_b32 s21, 0x3fc3ab76
	v_fmac_f64_e32 v[60:61], s[20:21], v[56:57]
	v_mov_b32_e32 v62, 0xd7f4df2e
	v_mov_b32_e32 v63, 0x3fc7474d
	v_fmac_f64_e32 v[62:63], v[56:57], v[60:61]
	v_mov_b32_e32 v60, 0x16291751
	v_mov_b32_e32 v61, 0x3fcc71c0
	;; [unrolled: 3-line block ×5, first 2 shown]
	v_fmac_f64_e32 v[62:63], v[56:57], v[60:61]
	v_cvt_f64_i32_e32 v[60:61], v53
	s_mov_b32 s37, 0x3fe62e42
	v_mul_f64 v[64:65], v[60:61], s[36:37]
	v_fma_f64 v[66:67], v[60:61], s[36:37], -v[64:65]
	s_mov_b32 s41, 0x3c7abc9e
	v_fmac_f64_e32 v[66:67], s[40:41], v[60:61]
	v_add_f64 v[60:61], v[64:65], v[66:67]
	v_add_f64 v[64:65], v[60:61], -v[64:65]
	v_mul_f64 v[56:57], v[58:59], v[56:57]
	v_add_f64 v[64:65], v[66:67], -v[64:65]
	v_ldexp_f64 v[66:67], v[58:59], 1
	v_mul_f64 v[56:57], v[56:57], v[62:63]
	v_add_f64 v[58:59], v[66:67], v[56:57]
	v_add_f64 v[62:63], v[58:59], -v[66:67]
	v_ldexp_f64 v[50:51], v[50:51], 1
	v_add_f64 v[56:57], v[56:57], -v[62:63]
	v_add_f64 v[50:51], v[50:51], v[56:57]
	v_add_f64 v[56:57], v[58:59], v[50:51]
	v_add_f64 v[58:59], v[56:57], -v[58:59]
	v_add_f64 v[50:51], v[50:51], -v[58:59]
	v_add_f64 v[58:59], v[60:61], v[56:57]
	v_add_f64 v[62:63], v[58:59], -v[60:61]
	v_add_f64 v[66:67], v[58:59], -v[62:63]
	v_add_f64 v[60:61], v[60:61], -v[66:67]
	v_add_f64 v[56:57], v[56:57], -v[62:63]
	v_add_f64 v[56:57], v[56:57], v[60:61]
	v_add_f64 v[60:61], v[64:65], v[50:51]
	v_add_f64 v[62:63], v[60:61], -v[64:65]
	v_add_f64 v[56:57], v[60:61], v[56:57]
	v_add_f64 v[66:67], v[60:61], -v[62:63]
	;; [unrolled: 2-line block ×3, first 2 shown]
	v_add_f64 v[50:51], v[50:51], -v[62:63]
	v_add_f64 v[58:59], v[60:61], -v[58:59]
	v_add_f64 v[50:51], v[50:51], v[64:65]
	v_add_f64 v[56:57], v[56:57], -v[58:59]
	s_mov_b32 s20, 0
	v_add_f64 v[50:51], v[50:51], v[56:57]
	s_mov_b32 s21, 0x7ff00000
	v_add_f64 v[50:51], v[60:61], v[50:51]
	v_cmp_eq_f64_e64 s[20:21], s[20:21], v[48:49]
	v_cndmask_b32_e64 v50, v50, v48, s[20:21]
	v_cndmask_b32_e64 v51, v51, v49, s[20:21]
	v_mov_b32_e32 v53, 0x7ff80000
	v_cmp_ngt_f64_e64 s[20:21], -1.0, v[48:49]
	v_cndmask_b32_e64 v51, v53, v51, s[20:21]
	v_cmp_nge_f64_e64 s[20:21], -1.0, v[48:49]
	v_cndmask_b32_e64 v50, 0, v50, s[20:21]
	v_mov_b32_e32 v53, 0xfff00000
	v_cmp_neq_f64_e64 s[20:21], -1.0, v[48:49]
	v_cndmask_b32_e64 v51, v53, v51, s[20:21]
	v_add_f64 v[48:49], v[46:47], v[50:51]
.LBB3_209:
	s_or_b64 exec, exec, s[26:27]
	v_pk_mov_b32 v[46:47], v[48:49], v[48:49] op_sel:[0,1]
	v_mov_b32_e32 v50, v48
	v_mov_b32_e32 v51, v49
.LBB3_210:
	s_or_b64 exec, exec, s[24:25]
	v_mov_b32_dpp v48, v50 row_shr:8 row_mask:0xf bank_mask:0xf
	v_mov_b32_dpp v49, v51 row_shr:8 row_mask:0xf bank_mask:0xf
	v_cmp_lt_u32_e64 s[20:21], 7, v52
	s_and_saveexec_b64 s[24:25], s[20:21]
	s_cbranch_execz .LBB3_214
; %bb.211:
	v_max_f64 v[52:53], v[48:49], v[48:49]
	v_max_f64 v[56:57], v[46:47], v[46:47]
	v_min_f64 v[50:51], v[52:53], v[56:57]
	v_cmp_u_f64_e64 s[20:21], v[48:49], v[48:49]
	v_max_f64 v[52:53], v[52:53], v[56:57]
	v_cndmask_b32_e64 v50, v50, v48, s[20:21]
	v_cndmask_b32_e64 v51, v51, v49, s[20:21]
	v_cmp_u_f64_e64 s[22:23], v[46:47], v[46:47]
	v_cndmask_b32_e64 v52, v52, v48, s[20:21]
	v_cndmask_b32_e64 v53, v53, v49, s[20:21]
	;; [unrolled: 1-line block ×6, first 2 shown]
	s_movk_i32 s22, 0x1f8
	v_cmp_neq_f64_e64 s[20:21], v[50:51], v[46:47]
	v_cmp_class_f64_e64 s[22:23], v[50:51], s22
	s_or_b64 s[20:21], s[20:21], s[22:23]
	s_and_saveexec_b64 s[26:27], s[20:21]
	s_cbranch_execz .LBB3_213
; %bb.212:
	s_mov_b32 s20, 0x652b82fe
	v_add_f64 v[48:49], v[50:51], -v[46:47]
	s_mov_b32 s21, 0x3ff71547
	v_mul_f64 v[50:51], v[48:49], s[20:21]
	v_rndne_f64_e32 v[50:51], v[50:51]
	s_mov_b32 s37, 0xbfe62e42
	s_mov_b32 s36, 0xfefa39ef
	v_fma_f64 v[52:53], s[36:37], v[50:51], v[48:49]
	s_mov_b32 s41, 0xbc7abc9e
	s_mov_b32 s40, 0x3b39803f
	;; [unrolled: 1-line block ×3, first 2 shown]
	v_fmac_f64_e32 v[52:53], s[40:41], v[50:51]
	v_mov_b32_e32 v56, 0xfca7ab0c
	v_mov_b32_e32 v57, 0x3e928af3
	s_mov_b32 s21, 0x3e5ade15
	v_fmac_f64_e32 v[56:57], s[20:21], v[52:53]
	v_mov_b32_e32 v58, 0x623fde64
	v_mov_b32_e32 v59, 0x3ec71dee
	v_fmac_f64_e32 v[58:59], v[52:53], v[56:57]
	v_mov_b32_e32 v56, 0x7c89e6b0
	v_mov_b32_e32 v57, 0x3efa0199
	;; [unrolled: 3-line block ×8, first 2 shown]
	v_fmac_f64_e32 v[56:57], v[52:53], v[58:59]
	v_fma_f64 v[56:57], v[52:53], v[56:57], 1.0
	s_mov_b32 s20, 0
	s_mov_b32 s22, 0
	v_fma_f64 v[52:53], v[52:53], v[56:57], 1.0
	v_cvt_i32_f64_e32 v50, v[50:51]
	s_mov_b32 s21, 0x40900000
	s_mov_b32 s23, 0xc090cc00
	v_ldexp_f64 v[50:51], v[52:53], v50
	v_mov_b32_e32 v52, 0x7ff00000
	v_cmp_nlt_f64_e64 s[20:21], s[20:21], v[48:49]
	v_cmp_ngt_f64_e64 s[22:23], s[22:23], v[48:49]
	v_cndmask_b32_e64 v51, v52, v51, s[20:21]
	s_and_b64 s[20:21], s[22:23], s[20:21]
	v_cndmask_b32_e64 v49, 0, v51, s[22:23]
	v_cndmask_b32_e64 v48, 0, v50, s[20:21]
	v_add_f64 v[50:51], v[48:49], 1.0
	v_add_f64 v[52:53], v[50:51], -1.0
	v_add_f64 v[56:57], v[52:53], -v[50:51]
	v_add_f64 v[56:57], v[56:57], 1.0
	v_add_f64 v[52:53], v[48:49], -v[52:53]
	s_mov_b32 s20, 0x55555555
	v_add_f64 v[52:53], v[52:53], v[56:57]
	v_frexp_mant_f64_e32 v[56:57], v[50:51]
	s_mov_b32 s21, 0x3fe55555
	v_frexp_exp_i32_f64_e32 v55, v[50:51]
	v_cmp_gt_f64_e64 s[20:21], s[20:21], v[56:57]
	v_subbrev_co_u32_e64 v55, s[20:21], 0, v55, s[20:21]
	v_sub_u32_e32 v56, 0, v55
	v_ldexp_f64 v[50:51], v[50:51], v56
	v_ldexp_f64 v[52:53], v[52:53], v56
	v_add_f64 v[56:57], v[50:51], -1.0
	v_add_f64 v[62:63], v[50:51], 1.0
	v_add_f64 v[58:59], v[56:57], 1.0
	v_add_f64 v[64:65], v[62:63], -1.0
	v_add_f64 v[58:59], v[50:51], -v[58:59]
	v_add_f64 v[50:51], v[50:51], -v[64:65]
	v_add_f64 v[50:51], v[52:53], v[50:51]
	v_add_f64 v[58:59], v[52:53], v[58:59]
	;; [unrolled: 1-line block ×3, first 2 shown]
	v_rcp_f64_e32 v[64:65], v[52:53]
	v_add_f64 v[60:61], v[56:57], v[58:59]
	v_add_f64 v[56:57], v[60:61], -v[56:57]
	v_add_f64 v[56:57], v[58:59], -v[56:57]
	;; [unrolled: 1-line block ×4, first 2 shown]
	v_fma_f64 v[58:59], -v[52:53], v[64:65], 1.0
	v_fmac_f64_e32 v[64:65], v[58:59], v[64:65]
	v_fma_f64 v[58:59], -v[52:53], v[64:65], 1.0
	v_fmac_f64_e32 v[64:65], v[58:59], v[64:65]
	v_mul_f64 v[58:59], v[60:61], v[64:65]
	v_mul_f64 v[62:63], v[52:53], v[58:59]
	v_fma_f64 v[66:67], v[58:59], v[52:53], -v[62:63]
	v_fmac_f64_e32 v[66:67], v[58:59], v[50:51]
	v_add_f64 v[68:69], v[62:63], v[66:67]
	v_add_f64 v[70:71], v[60:61], -v[68:69]
	v_add_f64 v[60:61], v[60:61], -v[70:71]
	;; [unrolled: 1-line block ×4, first 2 shown]
	v_add_f64 v[56:57], v[56:57], v[60:61]
	v_add_f64 v[60:61], v[62:63], -v[66:67]
	v_add_f64 v[56:57], v[60:61], v[56:57]
	v_add_f64 v[60:61], v[70:71], v[56:57]
	v_add_f64 v[62:63], v[70:71], -v[60:61]
	v_add_f64 v[56:57], v[56:57], v[62:63]
	v_mul_f64 v[62:63], v[64:65], v[60:61]
	v_mul_f64 v[66:67], v[52:53], v[62:63]
	v_fma_f64 v[52:53], v[62:63], v[52:53], -v[66:67]
	v_fmac_f64_e32 v[52:53], v[62:63], v[50:51]
	v_add_f64 v[50:51], v[66:67], v[52:53]
	v_add_f64 v[68:69], v[60:61], -v[50:51]
	v_add_f64 v[60:61], v[60:61], -v[68:69]
	;; [unrolled: 1-line block ×4, first 2 shown]
	v_add_f64 v[50:51], v[56:57], v[50:51]
	v_add_f64 v[52:53], v[66:67], -v[52:53]
	v_add_f64 v[50:51], v[52:53], v[50:51]
	v_add_f64 v[52:53], v[58:59], v[62:63]
	v_add_f64 v[50:51], v[68:69], v[50:51]
	v_add_f64 v[56:57], v[52:53], -v[58:59]
	v_mul_f64 v[50:51], v[64:65], v[50:51]
	v_add_f64 v[56:57], v[62:63], -v[56:57]
	v_add_f64 v[50:51], v[56:57], v[50:51]
	v_add_f64 v[56:57], v[52:53], v[50:51]
	v_add_f64 v[52:53], v[56:57], -v[52:53]
	s_mov_b32 s20, 0xbf559e2b
	v_add_f64 v[50:51], v[50:51], -v[52:53]
	v_mul_f64 v[52:53], v[56:57], v[56:57]
	v_mov_b32_e32 v58, 0x6b47b09a
	v_mov_b32_e32 v59, 0x3fc38538
	s_mov_b32 s21, 0x3fc3ab76
	v_fmac_f64_e32 v[58:59], s[20:21], v[52:53]
	v_mov_b32_e32 v60, 0xd7f4df2e
	v_mov_b32_e32 v61, 0x3fc7474d
	v_fmac_f64_e32 v[60:61], v[52:53], v[58:59]
	v_mov_b32_e32 v58, 0x16291751
	v_mov_b32_e32 v59, 0x3fcc71c0
	;; [unrolled: 3-line block ×5, first 2 shown]
	v_fmac_f64_e32 v[60:61], v[52:53], v[58:59]
	v_cvt_f64_i32_e32 v[58:59], v55
	s_mov_b32 s37, 0x3fe62e42
	v_mul_f64 v[62:63], v[58:59], s[36:37]
	v_fma_f64 v[64:65], v[58:59], s[36:37], -v[62:63]
	s_mov_b32 s41, 0x3c7abc9e
	v_fmac_f64_e32 v[64:65], s[40:41], v[58:59]
	v_add_f64 v[58:59], v[62:63], v[64:65]
	v_add_f64 v[62:63], v[58:59], -v[62:63]
	v_mul_f64 v[52:53], v[56:57], v[52:53]
	v_add_f64 v[62:63], v[64:65], -v[62:63]
	v_ldexp_f64 v[64:65], v[56:57], 1
	v_mul_f64 v[52:53], v[52:53], v[60:61]
	v_add_f64 v[56:57], v[64:65], v[52:53]
	v_add_f64 v[60:61], v[56:57], -v[64:65]
	v_ldexp_f64 v[50:51], v[50:51], 1
	v_add_f64 v[52:53], v[52:53], -v[60:61]
	v_add_f64 v[50:51], v[50:51], v[52:53]
	v_add_f64 v[52:53], v[56:57], v[50:51]
	v_add_f64 v[56:57], v[52:53], -v[56:57]
	v_add_f64 v[50:51], v[50:51], -v[56:57]
	v_add_f64 v[56:57], v[58:59], v[52:53]
	v_add_f64 v[60:61], v[56:57], -v[58:59]
	v_add_f64 v[64:65], v[56:57], -v[60:61]
	;; [unrolled: 1-line block ×4, first 2 shown]
	v_add_f64 v[52:53], v[52:53], v[58:59]
	v_add_f64 v[58:59], v[62:63], v[50:51]
	v_add_f64 v[60:61], v[58:59], -v[62:63]
	v_add_f64 v[52:53], v[58:59], v[52:53]
	v_add_f64 v[64:65], v[58:59], -v[60:61]
	;; [unrolled: 2-line block ×3, first 2 shown]
	v_add_f64 v[50:51], v[50:51], -v[60:61]
	v_add_f64 v[56:57], v[58:59], -v[56:57]
	v_add_f64 v[50:51], v[50:51], v[62:63]
	v_add_f64 v[52:53], v[52:53], -v[56:57]
	s_mov_b32 s20, 0
	v_add_f64 v[50:51], v[50:51], v[52:53]
	s_mov_b32 s21, 0x7ff00000
	v_add_f64 v[50:51], v[58:59], v[50:51]
	v_cmp_eq_f64_e64 s[20:21], s[20:21], v[48:49]
	v_cndmask_b32_e64 v50, v50, v48, s[20:21]
	v_cndmask_b32_e64 v51, v51, v49, s[20:21]
	v_mov_b32_e32 v52, 0x7ff80000
	v_cmp_ngt_f64_e64 s[20:21], -1.0, v[48:49]
	v_cndmask_b32_e64 v51, v52, v51, s[20:21]
	v_cmp_nge_f64_e64 s[20:21], -1.0, v[48:49]
	v_cndmask_b32_e64 v50, 0, v50, s[20:21]
	v_mov_b32_e32 v52, 0xfff00000
	v_cmp_neq_f64_e64 s[20:21], -1.0, v[48:49]
	v_cndmask_b32_e64 v51, v52, v51, s[20:21]
	v_add_f64 v[48:49], v[46:47], v[50:51]
.LBB3_213:
	s_or_b64 exec, exec, s[26:27]
	v_pk_mov_b32 v[46:47], v[48:49], v[48:49] op_sel:[0,1]
	v_mov_b32_e32 v50, v48
	v_mov_b32_e32 v51, v49
.LBB3_214:
	s_or_b64 exec, exec, s[24:25]
	v_and_b32_e32 v52, 16, v54
	v_mov_b32_dpp v48, v50 row_bcast:15 row_mask:0xf bank_mask:0xf
	v_mov_b32_dpp v49, v51 row_bcast:15 row_mask:0xf bank_mask:0xf
	v_cmp_ne_u32_e64 s[20:21], 0, v52
	s_and_saveexec_b64 s[24:25], s[20:21]
	s_cbranch_execz .LBB3_218
; %bb.215:
	v_max_f64 v[52:53], v[48:49], v[48:49]
	v_max_f64 v[56:57], v[46:47], v[46:47]
	v_min_f64 v[50:51], v[52:53], v[56:57]
	v_cmp_u_f64_e64 s[20:21], v[48:49], v[48:49]
	v_max_f64 v[52:53], v[52:53], v[56:57]
	v_cndmask_b32_e64 v50, v50, v48, s[20:21]
	v_cndmask_b32_e64 v51, v51, v49, s[20:21]
	v_cmp_u_f64_e64 s[22:23], v[46:47], v[46:47]
	v_cndmask_b32_e64 v52, v52, v48, s[20:21]
	v_cndmask_b32_e64 v53, v53, v49, s[20:21]
	;; [unrolled: 1-line block ×6, first 2 shown]
	s_movk_i32 s22, 0x1f8
	v_cmp_neq_f64_e64 s[20:21], v[50:51], v[46:47]
	v_cmp_class_f64_e64 s[22:23], v[50:51], s22
	s_or_b64 s[20:21], s[20:21], s[22:23]
	s_and_saveexec_b64 s[26:27], s[20:21]
	s_cbranch_execz .LBB3_217
; %bb.216:
	s_mov_b32 s20, 0x652b82fe
	v_add_f64 v[48:49], v[50:51], -v[46:47]
	s_mov_b32 s21, 0x3ff71547
	v_mul_f64 v[50:51], v[48:49], s[20:21]
	v_rndne_f64_e32 v[50:51], v[50:51]
	s_mov_b32 s37, 0xbfe62e42
	s_mov_b32 s36, 0xfefa39ef
	v_fma_f64 v[52:53], s[36:37], v[50:51], v[48:49]
	s_mov_b32 s41, 0xbc7abc9e
	s_mov_b32 s40, 0x3b39803f
	;; [unrolled: 1-line block ×3, first 2 shown]
	v_fmac_f64_e32 v[52:53], s[40:41], v[50:51]
	v_mov_b32_e32 v56, 0xfca7ab0c
	v_mov_b32_e32 v57, 0x3e928af3
	s_mov_b32 s21, 0x3e5ade15
	v_fmac_f64_e32 v[56:57], s[20:21], v[52:53]
	v_mov_b32_e32 v58, 0x623fde64
	v_mov_b32_e32 v59, 0x3ec71dee
	v_fmac_f64_e32 v[58:59], v[52:53], v[56:57]
	v_mov_b32_e32 v56, 0x7c89e6b0
	v_mov_b32_e32 v57, 0x3efa0199
	;; [unrolled: 3-line block ×8, first 2 shown]
	v_fmac_f64_e32 v[56:57], v[52:53], v[58:59]
	v_fma_f64 v[56:57], v[52:53], v[56:57], 1.0
	s_mov_b32 s20, 0
	s_mov_b32 s22, 0
	v_fma_f64 v[52:53], v[52:53], v[56:57], 1.0
	v_cvt_i32_f64_e32 v50, v[50:51]
	s_mov_b32 s21, 0x40900000
	s_mov_b32 s23, 0xc090cc00
	v_ldexp_f64 v[50:51], v[52:53], v50
	v_mov_b32_e32 v52, 0x7ff00000
	v_cmp_nlt_f64_e64 s[20:21], s[20:21], v[48:49]
	v_cmp_ngt_f64_e64 s[22:23], s[22:23], v[48:49]
	v_cndmask_b32_e64 v51, v52, v51, s[20:21]
	s_and_b64 s[20:21], s[22:23], s[20:21]
	v_cndmask_b32_e64 v49, 0, v51, s[22:23]
	v_cndmask_b32_e64 v48, 0, v50, s[20:21]
	v_add_f64 v[50:51], v[48:49], 1.0
	v_add_f64 v[52:53], v[50:51], -1.0
	v_add_f64 v[56:57], v[52:53], -v[50:51]
	v_add_f64 v[56:57], v[56:57], 1.0
	v_add_f64 v[52:53], v[48:49], -v[52:53]
	s_mov_b32 s20, 0x55555555
	v_add_f64 v[52:53], v[52:53], v[56:57]
	v_frexp_mant_f64_e32 v[56:57], v[50:51]
	s_mov_b32 s21, 0x3fe55555
	v_frexp_exp_i32_f64_e32 v55, v[50:51]
	v_cmp_gt_f64_e64 s[20:21], s[20:21], v[56:57]
	v_subbrev_co_u32_e64 v55, s[20:21], 0, v55, s[20:21]
	v_sub_u32_e32 v56, 0, v55
	v_ldexp_f64 v[50:51], v[50:51], v56
	v_ldexp_f64 v[52:53], v[52:53], v56
	v_add_f64 v[56:57], v[50:51], -1.0
	v_add_f64 v[62:63], v[50:51], 1.0
	v_add_f64 v[58:59], v[56:57], 1.0
	v_add_f64 v[64:65], v[62:63], -1.0
	v_add_f64 v[58:59], v[50:51], -v[58:59]
	v_add_f64 v[50:51], v[50:51], -v[64:65]
	v_add_f64 v[50:51], v[52:53], v[50:51]
	v_add_f64 v[58:59], v[52:53], v[58:59]
	;; [unrolled: 1-line block ×3, first 2 shown]
	v_rcp_f64_e32 v[64:65], v[52:53]
	v_add_f64 v[60:61], v[56:57], v[58:59]
	v_add_f64 v[56:57], v[60:61], -v[56:57]
	v_add_f64 v[56:57], v[58:59], -v[56:57]
	;; [unrolled: 1-line block ×4, first 2 shown]
	v_fma_f64 v[58:59], -v[52:53], v[64:65], 1.0
	v_fmac_f64_e32 v[64:65], v[58:59], v[64:65]
	v_fma_f64 v[58:59], -v[52:53], v[64:65], 1.0
	v_fmac_f64_e32 v[64:65], v[58:59], v[64:65]
	v_mul_f64 v[58:59], v[60:61], v[64:65]
	v_mul_f64 v[62:63], v[52:53], v[58:59]
	v_fma_f64 v[66:67], v[58:59], v[52:53], -v[62:63]
	v_fmac_f64_e32 v[66:67], v[58:59], v[50:51]
	v_add_f64 v[68:69], v[62:63], v[66:67]
	v_add_f64 v[70:71], v[60:61], -v[68:69]
	v_add_f64 v[60:61], v[60:61], -v[70:71]
	;; [unrolled: 1-line block ×4, first 2 shown]
	v_add_f64 v[56:57], v[56:57], v[60:61]
	v_add_f64 v[60:61], v[62:63], -v[66:67]
	v_add_f64 v[56:57], v[60:61], v[56:57]
	v_add_f64 v[60:61], v[70:71], v[56:57]
	v_add_f64 v[62:63], v[70:71], -v[60:61]
	v_add_f64 v[56:57], v[56:57], v[62:63]
	v_mul_f64 v[62:63], v[64:65], v[60:61]
	v_mul_f64 v[66:67], v[52:53], v[62:63]
	v_fma_f64 v[52:53], v[62:63], v[52:53], -v[66:67]
	v_fmac_f64_e32 v[52:53], v[62:63], v[50:51]
	v_add_f64 v[50:51], v[66:67], v[52:53]
	v_add_f64 v[68:69], v[60:61], -v[50:51]
	v_add_f64 v[60:61], v[60:61], -v[68:69]
	v_add_f64 v[66:67], v[50:51], -v[66:67]
	v_add_f64 v[50:51], v[60:61], -v[50:51]
	v_add_f64 v[50:51], v[56:57], v[50:51]
	v_add_f64 v[52:53], v[66:67], -v[52:53]
	v_add_f64 v[50:51], v[52:53], v[50:51]
	v_add_f64 v[52:53], v[58:59], v[62:63]
	;; [unrolled: 1-line block ×3, first 2 shown]
	v_add_f64 v[56:57], v[52:53], -v[58:59]
	v_mul_f64 v[50:51], v[64:65], v[50:51]
	v_add_f64 v[56:57], v[62:63], -v[56:57]
	v_add_f64 v[50:51], v[56:57], v[50:51]
	v_add_f64 v[56:57], v[52:53], v[50:51]
	v_add_f64 v[52:53], v[56:57], -v[52:53]
	s_mov_b32 s20, 0xbf559e2b
	v_add_f64 v[50:51], v[50:51], -v[52:53]
	v_mul_f64 v[52:53], v[56:57], v[56:57]
	v_mov_b32_e32 v58, 0x6b47b09a
	v_mov_b32_e32 v59, 0x3fc38538
	s_mov_b32 s21, 0x3fc3ab76
	v_fmac_f64_e32 v[58:59], s[20:21], v[52:53]
	v_mov_b32_e32 v60, 0xd7f4df2e
	v_mov_b32_e32 v61, 0x3fc7474d
	v_fmac_f64_e32 v[60:61], v[52:53], v[58:59]
	v_mov_b32_e32 v58, 0x16291751
	v_mov_b32_e32 v59, 0x3fcc71c0
	;; [unrolled: 3-line block ×5, first 2 shown]
	v_fmac_f64_e32 v[60:61], v[52:53], v[58:59]
	v_cvt_f64_i32_e32 v[58:59], v55
	s_mov_b32 s37, 0x3fe62e42
	v_mul_f64 v[62:63], v[58:59], s[36:37]
	v_fma_f64 v[64:65], v[58:59], s[36:37], -v[62:63]
	s_mov_b32 s41, 0x3c7abc9e
	v_fmac_f64_e32 v[64:65], s[40:41], v[58:59]
	v_add_f64 v[58:59], v[62:63], v[64:65]
	v_add_f64 v[62:63], v[58:59], -v[62:63]
	v_mul_f64 v[52:53], v[56:57], v[52:53]
	v_add_f64 v[62:63], v[64:65], -v[62:63]
	v_ldexp_f64 v[64:65], v[56:57], 1
	v_mul_f64 v[52:53], v[52:53], v[60:61]
	v_add_f64 v[56:57], v[64:65], v[52:53]
	v_add_f64 v[60:61], v[56:57], -v[64:65]
	v_ldexp_f64 v[50:51], v[50:51], 1
	v_add_f64 v[52:53], v[52:53], -v[60:61]
	v_add_f64 v[50:51], v[50:51], v[52:53]
	v_add_f64 v[52:53], v[56:57], v[50:51]
	v_add_f64 v[56:57], v[52:53], -v[56:57]
	v_add_f64 v[50:51], v[50:51], -v[56:57]
	v_add_f64 v[56:57], v[58:59], v[52:53]
	v_add_f64 v[60:61], v[56:57], -v[58:59]
	v_add_f64 v[64:65], v[56:57], -v[60:61]
	v_add_f64 v[58:59], v[58:59], -v[64:65]
	v_add_f64 v[52:53], v[52:53], -v[60:61]
	v_add_f64 v[52:53], v[52:53], v[58:59]
	v_add_f64 v[58:59], v[62:63], v[50:51]
	v_add_f64 v[60:61], v[58:59], -v[62:63]
	v_add_f64 v[52:53], v[58:59], v[52:53]
	v_add_f64 v[64:65], v[58:59], -v[60:61]
	;; [unrolled: 2-line block ×3, first 2 shown]
	v_add_f64 v[50:51], v[50:51], -v[60:61]
	v_add_f64 v[56:57], v[58:59], -v[56:57]
	v_add_f64 v[50:51], v[50:51], v[62:63]
	v_add_f64 v[52:53], v[52:53], -v[56:57]
	s_mov_b32 s20, 0
	v_add_f64 v[50:51], v[50:51], v[52:53]
	s_mov_b32 s21, 0x7ff00000
	v_add_f64 v[50:51], v[58:59], v[50:51]
	v_cmp_eq_f64_e64 s[20:21], s[20:21], v[48:49]
	v_cndmask_b32_e64 v50, v50, v48, s[20:21]
	v_cndmask_b32_e64 v51, v51, v49, s[20:21]
	v_mov_b32_e32 v52, 0x7ff80000
	v_cmp_ngt_f64_e64 s[20:21], -1.0, v[48:49]
	v_cndmask_b32_e64 v51, v52, v51, s[20:21]
	v_cmp_nge_f64_e64 s[20:21], -1.0, v[48:49]
	v_cndmask_b32_e64 v50, 0, v50, s[20:21]
	v_mov_b32_e32 v52, 0xfff00000
	v_cmp_neq_f64_e64 s[20:21], -1.0, v[48:49]
	v_cndmask_b32_e64 v51, v52, v51, s[20:21]
	v_add_f64 v[48:49], v[46:47], v[50:51]
.LBB3_217:
	s_or_b64 exec, exec, s[26:27]
	v_mov_b32_e32 v50, v48
	v_mov_b32_e32 v51, v49
	v_pk_mov_b32 v[46:47], v[48:49], v[48:49] op_sel:[0,1]
.LBB3_218:
	s_or_b64 exec, exec, s[24:25]
	v_mov_b32_dpp v48, v50 row_bcast:31 row_mask:0xf bank_mask:0xf
	v_mov_b32_dpp v49, v51 row_bcast:31 row_mask:0xf bank_mask:0xf
	v_cmp_lt_u32_e64 s[20:21], 31, v54
	s_and_saveexec_b64 s[24:25], s[20:21]
	s_cbranch_execz .LBB3_222
; %bb.219:
	v_max_f64 v[52:53], v[48:49], v[48:49]
	v_max_f64 v[56:57], v[46:47], v[46:47]
	v_min_f64 v[50:51], v[52:53], v[56:57]
	v_cmp_u_f64_e64 s[20:21], v[48:49], v[48:49]
	v_max_f64 v[52:53], v[52:53], v[56:57]
	v_cndmask_b32_e64 v50, v50, v48, s[20:21]
	v_cndmask_b32_e64 v51, v51, v49, s[20:21]
	v_cmp_u_f64_e64 s[22:23], v[46:47], v[46:47]
	v_cndmask_b32_e64 v52, v52, v48, s[20:21]
	v_cndmask_b32_e64 v53, v53, v49, s[20:21]
	;; [unrolled: 1-line block ×6, first 2 shown]
	s_movk_i32 s22, 0x1f8
	v_cmp_neq_f64_e64 s[20:21], v[50:51], v[46:47]
	v_cmp_class_f64_e64 s[22:23], v[50:51], s22
	s_or_b64 s[20:21], s[20:21], s[22:23]
	s_and_saveexec_b64 s[26:27], s[20:21]
	s_cbranch_execz .LBB3_221
; %bb.220:
	s_mov_b32 s20, 0x652b82fe
	v_add_f64 v[48:49], v[50:51], -v[46:47]
	s_mov_b32 s21, 0x3ff71547
	v_mul_f64 v[50:51], v[48:49], s[20:21]
	v_rndne_f64_e32 v[50:51], v[50:51]
	s_mov_b32 s37, 0xbfe62e42
	s_mov_b32 s36, 0xfefa39ef
	v_fma_f64 v[52:53], s[36:37], v[50:51], v[48:49]
	s_mov_b32 s41, 0xbc7abc9e
	s_mov_b32 s40, 0x3b39803f
	;; [unrolled: 1-line block ×3, first 2 shown]
	v_fmac_f64_e32 v[52:53], s[40:41], v[50:51]
	v_mov_b32_e32 v56, 0xfca7ab0c
	v_mov_b32_e32 v57, 0x3e928af3
	s_mov_b32 s21, 0x3e5ade15
	v_fmac_f64_e32 v[56:57], s[20:21], v[52:53]
	v_mov_b32_e32 v58, 0x623fde64
	v_mov_b32_e32 v59, 0x3ec71dee
	v_fmac_f64_e32 v[58:59], v[52:53], v[56:57]
	v_mov_b32_e32 v56, 0x7c89e6b0
	v_mov_b32_e32 v57, 0x3efa0199
	;; [unrolled: 3-line block ×8, first 2 shown]
	v_fmac_f64_e32 v[56:57], v[52:53], v[58:59]
	v_fma_f64 v[56:57], v[52:53], v[56:57], 1.0
	s_mov_b32 s20, 0
	s_mov_b32 s22, 0
	v_fma_f64 v[52:53], v[52:53], v[56:57], 1.0
	v_cvt_i32_f64_e32 v50, v[50:51]
	s_mov_b32 s21, 0x40900000
	s_mov_b32 s23, 0xc090cc00
	v_ldexp_f64 v[50:51], v[52:53], v50
	v_mov_b32_e32 v52, 0x7ff00000
	v_cmp_nlt_f64_e64 s[20:21], s[20:21], v[48:49]
	v_cmp_ngt_f64_e64 s[22:23], s[22:23], v[48:49]
	v_cndmask_b32_e64 v51, v52, v51, s[20:21]
	s_and_b64 s[20:21], s[22:23], s[20:21]
	v_cndmask_b32_e64 v49, 0, v51, s[22:23]
	v_cndmask_b32_e64 v48, 0, v50, s[20:21]
	v_add_f64 v[50:51], v[48:49], 1.0
	v_add_f64 v[52:53], v[50:51], -1.0
	v_add_f64 v[56:57], v[52:53], -v[50:51]
	v_add_f64 v[56:57], v[56:57], 1.0
	v_add_f64 v[52:53], v[48:49], -v[52:53]
	s_mov_b32 s20, 0x55555555
	v_add_f64 v[52:53], v[52:53], v[56:57]
	v_frexp_mant_f64_e32 v[56:57], v[50:51]
	s_mov_b32 s21, 0x3fe55555
	v_frexp_exp_i32_f64_e32 v55, v[50:51]
	v_cmp_gt_f64_e64 s[20:21], s[20:21], v[56:57]
	v_subbrev_co_u32_e64 v55, s[20:21], 0, v55, s[20:21]
	v_sub_u32_e32 v56, 0, v55
	v_ldexp_f64 v[50:51], v[50:51], v56
	v_ldexp_f64 v[52:53], v[52:53], v56
	v_add_f64 v[56:57], v[50:51], -1.0
	v_add_f64 v[62:63], v[50:51], 1.0
	v_add_f64 v[58:59], v[56:57], 1.0
	v_add_f64 v[64:65], v[62:63], -1.0
	v_add_f64 v[58:59], v[50:51], -v[58:59]
	v_add_f64 v[50:51], v[50:51], -v[64:65]
	v_add_f64 v[50:51], v[52:53], v[50:51]
	v_add_f64 v[58:59], v[52:53], v[58:59]
	;; [unrolled: 1-line block ×3, first 2 shown]
	v_rcp_f64_e32 v[64:65], v[52:53]
	v_add_f64 v[60:61], v[56:57], v[58:59]
	v_add_f64 v[56:57], v[60:61], -v[56:57]
	v_add_f64 v[56:57], v[58:59], -v[56:57]
	;; [unrolled: 1-line block ×4, first 2 shown]
	v_fma_f64 v[58:59], -v[52:53], v[64:65], 1.0
	v_fmac_f64_e32 v[64:65], v[58:59], v[64:65]
	v_fma_f64 v[58:59], -v[52:53], v[64:65], 1.0
	v_fmac_f64_e32 v[64:65], v[58:59], v[64:65]
	v_mul_f64 v[58:59], v[60:61], v[64:65]
	v_mul_f64 v[62:63], v[52:53], v[58:59]
	v_fma_f64 v[66:67], v[58:59], v[52:53], -v[62:63]
	v_fmac_f64_e32 v[66:67], v[58:59], v[50:51]
	v_add_f64 v[68:69], v[62:63], v[66:67]
	v_add_f64 v[70:71], v[60:61], -v[68:69]
	v_add_f64 v[60:61], v[60:61], -v[70:71]
	;; [unrolled: 1-line block ×4, first 2 shown]
	v_add_f64 v[56:57], v[56:57], v[60:61]
	v_add_f64 v[60:61], v[62:63], -v[66:67]
	v_add_f64 v[56:57], v[60:61], v[56:57]
	v_add_f64 v[60:61], v[70:71], v[56:57]
	v_add_f64 v[62:63], v[70:71], -v[60:61]
	v_add_f64 v[56:57], v[56:57], v[62:63]
	v_mul_f64 v[62:63], v[64:65], v[60:61]
	v_mul_f64 v[66:67], v[52:53], v[62:63]
	v_fma_f64 v[52:53], v[62:63], v[52:53], -v[66:67]
	v_fmac_f64_e32 v[52:53], v[62:63], v[50:51]
	v_add_f64 v[50:51], v[66:67], v[52:53]
	v_add_f64 v[68:69], v[60:61], -v[50:51]
	v_add_f64 v[60:61], v[60:61], -v[68:69]
	;; [unrolled: 1-line block ×4, first 2 shown]
	v_add_f64 v[50:51], v[56:57], v[50:51]
	v_add_f64 v[52:53], v[66:67], -v[52:53]
	v_add_f64 v[50:51], v[52:53], v[50:51]
	v_add_f64 v[52:53], v[58:59], v[62:63]
	;; [unrolled: 1-line block ×3, first 2 shown]
	v_add_f64 v[56:57], v[52:53], -v[58:59]
	v_mul_f64 v[50:51], v[64:65], v[50:51]
	v_add_f64 v[56:57], v[62:63], -v[56:57]
	v_add_f64 v[50:51], v[56:57], v[50:51]
	v_add_f64 v[56:57], v[52:53], v[50:51]
	v_add_f64 v[52:53], v[56:57], -v[52:53]
	s_mov_b32 s20, 0xbf559e2b
	v_add_f64 v[50:51], v[50:51], -v[52:53]
	v_mul_f64 v[52:53], v[56:57], v[56:57]
	v_mov_b32_e32 v58, 0x6b47b09a
	v_mov_b32_e32 v59, 0x3fc38538
	s_mov_b32 s21, 0x3fc3ab76
	v_fmac_f64_e32 v[58:59], s[20:21], v[52:53]
	v_mov_b32_e32 v60, 0xd7f4df2e
	v_mov_b32_e32 v61, 0x3fc7474d
	v_fmac_f64_e32 v[60:61], v[52:53], v[58:59]
	v_mov_b32_e32 v58, 0x16291751
	v_mov_b32_e32 v59, 0x3fcc71c0
	;; [unrolled: 3-line block ×5, first 2 shown]
	v_fmac_f64_e32 v[60:61], v[52:53], v[58:59]
	v_cvt_f64_i32_e32 v[58:59], v55
	s_mov_b32 s37, 0x3fe62e42
	v_mul_f64 v[62:63], v[58:59], s[36:37]
	v_fma_f64 v[64:65], v[58:59], s[36:37], -v[62:63]
	s_mov_b32 s41, 0x3c7abc9e
	v_fmac_f64_e32 v[64:65], s[40:41], v[58:59]
	v_add_f64 v[58:59], v[62:63], v[64:65]
	v_add_f64 v[62:63], v[58:59], -v[62:63]
	v_mul_f64 v[52:53], v[56:57], v[52:53]
	v_add_f64 v[62:63], v[64:65], -v[62:63]
	v_ldexp_f64 v[64:65], v[56:57], 1
	v_mul_f64 v[52:53], v[52:53], v[60:61]
	v_add_f64 v[56:57], v[64:65], v[52:53]
	v_add_f64 v[60:61], v[56:57], -v[64:65]
	v_ldexp_f64 v[50:51], v[50:51], 1
	v_add_f64 v[52:53], v[52:53], -v[60:61]
	v_add_f64 v[50:51], v[50:51], v[52:53]
	v_add_f64 v[52:53], v[56:57], v[50:51]
	v_add_f64 v[56:57], v[52:53], -v[56:57]
	v_add_f64 v[50:51], v[50:51], -v[56:57]
	v_add_f64 v[56:57], v[58:59], v[52:53]
	v_add_f64 v[60:61], v[56:57], -v[58:59]
	v_add_f64 v[64:65], v[56:57], -v[60:61]
	;; [unrolled: 1-line block ×4, first 2 shown]
	v_add_f64 v[52:53], v[52:53], v[58:59]
	v_add_f64 v[58:59], v[62:63], v[50:51]
	v_add_f64 v[60:61], v[58:59], -v[62:63]
	v_add_f64 v[52:53], v[58:59], v[52:53]
	v_add_f64 v[64:65], v[58:59], -v[60:61]
	v_add_f64 v[58:59], v[56:57], v[52:53]
	v_add_f64 v[62:63], v[62:63], -v[64:65]
	v_add_f64 v[50:51], v[50:51], -v[60:61]
	v_add_f64 v[56:57], v[58:59], -v[56:57]
	v_add_f64 v[50:51], v[50:51], v[62:63]
	v_add_f64 v[52:53], v[52:53], -v[56:57]
	s_mov_b32 s20, 0
	v_add_f64 v[50:51], v[50:51], v[52:53]
	s_mov_b32 s21, 0x7ff00000
	v_add_f64 v[50:51], v[58:59], v[50:51]
	v_cmp_eq_f64_e64 s[20:21], s[20:21], v[48:49]
	v_cndmask_b32_e64 v50, v50, v48, s[20:21]
	v_cndmask_b32_e64 v51, v51, v49, s[20:21]
	v_mov_b32_e32 v52, 0x7ff80000
	v_cmp_ngt_f64_e64 s[20:21], -1.0, v[48:49]
	v_cndmask_b32_e64 v51, v52, v51, s[20:21]
	v_cmp_nge_f64_e64 s[20:21], -1.0, v[48:49]
	v_cndmask_b32_e64 v50, 0, v50, s[20:21]
	v_mov_b32_e32 v52, 0xfff00000
	v_cmp_neq_f64_e64 s[20:21], -1.0, v[48:49]
	v_cndmask_b32_e64 v51, v52, v51, s[20:21]
	v_add_f64 v[48:49], v[46:47], v[50:51]
.LBB3_221:
	s_or_b64 exec, exec, s[26:27]
	v_pk_mov_b32 v[46:47], v[48:49], v[48:49] op_sel:[0,1]
.LBB3_222:
	s_or_b64 exec, exec, s[24:25]
	v_or_b32_e32 v48, 63, v0
	v_lshrrev_b32_e32 v55, 6, v0
	v_cmp_eq_u32_e64 s[20:21], v48, v0
	s_and_saveexec_b64 s[22:23], s[20:21]
	s_cbranch_execz .LBB3_224
; %bb.223:
	v_lshlrev_b32_e32 v48, 3, v55
	ds_write_b64 v48, v[46:47]
.LBB3_224:
	s_or_b64 exec, exec, s[22:23]
	v_cmp_gt_u32_e64 s[20:21], 2, v0
	s_waitcnt lgkmcnt(0)
	s_barrier
	s_and_saveexec_b64 s[24:25], s[20:21]
	s_cbranch_execz .LBB3_230
; %bb.225:
	s_movk_i32 s20, 0xffb8
	v_mad_i32_i24 v48, v0, s20, v1
	ds_read_b64 v[48:49], v48
	v_and_b32_e32 v52, 1, v54
	v_mul_i32_i24_e32 v56, 0xffffffb8, v0
	v_cmp_eq_u32_e64 s[20:21], 1, v52
	s_waitcnt lgkmcnt(0)
	v_mov_b32_dpp v50, v48 row_shr:1 row_mask:0xf bank_mask:0xf
	v_mov_b32_dpp v51, v49 row_shr:1 row_mask:0xf bank_mask:0xf
	s_and_saveexec_b64 s[26:27], s[20:21]
	s_cbranch_execz .LBB3_229
; %bb.226:
	v_max_f64 v[58:59], v[50:51], v[50:51]
	v_max_f64 v[60:61], v[48:49], v[48:49]
	v_min_f64 v[52:53], v[58:59], v[60:61]
	v_cmp_u_f64_e64 s[20:21], v[50:51], v[50:51]
	v_max_f64 v[58:59], v[58:59], v[60:61]
	v_cndmask_b32_e64 v52, v52, v50, s[20:21]
	v_cndmask_b32_e64 v53, v53, v51, s[20:21]
	v_cmp_u_f64_e64 s[22:23], v[48:49], v[48:49]
	v_cndmask_b32_e64 v57, v58, v50, s[20:21]
	v_cndmask_b32_e64 v58, v59, v51, s[20:21]
	;; [unrolled: 1-line block ×6, first 2 shown]
	s_movk_i32 s22, 0x1f8
	v_cmp_neq_f64_e64 s[20:21], v[52:53], v[48:49]
	v_cmp_class_f64_e64 s[22:23], v[52:53], s22
	s_or_b64 s[20:21], s[20:21], s[22:23]
	s_and_saveexec_b64 s[36:37], s[20:21]
	s_cbranch_execz .LBB3_228
; %bb.227:
	s_mov_b32 s20, 0x652b82fe
	v_add_f64 v[50:51], v[52:53], -v[48:49]
	s_mov_b32 s21, 0x3ff71547
	v_mul_f64 v[52:53], v[50:51], s[20:21]
	v_rndne_f64_e32 v[52:53], v[52:53]
	s_mov_b32 s41, 0xbfe62e42
	s_mov_b32 s40, 0xfefa39ef
	v_fma_f64 v[58:59], s[40:41], v[52:53], v[50:51]
	s_mov_b32 s45, 0xbc7abc9e
	s_mov_b32 s44, 0x3b39803f
	s_mov_b32 s20, 0x6a5dcb37
	v_fmac_f64_e32 v[58:59], s[44:45], v[52:53]
	v_mov_b32_e32 v60, 0xfca7ab0c
	v_mov_b32_e32 v61, 0x3e928af3
	s_mov_b32 s21, 0x3e5ade15
	v_fmac_f64_e32 v[60:61], s[20:21], v[58:59]
	v_mov_b32_e32 v62, 0x623fde64
	v_mov_b32_e32 v63, 0x3ec71dee
	v_fmac_f64_e32 v[62:63], v[58:59], v[60:61]
	v_mov_b32_e32 v60, 0x7c89e6b0
	v_mov_b32_e32 v61, 0x3efa0199
	;; [unrolled: 3-line block ×8, first 2 shown]
	v_fmac_f64_e32 v[60:61], v[58:59], v[62:63]
	v_fma_f64 v[60:61], v[58:59], v[60:61], 1.0
	s_mov_b32 s20, 0
	s_mov_b32 s22, 0
	v_fma_f64 v[58:59], v[58:59], v[60:61], 1.0
	v_cvt_i32_f64_e32 v52, v[52:53]
	s_mov_b32 s21, 0x40900000
	s_mov_b32 s23, 0xc090cc00
	v_ldexp_f64 v[52:53], v[58:59], v52
	v_mov_b32_e32 v57, 0x7ff00000
	v_cmp_nlt_f64_e64 s[20:21], s[20:21], v[50:51]
	v_cmp_ngt_f64_e64 s[22:23], s[22:23], v[50:51]
	v_cndmask_b32_e64 v53, v57, v53, s[20:21]
	s_and_b64 s[20:21], s[22:23], s[20:21]
	v_cndmask_b32_e64 v51, 0, v53, s[22:23]
	v_cndmask_b32_e64 v50, 0, v52, s[20:21]
	v_add_f64 v[52:53], v[50:51], 1.0
	v_add_f64 v[58:59], v[52:53], -1.0
	v_add_f64 v[60:61], v[58:59], -v[52:53]
	v_add_f64 v[60:61], v[60:61], 1.0
	v_add_f64 v[58:59], v[50:51], -v[58:59]
	s_mov_b32 s20, 0x55555555
	v_add_f64 v[58:59], v[58:59], v[60:61]
	v_frexp_mant_f64_e32 v[60:61], v[52:53]
	s_mov_b32 s21, 0x3fe55555
	v_frexp_exp_i32_f64_e32 v57, v[52:53]
	v_cmp_gt_f64_e64 s[20:21], s[20:21], v[60:61]
	v_subbrev_co_u32_e64 v57, s[20:21], 0, v57, s[20:21]
	v_sub_u32_e32 v60, 0, v57
	v_ldexp_f64 v[52:53], v[52:53], v60
	v_ldexp_f64 v[58:59], v[58:59], v60
	v_add_f64 v[60:61], v[52:53], -1.0
	v_add_f64 v[66:67], v[52:53], 1.0
	v_add_f64 v[62:63], v[60:61], 1.0
	v_add_f64 v[68:69], v[66:67], -1.0
	v_add_f64 v[62:63], v[52:53], -v[62:63]
	v_add_f64 v[52:53], v[52:53], -v[68:69]
	v_add_f64 v[52:53], v[58:59], v[52:53]
	v_add_f64 v[62:63], v[58:59], v[62:63]
	;; [unrolled: 1-line block ×3, first 2 shown]
	v_rcp_f64_e32 v[68:69], v[58:59]
	v_add_f64 v[64:65], v[60:61], v[62:63]
	v_add_f64 v[60:61], v[64:65], -v[60:61]
	v_add_f64 v[60:61], v[62:63], -v[60:61]
	;; [unrolled: 1-line block ×4, first 2 shown]
	v_fma_f64 v[62:63], -v[58:59], v[68:69], 1.0
	v_fmac_f64_e32 v[68:69], v[62:63], v[68:69]
	v_fma_f64 v[62:63], -v[58:59], v[68:69], 1.0
	v_fmac_f64_e32 v[68:69], v[62:63], v[68:69]
	v_mul_f64 v[62:63], v[64:65], v[68:69]
	v_mul_f64 v[66:67], v[58:59], v[62:63]
	v_fma_f64 v[70:71], v[62:63], v[58:59], -v[66:67]
	v_fmac_f64_e32 v[70:71], v[62:63], v[52:53]
	v_add_f64 v[72:73], v[66:67], v[70:71]
	v_add_f64 v[74:75], v[64:65], -v[72:73]
	v_add_f64 v[64:65], v[64:65], -v[74:75]
	;; [unrolled: 1-line block ×4, first 2 shown]
	v_add_f64 v[60:61], v[60:61], v[64:65]
	v_add_f64 v[64:65], v[66:67], -v[70:71]
	v_add_f64 v[60:61], v[64:65], v[60:61]
	v_add_f64 v[64:65], v[74:75], v[60:61]
	v_add_f64 v[66:67], v[74:75], -v[64:65]
	v_add_f64 v[60:61], v[60:61], v[66:67]
	v_mul_f64 v[66:67], v[68:69], v[64:65]
	v_mul_f64 v[70:71], v[58:59], v[66:67]
	v_fma_f64 v[58:59], v[66:67], v[58:59], -v[70:71]
	v_fmac_f64_e32 v[58:59], v[66:67], v[52:53]
	v_add_f64 v[52:53], v[70:71], v[58:59]
	v_add_f64 v[72:73], v[64:65], -v[52:53]
	v_add_f64 v[64:65], v[64:65], -v[72:73]
	;; [unrolled: 1-line block ×4, first 2 shown]
	v_add_f64 v[52:53], v[60:61], v[52:53]
	v_add_f64 v[58:59], v[70:71], -v[58:59]
	v_add_f64 v[52:53], v[58:59], v[52:53]
	v_add_f64 v[58:59], v[62:63], v[66:67]
	;; [unrolled: 1-line block ×3, first 2 shown]
	v_add_f64 v[60:61], v[58:59], -v[62:63]
	v_mul_f64 v[52:53], v[68:69], v[52:53]
	v_add_f64 v[60:61], v[66:67], -v[60:61]
	v_add_f64 v[52:53], v[60:61], v[52:53]
	v_add_f64 v[60:61], v[58:59], v[52:53]
	v_add_f64 v[58:59], v[60:61], -v[58:59]
	s_mov_b32 s20, 0xbf559e2b
	v_add_f64 v[52:53], v[52:53], -v[58:59]
	v_mul_f64 v[58:59], v[60:61], v[60:61]
	v_mov_b32_e32 v62, 0x6b47b09a
	v_mov_b32_e32 v63, 0x3fc38538
	s_mov_b32 s21, 0x3fc3ab76
	v_fmac_f64_e32 v[62:63], s[20:21], v[58:59]
	v_mov_b32_e32 v64, 0xd7f4df2e
	v_mov_b32_e32 v65, 0x3fc7474d
	v_fmac_f64_e32 v[64:65], v[58:59], v[62:63]
	v_mov_b32_e32 v62, 0x16291751
	v_mov_b32_e32 v63, 0x3fcc71c0
	;; [unrolled: 3-line block ×5, first 2 shown]
	v_fmac_f64_e32 v[64:65], v[58:59], v[62:63]
	v_cvt_f64_i32_e32 v[62:63], v57
	s_mov_b32 s41, 0x3fe62e42
	v_mul_f64 v[66:67], v[62:63], s[40:41]
	v_fma_f64 v[68:69], v[62:63], s[40:41], -v[66:67]
	s_mov_b32 s45, 0x3c7abc9e
	v_fmac_f64_e32 v[68:69], s[44:45], v[62:63]
	v_add_f64 v[62:63], v[66:67], v[68:69]
	v_add_f64 v[66:67], v[62:63], -v[66:67]
	v_mul_f64 v[58:59], v[60:61], v[58:59]
	v_add_f64 v[66:67], v[68:69], -v[66:67]
	v_ldexp_f64 v[68:69], v[60:61], 1
	v_mul_f64 v[58:59], v[58:59], v[64:65]
	v_add_f64 v[60:61], v[68:69], v[58:59]
	v_add_f64 v[64:65], v[60:61], -v[68:69]
	v_ldexp_f64 v[52:53], v[52:53], 1
	v_add_f64 v[58:59], v[58:59], -v[64:65]
	v_add_f64 v[52:53], v[52:53], v[58:59]
	v_add_f64 v[58:59], v[60:61], v[52:53]
	v_add_f64 v[60:61], v[58:59], -v[60:61]
	v_add_f64 v[52:53], v[52:53], -v[60:61]
	v_add_f64 v[60:61], v[62:63], v[58:59]
	v_add_f64 v[64:65], v[60:61], -v[62:63]
	v_add_f64 v[68:69], v[60:61], -v[64:65]
	;; [unrolled: 1-line block ×4, first 2 shown]
	v_add_f64 v[58:59], v[58:59], v[62:63]
	v_add_f64 v[62:63], v[66:67], v[52:53]
	v_add_f64 v[64:65], v[62:63], -v[66:67]
	v_add_f64 v[58:59], v[62:63], v[58:59]
	v_add_f64 v[68:69], v[62:63], -v[64:65]
	;; [unrolled: 2-line block ×3, first 2 shown]
	v_add_f64 v[52:53], v[52:53], -v[64:65]
	v_add_f64 v[60:61], v[62:63], -v[60:61]
	v_add_f64 v[52:53], v[52:53], v[66:67]
	v_add_f64 v[58:59], v[58:59], -v[60:61]
	s_mov_b32 s20, 0
	v_add_f64 v[52:53], v[52:53], v[58:59]
	s_mov_b32 s21, 0x7ff00000
	v_add_f64 v[52:53], v[62:63], v[52:53]
	v_cmp_eq_f64_e64 s[20:21], s[20:21], v[50:51]
	v_cndmask_b32_e64 v52, v52, v50, s[20:21]
	v_cndmask_b32_e64 v53, v53, v51, s[20:21]
	v_mov_b32_e32 v57, 0x7ff80000
	v_cmp_ngt_f64_e64 s[20:21], -1.0, v[50:51]
	v_cndmask_b32_e64 v53, v57, v53, s[20:21]
	v_cmp_nge_f64_e64 s[20:21], -1.0, v[50:51]
	v_cndmask_b32_e64 v52, 0, v52, s[20:21]
	v_mov_b32_e32 v57, 0xfff00000
	v_cmp_neq_f64_e64 s[20:21], -1.0, v[50:51]
	v_cndmask_b32_e64 v53, v57, v53, s[20:21]
	v_add_f64 v[50:51], v[48:49], v[52:53]
.LBB3_228:
	s_or_b64 exec, exec, s[36:37]
	v_pk_mov_b32 v[48:49], v[50:51], v[50:51] op_sel:[0,1]
.LBB3_229:
	s_or_b64 exec, exec, s[26:27]
	v_add_u32_e32 v50, v1, v56
	ds_write_b64 v50, v[48:49]
.LBB3_230:
	s_or_b64 exec, exec, s[24:25]
	v_cmp_lt_u32_e64 s[20:21], 63, v0
	s_waitcnt lgkmcnt(0)
	s_barrier
	s_waitcnt lgkmcnt(0)
                                        ; implicit-def: $vgpr48_vgpr49
	s_and_saveexec_b64 s[24:25], s[20:21]
	s_cbranch_execz .LBB3_234
; %bb.231:
	v_lshl_add_u32 v48, v55, 3, -8
	ds_read_b64 v[48:49], v48
	v_max_f64 v[50:51], v[46:47], v[46:47]
	v_cmp_u_f64_e64 s[22:23], v[46:47], v[46:47]
	s_waitcnt lgkmcnt(0)
	v_max_f64 v[56:57], v[48:49], v[48:49]
	v_min_f64 v[52:53], v[56:57], v[50:51]
	v_cmp_u_f64_e64 s[20:21], v[48:49], v[48:49]
	v_max_f64 v[50:51], v[56:57], v[50:51]
	v_cndmask_b32_e64 v52, v52, v48, s[20:21]
	v_cndmask_b32_e64 v53, v53, v49, s[20:21]
	;; [unrolled: 1-line block ×8, first 2 shown]
	s_movk_i32 s22, 0x1f8
	v_cmp_neq_f64_e64 s[20:21], v[52:53], v[50:51]
	v_cmp_class_f64_e64 s[22:23], v[52:53], s22
	s_or_b64 s[20:21], s[20:21], s[22:23]
	v_pk_mov_b32 v[46:47], v[48:49], v[48:49] op_sel:[0,1]
	s_and_saveexec_b64 s[26:27], s[20:21]
	s_cbranch_execz .LBB3_233
; %bb.232:
	s_mov_b32 s20, 0x652b82fe
	v_add_f64 v[46:47], v[52:53], -v[50:51]
	s_mov_b32 s21, 0x3ff71547
	v_mul_f64 v[52:53], v[46:47], s[20:21]
	v_rndne_f64_e32 v[52:53], v[52:53]
	s_mov_b32 s37, 0xbfe62e42
	s_mov_b32 s36, 0xfefa39ef
	v_fma_f64 v[56:57], s[36:37], v[52:53], v[46:47]
	s_mov_b32 s41, 0xbc7abc9e
	s_mov_b32 s40, 0x3b39803f
	;; [unrolled: 1-line block ×3, first 2 shown]
	v_fmac_f64_e32 v[56:57], s[40:41], v[52:53]
	v_mov_b32_e32 v58, 0xfca7ab0c
	v_mov_b32_e32 v59, 0x3e928af3
	s_mov_b32 s21, 0x3e5ade15
	v_fmac_f64_e32 v[58:59], s[20:21], v[56:57]
	v_mov_b32_e32 v60, 0x623fde64
	v_mov_b32_e32 v61, 0x3ec71dee
	v_fmac_f64_e32 v[60:61], v[56:57], v[58:59]
	v_mov_b32_e32 v58, 0x7c89e6b0
	v_mov_b32_e32 v59, 0x3efa0199
	;; [unrolled: 3-line block ×8, first 2 shown]
	v_fmac_f64_e32 v[58:59], v[56:57], v[60:61]
	v_fma_f64 v[58:59], v[56:57], v[58:59], 1.0
	s_mov_b32 s20, 0
	s_mov_b32 s22, 0
	v_fma_f64 v[56:57], v[56:57], v[58:59], 1.0
	v_cvt_i32_f64_e32 v52, v[52:53]
	s_mov_b32 s21, 0x40900000
	s_mov_b32 s23, 0xc090cc00
	v_ldexp_f64 v[52:53], v[56:57], v52
	v_mov_b32_e32 v55, 0x7ff00000
	v_cmp_nlt_f64_e64 s[20:21], s[20:21], v[46:47]
	v_cmp_ngt_f64_e64 s[22:23], s[22:23], v[46:47]
	v_cndmask_b32_e64 v53, v55, v53, s[20:21]
	s_and_b64 s[20:21], s[22:23], s[20:21]
	v_cndmask_b32_e64 v47, 0, v53, s[22:23]
	v_cndmask_b32_e64 v46, 0, v52, s[20:21]
	v_add_f64 v[52:53], v[46:47], 1.0
	v_add_f64 v[56:57], v[52:53], -1.0
	v_add_f64 v[58:59], v[56:57], -v[52:53]
	v_add_f64 v[58:59], v[58:59], 1.0
	v_add_f64 v[56:57], v[46:47], -v[56:57]
	s_mov_b32 s20, 0x55555555
	v_add_f64 v[56:57], v[56:57], v[58:59]
	v_frexp_mant_f64_e32 v[58:59], v[52:53]
	s_mov_b32 s21, 0x3fe55555
	v_frexp_exp_i32_f64_e32 v55, v[52:53]
	v_cmp_gt_f64_e64 s[20:21], s[20:21], v[58:59]
	v_subbrev_co_u32_e64 v55, s[20:21], 0, v55, s[20:21]
	v_sub_u32_e32 v58, 0, v55
	v_ldexp_f64 v[52:53], v[52:53], v58
	v_ldexp_f64 v[56:57], v[56:57], v58
	v_add_f64 v[58:59], v[52:53], -1.0
	v_add_f64 v[64:65], v[52:53], 1.0
	v_add_f64 v[60:61], v[58:59], 1.0
	v_add_f64 v[66:67], v[64:65], -1.0
	v_add_f64 v[60:61], v[52:53], -v[60:61]
	v_add_f64 v[52:53], v[52:53], -v[66:67]
	v_add_f64 v[52:53], v[56:57], v[52:53]
	v_add_f64 v[60:61], v[56:57], v[60:61]
	;; [unrolled: 1-line block ×3, first 2 shown]
	v_rcp_f64_e32 v[66:67], v[56:57]
	v_add_f64 v[62:63], v[58:59], v[60:61]
	v_add_f64 v[58:59], v[62:63], -v[58:59]
	v_add_f64 v[58:59], v[60:61], -v[58:59]
	;; [unrolled: 1-line block ×4, first 2 shown]
	v_fma_f64 v[60:61], -v[56:57], v[66:67], 1.0
	v_fmac_f64_e32 v[66:67], v[60:61], v[66:67]
	v_fma_f64 v[60:61], -v[56:57], v[66:67], 1.0
	v_fmac_f64_e32 v[66:67], v[60:61], v[66:67]
	v_mul_f64 v[60:61], v[62:63], v[66:67]
	v_mul_f64 v[64:65], v[56:57], v[60:61]
	v_fma_f64 v[68:69], v[60:61], v[56:57], -v[64:65]
	v_fmac_f64_e32 v[68:69], v[60:61], v[52:53]
	v_add_f64 v[70:71], v[64:65], v[68:69]
	v_add_f64 v[72:73], v[62:63], -v[70:71]
	v_add_f64 v[62:63], v[62:63], -v[72:73]
	;; [unrolled: 1-line block ×4, first 2 shown]
	v_add_f64 v[58:59], v[58:59], v[62:63]
	v_add_f64 v[62:63], v[64:65], -v[68:69]
	v_add_f64 v[58:59], v[62:63], v[58:59]
	v_add_f64 v[62:63], v[72:73], v[58:59]
	v_add_f64 v[64:65], v[72:73], -v[62:63]
	v_add_f64 v[58:59], v[58:59], v[64:65]
	v_mul_f64 v[64:65], v[66:67], v[62:63]
	v_mul_f64 v[68:69], v[56:57], v[64:65]
	v_fma_f64 v[56:57], v[64:65], v[56:57], -v[68:69]
	v_fmac_f64_e32 v[56:57], v[64:65], v[52:53]
	v_add_f64 v[52:53], v[68:69], v[56:57]
	v_add_f64 v[70:71], v[62:63], -v[52:53]
	v_add_f64 v[62:63], v[62:63], -v[70:71]
	;; [unrolled: 1-line block ×4, first 2 shown]
	v_add_f64 v[52:53], v[58:59], v[52:53]
	v_add_f64 v[56:57], v[68:69], -v[56:57]
	v_add_f64 v[52:53], v[56:57], v[52:53]
	v_add_f64 v[56:57], v[60:61], v[64:65]
	;; [unrolled: 1-line block ×3, first 2 shown]
	v_add_f64 v[58:59], v[56:57], -v[60:61]
	v_mul_f64 v[52:53], v[66:67], v[52:53]
	v_add_f64 v[58:59], v[64:65], -v[58:59]
	v_add_f64 v[52:53], v[58:59], v[52:53]
	v_add_f64 v[58:59], v[56:57], v[52:53]
	v_add_f64 v[56:57], v[58:59], -v[56:57]
	s_mov_b32 s20, 0xbf559e2b
	v_add_f64 v[52:53], v[52:53], -v[56:57]
	v_mul_f64 v[56:57], v[58:59], v[58:59]
	v_mov_b32_e32 v60, 0x6b47b09a
	v_mov_b32_e32 v61, 0x3fc38538
	s_mov_b32 s21, 0x3fc3ab76
	v_fmac_f64_e32 v[60:61], s[20:21], v[56:57]
	v_mov_b32_e32 v62, 0xd7f4df2e
	v_mov_b32_e32 v63, 0x3fc7474d
	v_fmac_f64_e32 v[62:63], v[56:57], v[60:61]
	v_mov_b32_e32 v60, 0x16291751
	v_mov_b32_e32 v61, 0x3fcc71c0
	v_fmac_f64_e32 v[60:61], v[56:57], v[62:63]
	v_mov_b32_e32 v62, 0x9b27acf1
	v_mov_b32_e32 v63, 0x3fd24924
	v_fmac_f64_e32 v[62:63], v[56:57], v[60:61]
	v_mov_b32_e32 v60, 0x998ef7b6
	v_mov_b32_e32 v61, 0x3fd99999
	v_fmac_f64_e32 v[60:61], v[56:57], v[62:63]
	v_mov_b32_e32 v62, 0x55555780
	v_mov_b32_e32 v63, 0x3fe55555
	v_fmac_f64_e32 v[62:63], v[56:57], v[60:61]
	v_cvt_f64_i32_e32 v[60:61], v55
	s_mov_b32 s37, 0x3fe62e42
	v_mul_f64 v[64:65], v[60:61], s[36:37]
	v_fma_f64 v[66:67], v[60:61], s[36:37], -v[64:65]
	s_mov_b32 s41, 0x3c7abc9e
	v_fmac_f64_e32 v[66:67], s[40:41], v[60:61]
	v_add_f64 v[60:61], v[64:65], v[66:67]
	v_add_f64 v[64:65], v[60:61], -v[64:65]
	v_mul_f64 v[56:57], v[58:59], v[56:57]
	v_add_f64 v[64:65], v[66:67], -v[64:65]
	v_ldexp_f64 v[66:67], v[58:59], 1
	v_mul_f64 v[56:57], v[56:57], v[62:63]
	v_add_f64 v[58:59], v[66:67], v[56:57]
	v_add_f64 v[62:63], v[58:59], -v[66:67]
	v_ldexp_f64 v[52:53], v[52:53], 1
	v_add_f64 v[56:57], v[56:57], -v[62:63]
	v_add_f64 v[52:53], v[52:53], v[56:57]
	v_add_f64 v[56:57], v[58:59], v[52:53]
	v_add_f64 v[58:59], v[56:57], -v[58:59]
	v_add_f64 v[52:53], v[52:53], -v[58:59]
	v_add_f64 v[58:59], v[60:61], v[56:57]
	v_add_f64 v[62:63], v[58:59], -v[60:61]
	v_add_f64 v[66:67], v[58:59], -v[62:63]
	;; [unrolled: 1-line block ×4, first 2 shown]
	v_add_f64 v[56:57], v[56:57], v[60:61]
	v_add_f64 v[60:61], v[64:65], v[52:53]
	v_add_f64 v[62:63], v[60:61], -v[64:65]
	v_add_f64 v[56:57], v[60:61], v[56:57]
	v_add_f64 v[66:67], v[60:61], -v[62:63]
	;; [unrolled: 2-line block ×3, first 2 shown]
	v_add_f64 v[52:53], v[52:53], -v[62:63]
	v_add_f64 v[58:59], v[60:61], -v[58:59]
	v_add_f64 v[52:53], v[52:53], v[64:65]
	v_add_f64 v[56:57], v[56:57], -v[58:59]
	s_mov_b32 s20, 0
	v_add_f64 v[52:53], v[52:53], v[56:57]
	s_mov_b32 s21, 0x7ff00000
	v_add_f64 v[52:53], v[60:61], v[52:53]
	v_cmp_eq_f64_e64 s[20:21], s[20:21], v[46:47]
	v_cndmask_b32_e64 v52, v52, v46, s[20:21]
	v_cndmask_b32_e64 v53, v53, v47, s[20:21]
	v_mov_b32_e32 v55, 0x7ff80000
	v_cmp_ngt_f64_e64 s[20:21], -1.0, v[46:47]
	v_cndmask_b32_e64 v53, v55, v53, s[20:21]
	v_cmp_nge_f64_e64 s[20:21], -1.0, v[46:47]
	v_cndmask_b32_e64 v52, 0, v52, s[20:21]
	v_mov_b32_e32 v55, 0xfff00000
	v_cmp_neq_f64_e64 s[20:21], -1.0, v[46:47]
	v_cndmask_b32_e64 v53, v55, v53, s[20:21]
	v_add_f64 v[46:47], v[50:51], v[52:53]
.LBB3_233:
	s_or_b64 exec, exec, s[26:27]
.LBB3_234:
	s_or_b64 exec, exec, s[24:25]
	v_add_u32_e32 v50, -1, v54
	v_and_b32_e32 v51, 64, v54
	v_cmp_lt_i32_e64 s[20:21], v50, v51
	v_cndmask_b32_e64 v50, v50, v54, s[20:21]
	v_lshlrev_b32_e32 v50, 2, v50
	ds_bpermute_b32 v46, v50, v46
	ds_bpermute_b32 v47, v50, v47
	s_and_saveexec_b64 s[20:21], vcc
	s_cbranch_execz .LBB3_238
; %bb.235:
	v_cmp_eq_u32_e32 vcc, 0, v54
	s_waitcnt lgkmcnt(0)
	v_cndmask_b32_e32 v47, v47, v49, vcc
	v_cndmask_b32_e32 v46, v46, v48, vcc
	v_max_f64 v[44:45], v[46:47], v[46:47]
	v_min_f64 v[26:27], v[44:45], v[24:25]
	v_cmp_u_f64_e32 vcc, v[46:47], v[46:47]
	v_max_f64 v[24:25], v[44:45], v[24:25]
	v_cndmask_b32_e32 v26, v26, v46, vcc
	v_cndmask_b32_e32 v27, v27, v47, vcc
	;; [unrolled: 1-line block ×4, first 2 shown]
	v_cndmask_b32_e64 v27, v27, v3, s[18:19]
	v_cndmask_b32_e64 v26, v26, v2, s[18:19]
	;; [unrolled: 1-line block ×4, first 2 shown]
	s_movk_i32 s18, 0x1f8
	v_cmp_neq_f64_e32 vcc, v[26:27], v[2:3]
	v_cmp_class_f64_e64 s[18:19], v[26:27], s18
	s_or_b64 s[18:19], vcc, s[18:19]
	s_and_saveexec_b64 s[22:23], s[18:19]
	s_cbranch_execz .LBB3_237
; %bb.236:
	s_mov_b32 s18, 0x652b82fe
	v_add_f64 v[24:25], v[26:27], -v[2:3]
	s_mov_b32 s19, 0x3ff71547
	v_mul_f64 v[26:27], v[24:25], s[18:19]
	v_rndne_f64_e32 v[26:27], v[26:27]
	s_mov_b32 s25, 0xbfe62e42
	s_mov_b32 s24, 0xfefa39ef
	v_fma_f64 v[44:45], s[24:25], v[26:27], v[24:25]
	s_mov_b32 s27, 0xbc7abc9e
	s_mov_b32 s26, 0x3b39803f
	;; [unrolled: 1-line block ×3, first 2 shown]
	v_fmac_f64_e32 v[44:45], s[26:27], v[26:27]
	v_mov_b32_e32 v46, 0xfca7ab0c
	v_mov_b32_e32 v47, 0x3e928af3
	s_mov_b32 s19, 0x3e5ade15
	v_fmac_f64_e32 v[46:47], s[18:19], v[44:45]
	v_mov_b32_e32 v48, 0x623fde64
	v_mov_b32_e32 v49, 0x3ec71dee
	v_fmac_f64_e32 v[48:49], v[44:45], v[46:47]
	v_mov_b32_e32 v46, 0x7c89e6b0
	v_mov_b32_e32 v47, 0x3efa0199
	;; [unrolled: 3-line block ×8, first 2 shown]
	s_mov_b32 s18, 0
	v_fmac_f64_e32 v[46:47], v[44:45], v[48:49]
	s_mov_b32 s19, 0x40900000
	v_fma_f64 v[46:47], v[44:45], v[46:47], 1.0
	v_cmp_nlt_f64_e32 vcc, s[18:19], v[24:25]
	s_mov_b32 s18, 0
	v_fma_f64 v[44:45], v[44:45], v[46:47], 1.0
	v_cvt_i32_f64_e32 v26, v[26:27]
	s_mov_b32 s19, 0xc090cc00
	v_ldexp_f64 v[26:27], v[44:45], v26
	v_mov_b32_e32 v44, 0x7ff00000
	v_cmp_ngt_f64_e64 s[18:19], s[18:19], v[24:25]
	v_cndmask_b32_e32 v27, v44, v27, vcc
	s_and_b64 vcc, s[18:19], vcc
	v_cndmask_b32_e64 v25, 0, v27, s[18:19]
	v_cndmask_b32_e32 v24, 0, v26, vcc
	v_add_f64 v[26:27], v[24:25], 1.0
	v_add_f64 v[44:45], v[26:27], -1.0
	v_add_f64 v[46:47], v[44:45], -v[26:27]
	v_add_f64 v[46:47], v[46:47], 1.0
	v_add_f64 v[44:45], v[24:25], -v[44:45]
	s_mov_b32 s18, 0x55555555
	v_add_f64 v[44:45], v[44:45], v[46:47]
	v_frexp_mant_f64_e32 v[46:47], v[26:27]
	s_mov_b32 s19, 0x3fe55555
	v_frexp_exp_i32_f64_e32 v48, v[26:27]
	v_cmp_gt_f64_e32 vcc, s[18:19], v[46:47]
	v_subbrev_co_u32_e32 v62, vcc, 0, v48, vcc
	v_sub_u32_e32 v46, 0, v62
	v_ldexp_f64 v[26:27], v[26:27], v46
	v_ldexp_f64 v[44:45], v[44:45], v46
	v_add_f64 v[46:47], v[26:27], -1.0
	v_add_f64 v[52:53], v[26:27], 1.0
	v_add_f64 v[48:49], v[46:47], 1.0
	v_add_f64 v[54:55], v[52:53], -1.0
	v_add_f64 v[48:49], v[26:27], -v[48:49]
	v_add_f64 v[26:27], v[26:27], -v[54:55]
	v_add_f64 v[26:27], v[44:45], v[26:27]
	v_add_f64 v[48:49], v[44:45], v[48:49]
	v_add_f64 v[44:45], v[52:53], v[26:27]
	v_rcp_f64_e32 v[54:55], v[44:45]
	v_add_f64 v[50:51], v[46:47], v[48:49]
	v_add_f64 v[46:47], v[50:51], -v[46:47]
	v_add_f64 v[46:47], v[48:49], -v[46:47]
	;; [unrolled: 1-line block ×4, first 2 shown]
	v_fma_f64 v[48:49], -v[44:45], v[54:55], 1.0
	v_fmac_f64_e32 v[54:55], v[48:49], v[54:55]
	v_fma_f64 v[48:49], -v[44:45], v[54:55], 1.0
	v_fmac_f64_e32 v[54:55], v[48:49], v[54:55]
	v_mul_f64 v[48:49], v[50:51], v[54:55]
	v_mul_f64 v[52:53], v[44:45], v[48:49]
	v_fma_f64 v[56:57], v[48:49], v[44:45], -v[52:53]
	v_fmac_f64_e32 v[56:57], v[48:49], v[26:27]
	v_add_f64 v[58:59], v[52:53], v[56:57]
	v_add_f64 v[60:61], v[50:51], -v[58:59]
	v_add_f64 v[50:51], v[50:51], -v[60:61]
	;; [unrolled: 1-line block ×4, first 2 shown]
	v_add_f64 v[46:47], v[46:47], v[50:51]
	v_add_f64 v[50:51], v[52:53], -v[56:57]
	v_add_f64 v[46:47], v[50:51], v[46:47]
	v_add_f64 v[50:51], v[60:61], v[46:47]
	v_add_f64 v[52:53], v[60:61], -v[50:51]
	v_add_f64 v[46:47], v[46:47], v[52:53]
	v_mul_f64 v[52:53], v[54:55], v[50:51]
	v_mul_f64 v[56:57], v[44:45], v[52:53]
	v_fma_f64 v[44:45], v[52:53], v[44:45], -v[56:57]
	v_fmac_f64_e32 v[44:45], v[52:53], v[26:27]
	v_add_f64 v[26:27], v[56:57], v[44:45]
	v_add_f64 v[58:59], v[50:51], -v[26:27]
	v_add_f64 v[50:51], v[50:51], -v[58:59]
	;; [unrolled: 1-line block ×4, first 2 shown]
	v_add_f64 v[26:27], v[46:47], v[26:27]
	v_add_f64 v[44:45], v[56:57], -v[44:45]
	v_add_f64 v[26:27], v[44:45], v[26:27]
	v_add_f64 v[44:45], v[48:49], v[52:53]
	;; [unrolled: 1-line block ×3, first 2 shown]
	v_add_f64 v[46:47], v[44:45], -v[48:49]
	v_mul_f64 v[26:27], v[54:55], v[26:27]
	v_add_f64 v[46:47], v[52:53], -v[46:47]
	v_add_f64 v[26:27], v[46:47], v[26:27]
	v_add_f64 v[46:47], v[44:45], v[26:27]
	v_add_f64 v[44:45], v[46:47], -v[44:45]
	s_mov_b32 s18, 0xbf559e2b
	v_add_f64 v[26:27], v[26:27], -v[44:45]
	v_mul_f64 v[44:45], v[46:47], v[46:47]
	v_mov_b32_e32 v48, 0x6b47b09a
	v_mov_b32_e32 v49, 0x3fc38538
	s_mov_b32 s19, 0x3fc3ab76
	v_fmac_f64_e32 v[48:49], s[18:19], v[44:45]
	v_mov_b32_e32 v50, 0xd7f4df2e
	v_mov_b32_e32 v51, 0x3fc7474d
	v_fmac_f64_e32 v[50:51], v[44:45], v[48:49]
	v_mov_b32_e32 v48, 0x16291751
	v_mov_b32_e32 v49, 0x3fcc71c0
	;; [unrolled: 3-line block ×5, first 2 shown]
	v_fmac_f64_e32 v[50:51], v[44:45], v[48:49]
	v_cvt_f64_i32_e32 v[48:49], v62
	s_mov_b32 s25, 0x3fe62e42
	v_mul_f64 v[52:53], v[48:49], s[24:25]
	v_fma_f64 v[54:55], v[48:49], s[24:25], -v[52:53]
	s_mov_b32 s27, 0x3c7abc9e
	v_fmac_f64_e32 v[54:55], s[26:27], v[48:49]
	v_add_f64 v[48:49], v[52:53], v[54:55]
	v_add_f64 v[52:53], v[48:49], -v[52:53]
	v_mul_f64 v[44:45], v[46:47], v[44:45]
	v_add_f64 v[52:53], v[54:55], -v[52:53]
	v_ldexp_f64 v[54:55], v[46:47], 1
	v_mul_f64 v[44:45], v[44:45], v[50:51]
	v_add_f64 v[46:47], v[54:55], v[44:45]
	v_add_f64 v[50:51], v[46:47], -v[54:55]
	v_ldexp_f64 v[26:27], v[26:27], 1
	v_add_f64 v[44:45], v[44:45], -v[50:51]
	v_add_f64 v[26:27], v[26:27], v[44:45]
	v_add_f64 v[44:45], v[46:47], v[26:27]
	v_add_f64 v[46:47], v[44:45], -v[46:47]
	v_add_f64 v[26:27], v[26:27], -v[46:47]
	v_add_f64 v[46:47], v[48:49], v[44:45]
	v_add_f64 v[50:51], v[46:47], -v[48:49]
	v_add_f64 v[54:55], v[46:47], -v[50:51]
	;; [unrolled: 1-line block ×4, first 2 shown]
	v_add_f64 v[44:45], v[44:45], v[48:49]
	v_add_f64 v[48:49], v[52:53], v[26:27]
	v_add_f64 v[50:51], v[48:49], -v[52:53]
	v_add_f64 v[44:45], v[48:49], v[44:45]
	v_add_f64 v[54:55], v[48:49], -v[50:51]
	v_add_f64 v[48:49], v[46:47], v[44:45]
	v_add_f64 v[52:53], v[52:53], -v[54:55]
	v_add_f64 v[26:27], v[26:27], -v[50:51]
	v_add_f64 v[46:47], v[48:49], -v[46:47]
	v_add_f64 v[26:27], v[26:27], v[52:53]
	v_add_f64 v[44:45], v[44:45], -v[46:47]
	s_mov_b32 s18, 0
	v_add_f64 v[26:27], v[26:27], v[44:45]
	s_mov_b32 s19, 0x7ff00000
	v_add_f64 v[26:27], v[48:49], v[26:27]
	v_cmp_eq_f64_e32 vcc, s[18:19], v[24:25]
	v_cndmask_b32_e32 v26, v26, v24, vcc
	v_cndmask_b32_e32 v27, v27, v25, vcc
	v_mov_b32_e32 v44, 0x7ff80000
	v_cmp_ngt_f64_e32 vcc, -1.0, v[24:25]
	v_cndmask_b32_e32 v27, v44, v27, vcc
	v_cmp_nge_f64_e32 vcc, -1.0, v[24:25]
	v_cndmask_b32_e32 v26, 0, v26, vcc
	v_mov_b32_e32 v44, 0xfff00000
	v_cmp_neq_f64_e32 vcc, -1.0, v[24:25]
	v_cndmask_b32_e32 v27, v44, v27, vcc
	v_add_f64 v[46:47], v[2:3], v[26:27]
.LBB3_237:
	s_or_b64 exec, exec, s[22:23]
	v_max_f64 v[2:3], v[46:47], v[46:47]
	v_min_f64 v[26:27], v[2:3], v[42:43]
	v_max_f64 v[44:45], v[2:3], v[42:43]
	v_pk_mov_b32 v[2:3], v[46:47], v[46:47] op_sel:[0,1]
	;;#ASMSTART
	;;#ASMEND
.LBB3_238:
	s_or_b64 exec, exec, s[20:21]
	v_cmp_u_f64_e32 vcc, v[2:3], v[2:3]
	v_cndmask_b32_e32 v24, v26, v2, vcc
	v_cndmask_b32_e32 v25, v27, v3, vcc
	v_cndmask_b32_e64 v27, v25, v5, s[0:1]
	v_cndmask_b32_e64 v26, v24, v4, s[0:1]
	v_cndmask_b32_e32 v24, v44, v2, vcc
	v_cndmask_b32_e32 v25, v45, v3, vcc
	v_cndmask_b32_e64 v5, v25, v5, s[0:1]
	v_cndmask_b32_e64 v4, v24, v4, s[0:1]
	s_movk_i32 s24, 0x1f8
	v_cmp_neq_f64_e32 vcc, v[26:27], v[4:5]
	v_cmp_class_f64_e64 s[0:1], v[26:27], s24
	s_or_b64 s[0:1], vcc, s[0:1]
	v_pk_mov_b32 v[24:25], v[2:3], v[2:3] op_sel:[0,1]
	s_and_saveexec_b64 s[18:19], s[0:1]
	s_cbranch_execz .LBB3_240
; %bb.239:
	s_mov_b32 s0, 0x652b82fe
	v_add_f64 v[24:25], v[26:27], -v[4:5]
	s_mov_b32 s1, 0x3ff71547
	v_mul_f64 v[26:27], v[24:25], s[0:1]
	v_rndne_f64_e32 v[26:27], v[26:27]
	s_mov_b32 s21, 0xbfe62e42
	s_mov_b32 s20, 0xfefa39ef
	v_fma_f64 v[42:43], s[20:21], v[26:27], v[24:25]
	s_mov_b32 s23, 0xbc7abc9e
	s_mov_b32 s22, 0x3b39803f
	;; [unrolled: 1-line block ×3, first 2 shown]
	v_fmac_f64_e32 v[42:43], s[22:23], v[26:27]
	v_mov_b32_e32 v44, 0xfca7ab0c
	v_mov_b32_e32 v45, 0x3e928af3
	s_mov_b32 s1, 0x3e5ade15
	v_fmac_f64_e32 v[44:45], s[0:1], v[42:43]
	s_waitcnt lgkmcnt(1)
	v_mov_b32_e32 v46, 0x623fde64
	s_waitcnt lgkmcnt(0)
	v_mov_b32_e32 v47, 0x3ec71dee
	v_fmac_f64_e32 v[46:47], v[42:43], v[44:45]
	v_mov_b32_e32 v44, 0x7c89e6b0
	v_mov_b32_e32 v45, 0x3efa0199
	v_fmac_f64_e32 v[44:45], v[42:43], v[46:47]
	v_mov_b32_e32 v46, 0x14761f6e
	;; [unrolled: 3-line block ×7, first 2 shown]
	v_mov_b32_e32 v45, 0x3fe00000
	s_mov_b32 s0, 0
	v_fmac_f64_e32 v[44:45], v[42:43], v[46:47]
	s_mov_b32 s1, 0x40900000
	v_fma_f64 v[44:45], v[42:43], v[44:45], 1.0
	v_cmp_nlt_f64_e32 vcc, s[0:1], v[24:25]
	s_mov_b32 s0, 0
	v_fma_f64 v[42:43], v[42:43], v[44:45], 1.0
	v_cvt_i32_f64_e32 v26, v[26:27]
	s_mov_b32 s1, 0xc090cc00
	v_ldexp_f64 v[26:27], v[42:43], v26
	v_mov_b32_e32 v42, 0x7ff00000
	v_cmp_ngt_f64_e64 s[0:1], s[0:1], v[24:25]
	v_cndmask_b32_e32 v27, v42, v27, vcc
	s_and_b64 vcc, s[0:1], vcc
	v_cndmask_b32_e64 v25, 0, v27, s[0:1]
	v_cndmask_b32_e32 v24, 0, v26, vcc
	v_add_f64 v[26:27], v[24:25], 1.0
	v_add_f64 v[42:43], v[26:27], -1.0
	v_add_f64 v[44:45], v[42:43], -v[26:27]
	v_add_f64 v[44:45], v[44:45], 1.0
	v_add_f64 v[42:43], v[24:25], -v[42:43]
	s_mov_b32 s0, 0x55555555
	v_add_f64 v[42:43], v[42:43], v[44:45]
	v_frexp_mant_f64_e32 v[44:45], v[26:27]
	s_mov_b32 s1, 0x3fe55555
	v_frexp_exp_i32_f64_e32 v46, v[26:27]
	v_cmp_gt_f64_e32 vcc, s[0:1], v[44:45]
	v_subbrev_co_u32_e32 v60, vcc, 0, v46, vcc
	v_sub_u32_e32 v44, 0, v60
	v_ldexp_f64 v[26:27], v[26:27], v44
	v_ldexp_f64 v[42:43], v[42:43], v44
	v_add_f64 v[44:45], v[26:27], -1.0
	v_add_f64 v[50:51], v[26:27], 1.0
	v_add_f64 v[46:47], v[44:45], 1.0
	v_add_f64 v[52:53], v[50:51], -1.0
	v_add_f64 v[46:47], v[26:27], -v[46:47]
	v_add_f64 v[26:27], v[26:27], -v[52:53]
	v_add_f64 v[26:27], v[42:43], v[26:27]
	v_add_f64 v[46:47], v[42:43], v[46:47]
	;; [unrolled: 1-line block ×3, first 2 shown]
	v_rcp_f64_e32 v[52:53], v[42:43]
	v_add_f64 v[48:49], v[44:45], v[46:47]
	v_add_f64 v[44:45], v[48:49], -v[44:45]
	v_add_f64 v[44:45], v[46:47], -v[44:45]
	;; [unrolled: 1-line block ×4, first 2 shown]
	v_fma_f64 v[46:47], -v[42:43], v[52:53], 1.0
	v_fmac_f64_e32 v[52:53], v[46:47], v[52:53]
	v_fma_f64 v[46:47], -v[42:43], v[52:53], 1.0
	v_fmac_f64_e32 v[52:53], v[46:47], v[52:53]
	v_mul_f64 v[46:47], v[48:49], v[52:53]
	v_mul_f64 v[50:51], v[42:43], v[46:47]
	v_fma_f64 v[54:55], v[46:47], v[42:43], -v[50:51]
	v_fmac_f64_e32 v[54:55], v[46:47], v[26:27]
	v_add_f64 v[56:57], v[50:51], v[54:55]
	v_add_f64 v[58:59], v[48:49], -v[56:57]
	v_add_f64 v[48:49], v[48:49], -v[58:59]
	;; [unrolled: 1-line block ×4, first 2 shown]
	v_add_f64 v[44:45], v[44:45], v[48:49]
	v_add_f64 v[48:49], v[50:51], -v[54:55]
	v_add_f64 v[44:45], v[48:49], v[44:45]
	v_add_f64 v[48:49], v[58:59], v[44:45]
	v_add_f64 v[50:51], v[58:59], -v[48:49]
	v_add_f64 v[44:45], v[44:45], v[50:51]
	v_mul_f64 v[50:51], v[52:53], v[48:49]
	v_mul_f64 v[54:55], v[42:43], v[50:51]
	v_fma_f64 v[42:43], v[50:51], v[42:43], -v[54:55]
	v_fmac_f64_e32 v[42:43], v[50:51], v[26:27]
	v_add_f64 v[26:27], v[54:55], v[42:43]
	v_add_f64 v[56:57], v[48:49], -v[26:27]
	v_add_f64 v[48:49], v[48:49], -v[56:57]
	;; [unrolled: 1-line block ×4, first 2 shown]
	v_add_f64 v[26:27], v[44:45], v[26:27]
	v_add_f64 v[42:43], v[54:55], -v[42:43]
	v_add_f64 v[26:27], v[42:43], v[26:27]
	v_add_f64 v[42:43], v[46:47], v[50:51]
	;; [unrolled: 1-line block ×3, first 2 shown]
	v_add_f64 v[44:45], v[42:43], -v[46:47]
	v_mul_f64 v[26:27], v[52:53], v[26:27]
	v_add_f64 v[44:45], v[50:51], -v[44:45]
	v_add_f64 v[26:27], v[44:45], v[26:27]
	v_add_f64 v[44:45], v[42:43], v[26:27]
	v_add_f64 v[42:43], v[44:45], -v[42:43]
	s_mov_b32 s0, 0xbf559e2b
	v_add_f64 v[26:27], v[26:27], -v[42:43]
	v_mul_f64 v[42:43], v[44:45], v[44:45]
	v_mov_b32_e32 v46, 0x6b47b09a
	v_mov_b32_e32 v47, 0x3fc38538
	s_mov_b32 s1, 0x3fc3ab76
	v_fmac_f64_e32 v[46:47], s[0:1], v[42:43]
	v_mov_b32_e32 v48, 0xd7f4df2e
	v_mov_b32_e32 v49, 0x3fc7474d
	v_fmac_f64_e32 v[48:49], v[42:43], v[46:47]
	v_mov_b32_e32 v46, 0x16291751
	v_mov_b32_e32 v47, 0x3fcc71c0
	;; [unrolled: 3-line block ×5, first 2 shown]
	v_fmac_f64_e32 v[48:49], v[42:43], v[46:47]
	v_cvt_f64_i32_e32 v[46:47], v60
	s_mov_b32 s21, 0x3fe62e42
	v_mul_f64 v[50:51], v[46:47], s[20:21]
	v_fma_f64 v[52:53], v[46:47], s[20:21], -v[50:51]
	s_mov_b32 s23, 0x3c7abc9e
	v_fmac_f64_e32 v[52:53], s[22:23], v[46:47]
	v_add_f64 v[46:47], v[50:51], v[52:53]
	v_add_f64 v[50:51], v[46:47], -v[50:51]
	v_mul_f64 v[42:43], v[44:45], v[42:43]
	v_add_f64 v[50:51], v[52:53], -v[50:51]
	v_ldexp_f64 v[52:53], v[44:45], 1
	v_mul_f64 v[42:43], v[42:43], v[48:49]
	v_add_f64 v[44:45], v[52:53], v[42:43]
	v_add_f64 v[48:49], v[44:45], -v[52:53]
	v_ldexp_f64 v[26:27], v[26:27], 1
	v_add_f64 v[42:43], v[42:43], -v[48:49]
	v_add_f64 v[26:27], v[26:27], v[42:43]
	v_add_f64 v[42:43], v[44:45], v[26:27]
	v_add_f64 v[44:45], v[42:43], -v[44:45]
	v_add_f64 v[26:27], v[26:27], -v[44:45]
	v_add_f64 v[44:45], v[46:47], v[42:43]
	v_add_f64 v[48:49], v[44:45], -v[46:47]
	v_add_f64 v[52:53], v[44:45], -v[48:49]
	;; [unrolled: 1-line block ×4, first 2 shown]
	v_add_f64 v[42:43], v[42:43], v[46:47]
	v_add_f64 v[46:47], v[50:51], v[26:27]
	v_add_f64 v[48:49], v[46:47], -v[50:51]
	v_add_f64 v[42:43], v[46:47], v[42:43]
	v_add_f64 v[52:53], v[46:47], -v[48:49]
	;; [unrolled: 2-line block ×3, first 2 shown]
	v_add_f64 v[26:27], v[26:27], -v[48:49]
	v_add_f64 v[44:45], v[46:47], -v[44:45]
	v_add_f64 v[26:27], v[26:27], v[50:51]
	v_add_f64 v[42:43], v[42:43], -v[44:45]
	s_mov_b32 s0, 0
	v_add_f64 v[26:27], v[26:27], v[42:43]
	s_mov_b32 s1, 0x7ff00000
	v_add_f64 v[26:27], v[46:47], v[26:27]
	v_cmp_eq_f64_e32 vcc, s[0:1], v[24:25]
	v_cndmask_b32_e32 v26, v26, v24, vcc
	v_cndmask_b32_e32 v27, v27, v25, vcc
	v_mov_b32_e32 v42, 0x7ff80000
	v_cmp_ngt_f64_e32 vcc, -1.0, v[24:25]
	v_cndmask_b32_e32 v27, v42, v27, vcc
	v_cmp_nge_f64_e32 vcc, -1.0, v[24:25]
	v_cndmask_b32_e32 v26, 0, v26, vcc
	v_mov_b32_e32 v42, 0xfff00000
	v_cmp_neq_f64_e32 vcc, -1.0, v[24:25]
	v_cndmask_b32_e32 v27, v42, v27, vcc
	v_add_f64 v[24:25], v[4:5], v[26:27]
.LBB3_240:
	s_or_b64 exec, exec, s[18:19]
	v_max_f64 v[4:5], v[24:25], v[24:25]
	v_min_f64 v[26:27], v[4:5], v[22:23]
	v_cmp_u_f64_e32 vcc, v[24:25], v[24:25]
	v_max_f64 v[4:5], v[4:5], v[22:23]
	v_cndmask_b32_e32 v26, v26, v24, vcc
	v_cndmask_b32_e32 v27, v27, v25, vcc
	;; [unrolled: 1-line block ×4, first 2 shown]
	v_cndmask_b32_e64 v43, v27, v19, s[2:3]
	v_cndmask_b32_e64 v42, v26, v18, s[2:3]
	;; [unrolled: 1-line block ×4, first 2 shown]
	v_cmp_neq_f64_e32 vcc, v[42:43], v[4:5]
	v_cmp_class_f64_e64 s[0:1], v[42:43], s24
	s_or_b64 s[0:1], vcc, s[0:1]
	v_pk_mov_b32 v[26:27], v[24:25], v[24:25] op_sel:[0,1]
	s_and_saveexec_b64 s[2:3], s[0:1]
	s_cbranch_execz .LBB3_242
; %bb.241:
	s_mov_b32 s0, 0x652b82fe
	v_add_f64 v[18:19], v[42:43], -v[4:5]
	s_mov_b32 s1, 0x3ff71547
	v_mul_f64 v[22:23], v[18:19], s[0:1]
	v_rndne_f64_e32 v[22:23], v[22:23]
	s_mov_b32 s19, 0xbfe62e42
	s_mov_b32 s18, 0xfefa39ef
	v_fma_f64 v[26:27], s[18:19], v[22:23], v[18:19]
	s_mov_b32 s21, 0xbc7abc9e
	s_mov_b32 s20, 0x3b39803f
	;; [unrolled: 1-line block ×3, first 2 shown]
	v_fmac_f64_e32 v[26:27], s[20:21], v[22:23]
	v_mov_b32_e32 v42, 0xfca7ab0c
	v_mov_b32_e32 v43, 0x3e928af3
	s_mov_b32 s1, 0x3e5ade15
	v_fmac_f64_e32 v[42:43], s[0:1], v[26:27]
	v_mov_b32_e32 v44, 0x623fde64
	v_mov_b32_e32 v45, 0x3ec71dee
	v_fmac_f64_e32 v[44:45], v[26:27], v[42:43]
	v_mov_b32_e32 v42, 0x7c89e6b0
	v_mov_b32_e32 v43, 0x3efa0199
	;; [unrolled: 3-line block ×8, first 2 shown]
	s_mov_b32 s0, 0
	v_fmac_f64_e32 v[42:43], v[26:27], v[44:45]
	s_mov_b32 s1, 0x40900000
	v_fma_f64 v[42:43], v[26:27], v[42:43], 1.0
	v_cmp_nlt_f64_e32 vcc, s[0:1], v[18:19]
	s_mov_b32 s0, 0
	v_fma_f64 v[26:27], v[26:27], v[42:43], 1.0
	v_cvt_i32_f64_e32 v22, v[22:23]
	s_mov_b32 s1, 0xc090cc00
	v_ldexp_f64 v[22:23], v[26:27], v22
	v_mov_b32_e32 v26, 0x7ff00000
	v_cmp_ngt_f64_e64 s[0:1], s[0:1], v[18:19]
	v_cndmask_b32_e32 v23, v26, v23, vcc
	s_and_b64 vcc, s[0:1], vcc
	v_cndmask_b32_e64 v19, 0, v23, s[0:1]
	v_cndmask_b32_e32 v18, 0, v22, vcc
	v_add_f64 v[22:23], v[18:19], 1.0
	v_add_f64 v[26:27], v[22:23], -1.0
	v_add_f64 v[42:43], v[26:27], -v[22:23]
	v_add_f64 v[42:43], v[42:43], 1.0
	v_add_f64 v[26:27], v[18:19], -v[26:27]
	s_mov_b32 s0, 0x55555555
	v_add_f64 v[26:27], v[26:27], v[42:43]
	v_frexp_mant_f64_e32 v[42:43], v[22:23]
	s_mov_b32 s1, 0x3fe55555
	v_frexp_exp_i32_f64_e32 v44, v[22:23]
	v_cmp_gt_f64_e32 vcc, s[0:1], v[42:43]
	v_subbrev_co_u32_e32 v58, vcc, 0, v44, vcc
	v_sub_u32_e32 v42, 0, v58
	v_ldexp_f64 v[22:23], v[22:23], v42
	v_ldexp_f64 v[26:27], v[26:27], v42
	v_add_f64 v[42:43], v[22:23], -1.0
	v_add_f64 v[48:49], v[22:23], 1.0
	v_add_f64 v[44:45], v[42:43], 1.0
	v_add_f64 v[50:51], v[48:49], -1.0
	v_add_f64 v[44:45], v[22:23], -v[44:45]
	v_add_f64 v[22:23], v[22:23], -v[50:51]
	v_add_f64 v[22:23], v[26:27], v[22:23]
	v_add_f64 v[44:45], v[26:27], v[44:45]
	;; [unrolled: 1-line block ×3, first 2 shown]
	v_rcp_f64_e32 v[50:51], v[26:27]
	s_waitcnt lgkmcnt(0)
	v_add_f64 v[46:47], v[42:43], v[44:45]
	v_add_f64 v[42:43], v[46:47], -v[42:43]
	v_add_f64 v[42:43], v[44:45], -v[42:43]
	;; [unrolled: 1-line block ×4, first 2 shown]
	v_fma_f64 v[44:45], -v[26:27], v[50:51], 1.0
	v_fmac_f64_e32 v[50:51], v[44:45], v[50:51]
	v_fma_f64 v[44:45], -v[26:27], v[50:51], 1.0
	v_fmac_f64_e32 v[50:51], v[44:45], v[50:51]
	v_mul_f64 v[44:45], v[46:47], v[50:51]
	v_mul_f64 v[48:49], v[26:27], v[44:45]
	v_fma_f64 v[52:53], v[44:45], v[26:27], -v[48:49]
	v_fmac_f64_e32 v[52:53], v[44:45], v[22:23]
	v_add_f64 v[54:55], v[48:49], v[52:53]
	v_add_f64 v[56:57], v[46:47], -v[54:55]
	v_add_f64 v[46:47], v[46:47], -v[56:57]
	;; [unrolled: 1-line block ×4, first 2 shown]
	v_add_f64 v[42:43], v[42:43], v[46:47]
	v_add_f64 v[46:47], v[48:49], -v[52:53]
	v_add_f64 v[42:43], v[46:47], v[42:43]
	v_add_f64 v[46:47], v[56:57], v[42:43]
	v_add_f64 v[48:49], v[56:57], -v[46:47]
	v_add_f64 v[42:43], v[42:43], v[48:49]
	v_mul_f64 v[48:49], v[50:51], v[46:47]
	v_mul_f64 v[52:53], v[26:27], v[48:49]
	v_fma_f64 v[26:27], v[48:49], v[26:27], -v[52:53]
	v_fmac_f64_e32 v[26:27], v[48:49], v[22:23]
	v_add_f64 v[22:23], v[52:53], v[26:27]
	v_add_f64 v[54:55], v[46:47], -v[22:23]
	v_add_f64 v[46:47], v[46:47], -v[54:55]
	;; [unrolled: 1-line block ×4, first 2 shown]
	v_add_f64 v[22:23], v[42:43], v[22:23]
	v_add_f64 v[26:27], v[52:53], -v[26:27]
	v_add_f64 v[22:23], v[26:27], v[22:23]
	v_add_f64 v[26:27], v[44:45], v[48:49]
	;; [unrolled: 1-line block ×3, first 2 shown]
	v_add_f64 v[42:43], v[26:27], -v[44:45]
	v_mul_f64 v[22:23], v[50:51], v[22:23]
	v_add_f64 v[42:43], v[48:49], -v[42:43]
	v_add_f64 v[22:23], v[42:43], v[22:23]
	v_add_f64 v[42:43], v[26:27], v[22:23]
	v_add_f64 v[26:27], v[42:43], -v[26:27]
	s_mov_b32 s0, 0xbf559e2b
	v_add_f64 v[22:23], v[22:23], -v[26:27]
	v_mul_f64 v[26:27], v[42:43], v[42:43]
	v_mov_b32_e32 v44, 0x6b47b09a
	v_mov_b32_e32 v45, 0x3fc38538
	s_mov_b32 s1, 0x3fc3ab76
	v_fmac_f64_e32 v[44:45], s[0:1], v[26:27]
	v_mov_b32_e32 v46, 0xd7f4df2e
	v_mov_b32_e32 v47, 0x3fc7474d
	v_fmac_f64_e32 v[46:47], v[26:27], v[44:45]
	v_mov_b32_e32 v44, 0x16291751
	v_mov_b32_e32 v45, 0x3fcc71c0
	;; [unrolled: 3-line block ×5, first 2 shown]
	v_fmac_f64_e32 v[46:47], v[26:27], v[44:45]
	v_cvt_f64_i32_e32 v[44:45], v58
	s_mov_b32 s19, 0x3fe62e42
	v_mul_f64 v[48:49], v[44:45], s[18:19]
	v_fma_f64 v[50:51], v[44:45], s[18:19], -v[48:49]
	s_mov_b32 s21, 0x3c7abc9e
	v_fmac_f64_e32 v[50:51], s[20:21], v[44:45]
	v_add_f64 v[44:45], v[48:49], v[50:51]
	v_add_f64 v[48:49], v[44:45], -v[48:49]
	v_mul_f64 v[26:27], v[42:43], v[26:27]
	v_add_f64 v[48:49], v[50:51], -v[48:49]
	v_ldexp_f64 v[50:51], v[42:43], 1
	v_mul_f64 v[26:27], v[26:27], v[46:47]
	v_add_f64 v[42:43], v[50:51], v[26:27]
	v_add_f64 v[46:47], v[42:43], -v[50:51]
	v_ldexp_f64 v[22:23], v[22:23], 1
	v_add_f64 v[26:27], v[26:27], -v[46:47]
	v_add_f64 v[22:23], v[22:23], v[26:27]
	v_add_f64 v[26:27], v[42:43], v[22:23]
	v_add_f64 v[42:43], v[26:27], -v[42:43]
	v_add_f64 v[22:23], v[22:23], -v[42:43]
	v_add_f64 v[42:43], v[44:45], v[26:27]
	v_add_f64 v[46:47], v[42:43], -v[44:45]
	v_add_f64 v[50:51], v[42:43], -v[46:47]
	;; [unrolled: 1-line block ×4, first 2 shown]
	v_add_f64 v[26:27], v[26:27], v[44:45]
	v_add_f64 v[44:45], v[48:49], v[22:23]
	v_add_f64 v[46:47], v[44:45], -v[48:49]
	v_add_f64 v[26:27], v[44:45], v[26:27]
	v_add_f64 v[50:51], v[44:45], -v[46:47]
	;; [unrolled: 2-line block ×3, first 2 shown]
	v_add_f64 v[22:23], v[22:23], -v[46:47]
	v_add_f64 v[42:43], v[44:45], -v[42:43]
	v_add_f64 v[22:23], v[22:23], v[48:49]
	v_add_f64 v[26:27], v[26:27], -v[42:43]
	s_mov_b32 s0, 0
	v_add_f64 v[22:23], v[22:23], v[26:27]
	s_mov_b32 s1, 0x7ff00000
	v_add_f64 v[22:23], v[44:45], v[22:23]
	v_cmp_eq_f64_e32 vcc, s[0:1], v[18:19]
	v_cndmask_b32_e32 v22, v22, v18, vcc
	v_cndmask_b32_e32 v23, v23, v19, vcc
	v_mov_b32_e32 v26, 0x7ff80000
	v_cmp_ngt_f64_e32 vcc, -1.0, v[18:19]
	v_cndmask_b32_e32 v23, v26, v23, vcc
	v_cmp_nge_f64_e32 vcc, -1.0, v[18:19]
	v_cndmask_b32_e32 v22, 0, v22, vcc
	v_mov_b32_e32 v26, 0xfff00000
	v_cmp_neq_f64_e32 vcc, -1.0, v[18:19]
	v_cndmask_b32_e32 v23, v26, v23, vcc
	v_add_f64 v[26:27], v[4:5], v[22:23]
.LBB3_242:
	s_or_b64 exec, exec, s[2:3]
	v_max_f64 v[4:5], v[26:27], v[26:27]
	v_min_f64 v[18:19], v[4:5], v[28:29]
	v_cmp_u_f64_e32 vcc, v[26:27], v[26:27]
	v_max_f64 v[4:5], v[4:5], v[28:29]
	v_cndmask_b32_e32 v18, v18, v26, vcc
	v_cndmask_b32_e32 v19, v19, v27, vcc
	;; [unrolled: 1-line block ×4, first 2 shown]
	v_cndmask_b32_e64 v19, v19, v21, s[4:5]
	v_cndmask_b32_e64 v18, v18, v20, s[4:5]
	;; [unrolled: 1-line block ×4, first 2 shown]
	s_movk_i32 s20, 0x1f8
	v_cmp_neq_f64_e32 vcc, v[18:19], v[4:5]
	v_cmp_class_f64_e64 s[0:1], v[18:19], s20
	s_or_b64 s[0:1], vcc, s[0:1]
	v_pk_mov_b32 v[28:29], v[26:27], v[26:27] op_sel:[0,1]
	s_and_saveexec_b64 s[2:3], s[0:1]
	s_cbranch_execz .LBB3_244
; %bb.243:
	s_mov_b32 s0, 0x652b82fe
	v_add_f64 v[18:19], v[18:19], -v[4:5]
	s_mov_b32 s1, 0x3ff71547
	v_mul_f64 v[20:21], v[18:19], s[0:1]
	v_rndne_f64_e32 v[20:21], v[20:21]
	s_mov_b32 s5, 0xbfe62e42
	s_mov_b32 s4, 0xfefa39ef
	v_fma_f64 v[22:23], s[4:5], v[20:21], v[18:19]
	s_mov_b32 s19, 0xbc7abc9e
	s_mov_b32 s18, 0x3b39803f
	;; [unrolled: 1-line block ×3, first 2 shown]
	v_fmac_f64_e32 v[22:23], s[18:19], v[20:21]
	v_mov_b32_e32 v28, 0xfca7ab0c
	v_mov_b32_e32 v29, 0x3e928af3
	s_mov_b32 s1, 0x3e5ade15
	v_fmac_f64_e32 v[28:29], s[0:1], v[22:23]
	v_mov_b32_e32 v42, 0x623fde64
	v_mov_b32_e32 v43, 0x3ec71dee
	v_fmac_f64_e32 v[42:43], v[22:23], v[28:29]
	v_mov_b32_e32 v28, 0x7c89e6b0
	v_mov_b32_e32 v29, 0x3efa0199
	;; [unrolled: 3-line block ×8, first 2 shown]
	s_mov_b32 s0, 0
	v_fmac_f64_e32 v[28:29], v[22:23], v[42:43]
	s_mov_b32 s1, 0x40900000
	v_fma_f64 v[28:29], v[22:23], v[28:29], 1.0
	v_cmp_nlt_f64_e32 vcc, s[0:1], v[18:19]
	s_mov_b32 s0, 0
	v_fma_f64 v[22:23], v[22:23], v[28:29], 1.0
	v_cvt_i32_f64_e32 v20, v[20:21]
	s_mov_b32 s1, 0xc090cc00
	v_ldexp_f64 v[20:21], v[22:23], v20
	v_mov_b32_e32 v22, 0x7ff00000
	v_cmp_ngt_f64_e64 s[0:1], s[0:1], v[18:19]
	v_cndmask_b32_e32 v21, v22, v21, vcc
	s_and_b64 vcc, s[0:1], vcc
	v_cndmask_b32_e64 v19, 0, v21, s[0:1]
	v_cndmask_b32_e32 v18, 0, v20, vcc
	v_add_f64 v[20:21], v[18:19], 1.0
	v_add_f64 v[22:23], v[20:21], -1.0
	v_add_f64 v[28:29], v[22:23], -v[20:21]
	v_add_f64 v[28:29], v[28:29], 1.0
	v_add_f64 v[22:23], v[18:19], -v[22:23]
	s_mov_b32 s0, 0x55555555
	v_add_f64 v[22:23], v[22:23], v[28:29]
	v_frexp_mant_f64_e32 v[28:29], v[20:21]
	s_mov_b32 s1, 0x3fe55555
	v_frexp_exp_i32_f64_e32 v42, v[20:21]
	v_cmp_gt_f64_e32 vcc, s[0:1], v[28:29]
	v_subbrev_co_u32_e32 v56, vcc, 0, v42, vcc
	v_sub_u32_e32 v28, 0, v56
	v_ldexp_f64 v[20:21], v[20:21], v28
	v_ldexp_f64 v[22:23], v[22:23], v28
	v_add_f64 v[28:29], v[20:21], -1.0
	s_waitcnt lgkmcnt(0)
	v_add_f64 v[46:47], v[20:21], 1.0
	v_add_f64 v[42:43], v[28:29], 1.0
	v_add_f64 v[48:49], v[46:47], -1.0
	v_add_f64 v[42:43], v[20:21], -v[42:43]
	v_add_f64 v[20:21], v[20:21], -v[48:49]
	v_add_f64 v[20:21], v[22:23], v[20:21]
	v_add_f64 v[42:43], v[22:23], v[42:43]
	;; [unrolled: 1-line block ×3, first 2 shown]
	v_rcp_f64_e32 v[48:49], v[22:23]
	v_add_f64 v[44:45], v[28:29], v[42:43]
	v_add_f64 v[28:29], v[44:45], -v[28:29]
	v_add_f64 v[28:29], v[42:43], -v[28:29]
	;; [unrolled: 1-line block ×4, first 2 shown]
	v_fma_f64 v[42:43], -v[22:23], v[48:49], 1.0
	v_fmac_f64_e32 v[48:49], v[42:43], v[48:49]
	v_fma_f64 v[42:43], -v[22:23], v[48:49], 1.0
	v_fmac_f64_e32 v[48:49], v[42:43], v[48:49]
	v_mul_f64 v[42:43], v[44:45], v[48:49]
	v_mul_f64 v[46:47], v[22:23], v[42:43]
	v_fma_f64 v[50:51], v[42:43], v[22:23], -v[46:47]
	v_fmac_f64_e32 v[50:51], v[42:43], v[20:21]
	v_add_f64 v[52:53], v[46:47], v[50:51]
	v_add_f64 v[54:55], v[44:45], -v[52:53]
	v_add_f64 v[44:45], v[44:45], -v[54:55]
	;; [unrolled: 1-line block ×4, first 2 shown]
	v_add_f64 v[28:29], v[28:29], v[44:45]
	v_add_f64 v[44:45], v[46:47], -v[50:51]
	v_add_f64 v[28:29], v[44:45], v[28:29]
	v_add_f64 v[44:45], v[54:55], v[28:29]
	v_add_f64 v[46:47], v[54:55], -v[44:45]
	v_add_f64 v[28:29], v[28:29], v[46:47]
	v_mul_f64 v[46:47], v[48:49], v[44:45]
	v_mul_f64 v[50:51], v[22:23], v[46:47]
	v_fma_f64 v[22:23], v[46:47], v[22:23], -v[50:51]
	v_fmac_f64_e32 v[22:23], v[46:47], v[20:21]
	v_add_f64 v[20:21], v[50:51], v[22:23]
	v_add_f64 v[52:53], v[44:45], -v[20:21]
	v_add_f64 v[44:45], v[44:45], -v[52:53]
	;; [unrolled: 1-line block ×4, first 2 shown]
	v_add_f64 v[20:21], v[28:29], v[20:21]
	v_add_f64 v[22:23], v[50:51], -v[22:23]
	v_add_f64 v[20:21], v[22:23], v[20:21]
	v_add_f64 v[22:23], v[42:43], v[46:47]
	;; [unrolled: 1-line block ×3, first 2 shown]
	v_add_f64 v[28:29], v[22:23], -v[42:43]
	v_mul_f64 v[20:21], v[48:49], v[20:21]
	v_add_f64 v[28:29], v[46:47], -v[28:29]
	v_add_f64 v[20:21], v[28:29], v[20:21]
	v_add_f64 v[28:29], v[22:23], v[20:21]
	v_add_f64 v[22:23], v[28:29], -v[22:23]
	s_mov_b32 s0, 0xbf559e2b
	v_add_f64 v[20:21], v[20:21], -v[22:23]
	v_mul_f64 v[22:23], v[28:29], v[28:29]
	v_mov_b32_e32 v42, 0x6b47b09a
	v_mov_b32_e32 v43, 0x3fc38538
	s_mov_b32 s1, 0x3fc3ab76
	v_fmac_f64_e32 v[42:43], s[0:1], v[22:23]
	v_mov_b32_e32 v44, 0xd7f4df2e
	v_mov_b32_e32 v45, 0x3fc7474d
	v_fmac_f64_e32 v[44:45], v[22:23], v[42:43]
	v_mov_b32_e32 v42, 0x16291751
	v_mov_b32_e32 v43, 0x3fcc71c0
	v_fmac_f64_e32 v[42:43], v[22:23], v[44:45]
	v_mov_b32_e32 v44, 0x9b27acf1
	v_mov_b32_e32 v45, 0x3fd24924
	v_fmac_f64_e32 v[44:45], v[22:23], v[42:43]
	v_mov_b32_e32 v42, 0x998ef7b6
	v_mov_b32_e32 v43, 0x3fd99999
	v_fmac_f64_e32 v[42:43], v[22:23], v[44:45]
	v_mov_b32_e32 v44, 0x55555780
	v_mov_b32_e32 v45, 0x3fe55555
	v_fmac_f64_e32 v[44:45], v[22:23], v[42:43]
	v_cvt_f64_i32_e32 v[42:43], v56
	s_mov_b32 s5, 0x3fe62e42
	v_mul_f64 v[46:47], v[42:43], s[4:5]
	v_fma_f64 v[48:49], v[42:43], s[4:5], -v[46:47]
	s_mov_b32 s19, 0x3c7abc9e
	v_fmac_f64_e32 v[48:49], s[18:19], v[42:43]
	v_add_f64 v[42:43], v[46:47], v[48:49]
	v_add_f64 v[46:47], v[42:43], -v[46:47]
	v_mul_f64 v[22:23], v[28:29], v[22:23]
	v_add_f64 v[46:47], v[48:49], -v[46:47]
	v_ldexp_f64 v[48:49], v[28:29], 1
	v_mul_f64 v[22:23], v[22:23], v[44:45]
	v_add_f64 v[28:29], v[48:49], v[22:23]
	v_add_f64 v[44:45], v[28:29], -v[48:49]
	v_ldexp_f64 v[20:21], v[20:21], 1
	v_add_f64 v[22:23], v[22:23], -v[44:45]
	v_add_f64 v[20:21], v[20:21], v[22:23]
	v_add_f64 v[22:23], v[28:29], v[20:21]
	v_add_f64 v[28:29], v[22:23], -v[28:29]
	v_add_f64 v[20:21], v[20:21], -v[28:29]
	v_add_f64 v[28:29], v[42:43], v[22:23]
	v_add_f64 v[44:45], v[28:29], -v[42:43]
	v_add_f64 v[48:49], v[28:29], -v[44:45]
	;; [unrolled: 1-line block ×4, first 2 shown]
	v_add_f64 v[22:23], v[22:23], v[42:43]
	v_add_f64 v[42:43], v[46:47], v[20:21]
	v_add_f64 v[44:45], v[42:43], -v[46:47]
	v_add_f64 v[22:23], v[42:43], v[22:23]
	v_add_f64 v[48:49], v[42:43], -v[44:45]
	;; [unrolled: 2-line block ×3, first 2 shown]
	v_add_f64 v[20:21], v[20:21], -v[44:45]
	v_add_f64 v[28:29], v[42:43], -v[28:29]
	v_add_f64 v[20:21], v[20:21], v[46:47]
	v_add_f64 v[22:23], v[22:23], -v[28:29]
	s_mov_b32 s0, 0
	v_add_f64 v[20:21], v[20:21], v[22:23]
	s_mov_b32 s1, 0x7ff00000
	v_add_f64 v[20:21], v[42:43], v[20:21]
	v_cmp_eq_f64_e32 vcc, s[0:1], v[18:19]
	v_cndmask_b32_e32 v20, v20, v18, vcc
	v_cndmask_b32_e32 v21, v21, v19, vcc
	v_mov_b32_e32 v22, 0x7ff80000
	v_cmp_ngt_f64_e32 vcc, -1.0, v[18:19]
	v_cndmask_b32_e32 v21, v22, v21, vcc
	v_cmp_nge_f64_e32 vcc, -1.0, v[18:19]
	v_cndmask_b32_e32 v20, 0, v20, vcc
	v_mov_b32_e32 v22, 0xfff00000
	v_cmp_neq_f64_e32 vcc, -1.0, v[18:19]
	v_cndmask_b32_e32 v21, v22, v21, vcc
	v_add_f64 v[28:29], v[4:5], v[20:21]
.LBB3_244:
	s_or_b64 exec, exec, s[2:3]
	v_max_f64 v[4:5], v[28:29], v[28:29]
	v_min_f64 v[18:19], v[4:5], v[30:31]
	v_cmp_u_f64_e32 vcc, v[28:29], v[28:29]
	v_max_f64 v[4:5], v[4:5], v[30:31]
	v_cndmask_b32_e32 v18, v18, v28, vcc
	v_cndmask_b32_e32 v19, v19, v29, vcc
	;; [unrolled: 1-line block ×4, first 2 shown]
	v_cndmask_b32_e64 v19, v19, v15, s[6:7]
	v_cndmask_b32_e64 v18, v18, v14, s[6:7]
	;; [unrolled: 1-line block ×4, first 2 shown]
	v_cmp_neq_f64_e32 vcc, v[18:19], v[4:5]
	v_cmp_class_f64_e64 s[0:1], v[18:19], s20
	s_or_b64 s[0:1], vcc, s[0:1]
	v_pk_mov_b32 v[30:31], v[28:29], v[28:29] op_sel:[0,1]
	s_and_saveexec_b64 s[2:3], s[0:1]
	s_cbranch_execz .LBB3_246
; %bb.245:
	s_mov_b32 s0, 0x652b82fe
	v_add_f64 v[14:15], v[18:19], -v[4:5]
	s_mov_b32 s1, 0x3ff71547
	v_mul_f64 v[18:19], v[14:15], s[0:1]
	v_rndne_f64_e32 v[18:19], v[18:19]
	s_mov_b32 s5, 0xbfe62e42
	s_mov_b32 s4, 0xfefa39ef
	v_fma_f64 v[20:21], s[4:5], v[18:19], v[14:15]
	s_mov_b32 s7, 0xbc7abc9e
	s_mov_b32 s6, 0x3b39803f
	;; [unrolled: 1-line block ×3, first 2 shown]
	v_fmac_f64_e32 v[20:21], s[6:7], v[18:19]
	v_mov_b32_e32 v22, 0xfca7ab0c
	v_mov_b32_e32 v23, 0x3e928af3
	s_mov_b32 s1, 0x3e5ade15
	v_fmac_f64_e32 v[22:23], s[0:1], v[20:21]
	v_mov_b32_e32 v30, 0x623fde64
	v_mov_b32_e32 v31, 0x3ec71dee
	v_fmac_f64_e32 v[30:31], v[20:21], v[22:23]
	v_mov_b32_e32 v22, 0x7c89e6b0
	v_mov_b32_e32 v23, 0x3efa0199
	;; [unrolled: 3-line block ×8, first 2 shown]
	s_mov_b32 s0, 0
	v_fmac_f64_e32 v[22:23], v[20:21], v[30:31]
	s_mov_b32 s1, 0x40900000
	v_fma_f64 v[22:23], v[20:21], v[22:23], 1.0
	v_cmp_nlt_f64_e32 vcc, s[0:1], v[14:15]
	s_mov_b32 s0, 0
	v_fma_f64 v[20:21], v[20:21], v[22:23], 1.0
	v_cvt_i32_f64_e32 v18, v[18:19]
	s_mov_b32 s1, 0xc090cc00
	v_ldexp_f64 v[18:19], v[20:21], v18
	v_mov_b32_e32 v20, 0x7ff00000
	v_cmp_ngt_f64_e64 s[0:1], s[0:1], v[14:15]
	v_cndmask_b32_e32 v19, v20, v19, vcc
	s_and_b64 vcc, s[0:1], vcc
	v_cndmask_b32_e64 v15, 0, v19, s[0:1]
	v_cndmask_b32_e32 v14, 0, v18, vcc
	v_add_f64 v[18:19], v[14:15], 1.0
	v_add_f64 v[20:21], v[18:19], -1.0
	v_add_f64 v[22:23], v[20:21], -v[18:19]
	v_add_f64 v[22:23], v[22:23], 1.0
	v_add_f64 v[20:21], v[14:15], -v[20:21]
	s_mov_b32 s0, 0x55555555
	v_add_f64 v[20:21], v[20:21], v[22:23]
	v_frexp_mant_f64_e32 v[22:23], v[18:19]
	s_mov_b32 s1, 0x3fe55555
	v_frexp_exp_i32_f64_e32 v30, v[18:19]
	v_cmp_gt_f64_e32 vcc, s[0:1], v[22:23]
	v_subbrev_co_u32_e32 v54, vcc, 0, v30, vcc
	v_sub_u32_e32 v22, 0, v54
	v_ldexp_f64 v[18:19], v[18:19], v22
	v_ldexp_f64 v[20:21], v[20:21], v22
	v_add_f64 v[22:23], v[18:19], -1.0
	v_add_f64 v[44:45], v[18:19], 1.0
	v_add_f64 v[30:31], v[22:23], 1.0
	s_waitcnt lgkmcnt(0)
	v_add_f64 v[46:47], v[44:45], -1.0
	v_add_f64 v[30:31], v[18:19], -v[30:31]
	v_add_f64 v[18:19], v[18:19], -v[46:47]
	v_add_f64 v[18:19], v[20:21], v[18:19]
	v_add_f64 v[30:31], v[20:21], v[30:31]
	;; [unrolled: 1-line block ×3, first 2 shown]
	v_rcp_f64_e32 v[46:47], v[20:21]
	v_add_f64 v[42:43], v[22:23], v[30:31]
	v_add_f64 v[22:23], v[42:43], -v[22:23]
	v_add_f64 v[22:23], v[30:31], -v[22:23]
	;; [unrolled: 1-line block ×4, first 2 shown]
	v_fma_f64 v[30:31], -v[20:21], v[46:47], 1.0
	v_fmac_f64_e32 v[46:47], v[30:31], v[46:47]
	v_fma_f64 v[30:31], -v[20:21], v[46:47], 1.0
	v_fmac_f64_e32 v[46:47], v[30:31], v[46:47]
	v_mul_f64 v[30:31], v[42:43], v[46:47]
	v_mul_f64 v[44:45], v[20:21], v[30:31]
	v_fma_f64 v[48:49], v[30:31], v[20:21], -v[44:45]
	v_fmac_f64_e32 v[48:49], v[30:31], v[18:19]
	v_add_f64 v[50:51], v[44:45], v[48:49]
	v_add_f64 v[52:53], v[42:43], -v[50:51]
	v_add_f64 v[42:43], v[42:43], -v[52:53]
	;; [unrolled: 1-line block ×4, first 2 shown]
	v_add_f64 v[22:23], v[22:23], v[42:43]
	v_add_f64 v[42:43], v[44:45], -v[48:49]
	v_add_f64 v[22:23], v[42:43], v[22:23]
	v_add_f64 v[42:43], v[52:53], v[22:23]
	v_add_f64 v[44:45], v[52:53], -v[42:43]
	v_add_f64 v[22:23], v[22:23], v[44:45]
	v_mul_f64 v[44:45], v[46:47], v[42:43]
	v_mul_f64 v[48:49], v[20:21], v[44:45]
	v_fma_f64 v[20:21], v[44:45], v[20:21], -v[48:49]
	v_fmac_f64_e32 v[20:21], v[44:45], v[18:19]
	v_add_f64 v[18:19], v[48:49], v[20:21]
	v_add_f64 v[50:51], v[42:43], -v[18:19]
	v_add_f64 v[42:43], v[42:43], -v[50:51]
	;; [unrolled: 1-line block ×4, first 2 shown]
	v_add_f64 v[18:19], v[22:23], v[18:19]
	v_add_f64 v[20:21], v[48:49], -v[20:21]
	v_add_f64 v[18:19], v[20:21], v[18:19]
	v_add_f64 v[20:21], v[30:31], v[44:45]
	v_add_f64 v[18:19], v[50:51], v[18:19]
	v_add_f64 v[22:23], v[20:21], -v[30:31]
	v_mul_f64 v[18:19], v[46:47], v[18:19]
	v_add_f64 v[22:23], v[44:45], -v[22:23]
	v_add_f64 v[18:19], v[22:23], v[18:19]
	v_add_f64 v[22:23], v[20:21], v[18:19]
	v_add_f64 v[20:21], v[22:23], -v[20:21]
	s_mov_b32 s0, 0xbf559e2b
	v_add_f64 v[18:19], v[18:19], -v[20:21]
	v_mul_f64 v[20:21], v[22:23], v[22:23]
	v_mov_b32_e32 v30, 0x6b47b09a
	v_mov_b32_e32 v31, 0x3fc38538
	s_mov_b32 s1, 0x3fc3ab76
	v_fmac_f64_e32 v[30:31], s[0:1], v[20:21]
	v_mov_b32_e32 v42, 0xd7f4df2e
	v_mov_b32_e32 v43, 0x3fc7474d
	v_fmac_f64_e32 v[42:43], v[20:21], v[30:31]
	v_mov_b32_e32 v30, 0x16291751
	v_mov_b32_e32 v31, 0x3fcc71c0
	;; [unrolled: 3-line block ×5, first 2 shown]
	v_fmac_f64_e32 v[42:43], v[20:21], v[30:31]
	v_cvt_f64_i32_e32 v[30:31], v54
	s_mov_b32 s5, 0x3fe62e42
	v_mul_f64 v[44:45], v[30:31], s[4:5]
	v_fma_f64 v[46:47], v[30:31], s[4:5], -v[44:45]
	s_mov_b32 s7, 0x3c7abc9e
	v_fmac_f64_e32 v[46:47], s[6:7], v[30:31]
	v_add_f64 v[30:31], v[44:45], v[46:47]
	v_add_f64 v[44:45], v[30:31], -v[44:45]
	v_mul_f64 v[20:21], v[22:23], v[20:21]
	v_add_f64 v[44:45], v[46:47], -v[44:45]
	v_ldexp_f64 v[46:47], v[22:23], 1
	v_mul_f64 v[20:21], v[20:21], v[42:43]
	v_add_f64 v[22:23], v[46:47], v[20:21]
	v_add_f64 v[42:43], v[22:23], -v[46:47]
	v_ldexp_f64 v[18:19], v[18:19], 1
	v_add_f64 v[20:21], v[20:21], -v[42:43]
	v_add_f64 v[18:19], v[18:19], v[20:21]
	v_add_f64 v[20:21], v[22:23], v[18:19]
	v_add_f64 v[22:23], v[20:21], -v[22:23]
	v_add_f64 v[18:19], v[18:19], -v[22:23]
	v_add_f64 v[22:23], v[30:31], v[20:21]
	v_add_f64 v[42:43], v[22:23], -v[30:31]
	v_add_f64 v[46:47], v[22:23], -v[42:43]
	;; [unrolled: 1-line block ×4, first 2 shown]
	v_add_f64 v[20:21], v[20:21], v[30:31]
	v_add_f64 v[30:31], v[44:45], v[18:19]
	v_add_f64 v[42:43], v[30:31], -v[44:45]
	v_add_f64 v[20:21], v[30:31], v[20:21]
	v_add_f64 v[46:47], v[30:31], -v[42:43]
	;; [unrolled: 2-line block ×3, first 2 shown]
	v_add_f64 v[18:19], v[18:19], -v[42:43]
	v_add_f64 v[22:23], v[30:31], -v[22:23]
	v_add_f64 v[18:19], v[18:19], v[44:45]
	v_add_f64 v[20:21], v[20:21], -v[22:23]
	s_mov_b32 s0, 0
	v_add_f64 v[18:19], v[18:19], v[20:21]
	s_mov_b32 s1, 0x7ff00000
	v_add_f64 v[18:19], v[30:31], v[18:19]
	v_cmp_eq_f64_e32 vcc, s[0:1], v[14:15]
	v_cndmask_b32_e32 v18, v18, v14, vcc
	v_cndmask_b32_e32 v19, v19, v15, vcc
	v_mov_b32_e32 v20, 0x7ff80000
	v_cmp_ngt_f64_e32 vcc, -1.0, v[14:15]
	v_cndmask_b32_e32 v19, v20, v19, vcc
	v_cmp_nge_f64_e32 vcc, -1.0, v[14:15]
	v_cndmask_b32_e32 v18, 0, v18, vcc
	v_mov_b32_e32 v20, 0xfff00000
	v_cmp_neq_f64_e32 vcc, -1.0, v[14:15]
	v_cndmask_b32_e32 v19, v20, v19, vcc
	v_add_f64 v[30:31], v[4:5], v[18:19]
.LBB3_246:
	s_or_b64 exec, exec, s[2:3]
	v_max_f64 v[4:5], v[30:31], v[30:31]
	v_min_f64 v[14:15], v[4:5], v[32:33]
	v_cmp_u_f64_e32 vcc, v[30:31], v[30:31]
	v_max_f64 v[4:5], v[4:5], v[32:33]
	v_cndmask_b32_e32 v14, v14, v30, vcc
	v_cndmask_b32_e32 v15, v15, v31, vcc
	;; [unrolled: 1-line block ×4, first 2 shown]
	v_cndmask_b32_e64 v15, v15, v17, s[8:9]
	v_cndmask_b32_e64 v14, v14, v16, s[8:9]
	;; [unrolled: 1-line block ×4, first 2 shown]
	s_movk_i32 s8, 0x1f8
	v_cmp_neq_f64_e32 vcc, v[14:15], v[4:5]
	v_cmp_class_f64_e64 s[0:1], v[14:15], s8
	s_or_b64 s[0:1], vcc, s[0:1]
	v_pk_mov_b32 v[32:33], v[30:31], v[30:31] op_sel:[0,1]
	s_and_saveexec_b64 s[2:3], s[0:1]
	s_cbranch_execz .LBB3_248
; %bb.247:
	s_mov_b32 s0, 0x652b82fe
	v_add_f64 v[14:15], v[14:15], -v[4:5]
	s_mov_b32 s1, 0x3ff71547
	v_mul_f64 v[16:17], v[14:15], s[0:1]
	v_rndne_f64_e32 v[16:17], v[16:17]
	s_mov_b32 s5, 0xbfe62e42
	s_mov_b32 s4, 0xfefa39ef
	v_fma_f64 v[18:19], s[4:5], v[16:17], v[14:15]
	s_mov_b32 s7, 0xbc7abc9e
	s_mov_b32 s6, 0x3b39803f
	;; [unrolled: 1-line block ×3, first 2 shown]
	v_fmac_f64_e32 v[18:19], s[6:7], v[16:17]
	v_mov_b32_e32 v20, 0xfca7ab0c
	v_mov_b32_e32 v21, 0x3e928af3
	s_mov_b32 s1, 0x3e5ade15
	v_fmac_f64_e32 v[20:21], s[0:1], v[18:19]
	v_mov_b32_e32 v22, 0x623fde64
	v_mov_b32_e32 v23, 0x3ec71dee
	v_fmac_f64_e32 v[22:23], v[18:19], v[20:21]
	v_mov_b32_e32 v20, 0x7c89e6b0
	v_mov_b32_e32 v21, 0x3efa0199
	;; [unrolled: 3-line block ×8, first 2 shown]
	s_mov_b32 s0, 0
	v_fmac_f64_e32 v[20:21], v[18:19], v[22:23]
	s_mov_b32 s1, 0x40900000
	v_fma_f64 v[20:21], v[18:19], v[20:21], 1.0
	v_cmp_nlt_f64_e32 vcc, s[0:1], v[14:15]
	s_mov_b32 s0, 0
	v_fma_f64 v[18:19], v[18:19], v[20:21], 1.0
	v_cvt_i32_f64_e32 v16, v[16:17]
	s_mov_b32 s1, 0xc090cc00
	v_ldexp_f64 v[16:17], v[18:19], v16
	v_mov_b32_e32 v18, 0x7ff00000
	v_cmp_ngt_f64_e64 s[0:1], s[0:1], v[14:15]
	v_cndmask_b32_e32 v17, v18, v17, vcc
	s_and_b64 vcc, s[0:1], vcc
	v_cndmask_b32_e64 v15, 0, v17, s[0:1]
	v_cndmask_b32_e32 v14, 0, v16, vcc
	v_add_f64 v[16:17], v[14:15], 1.0
	v_add_f64 v[18:19], v[16:17], -1.0
	v_add_f64 v[20:21], v[18:19], -v[16:17]
	v_add_f64 v[20:21], v[20:21], 1.0
	v_add_f64 v[18:19], v[14:15], -v[18:19]
	s_mov_b32 s0, 0x55555555
	v_add_f64 v[18:19], v[18:19], v[20:21]
	v_frexp_mant_f64_e32 v[20:21], v[16:17]
	s_mov_b32 s1, 0x3fe55555
	v_frexp_exp_i32_f64_e32 v22, v[16:17]
	v_cmp_gt_f64_e32 vcc, s[0:1], v[20:21]
	v_subbrev_co_u32_e32 v52, vcc, 0, v22, vcc
	v_sub_u32_e32 v20, 0, v52
	v_ldexp_f64 v[16:17], v[16:17], v20
	v_ldexp_f64 v[18:19], v[18:19], v20
	v_add_f64 v[20:21], v[16:17], -1.0
	v_add_f64 v[42:43], v[16:17], 1.0
	v_add_f64 v[22:23], v[20:21], 1.0
	v_add_f64 v[44:45], v[42:43], -1.0
	v_add_f64 v[22:23], v[16:17], -v[22:23]
	v_add_f64 v[16:17], v[16:17], -v[44:45]
	v_add_f64 v[16:17], v[18:19], v[16:17]
	v_add_f64 v[22:23], v[18:19], v[22:23]
	;; [unrolled: 1-line block ×3, first 2 shown]
	v_rcp_f64_e32 v[44:45], v[18:19]
	v_add_f64 v[32:33], v[20:21], v[22:23]
	v_add_f64 v[20:21], v[32:33], -v[20:21]
	v_add_f64 v[20:21], v[22:23], -v[20:21]
	;; [unrolled: 1-line block ×4, first 2 shown]
	v_fma_f64 v[22:23], -v[18:19], v[44:45], 1.0
	v_fmac_f64_e32 v[44:45], v[22:23], v[44:45]
	v_fma_f64 v[22:23], -v[18:19], v[44:45], 1.0
	v_fmac_f64_e32 v[44:45], v[22:23], v[44:45]
	v_mul_f64 v[22:23], v[32:33], v[44:45]
	v_mul_f64 v[42:43], v[18:19], v[22:23]
	s_waitcnt lgkmcnt(0)
	v_fma_f64 v[46:47], v[22:23], v[18:19], -v[42:43]
	v_fmac_f64_e32 v[46:47], v[22:23], v[16:17]
	v_add_f64 v[48:49], v[42:43], v[46:47]
	v_add_f64 v[50:51], v[32:33], -v[48:49]
	v_add_f64 v[32:33], v[32:33], -v[50:51]
	;; [unrolled: 1-line block ×4, first 2 shown]
	v_add_f64 v[20:21], v[20:21], v[32:33]
	v_add_f64 v[32:33], v[42:43], -v[46:47]
	v_add_f64 v[20:21], v[32:33], v[20:21]
	v_add_f64 v[32:33], v[50:51], v[20:21]
	v_add_f64 v[42:43], v[50:51], -v[32:33]
	v_add_f64 v[20:21], v[20:21], v[42:43]
	v_mul_f64 v[42:43], v[44:45], v[32:33]
	v_mul_f64 v[46:47], v[18:19], v[42:43]
	v_fma_f64 v[18:19], v[42:43], v[18:19], -v[46:47]
	v_fmac_f64_e32 v[18:19], v[42:43], v[16:17]
	v_add_f64 v[16:17], v[46:47], v[18:19]
	v_add_f64 v[48:49], v[32:33], -v[16:17]
	v_add_f64 v[32:33], v[32:33], -v[48:49]
	;; [unrolled: 1-line block ×4, first 2 shown]
	v_add_f64 v[16:17], v[20:21], v[16:17]
	v_add_f64 v[18:19], v[46:47], -v[18:19]
	v_add_f64 v[16:17], v[18:19], v[16:17]
	v_add_f64 v[18:19], v[22:23], v[42:43]
	;; [unrolled: 1-line block ×3, first 2 shown]
	v_add_f64 v[20:21], v[18:19], -v[22:23]
	v_mul_f64 v[16:17], v[44:45], v[16:17]
	v_add_f64 v[20:21], v[42:43], -v[20:21]
	v_add_f64 v[16:17], v[20:21], v[16:17]
	v_add_f64 v[20:21], v[18:19], v[16:17]
	v_add_f64 v[18:19], v[20:21], -v[18:19]
	s_mov_b32 s0, 0xbf559e2b
	v_add_f64 v[16:17], v[16:17], -v[18:19]
	v_mul_f64 v[18:19], v[20:21], v[20:21]
	v_mov_b32_e32 v22, 0x6b47b09a
	v_mov_b32_e32 v23, 0x3fc38538
	s_mov_b32 s1, 0x3fc3ab76
	v_fmac_f64_e32 v[22:23], s[0:1], v[18:19]
	v_mov_b32_e32 v32, 0xd7f4df2e
	v_mov_b32_e32 v33, 0x3fc7474d
	v_fmac_f64_e32 v[32:33], v[18:19], v[22:23]
	v_mov_b32_e32 v22, 0x16291751
	v_mov_b32_e32 v23, 0x3fcc71c0
	v_fmac_f64_e32 v[22:23], v[18:19], v[32:33]
	v_mov_b32_e32 v32, 0x9b27acf1
	v_mov_b32_e32 v33, 0x3fd24924
	v_fmac_f64_e32 v[32:33], v[18:19], v[22:23]
	v_mov_b32_e32 v22, 0x998ef7b6
	v_mov_b32_e32 v23, 0x3fd99999
	v_fmac_f64_e32 v[22:23], v[18:19], v[32:33]
	v_mov_b32_e32 v32, 0x55555780
	v_mov_b32_e32 v33, 0x3fe55555
	v_fmac_f64_e32 v[32:33], v[18:19], v[22:23]
	v_cvt_f64_i32_e32 v[22:23], v52
	s_mov_b32 s5, 0x3fe62e42
	v_mul_f64 v[42:43], v[22:23], s[4:5]
	v_fma_f64 v[44:45], v[22:23], s[4:5], -v[42:43]
	s_mov_b32 s7, 0x3c7abc9e
	v_fmac_f64_e32 v[44:45], s[6:7], v[22:23]
	v_add_f64 v[22:23], v[42:43], v[44:45]
	v_add_f64 v[42:43], v[22:23], -v[42:43]
	v_mul_f64 v[18:19], v[20:21], v[18:19]
	v_add_f64 v[42:43], v[44:45], -v[42:43]
	v_ldexp_f64 v[44:45], v[20:21], 1
	v_mul_f64 v[18:19], v[18:19], v[32:33]
	v_add_f64 v[20:21], v[44:45], v[18:19]
	v_add_f64 v[32:33], v[20:21], -v[44:45]
	v_ldexp_f64 v[16:17], v[16:17], 1
	v_add_f64 v[18:19], v[18:19], -v[32:33]
	v_add_f64 v[16:17], v[16:17], v[18:19]
	v_add_f64 v[18:19], v[20:21], v[16:17]
	v_add_f64 v[20:21], v[18:19], -v[20:21]
	v_add_f64 v[16:17], v[16:17], -v[20:21]
	v_add_f64 v[20:21], v[22:23], v[18:19]
	v_add_f64 v[32:33], v[20:21], -v[22:23]
	v_add_f64 v[44:45], v[20:21], -v[32:33]
	;; [unrolled: 1-line block ×4, first 2 shown]
	v_add_f64 v[18:19], v[18:19], v[22:23]
	v_add_f64 v[22:23], v[42:43], v[16:17]
	v_add_f64 v[32:33], v[22:23], -v[42:43]
	v_add_f64 v[18:19], v[22:23], v[18:19]
	v_add_f64 v[44:45], v[22:23], -v[32:33]
	;; [unrolled: 2-line block ×3, first 2 shown]
	v_add_f64 v[16:17], v[16:17], -v[32:33]
	v_add_f64 v[20:21], v[22:23], -v[20:21]
	v_add_f64 v[16:17], v[16:17], v[42:43]
	v_add_f64 v[18:19], v[18:19], -v[20:21]
	s_mov_b32 s0, 0
	v_add_f64 v[16:17], v[16:17], v[18:19]
	s_mov_b32 s1, 0x7ff00000
	v_add_f64 v[16:17], v[22:23], v[16:17]
	v_cmp_eq_f64_e32 vcc, s[0:1], v[14:15]
	v_cndmask_b32_e32 v16, v16, v14, vcc
	v_cndmask_b32_e32 v17, v17, v15, vcc
	v_mov_b32_e32 v18, 0x7ff80000
	v_cmp_ngt_f64_e32 vcc, -1.0, v[14:15]
	v_cndmask_b32_e32 v17, v18, v17, vcc
	v_cmp_nge_f64_e32 vcc, -1.0, v[14:15]
	v_cndmask_b32_e32 v16, 0, v16, vcc
	v_mov_b32_e32 v18, 0xfff00000
	v_cmp_neq_f64_e32 vcc, -1.0, v[14:15]
	v_cndmask_b32_e32 v17, v18, v17, vcc
	v_add_f64 v[32:33], v[4:5], v[16:17]
.LBB3_248:
	s_or_b64 exec, exec, s[2:3]
	v_max_f64 v[4:5], v[32:33], v[32:33]
	v_min_f64 v[14:15], v[4:5], v[34:35]
	v_cmp_u_f64_e32 vcc, v[32:33], v[32:33]
	v_max_f64 v[4:5], v[4:5], v[34:35]
	v_cndmask_b32_e32 v14, v14, v32, vcc
	v_cndmask_b32_e32 v15, v15, v33, vcc
	;; [unrolled: 1-line block ×4, first 2 shown]
	v_cndmask_b32_e64 v15, v15, v11, s[10:11]
	v_cndmask_b32_e64 v14, v14, v10, s[10:11]
	;; [unrolled: 1-line block ×4, first 2 shown]
	v_cmp_neq_f64_e32 vcc, v[14:15], v[4:5]
	v_cmp_class_f64_e64 s[0:1], v[14:15], s8
	s_or_b64 s[0:1], vcc, s[0:1]
	v_pk_mov_b32 v[34:35], v[32:33], v[32:33] op_sel:[0,1]
	s_and_saveexec_b64 s[2:3], s[0:1]
	s_cbranch_execz .LBB3_250
; %bb.249:
	s_mov_b32 s0, 0x652b82fe
	v_add_f64 v[10:11], v[14:15], -v[4:5]
	s_mov_b32 s1, 0x3ff71547
	v_mul_f64 v[14:15], v[10:11], s[0:1]
	v_rndne_f64_e32 v[14:15], v[14:15]
	s_mov_b32 s5, 0xbfe62e42
	s_mov_b32 s4, 0xfefa39ef
	v_fma_f64 v[16:17], s[4:5], v[14:15], v[10:11]
	s_mov_b32 s7, 0xbc7abc9e
	s_mov_b32 s6, 0x3b39803f
	;; [unrolled: 1-line block ×3, first 2 shown]
	v_fmac_f64_e32 v[16:17], s[6:7], v[14:15]
	v_mov_b32_e32 v18, 0xfca7ab0c
	v_mov_b32_e32 v19, 0x3e928af3
	s_mov_b32 s1, 0x3e5ade15
	v_fmac_f64_e32 v[18:19], s[0:1], v[16:17]
	v_mov_b32_e32 v20, 0x623fde64
	v_mov_b32_e32 v21, 0x3ec71dee
	v_fmac_f64_e32 v[20:21], v[16:17], v[18:19]
	v_mov_b32_e32 v18, 0x7c89e6b0
	v_mov_b32_e32 v19, 0x3efa0199
	;; [unrolled: 3-line block ×8, first 2 shown]
	s_mov_b32 s0, 0
	v_fmac_f64_e32 v[18:19], v[16:17], v[20:21]
	s_mov_b32 s1, 0x40900000
	v_fma_f64 v[18:19], v[16:17], v[18:19], 1.0
	v_cmp_nlt_f64_e32 vcc, s[0:1], v[10:11]
	s_mov_b32 s0, 0
	v_fma_f64 v[16:17], v[16:17], v[18:19], 1.0
	v_cvt_i32_f64_e32 v14, v[14:15]
	s_mov_b32 s1, 0xc090cc00
	v_ldexp_f64 v[14:15], v[16:17], v14
	v_mov_b32_e32 v16, 0x7ff00000
	v_cmp_ngt_f64_e64 s[0:1], s[0:1], v[10:11]
	v_cndmask_b32_e32 v15, v16, v15, vcc
	s_and_b64 vcc, s[0:1], vcc
	v_cndmask_b32_e64 v11, 0, v15, s[0:1]
	v_cndmask_b32_e32 v10, 0, v14, vcc
	v_add_f64 v[14:15], v[10:11], 1.0
	v_add_f64 v[16:17], v[14:15], -1.0
	v_add_f64 v[18:19], v[16:17], -v[14:15]
	v_add_f64 v[18:19], v[18:19], 1.0
	v_add_f64 v[16:17], v[10:11], -v[16:17]
	s_mov_b32 s0, 0x55555555
	v_add_f64 v[16:17], v[16:17], v[18:19]
	v_frexp_mant_f64_e32 v[18:19], v[14:15]
	s_mov_b32 s1, 0x3fe55555
	v_frexp_exp_i32_f64_e32 v20, v[14:15]
	v_cmp_gt_f64_e32 vcc, s[0:1], v[18:19]
	v_subbrev_co_u32_e32 v50, vcc, 0, v20, vcc
	v_sub_u32_e32 v18, 0, v50
	v_ldexp_f64 v[14:15], v[14:15], v18
	v_ldexp_f64 v[16:17], v[16:17], v18
	v_add_f64 v[18:19], v[14:15], -1.0
	v_add_f64 v[34:35], v[14:15], 1.0
	v_add_f64 v[20:21], v[18:19], 1.0
	v_add_f64 v[42:43], v[34:35], -1.0
	v_add_f64 v[20:21], v[14:15], -v[20:21]
	v_add_f64 v[14:15], v[14:15], -v[42:43]
	v_add_f64 v[14:15], v[16:17], v[14:15]
	v_add_f64 v[20:21], v[16:17], v[20:21]
	;; [unrolled: 1-line block ×3, first 2 shown]
	v_rcp_f64_e32 v[42:43], v[16:17]
	v_add_f64 v[22:23], v[18:19], v[20:21]
	v_add_f64 v[18:19], v[22:23], -v[18:19]
	v_add_f64 v[18:19], v[20:21], -v[18:19]
	v_add_f64 v[20:21], v[16:17], -v[34:35]
	v_add_f64 v[14:15], v[14:15], -v[20:21]
	v_fma_f64 v[20:21], -v[16:17], v[42:43], 1.0
	v_fmac_f64_e32 v[42:43], v[20:21], v[42:43]
	v_fma_f64 v[20:21], -v[16:17], v[42:43], 1.0
	v_fmac_f64_e32 v[42:43], v[20:21], v[42:43]
	v_mul_f64 v[20:21], v[22:23], v[42:43]
	v_mul_f64 v[34:35], v[16:17], v[20:21]
	v_fma_f64 v[44:45], v[20:21], v[16:17], -v[34:35]
	v_fmac_f64_e32 v[44:45], v[20:21], v[14:15]
	s_waitcnt lgkmcnt(0)
	v_add_f64 v[46:47], v[34:35], v[44:45]
	v_add_f64 v[48:49], v[22:23], -v[46:47]
	v_add_f64 v[22:23], v[22:23], -v[48:49]
	;; [unrolled: 1-line block ×4, first 2 shown]
	v_add_f64 v[18:19], v[18:19], v[22:23]
	v_add_f64 v[22:23], v[34:35], -v[44:45]
	v_add_f64 v[18:19], v[22:23], v[18:19]
	v_add_f64 v[22:23], v[48:49], v[18:19]
	v_add_f64 v[34:35], v[48:49], -v[22:23]
	v_add_f64 v[18:19], v[18:19], v[34:35]
	v_mul_f64 v[34:35], v[42:43], v[22:23]
	v_mul_f64 v[44:45], v[16:17], v[34:35]
	v_fma_f64 v[16:17], v[34:35], v[16:17], -v[44:45]
	v_fmac_f64_e32 v[16:17], v[34:35], v[14:15]
	v_add_f64 v[14:15], v[44:45], v[16:17]
	v_add_f64 v[46:47], v[22:23], -v[14:15]
	v_add_f64 v[22:23], v[22:23], -v[46:47]
	;; [unrolled: 1-line block ×4, first 2 shown]
	v_add_f64 v[14:15], v[18:19], v[14:15]
	v_add_f64 v[16:17], v[44:45], -v[16:17]
	v_add_f64 v[14:15], v[16:17], v[14:15]
	v_add_f64 v[16:17], v[20:21], v[34:35]
	;; [unrolled: 1-line block ×3, first 2 shown]
	v_add_f64 v[18:19], v[16:17], -v[20:21]
	v_mul_f64 v[14:15], v[42:43], v[14:15]
	v_add_f64 v[18:19], v[34:35], -v[18:19]
	v_add_f64 v[14:15], v[18:19], v[14:15]
	v_add_f64 v[18:19], v[16:17], v[14:15]
	v_add_f64 v[16:17], v[18:19], -v[16:17]
	s_mov_b32 s0, 0xbf559e2b
	v_add_f64 v[14:15], v[14:15], -v[16:17]
	v_mul_f64 v[16:17], v[18:19], v[18:19]
	v_mov_b32_e32 v20, 0x6b47b09a
	v_mov_b32_e32 v21, 0x3fc38538
	s_mov_b32 s1, 0x3fc3ab76
	v_fmac_f64_e32 v[20:21], s[0:1], v[16:17]
	v_mov_b32_e32 v22, 0xd7f4df2e
	v_mov_b32_e32 v23, 0x3fc7474d
	v_fmac_f64_e32 v[22:23], v[16:17], v[20:21]
	v_mov_b32_e32 v20, 0x16291751
	v_mov_b32_e32 v21, 0x3fcc71c0
	;; [unrolled: 3-line block ×5, first 2 shown]
	v_fmac_f64_e32 v[22:23], v[16:17], v[20:21]
	v_cvt_f64_i32_e32 v[20:21], v50
	s_mov_b32 s5, 0x3fe62e42
	v_mul_f64 v[34:35], v[20:21], s[4:5]
	v_fma_f64 v[42:43], v[20:21], s[4:5], -v[34:35]
	s_mov_b32 s7, 0x3c7abc9e
	v_fmac_f64_e32 v[42:43], s[6:7], v[20:21]
	v_add_f64 v[20:21], v[34:35], v[42:43]
	v_add_f64 v[34:35], v[20:21], -v[34:35]
	v_mul_f64 v[16:17], v[18:19], v[16:17]
	v_add_f64 v[34:35], v[42:43], -v[34:35]
	v_ldexp_f64 v[42:43], v[18:19], 1
	v_mul_f64 v[16:17], v[16:17], v[22:23]
	v_add_f64 v[18:19], v[42:43], v[16:17]
	v_add_f64 v[22:23], v[18:19], -v[42:43]
	v_ldexp_f64 v[14:15], v[14:15], 1
	v_add_f64 v[16:17], v[16:17], -v[22:23]
	v_add_f64 v[14:15], v[14:15], v[16:17]
	v_add_f64 v[16:17], v[18:19], v[14:15]
	v_add_f64 v[18:19], v[16:17], -v[18:19]
	v_add_f64 v[14:15], v[14:15], -v[18:19]
	v_add_f64 v[18:19], v[20:21], v[16:17]
	v_add_f64 v[22:23], v[18:19], -v[20:21]
	v_add_f64 v[42:43], v[18:19], -v[22:23]
	;; [unrolled: 1-line block ×4, first 2 shown]
	v_add_f64 v[16:17], v[16:17], v[20:21]
	v_add_f64 v[20:21], v[34:35], v[14:15]
	v_add_f64 v[22:23], v[20:21], -v[34:35]
	v_add_f64 v[16:17], v[20:21], v[16:17]
	v_add_f64 v[42:43], v[20:21], -v[22:23]
	v_add_f64 v[20:21], v[18:19], v[16:17]
	v_add_f64 v[34:35], v[34:35], -v[42:43]
	v_add_f64 v[14:15], v[14:15], -v[22:23]
	v_add_f64 v[18:19], v[20:21], -v[18:19]
	v_add_f64 v[14:15], v[14:15], v[34:35]
	v_add_f64 v[16:17], v[16:17], -v[18:19]
	s_mov_b32 s0, 0
	v_add_f64 v[14:15], v[14:15], v[16:17]
	s_mov_b32 s1, 0x7ff00000
	v_add_f64 v[14:15], v[20:21], v[14:15]
	v_cmp_eq_f64_e32 vcc, s[0:1], v[10:11]
	v_cndmask_b32_e32 v14, v14, v10, vcc
	v_cndmask_b32_e32 v15, v15, v11, vcc
	v_mov_b32_e32 v16, 0x7ff80000
	v_cmp_ngt_f64_e32 vcc, -1.0, v[10:11]
	v_cndmask_b32_e32 v15, v16, v15, vcc
	v_cmp_nge_f64_e32 vcc, -1.0, v[10:11]
	v_cndmask_b32_e32 v14, 0, v14, vcc
	v_mov_b32_e32 v16, 0xfff00000
	v_cmp_neq_f64_e32 vcc, -1.0, v[10:11]
	v_cndmask_b32_e32 v15, v16, v15, vcc
	v_add_f64 v[34:35], v[4:5], v[14:15]
.LBB3_250:
	s_or_b64 exec, exec, s[2:3]
	v_max_f64 v[4:5], v[34:35], v[34:35]
	v_min_f64 v[10:11], v[4:5], v[36:37]
	v_cmp_u_f64_e32 vcc, v[34:35], v[34:35]
	v_max_f64 v[4:5], v[4:5], v[36:37]
	v_cndmask_b32_e32 v10, v10, v34, vcc
	v_cndmask_b32_e32 v11, v11, v35, vcc
	;; [unrolled: 1-line block ×4, first 2 shown]
	v_cndmask_b32_e64 v11, v11, v13, s[12:13]
	v_cndmask_b32_e64 v10, v10, v12, s[12:13]
	;; [unrolled: 1-line block ×4, first 2 shown]
	v_cmp_neq_f64_e32 vcc, v[10:11], v[4:5]
	v_cmp_class_f64_e64 s[0:1], v[10:11], s8
	s_or_b64 s[0:1], vcc, s[0:1]
	v_pk_mov_b32 v[36:37], v[34:35], v[34:35] op_sel:[0,1]
	s_and_saveexec_b64 s[2:3], s[0:1]
	s_cbranch_execz .LBB3_252
; %bb.251:
	s_mov_b32 s0, 0x652b82fe
	v_add_f64 v[10:11], v[10:11], -v[4:5]
	s_mov_b32 s1, 0x3ff71547
	v_mul_f64 v[12:13], v[10:11], s[0:1]
	v_rndne_f64_e32 v[12:13], v[12:13]
	s_mov_b32 s5, 0xbfe62e42
	s_mov_b32 s4, 0xfefa39ef
	v_fma_f64 v[14:15], s[4:5], v[12:13], v[10:11]
	s_mov_b32 s7, 0xbc7abc9e
	s_mov_b32 s6, 0x3b39803f
	;; [unrolled: 1-line block ×3, first 2 shown]
	v_fmac_f64_e32 v[14:15], s[6:7], v[12:13]
	v_mov_b32_e32 v16, 0xfca7ab0c
	v_mov_b32_e32 v17, 0x3e928af3
	s_mov_b32 s1, 0x3e5ade15
	v_fmac_f64_e32 v[16:17], s[0:1], v[14:15]
	v_mov_b32_e32 v18, 0x623fde64
	v_mov_b32_e32 v19, 0x3ec71dee
	v_fmac_f64_e32 v[18:19], v[14:15], v[16:17]
	v_mov_b32_e32 v16, 0x7c89e6b0
	v_mov_b32_e32 v17, 0x3efa0199
	;; [unrolled: 3-line block ×8, first 2 shown]
	s_mov_b32 s0, 0
	v_fmac_f64_e32 v[16:17], v[14:15], v[18:19]
	s_mov_b32 s1, 0x40900000
	v_fma_f64 v[16:17], v[14:15], v[16:17], 1.0
	v_cmp_nlt_f64_e32 vcc, s[0:1], v[10:11]
	s_mov_b32 s0, 0
	v_fma_f64 v[14:15], v[14:15], v[16:17], 1.0
	v_cvt_i32_f64_e32 v12, v[12:13]
	s_mov_b32 s1, 0xc090cc00
	v_ldexp_f64 v[12:13], v[14:15], v12
	v_mov_b32_e32 v14, 0x7ff00000
	v_cmp_ngt_f64_e64 s[0:1], s[0:1], v[10:11]
	v_cndmask_b32_e32 v13, v14, v13, vcc
	s_and_b64 vcc, s[0:1], vcc
	v_cndmask_b32_e64 v11, 0, v13, s[0:1]
	v_cndmask_b32_e32 v10, 0, v12, vcc
	v_add_f64 v[12:13], v[10:11], 1.0
	v_add_f64 v[14:15], v[12:13], -1.0
	v_add_f64 v[16:17], v[14:15], -v[12:13]
	v_add_f64 v[16:17], v[16:17], 1.0
	v_add_f64 v[14:15], v[10:11], -v[14:15]
	s_mov_b32 s0, 0x55555555
	v_add_f64 v[14:15], v[14:15], v[16:17]
	v_frexp_mant_f64_e32 v[16:17], v[12:13]
	s_mov_b32 s1, 0x3fe55555
	v_frexp_exp_i32_f64_e32 v18, v[12:13]
	v_cmp_gt_f64_e32 vcc, s[0:1], v[16:17]
	v_subbrev_co_u32_e32 v48, vcc, 0, v18, vcc
	v_sub_u32_e32 v16, 0, v48
	v_ldexp_f64 v[12:13], v[12:13], v16
	v_ldexp_f64 v[14:15], v[14:15], v16
	v_add_f64 v[16:17], v[12:13], -1.0
	v_add_f64 v[22:23], v[12:13], 1.0
	v_add_f64 v[18:19], v[16:17], 1.0
	v_add_f64 v[36:37], v[22:23], -1.0
	v_add_f64 v[18:19], v[12:13], -v[18:19]
	v_add_f64 v[12:13], v[12:13], -v[36:37]
	v_add_f64 v[12:13], v[14:15], v[12:13]
	v_add_f64 v[18:19], v[14:15], v[18:19]
	;; [unrolled: 1-line block ×3, first 2 shown]
	v_rcp_f64_e32 v[36:37], v[14:15]
	v_add_f64 v[20:21], v[16:17], v[18:19]
	v_add_f64 v[16:17], v[20:21], -v[16:17]
	v_add_f64 v[16:17], v[18:19], -v[16:17]
	;; [unrolled: 1-line block ×4, first 2 shown]
	v_fma_f64 v[18:19], -v[14:15], v[36:37], 1.0
	v_fmac_f64_e32 v[36:37], v[18:19], v[36:37]
	v_fma_f64 v[18:19], -v[14:15], v[36:37], 1.0
	v_fmac_f64_e32 v[36:37], v[18:19], v[36:37]
	v_mul_f64 v[18:19], v[20:21], v[36:37]
	v_mul_f64 v[22:23], v[14:15], v[18:19]
	v_fma_f64 v[42:43], v[18:19], v[14:15], -v[22:23]
	v_fmac_f64_e32 v[42:43], v[18:19], v[12:13]
	v_add_f64 v[44:45], v[22:23], v[42:43]
	s_waitcnt lgkmcnt(0)
	v_add_f64 v[46:47], v[20:21], -v[44:45]
	v_add_f64 v[20:21], v[20:21], -v[46:47]
	v_add_f64 v[22:23], v[44:45], -v[22:23]
	v_add_f64 v[20:21], v[20:21], -v[44:45]
	v_add_f64 v[16:17], v[16:17], v[20:21]
	v_add_f64 v[20:21], v[22:23], -v[42:43]
	v_add_f64 v[16:17], v[20:21], v[16:17]
	v_add_f64 v[20:21], v[46:47], v[16:17]
	v_add_f64 v[22:23], v[46:47], -v[20:21]
	v_add_f64 v[16:17], v[16:17], v[22:23]
	v_mul_f64 v[22:23], v[36:37], v[20:21]
	v_mul_f64 v[42:43], v[14:15], v[22:23]
	v_fma_f64 v[14:15], v[22:23], v[14:15], -v[42:43]
	v_fmac_f64_e32 v[14:15], v[22:23], v[12:13]
	v_add_f64 v[12:13], v[42:43], v[14:15]
	v_add_f64 v[44:45], v[20:21], -v[12:13]
	v_add_f64 v[20:21], v[20:21], -v[44:45]
	;; [unrolled: 1-line block ×4, first 2 shown]
	v_add_f64 v[12:13], v[16:17], v[12:13]
	v_add_f64 v[14:15], v[42:43], -v[14:15]
	v_add_f64 v[12:13], v[14:15], v[12:13]
	v_add_f64 v[14:15], v[18:19], v[22:23]
	;; [unrolled: 1-line block ×3, first 2 shown]
	v_add_f64 v[16:17], v[14:15], -v[18:19]
	v_mul_f64 v[12:13], v[36:37], v[12:13]
	v_add_f64 v[16:17], v[22:23], -v[16:17]
	v_add_f64 v[12:13], v[16:17], v[12:13]
	v_add_f64 v[16:17], v[14:15], v[12:13]
	v_add_f64 v[14:15], v[16:17], -v[14:15]
	s_mov_b32 s0, 0xbf559e2b
	v_add_f64 v[12:13], v[12:13], -v[14:15]
	v_mul_f64 v[14:15], v[16:17], v[16:17]
	v_mov_b32_e32 v18, 0x6b47b09a
	v_mov_b32_e32 v19, 0x3fc38538
	s_mov_b32 s1, 0x3fc3ab76
	v_fmac_f64_e32 v[18:19], s[0:1], v[14:15]
	v_mov_b32_e32 v20, 0xd7f4df2e
	v_mov_b32_e32 v21, 0x3fc7474d
	v_fmac_f64_e32 v[20:21], v[14:15], v[18:19]
	v_mov_b32_e32 v18, 0x16291751
	v_mov_b32_e32 v19, 0x3fcc71c0
	;; [unrolled: 3-line block ×5, first 2 shown]
	v_fmac_f64_e32 v[20:21], v[14:15], v[18:19]
	v_cvt_f64_i32_e32 v[18:19], v48
	s_mov_b32 s5, 0x3fe62e42
	v_mul_f64 v[22:23], v[18:19], s[4:5]
	v_fma_f64 v[36:37], v[18:19], s[4:5], -v[22:23]
	s_mov_b32 s7, 0x3c7abc9e
	v_fmac_f64_e32 v[36:37], s[6:7], v[18:19]
	v_add_f64 v[18:19], v[22:23], v[36:37]
	v_add_f64 v[22:23], v[18:19], -v[22:23]
	v_mul_f64 v[14:15], v[16:17], v[14:15]
	v_add_f64 v[22:23], v[36:37], -v[22:23]
	v_ldexp_f64 v[36:37], v[16:17], 1
	v_mul_f64 v[14:15], v[14:15], v[20:21]
	v_add_f64 v[16:17], v[36:37], v[14:15]
	v_add_f64 v[20:21], v[16:17], -v[36:37]
	v_ldexp_f64 v[12:13], v[12:13], 1
	v_add_f64 v[14:15], v[14:15], -v[20:21]
	v_add_f64 v[12:13], v[12:13], v[14:15]
	v_add_f64 v[14:15], v[16:17], v[12:13]
	v_add_f64 v[16:17], v[14:15], -v[16:17]
	v_add_f64 v[12:13], v[12:13], -v[16:17]
	v_add_f64 v[16:17], v[18:19], v[14:15]
	v_add_f64 v[20:21], v[16:17], -v[18:19]
	v_add_f64 v[36:37], v[16:17], -v[20:21]
	;; [unrolled: 1-line block ×4, first 2 shown]
	v_add_f64 v[14:15], v[14:15], v[18:19]
	v_add_f64 v[18:19], v[22:23], v[12:13]
	v_add_f64 v[20:21], v[18:19], -v[22:23]
	v_add_f64 v[14:15], v[18:19], v[14:15]
	v_add_f64 v[36:37], v[18:19], -v[20:21]
	;; [unrolled: 2-line block ×3, first 2 shown]
	v_add_f64 v[12:13], v[12:13], -v[20:21]
	v_add_f64 v[16:17], v[18:19], -v[16:17]
	v_add_f64 v[12:13], v[12:13], v[22:23]
	v_add_f64 v[14:15], v[14:15], -v[16:17]
	s_mov_b32 s0, 0
	v_add_f64 v[12:13], v[12:13], v[14:15]
	s_mov_b32 s1, 0x7ff00000
	v_add_f64 v[12:13], v[18:19], v[12:13]
	v_cmp_eq_f64_e32 vcc, s[0:1], v[10:11]
	v_cndmask_b32_e32 v12, v12, v10, vcc
	v_cndmask_b32_e32 v13, v13, v11, vcc
	v_mov_b32_e32 v14, 0x7ff80000
	v_cmp_ngt_f64_e32 vcc, -1.0, v[10:11]
	v_cndmask_b32_e32 v13, v14, v13, vcc
	v_cmp_nge_f64_e32 vcc, -1.0, v[10:11]
	v_cndmask_b32_e32 v12, 0, v12, vcc
	v_mov_b32_e32 v14, 0xfff00000
	v_cmp_neq_f64_e32 vcc, -1.0, v[10:11]
	v_cndmask_b32_e32 v13, v14, v13, vcc
	v_add_f64 v[36:37], v[4:5], v[12:13]
.LBB3_252:
	s_or_b64 exec, exec, s[2:3]
	v_max_f64 v[4:5], v[36:37], v[36:37]
	v_min_f64 v[10:11], v[4:5], v[38:39]
	v_cmp_u_f64_e32 vcc, v[36:37], v[36:37]
	v_max_f64 v[4:5], v[4:5], v[38:39]
	v_cndmask_b32_e32 v10, v10, v36, vcc
	v_cndmask_b32_e32 v11, v11, v37, vcc
	;; [unrolled: 1-line block ×4, first 2 shown]
	v_cndmask_b32_e64 v11, v11, v7, s[14:15]
	v_cndmask_b32_e64 v10, v10, v6, s[14:15]
	;; [unrolled: 1-line block ×4, first 2 shown]
	v_cmp_neq_f64_e32 vcc, v[10:11], v[4:5]
	v_cmp_class_f64_e64 s[0:1], v[10:11], s8
	s_or_b64 s[0:1], vcc, s[0:1]
	v_pk_mov_b32 v[38:39], v[36:37], v[36:37] op_sel:[0,1]
	s_and_saveexec_b64 s[2:3], s[0:1]
	s_cbranch_execz .LBB3_254
; %bb.253:
	s_mov_b32 s0, 0x652b82fe
	v_add_f64 v[6:7], v[10:11], -v[4:5]
	s_mov_b32 s1, 0x3ff71547
	v_mul_f64 v[10:11], v[6:7], s[0:1]
	v_rndne_f64_e32 v[10:11], v[10:11]
	s_mov_b32 s5, 0xbfe62e42
	s_mov_b32 s4, 0xfefa39ef
	v_fma_f64 v[12:13], s[4:5], v[10:11], v[6:7]
	s_mov_b32 s7, 0xbc7abc9e
	s_mov_b32 s6, 0x3b39803f
	;; [unrolled: 1-line block ×3, first 2 shown]
	v_fmac_f64_e32 v[12:13], s[6:7], v[10:11]
	v_mov_b32_e32 v14, 0xfca7ab0c
	v_mov_b32_e32 v15, 0x3e928af3
	s_mov_b32 s1, 0x3e5ade15
	v_fmac_f64_e32 v[14:15], s[0:1], v[12:13]
	v_mov_b32_e32 v16, 0x623fde64
	v_mov_b32_e32 v17, 0x3ec71dee
	v_fmac_f64_e32 v[16:17], v[12:13], v[14:15]
	v_mov_b32_e32 v14, 0x7c89e6b0
	v_mov_b32_e32 v15, 0x3efa0199
	;; [unrolled: 3-line block ×8, first 2 shown]
	s_mov_b32 s0, 0
	v_fmac_f64_e32 v[14:15], v[12:13], v[16:17]
	s_mov_b32 s1, 0x40900000
	v_fma_f64 v[14:15], v[12:13], v[14:15], 1.0
	v_cmp_nlt_f64_e32 vcc, s[0:1], v[6:7]
	s_mov_b32 s0, 0
	v_fma_f64 v[12:13], v[12:13], v[14:15], 1.0
	v_cvt_i32_f64_e32 v10, v[10:11]
	s_mov_b32 s1, 0xc090cc00
	v_ldexp_f64 v[10:11], v[12:13], v10
	v_mov_b32_e32 v12, 0x7ff00000
	v_cmp_ngt_f64_e64 s[0:1], s[0:1], v[6:7]
	v_cndmask_b32_e32 v11, v12, v11, vcc
	s_and_b64 vcc, s[0:1], vcc
	v_cndmask_b32_e64 v7, 0, v11, s[0:1]
	v_cndmask_b32_e32 v6, 0, v10, vcc
	v_add_f64 v[10:11], v[6:7], 1.0
	v_add_f64 v[12:13], v[10:11], -1.0
	v_add_f64 v[14:15], v[12:13], -v[10:11]
	v_add_f64 v[14:15], v[14:15], 1.0
	v_add_f64 v[12:13], v[6:7], -v[12:13]
	s_mov_b32 s0, 0x55555555
	v_add_f64 v[12:13], v[12:13], v[14:15]
	v_frexp_mant_f64_e32 v[14:15], v[10:11]
	s_mov_b32 s1, 0x3fe55555
	v_frexp_exp_i32_f64_e32 v16, v[10:11]
	v_cmp_gt_f64_e32 vcc, s[0:1], v[14:15]
	s_waitcnt lgkmcnt(1)
	v_subbrev_co_u32_e32 v46, vcc, 0, v16, vcc
	v_sub_u32_e32 v14, 0, v46
	v_ldexp_f64 v[10:11], v[10:11], v14
	v_ldexp_f64 v[12:13], v[12:13], v14
	v_add_f64 v[14:15], v[10:11], -1.0
	v_add_f64 v[20:21], v[10:11], 1.0
	v_add_f64 v[16:17], v[14:15], 1.0
	v_add_f64 v[22:23], v[20:21], -1.0
	v_add_f64 v[16:17], v[10:11], -v[16:17]
	v_add_f64 v[10:11], v[10:11], -v[22:23]
	v_add_f64 v[10:11], v[12:13], v[10:11]
	v_add_f64 v[16:17], v[12:13], v[16:17]
	v_add_f64 v[12:13], v[20:21], v[10:11]
	v_rcp_f64_e32 v[22:23], v[12:13]
	v_add_f64 v[18:19], v[14:15], v[16:17]
	v_add_f64 v[14:15], v[18:19], -v[14:15]
	v_add_f64 v[14:15], v[16:17], -v[14:15]
	;; [unrolled: 1-line block ×4, first 2 shown]
	v_fma_f64 v[16:17], -v[12:13], v[22:23], 1.0
	v_fmac_f64_e32 v[22:23], v[16:17], v[22:23]
	v_fma_f64 v[16:17], -v[12:13], v[22:23], 1.0
	v_fmac_f64_e32 v[22:23], v[16:17], v[22:23]
	v_mul_f64 v[16:17], v[18:19], v[22:23]
	v_mul_f64 v[20:21], v[12:13], v[16:17]
	v_fma_f64 v[38:39], v[16:17], v[12:13], -v[20:21]
	v_fmac_f64_e32 v[38:39], v[16:17], v[10:11]
	v_add_f64 v[42:43], v[20:21], v[38:39]
	v_add_f64 v[44:45], v[18:19], -v[42:43]
	v_add_f64 v[18:19], v[18:19], -v[44:45]
	;; [unrolled: 1-line block ×4, first 2 shown]
	v_add_f64 v[14:15], v[14:15], v[18:19]
	v_add_f64 v[18:19], v[20:21], -v[38:39]
	v_add_f64 v[14:15], v[18:19], v[14:15]
	v_add_f64 v[18:19], v[44:45], v[14:15]
	v_add_f64 v[20:21], v[44:45], -v[18:19]
	v_add_f64 v[14:15], v[14:15], v[20:21]
	v_mul_f64 v[20:21], v[22:23], v[18:19]
	v_mul_f64 v[38:39], v[12:13], v[20:21]
	v_fma_f64 v[12:13], v[20:21], v[12:13], -v[38:39]
	v_fmac_f64_e32 v[12:13], v[20:21], v[10:11]
	v_add_f64 v[10:11], v[38:39], v[12:13]
	v_add_f64 v[42:43], v[18:19], -v[10:11]
	v_add_f64 v[18:19], v[18:19], -v[42:43]
	v_add_f64 v[38:39], v[10:11], -v[38:39]
	v_add_f64 v[10:11], v[18:19], -v[10:11]
	v_add_f64 v[10:11], v[14:15], v[10:11]
	v_add_f64 v[12:13], v[38:39], -v[12:13]
	v_add_f64 v[10:11], v[12:13], v[10:11]
	v_add_f64 v[12:13], v[16:17], v[20:21]
	;; [unrolled: 1-line block ×3, first 2 shown]
	v_add_f64 v[14:15], v[12:13], -v[16:17]
	v_mul_f64 v[10:11], v[22:23], v[10:11]
	v_add_f64 v[14:15], v[20:21], -v[14:15]
	v_add_f64 v[10:11], v[14:15], v[10:11]
	v_add_f64 v[14:15], v[12:13], v[10:11]
	v_add_f64 v[12:13], v[14:15], -v[12:13]
	s_mov_b32 s0, 0xbf559e2b
	v_add_f64 v[10:11], v[10:11], -v[12:13]
	v_mul_f64 v[12:13], v[14:15], v[14:15]
	v_mov_b32_e32 v16, 0x6b47b09a
	v_mov_b32_e32 v17, 0x3fc38538
	s_mov_b32 s1, 0x3fc3ab76
	v_fmac_f64_e32 v[16:17], s[0:1], v[12:13]
	v_mov_b32_e32 v18, 0xd7f4df2e
	v_mov_b32_e32 v19, 0x3fc7474d
	v_fmac_f64_e32 v[18:19], v[12:13], v[16:17]
	v_mov_b32_e32 v16, 0x16291751
	v_mov_b32_e32 v17, 0x3fcc71c0
	;; [unrolled: 3-line block ×5, first 2 shown]
	v_fmac_f64_e32 v[18:19], v[12:13], v[16:17]
	v_cvt_f64_i32_e32 v[16:17], v46
	s_mov_b32 s5, 0x3fe62e42
	v_mul_f64 v[20:21], v[16:17], s[4:5]
	v_fma_f64 v[22:23], v[16:17], s[4:5], -v[20:21]
	s_mov_b32 s7, 0x3c7abc9e
	v_fmac_f64_e32 v[22:23], s[6:7], v[16:17]
	v_add_f64 v[16:17], v[20:21], v[22:23]
	v_add_f64 v[20:21], v[16:17], -v[20:21]
	v_mul_f64 v[12:13], v[14:15], v[12:13]
	v_add_f64 v[20:21], v[22:23], -v[20:21]
	v_ldexp_f64 v[22:23], v[14:15], 1
	v_mul_f64 v[12:13], v[12:13], v[18:19]
	v_add_f64 v[14:15], v[22:23], v[12:13]
	v_add_f64 v[18:19], v[14:15], -v[22:23]
	v_ldexp_f64 v[10:11], v[10:11], 1
	v_add_f64 v[12:13], v[12:13], -v[18:19]
	v_add_f64 v[10:11], v[10:11], v[12:13]
	v_add_f64 v[12:13], v[14:15], v[10:11]
	v_add_f64 v[14:15], v[12:13], -v[14:15]
	v_add_f64 v[10:11], v[10:11], -v[14:15]
	v_add_f64 v[14:15], v[16:17], v[12:13]
	v_add_f64 v[18:19], v[14:15], -v[16:17]
	v_add_f64 v[22:23], v[14:15], -v[18:19]
	;; [unrolled: 1-line block ×4, first 2 shown]
	v_add_f64 v[12:13], v[12:13], v[16:17]
	v_add_f64 v[16:17], v[20:21], v[10:11]
	v_add_f64 v[18:19], v[16:17], -v[20:21]
	v_add_f64 v[12:13], v[16:17], v[12:13]
	v_add_f64 v[22:23], v[16:17], -v[18:19]
	;; [unrolled: 2-line block ×3, first 2 shown]
	v_add_f64 v[10:11], v[10:11], -v[18:19]
	v_add_f64 v[14:15], v[16:17], -v[14:15]
	v_add_f64 v[10:11], v[10:11], v[20:21]
	v_add_f64 v[12:13], v[12:13], -v[14:15]
	s_mov_b32 s0, 0
	v_add_f64 v[10:11], v[10:11], v[12:13]
	s_mov_b32 s1, 0x7ff00000
	v_add_f64 v[10:11], v[16:17], v[10:11]
	v_cmp_eq_f64_e32 vcc, s[0:1], v[6:7]
	v_cndmask_b32_e32 v10, v10, v6, vcc
	v_cndmask_b32_e32 v11, v11, v7, vcc
	v_mov_b32_e32 v12, 0x7ff80000
	v_cmp_ngt_f64_e32 vcc, -1.0, v[6:7]
	v_cndmask_b32_e32 v11, v12, v11, vcc
	v_cmp_nge_f64_e32 vcc, -1.0, v[6:7]
	v_cndmask_b32_e32 v10, 0, v10, vcc
	v_mov_b32_e32 v12, 0xfff00000
	v_cmp_neq_f64_e32 vcc, -1.0, v[6:7]
	v_cndmask_b32_e32 v11, v12, v11, vcc
	v_add_f64 v[38:39], v[4:5], v[10:11]
.LBB3_254:
	s_or_b64 exec, exec, s[2:3]
	v_max_f64 v[4:5], v[38:39], v[38:39]
	v_min_f64 v[6:7], v[4:5], v[40:41]
	v_cmp_u_f64_e32 vcc, v[38:39], v[38:39]
	v_max_f64 v[4:5], v[4:5], v[40:41]
	v_cndmask_b32_e32 v6, v6, v38, vcc
	v_cndmask_b32_e32 v7, v7, v39, vcc
	;; [unrolled: 1-line block ×4, first 2 shown]
	v_cndmask_b32_e64 v7, v7, v9, s[16:17]
	v_cndmask_b32_e64 v6, v6, v8, s[16:17]
	v_cndmask_b32_e64 v5, v5, v9, s[16:17]
	v_cndmask_b32_e64 v4, v4, v8, s[16:17]
	s_movk_i32 s0, 0x1f8
	v_cmp_neq_f64_e32 vcc, v[6:7], v[4:5]
	v_cmp_class_f64_e64 s[0:1], v[6:7], s0
	s_or_b64 s[0:1], vcc, s[0:1]
	v_pk_mov_b32 v[40:41], v[38:39], v[38:39] op_sel:[0,1]
	s_and_saveexec_b64 s[2:3], s[0:1]
	s_cbranch_execz .LBB3_256
; %bb.255:
	s_mov_b32 s0, 0x652b82fe
	v_add_f64 v[6:7], v[6:7], -v[4:5]
	s_mov_b32 s1, 0x3ff71547
	v_mul_f64 v[8:9], v[6:7], s[0:1]
	v_rndne_f64_e32 v[8:9], v[8:9]
	s_mov_b32 s5, 0xbfe62e42
	s_mov_b32 s4, 0xfefa39ef
	v_fma_f64 v[10:11], s[4:5], v[8:9], v[6:7]
	s_mov_b32 s7, 0xbc7abc9e
	s_mov_b32 s6, 0x3b39803f
	s_mov_b32 s0, 0x6a5dcb37
	v_fmac_f64_e32 v[10:11], s[6:7], v[8:9]
	v_mov_b32_e32 v12, 0xfca7ab0c
	v_mov_b32_e32 v13, 0x3e928af3
	s_mov_b32 s1, 0x3e5ade15
	v_fmac_f64_e32 v[12:13], s[0:1], v[10:11]
	v_mov_b32_e32 v14, 0x623fde64
	v_mov_b32_e32 v15, 0x3ec71dee
	v_fmac_f64_e32 v[14:15], v[10:11], v[12:13]
	v_mov_b32_e32 v12, 0x7c89e6b0
	v_mov_b32_e32 v13, 0x3efa0199
	;; [unrolled: 3-line block ×8, first 2 shown]
	s_mov_b32 s0, 0
	v_fmac_f64_e32 v[12:13], v[10:11], v[14:15]
	s_mov_b32 s1, 0x40900000
	v_fma_f64 v[12:13], v[10:11], v[12:13], 1.0
	v_cmp_nlt_f64_e32 vcc, s[0:1], v[6:7]
	s_mov_b32 s0, 0
	v_fma_f64 v[10:11], v[10:11], v[12:13], 1.0
	v_cvt_i32_f64_e32 v8, v[8:9]
	s_mov_b32 s1, 0xc090cc00
	v_ldexp_f64 v[8:9], v[10:11], v8
	v_mov_b32_e32 v10, 0x7ff00000
	v_cmp_ngt_f64_e64 s[0:1], s[0:1], v[6:7]
	v_cndmask_b32_e32 v9, v10, v9, vcc
	s_and_b64 vcc, s[0:1], vcc
	v_cndmask_b32_e64 v7, 0, v9, s[0:1]
	v_cndmask_b32_e32 v6, 0, v8, vcc
	v_add_f64 v[8:9], v[6:7], 1.0
	v_add_f64 v[10:11], v[8:9], -1.0
	v_add_f64 v[12:13], v[10:11], -v[8:9]
	v_add_f64 v[12:13], v[12:13], 1.0
	v_add_f64 v[10:11], v[6:7], -v[10:11]
	s_mov_b32 s0, 0x55555555
	v_add_f64 v[10:11], v[10:11], v[12:13]
	v_frexp_mant_f64_e32 v[12:13], v[8:9]
	s_mov_b32 s1, 0x3fe55555
	v_frexp_exp_i32_f64_e32 v14, v[8:9]
	v_cmp_gt_f64_e32 vcc, s[0:1], v[12:13]
	v_subbrev_co_u32_e32 v44, vcc, 0, v14, vcc
	v_sub_u32_e32 v12, 0, v44
	v_ldexp_f64 v[8:9], v[8:9], v12
	v_ldexp_f64 v[10:11], v[10:11], v12
	v_add_f64 v[12:13], v[8:9], -1.0
	v_add_f64 v[18:19], v[8:9], 1.0
	v_add_f64 v[14:15], v[12:13], 1.0
	v_add_f64 v[20:21], v[18:19], -1.0
	v_add_f64 v[14:15], v[8:9], -v[14:15]
	v_add_f64 v[8:9], v[8:9], -v[20:21]
	v_add_f64 v[8:9], v[10:11], v[8:9]
	v_add_f64 v[14:15], v[10:11], v[14:15]
	;; [unrolled: 1-line block ×3, first 2 shown]
	v_rcp_f64_e32 v[20:21], v[10:11]
	v_add_f64 v[16:17], v[12:13], v[14:15]
	v_add_f64 v[12:13], v[16:17], -v[12:13]
	v_add_f64 v[12:13], v[14:15], -v[12:13]
	;; [unrolled: 1-line block ×4, first 2 shown]
	v_fma_f64 v[14:15], -v[10:11], v[20:21], 1.0
	v_fmac_f64_e32 v[20:21], v[14:15], v[20:21]
	v_fma_f64 v[14:15], -v[10:11], v[20:21], 1.0
	v_fmac_f64_e32 v[20:21], v[14:15], v[20:21]
	v_mul_f64 v[14:15], v[16:17], v[20:21]
	v_mul_f64 v[18:19], v[10:11], v[14:15]
	v_fma_f64 v[22:23], v[14:15], v[10:11], -v[18:19]
	v_fmac_f64_e32 v[22:23], v[14:15], v[8:9]
	v_add_f64 v[40:41], v[18:19], v[22:23]
	v_add_f64 v[42:43], v[16:17], -v[40:41]
	v_add_f64 v[16:17], v[16:17], -v[42:43]
	;; [unrolled: 1-line block ×4, first 2 shown]
	v_add_f64 v[12:13], v[12:13], v[16:17]
	v_add_f64 v[16:17], v[18:19], -v[22:23]
	v_add_f64 v[12:13], v[16:17], v[12:13]
	v_add_f64 v[16:17], v[42:43], v[12:13]
	v_add_f64 v[18:19], v[42:43], -v[16:17]
	v_add_f64 v[12:13], v[12:13], v[18:19]
	v_mul_f64 v[18:19], v[20:21], v[16:17]
	v_mul_f64 v[22:23], v[10:11], v[18:19]
	v_fma_f64 v[10:11], v[18:19], v[10:11], -v[22:23]
	v_fmac_f64_e32 v[10:11], v[18:19], v[8:9]
	v_add_f64 v[8:9], v[22:23], v[10:11]
	v_add_f64 v[40:41], v[16:17], -v[8:9]
	v_add_f64 v[16:17], v[16:17], -v[40:41]
	;; [unrolled: 1-line block ×4, first 2 shown]
	v_add_f64 v[8:9], v[12:13], v[8:9]
	v_add_f64 v[10:11], v[22:23], -v[10:11]
	v_add_f64 v[8:9], v[10:11], v[8:9]
	v_add_f64 v[10:11], v[14:15], v[18:19]
	;; [unrolled: 1-line block ×3, first 2 shown]
	v_add_f64 v[12:13], v[10:11], -v[14:15]
	v_mul_f64 v[8:9], v[20:21], v[8:9]
	v_add_f64 v[12:13], v[18:19], -v[12:13]
	v_add_f64 v[8:9], v[12:13], v[8:9]
	v_add_f64 v[12:13], v[10:11], v[8:9]
	v_add_f64 v[10:11], v[12:13], -v[10:11]
	s_mov_b32 s0, 0xbf559e2b
	v_add_f64 v[8:9], v[8:9], -v[10:11]
	v_mul_f64 v[10:11], v[12:13], v[12:13]
	v_mov_b32_e32 v14, 0x6b47b09a
	v_mov_b32_e32 v15, 0x3fc38538
	s_mov_b32 s1, 0x3fc3ab76
	v_fmac_f64_e32 v[14:15], s[0:1], v[10:11]
	v_mov_b32_e32 v16, 0xd7f4df2e
	v_mov_b32_e32 v17, 0x3fc7474d
	v_fmac_f64_e32 v[16:17], v[10:11], v[14:15]
	v_mov_b32_e32 v14, 0x16291751
	v_mov_b32_e32 v15, 0x3fcc71c0
	;; [unrolled: 3-line block ×5, first 2 shown]
	v_fmac_f64_e32 v[16:17], v[10:11], v[14:15]
	v_cvt_f64_i32_e32 v[14:15], v44
	s_mov_b32 s5, 0x3fe62e42
	v_mul_f64 v[18:19], v[14:15], s[4:5]
	v_fma_f64 v[20:21], v[14:15], s[4:5], -v[18:19]
	s_mov_b32 s7, 0x3c7abc9e
	v_fmac_f64_e32 v[20:21], s[6:7], v[14:15]
	v_add_f64 v[14:15], v[18:19], v[20:21]
	v_add_f64 v[18:19], v[14:15], -v[18:19]
	v_mul_f64 v[10:11], v[12:13], v[10:11]
	v_add_f64 v[18:19], v[20:21], -v[18:19]
	v_ldexp_f64 v[20:21], v[12:13], 1
	v_mul_f64 v[10:11], v[10:11], v[16:17]
	v_add_f64 v[12:13], v[20:21], v[10:11]
	v_add_f64 v[16:17], v[12:13], -v[20:21]
	v_ldexp_f64 v[8:9], v[8:9], 1
	v_add_f64 v[10:11], v[10:11], -v[16:17]
	v_add_f64 v[8:9], v[8:9], v[10:11]
	v_add_f64 v[10:11], v[12:13], v[8:9]
	v_add_f64 v[12:13], v[10:11], -v[12:13]
	v_add_f64 v[8:9], v[8:9], -v[12:13]
	v_add_f64 v[12:13], v[14:15], v[10:11]
	v_add_f64 v[16:17], v[12:13], -v[14:15]
	v_add_f64 v[20:21], v[12:13], -v[16:17]
	;; [unrolled: 1-line block ×4, first 2 shown]
	v_add_f64 v[10:11], v[10:11], v[14:15]
	v_add_f64 v[14:15], v[18:19], v[8:9]
	v_add_f64 v[16:17], v[14:15], -v[18:19]
	v_add_f64 v[10:11], v[14:15], v[10:11]
	v_add_f64 v[20:21], v[14:15], -v[16:17]
	v_add_f64 v[14:15], v[12:13], v[10:11]
	v_add_f64 v[18:19], v[18:19], -v[20:21]
	v_add_f64 v[8:9], v[8:9], -v[16:17]
	v_add_f64 v[12:13], v[14:15], -v[12:13]
	v_add_f64 v[8:9], v[8:9], v[18:19]
	v_add_f64 v[10:11], v[10:11], -v[12:13]
	s_mov_b32 s0, 0
	v_add_f64 v[8:9], v[8:9], v[10:11]
	s_mov_b32 s1, 0x7ff00000
	v_add_f64 v[8:9], v[14:15], v[8:9]
	v_cmp_eq_f64_e32 vcc, s[0:1], v[6:7]
	v_cndmask_b32_e32 v8, v8, v6, vcc
	v_cndmask_b32_e32 v9, v9, v7, vcc
	v_mov_b32_e32 v10, 0x7ff80000
	v_cmp_ngt_f64_e32 vcc, -1.0, v[6:7]
	v_cndmask_b32_e32 v9, v10, v9, vcc
	v_cmp_nge_f64_e32 vcc, -1.0, v[6:7]
	v_cndmask_b32_e32 v8, 0, v8, vcc
	v_mov_b32_e32 v10, 0xfff00000
	v_cmp_neq_f64_e32 vcc, -1.0, v[6:7]
	v_cndmask_b32_e32 v9, v10, v9, vcc
	v_add_f64 v[40:41], v[4:5], v[8:9]
.LBB3_256:
	s_or_b64 exec, exec, s[2:3]
	s_movk_i32 s0, 0x7f
	v_cmp_eq_u32_e32 vcc, s0, v0
	s_and_saveexec_b64 s[0:1], vcc
	s_cbranch_execz .LBB3_258
; %bb.257:
	s_add_u32 s2, s58, 0x400
	s_addc_u32 s3, s59, 0
	v_mov_b32_e32 v6, 2
	v_mov_b32_e32 v7, 0
	;; [unrolled: 1-line block ×4, first 2 shown]
	v_pk_mov_b32 v[8:9], s[2:3], s[2:3] op_sel:[0,1]
	;;#ASMSTART
	global_store_dwordx4 v[8:9], v[4:7] off	
s_waitcnt vmcnt(0)
	;;#ASMEND
.LBB3_258:
	s_or_b64 exec, exec, s[0:1]
	v_pk_mov_b32 v[22:23], v[2:3], v[2:3] op_sel:[0,1]
.LBB3_259:
	s_add_u32 s0, s28, s34
	s_addc_u32 s1, s29, s35
	s_add_u32 s0, s0, s56
	s_addc_u32 s1, s1, s57
	s_mov_b64 s[2:3], -1
	s_and_b64 vcc, exec, s[30:31]
	s_waitcnt lgkmcnt(0)
	s_barrier
	s_cbranch_vccz .LBB3_261
; %bb.260:
	ds_write_b128 v1, v[22:25]
	ds_write_b128 v1, v[26:29] offset:16
	ds_write_b128 v1, v[30:33] offset:32
	;; [unrolled: 1-line block ×4, first 2 shown]
	s_waitcnt lgkmcnt(0)
	s_barrier
	ds_read2st64_b64 v[2:5], v92 offset1:2
	ds_read2st64_b64 v[6:9], v92 offset0:4 offset1:6
	ds_read2st64_b64 v[10:13], v92 offset0:8 offset1:10
	;; [unrolled: 1-line block ×4, first 2 shown]
	v_mov_b32_e32 v42, s1
	v_add_co_u32_e32 v43, vcc, s0, v92
	v_addc_co_u32_e32 v42, vcc, 0, v42, vcc
	s_movk_i32 s2, 0x1000
	s_waitcnt lgkmcnt(4)
	global_store_dwordx2 v92, v[2:3], s[0:1]
	global_store_dwordx2 v92, v[4:5], s[0:1] offset:1024
	s_waitcnt lgkmcnt(3)
	global_store_dwordx2 v92, v[6:7], s[0:1] offset:2048
	global_store_dwordx2 v92, v[8:9], s[0:1] offset:3072
	v_add_co_u32_e32 v2, vcc, s2, v43
	v_addc_co_u32_e32 v3, vcc, 0, v42, vcc
	s_waitcnt lgkmcnt(2)
	global_store_dwordx2 v[2:3], v[10:11], off
	global_store_dwordx2 v[2:3], v[12:13], off offset:1024
	s_waitcnt lgkmcnt(1)
	global_store_dwordx2 v[2:3], v[14:15], off offset:2048
	global_store_dwordx2 v[2:3], v[16:17], off offset:3072
	v_add_co_u32_e32 v2, vcc, 0x2000, v43
	v_addc_co_u32_e32 v3, vcc, 0, v42, vcc
	s_waitcnt lgkmcnt(0)
	global_store_dwordx2 v[2:3], v[18:19], off
	global_store_dwordx2 v[2:3], v[20:21], off offset:1024
	s_mov_b64 s[2:3], 0
.LBB3_261:
	s_andn2_b64 vcc, exec, s[2:3]
	s_cbranch_vccnz .LBB3_317
; %bb.262:
	ds_write_b128 v1, v[22:25]
	ds_write_b128 v1, v[26:29] offset:16
	ds_write_b128 v1, v[30:33] offset:32
	ds_write_b128 v1, v[34:37] offset:48
	ds_write_b128 v1, v[38:41] offset:64
	s_waitcnt lgkmcnt(0)
	s_barrier
	ds_read2st64_b64 v[2:5], v92 offset1:2
	ds_read2st64_b64 v[10:13], v92 offset0:4 offset1:6
	ds_read2st64_b64 v[6:9], v92 offset0:8 offset1:10
	;; [unrolled: 1-line block ×4, first 2 shown]
	v_mov_b32_e32 v23, s1
	v_add_co_u32_e32 v22, vcc, s0, v92
	v_addc_co_u32_e32 v23, vcc, 0, v23, vcc
	v_mov_b32_e32 v1, 0
	v_cmp_gt_u32_e32 vcc, s33, v0
	s_and_saveexec_b64 s[0:1], vcc
	s_cbranch_execz .LBB3_264
; %bb.263:
	s_waitcnt lgkmcnt(4)
	global_store_dwordx2 v[22:23], v[2:3], off
.LBB3_264:
	s_or_b64 exec, exec, s[0:1]
	v_or_b32_e32 v24, 0x80, v0
	v_cmp_gt_u32_e32 vcc, s33, v24
	s_and_saveexec_b64 s[0:1], vcc
	s_cbranch_execz .LBB3_266
; %bb.265:
	s_waitcnt lgkmcnt(4)
	global_store_dwordx2 v[22:23], v[4:5], off offset:1024
.LBB3_266:
	s_or_b64 exec, exec, s[0:1]
	v_or_b32_e32 v24, 0x100, v0
	v_cmp_gt_u32_e32 vcc, s33, v24
	s_and_saveexec_b64 s[0:1], vcc
	s_cbranch_execz .LBB3_268
; %bb.267:
	s_waitcnt lgkmcnt(3)
	global_store_dwordx2 v[22:23], v[10:11], off offset:2048
.LBB3_268:
	;; [unrolled: 9-line block ×3, first 2 shown]
	s_or_b64 exec, exec, s[0:1]
	v_or_b32_e32 v24, 0x200, v0
	v_cmp_gt_u32_e32 vcc, s33, v24
	s_and_saveexec_b64 s[0:1], vcc
	s_cbranch_execz .LBB3_272
; %bb.271:
	v_add_co_u32_e32 v24, vcc, 0x1000, v22
	v_addc_co_u32_e32 v25, vcc, 0, v23, vcc
	s_waitcnt lgkmcnt(2)
	global_store_dwordx2 v[24:25], v[6:7], off
.LBB3_272:
	s_or_b64 exec, exec, s[0:1]
	v_or_b32_e32 v24, 0x280, v0
	v_cmp_gt_u32_e32 vcc, s33, v24
	s_and_saveexec_b64 s[0:1], vcc
	s_cbranch_execz .LBB3_274
; %bb.273:
	v_add_co_u32_e32 v24, vcc, 0x1000, v22
	v_addc_co_u32_e32 v25, vcc, 0, v23, vcc
	s_waitcnt lgkmcnt(2)
	global_store_dwordx2 v[24:25], v[8:9], off offset:1024
.LBB3_274:
	s_or_b64 exec, exec, s[0:1]
	v_or_b32_e32 v24, 0x300, v0
	v_cmp_gt_u32_e32 vcc, s33, v24
	s_and_saveexec_b64 s[0:1], vcc
	s_cbranch_execz .LBB3_276
; %bb.275:
	v_add_co_u32_e32 v24, vcc, 0x1000, v22
	v_addc_co_u32_e32 v25, vcc, 0, v23, vcc
	s_waitcnt lgkmcnt(1)
	global_store_dwordx2 v[24:25], v[14:15], off offset:2048
.LBB3_276:
	;; [unrolled: 11-line block ×3, first 2 shown]
	s_or_b64 exec, exec, s[0:1]
	v_or_b32_e32 v24, 0x400, v0
	v_cmp_gt_u32_e32 vcc, s33, v24
	s_and_saveexec_b64 s[0:1], vcc
	s_cbranch_execz .LBB3_280
; %bb.279:
	v_add_co_u32_e32 v24, vcc, 0x2000, v22
	v_addc_co_u32_e32 v25, vcc, 0, v23, vcc
	s_waitcnt lgkmcnt(0)
	global_store_dwordx2 v[24:25], v[18:19], off
.LBB3_280:
	s_or_b64 exec, exec, s[0:1]
	v_or_b32_e32 v24, 0x480, v0
	v_cmp_gt_u32_e32 vcc, s33, v24
	s_and_saveexec_b64 s[0:1], vcc
	s_cbranch_execz .LBB3_282
; %bb.281:
	v_add_co_u32_e32 v22, vcc, 0x2000, v22
	v_addc_co_u32_e32 v23, vcc, 0, v23, vcc
	s_waitcnt lgkmcnt(0)
	global_store_dwordx2 v[22:23], v[20:21], off offset:1024
.LBB3_282:
	s_or_b64 exec, exec, s[0:1]
	v_cmp_lt_u64_e64 s[0:1], s[42:43], 2
	s_and_b64 vcc, exec, s[0:1]
	s_cbranch_vccnz .LBB3_317
; %bb.283:
	s_add_u32 s0, s33, -1
	s_addc_u32 s1, s68, -1
	s_add_u32 s2, 0, 0x99986000
	s_addc_u32 s3, 0, 0x59
	s_add_i32 s3, s3, 0x19999940
	s_mul_hi_u32 s7, s2, -10
	s_sub_i32 s7, s7, s2
	s_mul_i32 s8, s3, -10
	s_mul_i32 s4, s2, -10
	s_add_i32 s7, s7, s8
	s_mul_hi_u32 s5, s3, s4
	s_mul_i32 s6, s3, s4
	s_mul_i32 s9, s2, s7
	s_mul_hi_u32 s4, s2, s4
	s_mul_hi_u32 s8, s2, s7
	s_add_u32 s4, s4, s9
	s_addc_u32 s8, 0, s8
	s_add_u32 s4, s4, s6
	s_mul_hi_u32 s9, s3, s7
	s_addc_u32 s4, s8, s5
	s_addc_u32 s5, s9, 0
	s_mul_i32 s6, s3, s7
	s_add_u32 s4, s4, s6
	v_mov_b32_e32 v22, s4
	s_addc_u32 s5, 0, s5
	v_add_co_u32_e32 v22, vcc, s2, v22
	s_cmp_lg_u64 vcc, 0
	s_addc_u32 s2, s3, s5
	v_readfirstlane_b32 s5, v22
	s_mul_i32 s4, s0, s2
	s_mul_hi_u32 s6, s0, s5
	s_mul_hi_u32 s3, s0, s2
	s_add_u32 s4, s6, s4
	s_addc_u32 s3, 0, s3
	s_mul_hi_u32 s7, s1, s5
	s_mul_i32 s5, s1, s5
	s_add_u32 s4, s4, s5
	s_mul_hi_u32 s6, s1, s2
	s_addc_u32 s3, s3, s7
	s_addc_u32 s4, s6, 0
	s_mul_i32 s2, s1, s2
	s_add_u32 s2, s3, s2
	s_addc_u32 s3, 0, s4
	s_add_u32 s4, s2, 1
	s_addc_u32 s5, s3, 0
	s_add_u32 s6, s2, 2
	s_mul_i32 s8, s3, 10
	s_mul_hi_u32 s9, s2, 10
	s_addc_u32 s7, s3, 0
	s_add_i32 s9, s9, s8
	s_mul_i32 s8, s2, 10
	v_mov_b32_e32 v22, s8
	v_sub_co_u32_e32 v22, vcc, s0, v22
	s_cmp_lg_u64 vcc, 0
	s_subb_u32 s8, s1, s9
	v_subrev_co_u32_e32 v23, vcc, 10, v22
	s_cmp_lg_u64 vcc, 0
	s_subb_u32 s9, s8, 0
	v_readfirstlane_b32 s10, v23
	s_cmp_gt_u32 s10, 9
	s_cselect_b32 s10, -1, 0
	s_cmp_eq_u32 s9, 0
	s_cselect_b32 s9, s10, -1
	s_cmp_lg_u32 s9, 0
	s_cselect_b32 s4, s6, s4
	v_readfirstlane_b32 s6, v22
	s_cselect_b32 s5, s7, s5
	s_cmp_gt_u32 s6, 9
	s_cselect_b32 s6, -1, 0
	s_cmp_eq_u32 s8, 0
	s_cselect_b32 s6, s6, -1
	s_cmp_lg_u32 s6, 0
	s_cselect_b32 s3, s5, s3
	s_cselect_b32 s2, s4, s2
	v_cmp_eq_u64_e32 vcc, s[2:3], v[0:1]
	s_and_saveexec_b64 s[2:3], vcc
	s_cbranch_execz .LBB3_317
; %bb.284:
	v_mul_hi_u32_u24_e32 v1, 10, v0
	v_mov_b32_e32 v22, s1
	v_sub_co_u32_e32 v0, vcc, s0, v93
	v_subb_co_u32_e32 v1, vcc, v22, v1, vcc
	v_cmp_lt_i64_e32 vcc, 4, v[0:1]
	s_and_saveexec_b64 s[0:1], vcc
	s_xor_b64 s[0:1], exec, s[0:1]
	s_cbranch_execz .LBB3_302
; %bb.285:
	v_cmp_lt_i64_e32 vcc, 6, v[0:1]
	s_and_saveexec_b64 s[2:3], vcc
	s_xor_b64 s[2:3], exec, s[2:3]
	s_cbranch_execz .LBB3_295
; %bb.286:
	;; [unrolled: 5-line block ×4, first 2 shown]
	v_mov_b32_e32 v0, 0
	s_waitcnt lgkmcnt(0)
	global_store_dwordx2 v0, v[20:21], s[38:39]
                                        ; implicit-def: $vgpr18_vgpr19_vgpr20_vgpr21
.LBB3_289:
	s_andn2_saveexec_b64 s[6:7], s[6:7]
	s_cbranch_execz .LBB3_291
; %bb.290:
	v_mov_b32_e32 v0, 0
	s_waitcnt lgkmcnt(0)
	global_store_dwordx2 v0, v[18:19], s[38:39]
.LBB3_291:
	s_or_b64 exec, exec, s[6:7]
                                        ; implicit-def: $vgpr14_vgpr15_vgpr16_vgpr17
.LBB3_292:
	s_andn2_saveexec_b64 s[4:5], s[4:5]
	s_cbranch_execz .LBB3_294
; %bb.293:
	v_mov_b32_e32 v0, 0
	s_waitcnt lgkmcnt(1)
	global_store_dwordx2 v0, v[16:17], s[38:39]
.LBB3_294:
	s_or_b64 exec, exec, s[4:5]
                                        ; implicit-def: $vgpr6_vgpr7_vgpr8_vgpr9
                                        ; implicit-def: $vgpr0_vgpr1
                                        ; implicit-def: $vgpr14_vgpr15_vgpr16_vgpr17
.LBB3_295:
	s_andn2_saveexec_b64 s[2:3], s[2:3]
	s_cbranch_execz .LBB3_301
; %bb.296:
	v_cmp_lt_i64_e32 vcc, 5, v[0:1]
	s_and_saveexec_b64 s[4:5], vcc
	s_xor_b64 s[4:5], exec, s[4:5]
	s_cbranch_execz .LBB3_298
; %bb.297:
	v_mov_b32_e32 v0, 0
	s_waitcnt lgkmcnt(1)
	global_store_dwordx2 v0, v[14:15], s[38:39]
                                        ; implicit-def: $vgpr6_vgpr7_vgpr8_vgpr9
.LBB3_298:
	s_andn2_saveexec_b64 s[4:5], s[4:5]
	s_cbranch_execz .LBB3_300
; %bb.299:
	v_mov_b32_e32 v0, 0
	s_waitcnt lgkmcnt(2)
	global_store_dwordx2 v0, v[8:9], s[38:39]
.LBB3_300:
	s_or_b64 exec, exec, s[4:5]
.LBB3_301:
	s_or_b64 exec, exec, s[2:3]
                                        ; implicit-def: $vgpr0_vgpr1
                                        ; implicit-def: $vgpr10_vgpr11_vgpr12_vgpr13
                                        ; implicit-def: $vgpr2_vgpr3_vgpr4_vgpr5
                                        ; implicit-def: $vgpr6_vgpr7_vgpr8_vgpr9
.LBB3_302:
	s_andn2_saveexec_b64 s[0:1], s[0:1]
	s_cbranch_execz .LBB3_317
; %bb.303:
	v_cmp_lt_i64_e32 vcc, 2, v[0:1]
	s_and_saveexec_b64 s[0:1], vcc
	s_xor_b64 s[0:1], exec, s[0:1]
	s_cbranch_execz .LBB3_309
; %bb.304:
	v_cmp_lt_i64_e32 vcc, 3, v[0:1]
	s_and_saveexec_b64 s[2:3], vcc
	s_xor_b64 s[2:3], exec, s[2:3]
	s_cbranch_execz .LBB3_306
; %bb.305:
	v_mov_b32_e32 v0, 0
	s_waitcnt lgkmcnt(2)
	global_store_dwordx2 v0, v[6:7], s[38:39]
                                        ; implicit-def: $vgpr10_vgpr11_vgpr12_vgpr13
.LBB3_306:
	s_andn2_saveexec_b64 s[2:3], s[2:3]
	s_cbranch_execz .LBB3_308
; %bb.307:
	v_mov_b32_e32 v0, 0
	s_waitcnt lgkmcnt(3)
	global_store_dwordx2 v0, v[12:13], s[38:39]
.LBB3_308:
	s_or_b64 exec, exec, s[2:3]
                                        ; implicit-def: $vgpr0_vgpr1
                                        ; implicit-def: $vgpr10_vgpr11_vgpr12_vgpr13
                                        ; implicit-def: $vgpr2_vgpr3_vgpr4_vgpr5
.LBB3_309:
	s_andn2_saveexec_b64 s[0:1], s[0:1]
	s_cbranch_execz .LBB3_317
; %bb.310:
	v_cmp_lt_i64_e32 vcc, 1, v[0:1]
	s_and_saveexec_b64 s[0:1], vcc
	s_xor_b64 s[0:1], exec, s[0:1]
	s_cbranch_execz .LBB3_312
; %bb.311:
	v_mov_b32_e32 v0, 0
	s_waitcnt lgkmcnt(3)
	global_store_dwordx2 v0, v[10:11], s[38:39]
                                        ; implicit-def: $vgpr2_vgpr3_vgpr4_vgpr5
                                        ; implicit-def: $vgpr0_vgpr1
.LBB3_312:
	s_andn2_saveexec_b64 s[0:1], s[0:1]
	s_cbranch_execz .LBB3_317
; %bb.313:
	v_cmp_ne_u64_e32 vcc, 1, v[0:1]
	s_and_saveexec_b64 s[0:1], vcc
	s_xor_b64 s[0:1], exec, s[0:1]
	s_cbranch_execz .LBB3_315
; %bb.314:
	v_mov_b32_e32 v0, 0
	s_waitcnt lgkmcnt(4)
	global_store_dwordx2 v0, v[2:3], s[38:39]
                                        ; implicit-def: $vgpr2_vgpr3_vgpr4_vgpr5
.LBB3_315:
	s_andn2_saveexec_b64 s[0:1], s[0:1]
	s_cbranch_execz .LBB3_317
; %bb.316:
	v_mov_b32_e32 v0, 0
	s_waitcnt lgkmcnt(4)
	global_store_dwordx2 v0, v[4:5], s[38:39]
.LBB3_317:
	s_endpgm
	.section	.rodata,"a",@progbits
	.p2align	6, 0x0
	.amdhsa_kernel _ZN7rocprim17ROCPRIM_400000_NS6detail17trampoline_kernelINS0_14default_configENS1_20scan_config_selectorIdEEZZNS1_9scan_implILNS1_25lookback_scan_determinismE0ELb0ELb0ES3_PKdPddZZZN2at6native31launch_logcumsumexp_cuda_kernelERKNSB_10TensorBaseESF_lENKUlvE_clEvENKUlvE_clEvEUlddE_dEEDaPvRmT3_T4_T5_mT6_P12ihipStream_tbENKUlT_T0_E_clISt17integral_constantIbLb0EESW_EEDaSR_SS_EUlSR_E_NS1_11comp_targetILNS1_3genE4ELNS1_11target_archE910ELNS1_3gpuE8ELNS1_3repE0EEENS1_30default_config_static_selectorELNS0_4arch9wavefront6targetE1EEEvT1_
		.amdhsa_group_segment_fixed_size 10240
		.amdhsa_private_segment_fixed_size 0
		.amdhsa_kernarg_size 104
		.amdhsa_user_sgpr_count 6
		.amdhsa_user_sgpr_private_segment_buffer 1
		.amdhsa_user_sgpr_dispatch_ptr 0
		.amdhsa_user_sgpr_queue_ptr 0
		.amdhsa_user_sgpr_kernarg_segment_ptr 1
		.amdhsa_user_sgpr_dispatch_id 0
		.amdhsa_user_sgpr_flat_scratch_init 0
		.amdhsa_user_sgpr_kernarg_preload_length 0
		.amdhsa_user_sgpr_kernarg_preload_offset 0
		.amdhsa_user_sgpr_private_segment_size 0
		.amdhsa_uses_dynamic_stack 0
		.amdhsa_system_sgpr_private_segment_wavefront_offset 0
		.amdhsa_system_sgpr_workgroup_id_x 1
		.amdhsa_system_sgpr_workgroup_id_y 0
		.amdhsa_system_sgpr_workgroup_id_z 0
		.amdhsa_system_sgpr_workgroup_info 0
		.amdhsa_system_vgpr_workitem_id 0
		.amdhsa_next_free_vgpr 129
		.amdhsa_next_free_sgpr 69
		.amdhsa_accum_offset 132
		.amdhsa_reserve_vcc 1
		.amdhsa_reserve_flat_scratch 0
		.amdhsa_float_round_mode_32 0
		.amdhsa_float_round_mode_16_64 0
		.amdhsa_float_denorm_mode_32 3
		.amdhsa_float_denorm_mode_16_64 3
		.amdhsa_dx10_clamp 1
		.amdhsa_ieee_mode 1
		.amdhsa_fp16_overflow 0
		.amdhsa_tg_split 0
		.amdhsa_exception_fp_ieee_invalid_op 0
		.amdhsa_exception_fp_denorm_src 0
		.amdhsa_exception_fp_ieee_div_zero 0
		.amdhsa_exception_fp_ieee_overflow 0
		.amdhsa_exception_fp_ieee_underflow 0
		.amdhsa_exception_fp_ieee_inexact 0
		.amdhsa_exception_int_div_zero 0
	.end_amdhsa_kernel
	.section	.text._ZN7rocprim17ROCPRIM_400000_NS6detail17trampoline_kernelINS0_14default_configENS1_20scan_config_selectorIdEEZZNS1_9scan_implILNS1_25lookback_scan_determinismE0ELb0ELb0ES3_PKdPddZZZN2at6native31launch_logcumsumexp_cuda_kernelERKNSB_10TensorBaseESF_lENKUlvE_clEvENKUlvE_clEvEUlddE_dEEDaPvRmT3_T4_T5_mT6_P12ihipStream_tbENKUlT_T0_E_clISt17integral_constantIbLb0EESW_EEDaSR_SS_EUlSR_E_NS1_11comp_targetILNS1_3genE4ELNS1_11target_archE910ELNS1_3gpuE8ELNS1_3repE0EEENS1_30default_config_static_selectorELNS0_4arch9wavefront6targetE1EEEvT1_,"axG",@progbits,_ZN7rocprim17ROCPRIM_400000_NS6detail17trampoline_kernelINS0_14default_configENS1_20scan_config_selectorIdEEZZNS1_9scan_implILNS1_25lookback_scan_determinismE0ELb0ELb0ES3_PKdPddZZZN2at6native31launch_logcumsumexp_cuda_kernelERKNSB_10TensorBaseESF_lENKUlvE_clEvENKUlvE_clEvEUlddE_dEEDaPvRmT3_T4_T5_mT6_P12ihipStream_tbENKUlT_T0_E_clISt17integral_constantIbLb0EESW_EEDaSR_SS_EUlSR_E_NS1_11comp_targetILNS1_3genE4ELNS1_11target_archE910ELNS1_3gpuE8ELNS1_3repE0EEENS1_30default_config_static_selectorELNS0_4arch9wavefront6targetE1EEEvT1_,comdat
.Lfunc_end3:
	.size	_ZN7rocprim17ROCPRIM_400000_NS6detail17trampoline_kernelINS0_14default_configENS1_20scan_config_selectorIdEEZZNS1_9scan_implILNS1_25lookback_scan_determinismE0ELb0ELb0ES3_PKdPddZZZN2at6native31launch_logcumsumexp_cuda_kernelERKNSB_10TensorBaseESF_lENKUlvE_clEvENKUlvE_clEvEUlddE_dEEDaPvRmT3_T4_T5_mT6_P12ihipStream_tbENKUlT_T0_E_clISt17integral_constantIbLb0EESW_EEDaSR_SS_EUlSR_E_NS1_11comp_targetILNS1_3genE4ELNS1_11target_archE910ELNS1_3gpuE8ELNS1_3repE0EEENS1_30default_config_static_selectorELNS0_4arch9wavefront6targetE1EEEvT1_, .Lfunc_end3-_ZN7rocprim17ROCPRIM_400000_NS6detail17trampoline_kernelINS0_14default_configENS1_20scan_config_selectorIdEEZZNS1_9scan_implILNS1_25lookback_scan_determinismE0ELb0ELb0ES3_PKdPddZZZN2at6native31launch_logcumsumexp_cuda_kernelERKNSB_10TensorBaseESF_lENKUlvE_clEvENKUlvE_clEvEUlddE_dEEDaPvRmT3_T4_T5_mT6_P12ihipStream_tbENKUlT_T0_E_clISt17integral_constantIbLb0EESW_EEDaSR_SS_EUlSR_E_NS1_11comp_targetILNS1_3genE4ELNS1_11target_archE910ELNS1_3gpuE8ELNS1_3repE0EEENS1_30default_config_static_selectorELNS0_4arch9wavefront6targetE1EEEvT1_
                                        ; -- End function
	.section	.AMDGPU.csdata,"",@progbits
; Kernel info:
; codeLenInByte = 111684
; NumSgprs: 73
; NumVgprs: 129
; NumAgprs: 0
; TotalNumVgprs: 129
; ScratchSize: 0
; MemoryBound: 0
; FloatMode: 240
; IeeeMode: 1
; LDSByteSize: 10240 bytes/workgroup (compile time only)
; SGPRBlocks: 9
; VGPRBlocks: 16
; NumSGPRsForWavesPerEU: 73
; NumVGPRsForWavesPerEU: 129
; AccumOffset: 132
; Occupancy: 3
; WaveLimiterHint : 1
; COMPUTE_PGM_RSRC2:SCRATCH_EN: 0
; COMPUTE_PGM_RSRC2:USER_SGPR: 6
; COMPUTE_PGM_RSRC2:TRAP_HANDLER: 0
; COMPUTE_PGM_RSRC2:TGID_X_EN: 1
; COMPUTE_PGM_RSRC2:TGID_Y_EN: 0
; COMPUTE_PGM_RSRC2:TGID_Z_EN: 0
; COMPUTE_PGM_RSRC2:TIDIG_COMP_CNT: 0
; COMPUTE_PGM_RSRC3_GFX90A:ACCUM_OFFSET: 32
; COMPUTE_PGM_RSRC3_GFX90A:TG_SPLIT: 0
	.section	.text._ZN7rocprim17ROCPRIM_400000_NS6detail17trampoline_kernelINS0_14default_configENS1_20scan_config_selectorIdEEZZNS1_9scan_implILNS1_25lookback_scan_determinismE0ELb0ELb0ES3_PKdPddZZZN2at6native31launch_logcumsumexp_cuda_kernelERKNSB_10TensorBaseESF_lENKUlvE_clEvENKUlvE_clEvEUlddE_dEEDaPvRmT3_T4_T5_mT6_P12ihipStream_tbENKUlT_T0_E_clISt17integral_constantIbLb0EESW_EEDaSR_SS_EUlSR_E_NS1_11comp_targetILNS1_3genE3ELNS1_11target_archE908ELNS1_3gpuE7ELNS1_3repE0EEENS1_30default_config_static_selectorELNS0_4arch9wavefront6targetE1EEEvT1_,"axG",@progbits,_ZN7rocprim17ROCPRIM_400000_NS6detail17trampoline_kernelINS0_14default_configENS1_20scan_config_selectorIdEEZZNS1_9scan_implILNS1_25lookback_scan_determinismE0ELb0ELb0ES3_PKdPddZZZN2at6native31launch_logcumsumexp_cuda_kernelERKNSB_10TensorBaseESF_lENKUlvE_clEvENKUlvE_clEvEUlddE_dEEDaPvRmT3_T4_T5_mT6_P12ihipStream_tbENKUlT_T0_E_clISt17integral_constantIbLb0EESW_EEDaSR_SS_EUlSR_E_NS1_11comp_targetILNS1_3genE3ELNS1_11target_archE908ELNS1_3gpuE7ELNS1_3repE0EEENS1_30default_config_static_selectorELNS0_4arch9wavefront6targetE1EEEvT1_,comdat
	.globl	_ZN7rocprim17ROCPRIM_400000_NS6detail17trampoline_kernelINS0_14default_configENS1_20scan_config_selectorIdEEZZNS1_9scan_implILNS1_25lookback_scan_determinismE0ELb0ELb0ES3_PKdPddZZZN2at6native31launch_logcumsumexp_cuda_kernelERKNSB_10TensorBaseESF_lENKUlvE_clEvENKUlvE_clEvEUlddE_dEEDaPvRmT3_T4_T5_mT6_P12ihipStream_tbENKUlT_T0_E_clISt17integral_constantIbLb0EESW_EEDaSR_SS_EUlSR_E_NS1_11comp_targetILNS1_3genE3ELNS1_11target_archE908ELNS1_3gpuE7ELNS1_3repE0EEENS1_30default_config_static_selectorELNS0_4arch9wavefront6targetE1EEEvT1_ ; -- Begin function _ZN7rocprim17ROCPRIM_400000_NS6detail17trampoline_kernelINS0_14default_configENS1_20scan_config_selectorIdEEZZNS1_9scan_implILNS1_25lookback_scan_determinismE0ELb0ELb0ES3_PKdPddZZZN2at6native31launch_logcumsumexp_cuda_kernelERKNSB_10TensorBaseESF_lENKUlvE_clEvENKUlvE_clEvEUlddE_dEEDaPvRmT3_T4_T5_mT6_P12ihipStream_tbENKUlT_T0_E_clISt17integral_constantIbLb0EESW_EEDaSR_SS_EUlSR_E_NS1_11comp_targetILNS1_3genE3ELNS1_11target_archE908ELNS1_3gpuE7ELNS1_3repE0EEENS1_30default_config_static_selectorELNS0_4arch9wavefront6targetE1EEEvT1_
	.p2align	8
	.type	_ZN7rocprim17ROCPRIM_400000_NS6detail17trampoline_kernelINS0_14default_configENS1_20scan_config_selectorIdEEZZNS1_9scan_implILNS1_25lookback_scan_determinismE0ELb0ELb0ES3_PKdPddZZZN2at6native31launch_logcumsumexp_cuda_kernelERKNSB_10TensorBaseESF_lENKUlvE_clEvENKUlvE_clEvEUlddE_dEEDaPvRmT3_T4_T5_mT6_P12ihipStream_tbENKUlT_T0_E_clISt17integral_constantIbLb0EESW_EEDaSR_SS_EUlSR_E_NS1_11comp_targetILNS1_3genE3ELNS1_11target_archE908ELNS1_3gpuE7ELNS1_3repE0EEENS1_30default_config_static_selectorELNS0_4arch9wavefront6targetE1EEEvT1_,@function
_ZN7rocprim17ROCPRIM_400000_NS6detail17trampoline_kernelINS0_14default_configENS1_20scan_config_selectorIdEEZZNS1_9scan_implILNS1_25lookback_scan_determinismE0ELb0ELb0ES3_PKdPddZZZN2at6native31launch_logcumsumexp_cuda_kernelERKNSB_10TensorBaseESF_lENKUlvE_clEvENKUlvE_clEvEUlddE_dEEDaPvRmT3_T4_T5_mT6_P12ihipStream_tbENKUlT_T0_E_clISt17integral_constantIbLb0EESW_EEDaSR_SS_EUlSR_E_NS1_11comp_targetILNS1_3genE3ELNS1_11target_archE908ELNS1_3gpuE7ELNS1_3repE0EEENS1_30default_config_static_selectorELNS0_4arch9wavefront6targetE1EEEvT1_: ; @_ZN7rocprim17ROCPRIM_400000_NS6detail17trampoline_kernelINS0_14default_configENS1_20scan_config_selectorIdEEZZNS1_9scan_implILNS1_25lookback_scan_determinismE0ELb0ELb0ES3_PKdPddZZZN2at6native31launch_logcumsumexp_cuda_kernelERKNSB_10TensorBaseESF_lENKUlvE_clEvENKUlvE_clEvEUlddE_dEEDaPvRmT3_T4_T5_mT6_P12ihipStream_tbENKUlT_T0_E_clISt17integral_constantIbLb0EESW_EEDaSR_SS_EUlSR_E_NS1_11comp_targetILNS1_3genE3ELNS1_11target_archE908ELNS1_3gpuE7ELNS1_3repE0EEENS1_30default_config_static_selectorELNS0_4arch9wavefront6targetE1EEEvT1_
; %bb.0:
	.section	.rodata,"a",@progbits
	.p2align	6, 0x0
	.amdhsa_kernel _ZN7rocprim17ROCPRIM_400000_NS6detail17trampoline_kernelINS0_14default_configENS1_20scan_config_selectorIdEEZZNS1_9scan_implILNS1_25lookback_scan_determinismE0ELb0ELb0ES3_PKdPddZZZN2at6native31launch_logcumsumexp_cuda_kernelERKNSB_10TensorBaseESF_lENKUlvE_clEvENKUlvE_clEvEUlddE_dEEDaPvRmT3_T4_T5_mT6_P12ihipStream_tbENKUlT_T0_E_clISt17integral_constantIbLb0EESW_EEDaSR_SS_EUlSR_E_NS1_11comp_targetILNS1_3genE3ELNS1_11target_archE908ELNS1_3gpuE7ELNS1_3repE0EEENS1_30default_config_static_selectorELNS0_4arch9wavefront6targetE1EEEvT1_
		.amdhsa_group_segment_fixed_size 0
		.amdhsa_private_segment_fixed_size 0
		.amdhsa_kernarg_size 104
		.amdhsa_user_sgpr_count 6
		.amdhsa_user_sgpr_private_segment_buffer 1
		.amdhsa_user_sgpr_dispatch_ptr 0
		.amdhsa_user_sgpr_queue_ptr 0
		.amdhsa_user_sgpr_kernarg_segment_ptr 1
		.amdhsa_user_sgpr_dispatch_id 0
		.amdhsa_user_sgpr_flat_scratch_init 0
		.amdhsa_user_sgpr_kernarg_preload_length 0
		.amdhsa_user_sgpr_kernarg_preload_offset 0
		.amdhsa_user_sgpr_private_segment_size 0
		.amdhsa_uses_dynamic_stack 0
		.amdhsa_system_sgpr_private_segment_wavefront_offset 0
		.amdhsa_system_sgpr_workgroup_id_x 1
		.amdhsa_system_sgpr_workgroup_id_y 0
		.amdhsa_system_sgpr_workgroup_id_z 0
		.amdhsa_system_sgpr_workgroup_info 0
		.amdhsa_system_vgpr_workitem_id 0
		.amdhsa_next_free_vgpr 1
		.amdhsa_next_free_sgpr 0
		.amdhsa_accum_offset 4
		.amdhsa_reserve_vcc 0
		.amdhsa_reserve_flat_scratch 0
		.amdhsa_float_round_mode_32 0
		.amdhsa_float_round_mode_16_64 0
		.amdhsa_float_denorm_mode_32 3
		.amdhsa_float_denorm_mode_16_64 3
		.amdhsa_dx10_clamp 1
		.amdhsa_ieee_mode 1
		.amdhsa_fp16_overflow 0
		.amdhsa_tg_split 0
		.amdhsa_exception_fp_ieee_invalid_op 0
		.amdhsa_exception_fp_denorm_src 0
		.amdhsa_exception_fp_ieee_div_zero 0
		.amdhsa_exception_fp_ieee_overflow 0
		.amdhsa_exception_fp_ieee_underflow 0
		.amdhsa_exception_fp_ieee_inexact 0
		.amdhsa_exception_int_div_zero 0
	.end_amdhsa_kernel
	.section	.text._ZN7rocprim17ROCPRIM_400000_NS6detail17trampoline_kernelINS0_14default_configENS1_20scan_config_selectorIdEEZZNS1_9scan_implILNS1_25lookback_scan_determinismE0ELb0ELb0ES3_PKdPddZZZN2at6native31launch_logcumsumexp_cuda_kernelERKNSB_10TensorBaseESF_lENKUlvE_clEvENKUlvE_clEvEUlddE_dEEDaPvRmT3_T4_T5_mT6_P12ihipStream_tbENKUlT_T0_E_clISt17integral_constantIbLb0EESW_EEDaSR_SS_EUlSR_E_NS1_11comp_targetILNS1_3genE3ELNS1_11target_archE908ELNS1_3gpuE7ELNS1_3repE0EEENS1_30default_config_static_selectorELNS0_4arch9wavefront6targetE1EEEvT1_,"axG",@progbits,_ZN7rocprim17ROCPRIM_400000_NS6detail17trampoline_kernelINS0_14default_configENS1_20scan_config_selectorIdEEZZNS1_9scan_implILNS1_25lookback_scan_determinismE0ELb0ELb0ES3_PKdPddZZZN2at6native31launch_logcumsumexp_cuda_kernelERKNSB_10TensorBaseESF_lENKUlvE_clEvENKUlvE_clEvEUlddE_dEEDaPvRmT3_T4_T5_mT6_P12ihipStream_tbENKUlT_T0_E_clISt17integral_constantIbLb0EESW_EEDaSR_SS_EUlSR_E_NS1_11comp_targetILNS1_3genE3ELNS1_11target_archE908ELNS1_3gpuE7ELNS1_3repE0EEENS1_30default_config_static_selectorELNS0_4arch9wavefront6targetE1EEEvT1_,comdat
.Lfunc_end4:
	.size	_ZN7rocprim17ROCPRIM_400000_NS6detail17trampoline_kernelINS0_14default_configENS1_20scan_config_selectorIdEEZZNS1_9scan_implILNS1_25lookback_scan_determinismE0ELb0ELb0ES3_PKdPddZZZN2at6native31launch_logcumsumexp_cuda_kernelERKNSB_10TensorBaseESF_lENKUlvE_clEvENKUlvE_clEvEUlddE_dEEDaPvRmT3_T4_T5_mT6_P12ihipStream_tbENKUlT_T0_E_clISt17integral_constantIbLb0EESW_EEDaSR_SS_EUlSR_E_NS1_11comp_targetILNS1_3genE3ELNS1_11target_archE908ELNS1_3gpuE7ELNS1_3repE0EEENS1_30default_config_static_selectorELNS0_4arch9wavefront6targetE1EEEvT1_, .Lfunc_end4-_ZN7rocprim17ROCPRIM_400000_NS6detail17trampoline_kernelINS0_14default_configENS1_20scan_config_selectorIdEEZZNS1_9scan_implILNS1_25lookback_scan_determinismE0ELb0ELb0ES3_PKdPddZZZN2at6native31launch_logcumsumexp_cuda_kernelERKNSB_10TensorBaseESF_lENKUlvE_clEvENKUlvE_clEvEUlddE_dEEDaPvRmT3_T4_T5_mT6_P12ihipStream_tbENKUlT_T0_E_clISt17integral_constantIbLb0EESW_EEDaSR_SS_EUlSR_E_NS1_11comp_targetILNS1_3genE3ELNS1_11target_archE908ELNS1_3gpuE7ELNS1_3repE0EEENS1_30default_config_static_selectorELNS0_4arch9wavefront6targetE1EEEvT1_
                                        ; -- End function
	.section	.AMDGPU.csdata,"",@progbits
; Kernel info:
; codeLenInByte = 0
; NumSgprs: 4
; NumVgprs: 0
; NumAgprs: 0
; TotalNumVgprs: 0
; ScratchSize: 0
; MemoryBound: 0
; FloatMode: 240
; IeeeMode: 1
; LDSByteSize: 0 bytes/workgroup (compile time only)
; SGPRBlocks: 0
; VGPRBlocks: 0
; NumSGPRsForWavesPerEU: 4
; NumVGPRsForWavesPerEU: 1
; AccumOffset: 4
; Occupancy: 8
; WaveLimiterHint : 0
; COMPUTE_PGM_RSRC2:SCRATCH_EN: 0
; COMPUTE_PGM_RSRC2:USER_SGPR: 6
; COMPUTE_PGM_RSRC2:TRAP_HANDLER: 0
; COMPUTE_PGM_RSRC2:TGID_X_EN: 1
; COMPUTE_PGM_RSRC2:TGID_Y_EN: 0
; COMPUTE_PGM_RSRC2:TGID_Z_EN: 0
; COMPUTE_PGM_RSRC2:TIDIG_COMP_CNT: 0
; COMPUTE_PGM_RSRC3_GFX90A:ACCUM_OFFSET: 0
; COMPUTE_PGM_RSRC3_GFX90A:TG_SPLIT: 0
	.section	.text._ZN7rocprim17ROCPRIM_400000_NS6detail17trampoline_kernelINS0_14default_configENS1_20scan_config_selectorIdEEZZNS1_9scan_implILNS1_25lookback_scan_determinismE0ELb0ELb0ES3_PKdPddZZZN2at6native31launch_logcumsumexp_cuda_kernelERKNSB_10TensorBaseESF_lENKUlvE_clEvENKUlvE_clEvEUlddE_dEEDaPvRmT3_T4_T5_mT6_P12ihipStream_tbENKUlT_T0_E_clISt17integral_constantIbLb0EESW_EEDaSR_SS_EUlSR_E_NS1_11comp_targetILNS1_3genE2ELNS1_11target_archE906ELNS1_3gpuE6ELNS1_3repE0EEENS1_30default_config_static_selectorELNS0_4arch9wavefront6targetE1EEEvT1_,"axG",@progbits,_ZN7rocprim17ROCPRIM_400000_NS6detail17trampoline_kernelINS0_14default_configENS1_20scan_config_selectorIdEEZZNS1_9scan_implILNS1_25lookback_scan_determinismE0ELb0ELb0ES3_PKdPddZZZN2at6native31launch_logcumsumexp_cuda_kernelERKNSB_10TensorBaseESF_lENKUlvE_clEvENKUlvE_clEvEUlddE_dEEDaPvRmT3_T4_T5_mT6_P12ihipStream_tbENKUlT_T0_E_clISt17integral_constantIbLb0EESW_EEDaSR_SS_EUlSR_E_NS1_11comp_targetILNS1_3genE2ELNS1_11target_archE906ELNS1_3gpuE6ELNS1_3repE0EEENS1_30default_config_static_selectorELNS0_4arch9wavefront6targetE1EEEvT1_,comdat
	.globl	_ZN7rocprim17ROCPRIM_400000_NS6detail17trampoline_kernelINS0_14default_configENS1_20scan_config_selectorIdEEZZNS1_9scan_implILNS1_25lookback_scan_determinismE0ELb0ELb0ES3_PKdPddZZZN2at6native31launch_logcumsumexp_cuda_kernelERKNSB_10TensorBaseESF_lENKUlvE_clEvENKUlvE_clEvEUlddE_dEEDaPvRmT3_T4_T5_mT6_P12ihipStream_tbENKUlT_T0_E_clISt17integral_constantIbLb0EESW_EEDaSR_SS_EUlSR_E_NS1_11comp_targetILNS1_3genE2ELNS1_11target_archE906ELNS1_3gpuE6ELNS1_3repE0EEENS1_30default_config_static_selectorELNS0_4arch9wavefront6targetE1EEEvT1_ ; -- Begin function _ZN7rocprim17ROCPRIM_400000_NS6detail17trampoline_kernelINS0_14default_configENS1_20scan_config_selectorIdEEZZNS1_9scan_implILNS1_25lookback_scan_determinismE0ELb0ELb0ES3_PKdPddZZZN2at6native31launch_logcumsumexp_cuda_kernelERKNSB_10TensorBaseESF_lENKUlvE_clEvENKUlvE_clEvEUlddE_dEEDaPvRmT3_T4_T5_mT6_P12ihipStream_tbENKUlT_T0_E_clISt17integral_constantIbLb0EESW_EEDaSR_SS_EUlSR_E_NS1_11comp_targetILNS1_3genE2ELNS1_11target_archE906ELNS1_3gpuE6ELNS1_3repE0EEENS1_30default_config_static_selectorELNS0_4arch9wavefront6targetE1EEEvT1_
	.p2align	8
	.type	_ZN7rocprim17ROCPRIM_400000_NS6detail17trampoline_kernelINS0_14default_configENS1_20scan_config_selectorIdEEZZNS1_9scan_implILNS1_25lookback_scan_determinismE0ELb0ELb0ES3_PKdPddZZZN2at6native31launch_logcumsumexp_cuda_kernelERKNSB_10TensorBaseESF_lENKUlvE_clEvENKUlvE_clEvEUlddE_dEEDaPvRmT3_T4_T5_mT6_P12ihipStream_tbENKUlT_T0_E_clISt17integral_constantIbLb0EESW_EEDaSR_SS_EUlSR_E_NS1_11comp_targetILNS1_3genE2ELNS1_11target_archE906ELNS1_3gpuE6ELNS1_3repE0EEENS1_30default_config_static_selectorELNS0_4arch9wavefront6targetE1EEEvT1_,@function
_ZN7rocprim17ROCPRIM_400000_NS6detail17trampoline_kernelINS0_14default_configENS1_20scan_config_selectorIdEEZZNS1_9scan_implILNS1_25lookback_scan_determinismE0ELb0ELb0ES3_PKdPddZZZN2at6native31launch_logcumsumexp_cuda_kernelERKNSB_10TensorBaseESF_lENKUlvE_clEvENKUlvE_clEvEUlddE_dEEDaPvRmT3_T4_T5_mT6_P12ihipStream_tbENKUlT_T0_E_clISt17integral_constantIbLb0EESW_EEDaSR_SS_EUlSR_E_NS1_11comp_targetILNS1_3genE2ELNS1_11target_archE906ELNS1_3gpuE6ELNS1_3repE0EEENS1_30default_config_static_selectorELNS0_4arch9wavefront6targetE1EEEvT1_: ; @_ZN7rocprim17ROCPRIM_400000_NS6detail17trampoline_kernelINS0_14default_configENS1_20scan_config_selectorIdEEZZNS1_9scan_implILNS1_25lookback_scan_determinismE0ELb0ELb0ES3_PKdPddZZZN2at6native31launch_logcumsumexp_cuda_kernelERKNSB_10TensorBaseESF_lENKUlvE_clEvENKUlvE_clEvEUlddE_dEEDaPvRmT3_T4_T5_mT6_P12ihipStream_tbENKUlT_T0_E_clISt17integral_constantIbLb0EESW_EEDaSR_SS_EUlSR_E_NS1_11comp_targetILNS1_3genE2ELNS1_11target_archE906ELNS1_3gpuE6ELNS1_3repE0EEENS1_30default_config_static_selectorELNS0_4arch9wavefront6targetE1EEEvT1_
; %bb.0:
	.section	.rodata,"a",@progbits
	.p2align	6, 0x0
	.amdhsa_kernel _ZN7rocprim17ROCPRIM_400000_NS6detail17trampoline_kernelINS0_14default_configENS1_20scan_config_selectorIdEEZZNS1_9scan_implILNS1_25lookback_scan_determinismE0ELb0ELb0ES3_PKdPddZZZN2at6native31launch_logcumsumexp_cuda_kernelERKNSB_10TensorBaseESF_lENKUlvE_clEvENKUlvE_clEvEUlddE_dEEDaPvRmT3_T4_T5_mT6_P12ihipStream_tbENKUlT_T0_E_clISt17integral_constantIbLb0EESW_EEDaSR_SS_EUlSR_E_NS1_11comp_targetILNS1_3genE2ELNS1_11target_archE906ELNS1_3gpuE6ELNS1_3repE0EEENS1_30default_config_static_selectorELNS0_4arch9wavefront6targetE1EEEvT1_
		.amdhsa_group_segment_fixed_size 0
		.amdhsa_private_segment_fixed_size 0
		.amdhsa_kernarg_size 104
		.amdhsa_user_sgpr_count 6
		.amdhsa_user_sgpr_private_segment_buffer 1
		.amdhsa_user_sgpr_dispatch_ptr 0
		.amdhsa_user_sgpr_queue_ptr 0
		.amdhsa_user_sgpr_kernarg_segment_ptr 1
		.amdhsa_user_sgpr_dispatch_id 0
		.amdhsa_user_sgpr_flat_scratch_init 0
		.amdhsa_user_sgpr_kernarg_preload_length 0
		.amdhsa_user_sgpr_kernarg_preload_offset 0
		.amdhsa_user_sgpr_private_segment_size 0
		.amdhsa_uses_dynamic_stack 0
		.amdhsa_system_sgpr_private_segment_wavefront_offset 0
		.amdhsa_system_sgpr_workgroup_id_x 1
		.amdhsa_system_sgpr_workgroup_id_y 0
		.amdhsa_system_sgpr_workgroup_id_z 0
		.amdhsa_system_sgpr_workgroup_info 0
		.amdhsa_system_vgpr_workitem_id 0
		.amdhsa_next_free_vgpr 1
		.amdhsa_next_free_sgpr 0
		.amdhsa_accum_offset 4
		.amdhsa_reserve_vcc 0
		.amdhsa_reserve_flat_scratch 0
		.amdhsa_float_round_mode_32 0
		.amdhsa_float_round_mode_16_64 0
		.amdhsa_float_denorm_mode_32 3
		.amdhsa_float_denorm_mode_16_64 3
		.amdhsa_dx10_clamp 1
		.amdhsa_ieee_mode 1
		.amdhsa_fp16_overflow 0
		.amdhsa_tg_split 0
		.amdhsa_exception_fp_ieee_invalid_op 0
		.amdhsa_exception_fp_denorm_src 0
		.amdhsa_exception_fp_ieee_div_zero 0
		.amdhsa_exception_fp_ieee_overflow 0
		.amdhsa_exception_fp_ieee_underflow 0
		.amdhsa_exception_fp_ieee_inexact 0
		.amdhsa_exception_int_div_zero 0
	.end_amdhsa_kernel
	.section	.text._ZN7rocprim17ROCPRIM_400000_NS6detail17trampoline_kernelINS0_14default_configENS1_20scan_config_selectorIdEEZZNS1_9scan_implILNS1_25lookback_scan_determinismE0ELb0ELb0ES3_PKdPddZZZN2at6native31launch_logcumsumexp_cuda_kernelERKNSB_10TensorBaseESF_lENKUlvE_clEvENKUlvE_clEvEUlddE_dEEDaPvRmT3_T4_T5_mT6_P12ihipStream_tbENKUlT_T0_E_clISt17integral_constantIbLb0EESW_EEDaSR_SS_EUlSR_E_NS1_11comp_targetILNS1_3genE2ELNS1_11target_archE906ELNS1_3gpuE6ELNS1_3repE0EEENS1_30default_config_static_selectorELNS0_4arch9wavefront6targetE1EEEvT1_,"axG",@progbits,_ZN7rocprim17ROCPRIM_400000_NS6detail17trampoline_kernelINS0_14default_configENS1_20scan_config_selectorIdEEZZNS1_9scan_implILNS1_25lookback_scan_determinismE0ELb0ELb0ES3_PKdPddZZZN2at6native31launch_logcumsumexp_cuda_kernelERKNSB_10TensorBaseESF_lENKUlvE_clEvENKUlvE_clEvEUlddE_dEEDaPvRmT3_T4_T5_mT6_P12ihipStream_tbENKUlT_T0_E_clISt17integral_constantIbLb0EESW_EEDaSR_SS_EUlSR_E_NS1_11comp_targetILNS1_3genE2ELNS1_11target_archE906ELNS1_3gpuE6ELNS1_3repE0EEENS1_30default_config_static_selectorELNS0_4arch9wavefront6targetE1EEEvT1_,comdat
.Lfunc_end5:
	.size	_ZN7rocprim17ROCPRIM_400000_NS6detail17trampoline_kernelINS0_14default_configENS1_20scan_config_selectorIdEEZZNS1_9scan_implILNS1_25lookback_scan_determinismE0ELb0ELb0ES3_PKdPddZZZN2at6native31launch_logcumsumexp_cuda_kernelERKNSB_10TensorBaseESF_lENKUlvE_clEvENKUlvE_clEvEUlddE_dEEDaPvRmT3_T4_T5_mT6_P12ihipStream_tbENKUlT_T0_E_clISt17integral_constantIbLb0EESW_EEDaSR_SS_EUlSR_E_NS1_11comp_targetILNS1_3genE2ELNS1_11target_archE906ELNS1_3gpuE6ELNS1_3repE0EEENS1_30default_config_static_selectorELNS0_4arch9wavefront6targetE1EEEvT1_, .Lfunc_end5-_ZN7rocprim17ROCPRIM_400000_NS6detail17trampoline_kernelINS0_14default_configENS1_20scan_config_selectorIdEEZZNS1_9scan_implILNS1_25lookback_scan_determinismE0ELb0ELb0ES3_PKdPddZZZN2at6native31launch_logcumsumexp_cuda_kernelERKNSB_10TensorBaseESF_lENKUlvE_clEvENKUlvE_clEvEUlddE_dEEDaPvRmT3_T4_T5_mT6_P12ihipStream_tbENKUlT_T0_E_clISt17integral_constantIbLb0EESW_EEDaSR_SS_EUlSR_E_NS1_11comp_targetILNS1_3genE2ELNS1_11target_archE906ELNS1_3gpuE6ELNS1_3repE0EEENS1_30default_config_static_selectorELNS0_4arch9wavefront6targetE1EEEvT1_
                                        ; -- End function
	.section	.AMDGPU.csdata,"",@progbits
; Kernel info:
; codeLenInByte = 0
; NumSgprs: 4
; NumVgprs: 0
; NumAgprs: 0
; TotalNumVgprs: 0
; ScratchSize: 0
; MemoryBound: 0
; FloatMode: 240
; IeeeMode: 1
; LDSByteSize: 0 bytes/workgroup (compile time only)
; SGPRBlocks: 0
; VGPRBlocks: 0
; NumSGPRsForWavesPerEU: 4
; NumVGPRsForWavesPerEU: 1
; AccumOffset: 4
; Occupancy: 8
; WaveLimiterHint : 0
; COMPUTE_PGM_RSRC2:SCRATCH_EN: 0
; COMPUTE_PGM_RSRC2:USER_SGPR: 6
; COMPUTE_PGM_RSRC2:TRAP_HANDLER: 0
; COMPUTE_PGM_RSRC2:TGID_X_EN: 1
; COMPUTE_PGM_RSRC2:TGID_Y_EN: 0
; COMPUTE_PGM_RSRC2:TGID_Z_EN: 0
; COMPUTE_PGM_RSRC2:TIDIG_COMP_CNT: 0
; COMPUTE_PGM_RSRC3_GFX90A:ACCUM_OFFSET: 0
; COMPUTE_PGM_RSRC3_GFX90A:TG_SPLIT: 0
	.section	.text._ZN7rocprim17ROCPRIM_400000_NS6detail17trampoline_kernelINS0_14default_configENS1_20scan_config_selectorIdEEZZNS1_9scan_implILNS1_25lookback_scan_determinismE0ELb0ELb0ES3_PKdPddZZZN2at6native31launch_logcumsumexp_cuda_kernelERKNSB_10TensorBaseESF_lENKUlvE_clEvENKUlvE_clEvEUlddE_dEEDaPvRmT3_T4_T5_mT6_P12ihipStream_tbENKUlT_T0_E_clISt17integral_constantIbLb0EESW_EEDaSR_SS_EUlSR_E_NS1_11comp_targetILNS1_3genE10ELNS1_11target_archE1201ELNS1_3gpuE5ELNS1_3repE0EEENS1_30default_config_static_selectorELNS0_4arch9wavefront6targetE1EEEvT1_,"axG",@progbits,_ZN7rocprim17ROCPRIM_400000_NS6detail17trampoline_kernelINS0_14default_configENS1_20scan_config_selectorIdEEZZNS1_9scan_implILNS1_25lookback_scan_determinismE0ELb0ELb0ES3_PKdPddZZZN2at6native31launch_logcumsumexp_cuda_kernelERKNSB_10TensorBaseESF_lENKUlvE_clEvENKUlvE_clEvEUlddE_dEEDaPvRmT3_T4_T5_mT6_P12ihipStream_tbENKUlT_T0_E_clISt17integral_constantIbLb0EESW_EEDaSR_SS_EUlSR_E_NS1_11comp_targetILNS1_3genE10ELNS1_11target_archE1201ELNS1_3gpuE5ELNS1_3repE0EEENS1_30default_config_static_selectorELNS0_4arch9wavefront6targetE1EEEvT1_,comdat
	.globl	_ZN7rocprim17ROCPRIM_400000_NS6detail17trampoline_kernelINS0_14default_configENS1_20scan_config_selectorIdEEZZNS1_9scan_implILNS1_25lookback_scan_determinismE0ELb0ELb0ES3_PKdPddZZZN2at6native31launch_logcumsumexp_cuda_kernelERKNSB_10TensorBaseESF_lENKUlvE_clEvENKUlvE_clEvEUlddE_dEEDaPvRmT3_T4_T5_mT6_P12ihipStream_tbENKUlT_T0_E_clISt17integral_constantIbLb0EESW_EEDaSR_SS_EUlSR_E_NS1_11comp_targetILNS1_3genE10ELNS1_11target_archE1201ELNS1_3gpuE5ELNS1_3repE0EEENS1_30default_config_static_selectorELNS0_4arch9wavefront6targetE1EEEvT1_ ; -- Begin function _ZN7rocprim17ROCPRIM_400000_NS6detail17trampoline_kernelINS0_14default_configENS1_20scan_config_selectorIdEEZZNS1_9scan_implILNS1_25lookback_scan_determinismE0ELb0ELb0ES3_PKdPddZZZN2at6native31launch_logcumsumexp_cuda_kernelERKNSB_10TensorBaseESF_lENKUlvE_clEvENKUlvE_clEvEUlddE_dEEDaPvRmT3_T4_T5_mT6_P12ihipStream_tbENKUlT_T0_E_clISt17integral_constantIbLb0EESW_EEDaSR_SS_EUlSR_E_NS1_11comp_targetILNS1_3genE10ELNS1_11target_archE1201ELNS1_3gpuE5ELNS1_3repE0EEENS1_30default_config_static_selectorELNS0_4arch9wavefront6targetE1EEEvT1_
	.p2align	8
	.type	_ZN7rocprim17ROCPRIM_400000_NS6detail17trampoline_kernelINS0_14default_configENS1_20scan_config_selectorIdEEZZNS1_9scan_implILNS1_25lookback_scan_determinismE0ELb0ELb0ES3_PKdPddZZZN2at6native31launch_logcumsumexp_cuda_kernelERKNSB_10TensorBaseESF_lENKUlvE_clEvENKUlvE_clEvEUlddE_dEEDaPvRmT3_T4_T5_mT6_P12ihipStream_tbENKUlT_T0_E_clISt17integral_constantIbLb0EESW_EEDaSR_SS_EUlSR_E_NS1_11comp_targetILNS1_3genE10ELNS1_11target_archE1201ELNS1_3gpuE5ELNS1_3repE0EEENS1_30default_config_static_selectorELNS0_4arch9wavefront6targetE1EEEvT1_,@function
_ZN7rocprim17ROCPRIM_400000_NS6detail17trampoline_kernelINS0_14default_configENS1_20scan_config_selectorIdEEZZNS1_9scan_implILNS1_25lookback_scan_determinismE0ELb0ELb0ES3_PKdPddZZZN2at6native31launch_logcumsumexp_cuda_kernelERKNSB_10TensorBaseESF_lENKUlvE_clEvENKUlvE_clEvEUlddE_dEEDaPvRmT3_T4_T5_mT6_P12ihipStream_tbENKUlT_T0_E_clISt17integral_constantIbLb0EESW_EEDaSR_SS_EUlSR_E_NS1_11comp_targetILNS1_3genE10ELNS1_11target_archE1201ELNS1_3gpuE5ELNS1_3repE0EEENS1_30default_config_static_selectorELNS0_4arch9wavefront6targetE1EEEvT1_: ; @_ZN7rocprim17ROCPRIM_400000_NS6detail17trampoline_kernelINS0_14default_configENS1_20scan_config_selectorIdEEZZNS1_9scan_implILNS1_25lookback_scan_determinismE0ELb0ELb0ES3_PKdPddZZZN2at6native31launch_logcumsumexp_cuda_kernelERKNSB_10TensorBaseESF_lENKUlvE_clEvENKUlvE_clEvEUlddE_dEEDaPvRmT3_T4_T5_mT6_P12ihipStream_tbENKUlT_T0_E_clISt17integral_constantIbLb0EESW_EEDaSR_SS_EUlSR_E_NS1_11comp_targetILNS1_3genE10ELNS1_11target_archE1201ELNS1_3gpuE5ELNS1_3repE0EEENS1_30default_config_static_selectorELNS0_4arch9wavefront6targetE1EEEvT1_
; %bb.0:
	.section	.rodata,"a",@progbits
	.p2align	6, 0x0
	.amdhsa_kernel _ZN7rocprim17ROCPRIM_400000_NS6detail17trampoline_kernelINS0_14default_configENS1_20scan_config_selectorIdEEZZNS1_9scan_implILNS1_25lookback_scan_determinismE0ELb0ELb0ES3_PKdPddZZZN2at6native31launch_logcumsumexp_cuda_kernelERKNSB_10TensorBaseESF_lENKUlvE_clEvENKUlvE_clEvEUlddE_dEEDaPvRmT3_T4_T5_mT6_P12ihipStream_tbENKUlT_T0_E_clISt17integral_constantIbLb0EESW_EEDaSR_SS_EUlSR_E_NS1_11comp_targetILNS1_3genE10ELNS1_11target_archE1201ELNS1_3gpuE5ELNS1_3repE0EEENS1_30default_config_static_selectorELNS0_4arch9wavefront6targetE1EEEvT1_
		.amdhsa_group_segment_fixed_size 0
		.amdhsa_private_segment_fixed_size 0
		.amdhsa_kernarg_size 104
		.amdhsa_user_sgpr_count 6
		.amdhsa_user_sgpr_private_segment_buffer 1
		.amdhsa_user_sgpr_dispatch_ptr 0
		.amdhsa_user_sgpr_queue_ptr 0
		.amdhsa_user_sgpr_kernarg_segment_ptr 1
		.amdhsa_user_sgpr_dispatch_id 0
		.amdhsa_user_sgpr_flat_scratch_init 0
		.amdhsa_user_sgpr_kernarg_preload_length 0
		.amdhsa_user_sgpr_kernarg_preload_offset 0
		.amdhsa_user_sgpr_private_segment_size 0
		.amdhsa_uses_dynamic_stack 0
		.amdhsa_system_sgpr_private_segment_wavefront_offset 0
		.amdhsa_system_sgpr_workgroup_id_x 1
		.amdhsa_system_sgpr_workgroup_id_y 0
		.amdhsa_system_sgpr_workgroup_id_z 0
		.amdhsa_system_sgpr_workgroup_info 0
		.amdhsa_system_vgpr_workitem_id 0
		.amdhsa_next_free_vgpr 1
		.amdhsa_next_free_sgpr 0
		.amdhsa_accum_offset 4
		.amdhsa_reserve_vcc 0
		.amdhsa_reserve_flat_scratch 0
		.amdhsa_float_round_mode_32 0
		.amdhsa_float_round_mode_16_64 0
		.amdhsa_float_denorm_mode_32 3
		.amdhsa_float_denorm_mode_16_64 3
		.amdhsa_dx10_clamp 1
		.amdhsa_ieee_mode 1
		.amdhsa_fp16_overflow 0
		.amdhsa_tg_split 0
		.amdhsa_exception_fp_ieee_invalid_op 0
		.amdhsa_exception_fp_denorm_src 0
		.amdhsa_exception_fp_ieee_div_zero 0
		.amdhsa_exception_fp_ieee_overflow 0
		.amdhsa_exception_fp_ieee_underflow 0
		.amdhsa_exception_fp_ieee_inexact 0
		.amdhsa_exception_int_div_zero 0
	.end_amdhsa_kernel
	.section	.text._ZN7rocprim17ROCPRIM_400000_NS6detail17trampoline_kernelINS0_14default_configENS1_20scan_config_selectorIdEEZZNS1_9scan_implILNS1_25lookback_scan_determinismE0ELb0ELb0ES3_PKdPddZZZN2at6native31launch_logcumsumexp_cuda_kernelERKNSB_10TensorBaseESF_lENKUlvE_clEvENKUlvE_clEvEUlddE_dEEDaPvRmT3_T4_T5_mT6_P12ihipStream_tbENKUlT_T0_E_clISt17integral_constantIbLb0EESW_EEDaSR_SS_EUlSR_E_NS1_11comp_targetILNS1_3genE10ELNS1_11target_archE1201ELNS1_3gpuE5ELNS1_3repE0EEENS1_30default_config_static_selectorELNS0_4arch9wavefront6targetE1EEEvT1_,"axG",@progbits,_ZN7rocprim17ROCPRIM_400000_NS6detail17trampoline_kernelINS0_14default_configENS1_20scan_config_selectorIdEEZZNS1_9scan_implILNS1_25lookback_scan_determinismE0ELb0ELb0ES3_PKdPddZZZN2at6native31launch_logcumsumexp_cuda_kernelERKNSB_10TensorBaseESF_lENKUlvE_clEvENKUlvE_clEvEUlddE_dEEDaPvRmT3_T4_T5_mT6_P12ihipStream_tbENKUlT_T0_E_clISt17integral_constantIbLb0EESW_EEDaSR_SS_EUlSR_E_NS1_11comp_targetILNS1_3genE10ELNS1_11target_archE1201ELNS1_3gpuE5ELNS1_3repE0EEENS1_30default_config_static_selectorELNS0_4arch9wavefront6targetE1EEEvT1_,comdat
.Lfunc_end6:
	.size	_ZN7rocprim17ROCPRIM_400000_NS6detail17trampoline_kernelINS0_14default_configENS1_20scan_config_selectorIdEEZZNS1_9scan_implILNS1_25lookback_scan_determinismE0ELb0ELb0ES3_PKdPddZZZN2at6native31launch_logcumsumexp_cuda_kernelERKNSB_10TensorBaseESF_lENKUlvE_clEvENKUlvE_clEvEUlddE_dEEDaPvRmT3_T4_T5_mT6_P12ihipStream_tbENKUlT_T0_E_clISt17integral_constantIbLb0EESW_EEDaSR_SS_EUlSR_E_NS1_11comp_targetILNS1_3genE10ELNS1_11target_archE1201ELNS1_3gpuE5ELNS1_3repE0EEENS1_30default_config_static_selectorELNS0_4arch9wavefront6targetE1EEEvT1_, .Lfunc_end6-_ZN7rocprim17ROCPRIM_400000_NS6detail17trampoline_kernelINS0_14default_configENS1_20scan_config_selectorIdEEZZNS1_9scan_implILNS1_25lookback_scan_determinismE0ELb0ELb0ES3_PKdPddZZZN2at6native31launch_logcumsumexp_cuda_kernelERKNSB_10TensorBaseESF_lENKUlvE_clEvENKUlvE_clEvEUlddE_dEEDaPvRmT3_T4_T5_mT6_P12ihipStream_tbENKUlT_T0_E_clISt17integral_constantIbLb0EESW_EEDaSR_SS_EUlSR_E_NS1_11comp_targetILNS1_3genE10ELNS1_11target_archE1201ELNS1_3gpuE5ELNS1_3repE0EEENS1_30default_config_static_selectorELNS0_4arch9wavefront6targetE1EEEvT1_
                                        ; -- End function
	.section	.AMDGPU.csdata,"",@progbits
; Kernel info:
; codeLenInByte = 0
; NumSgprs: 4
; NumVgprs: 0
; NumAgprs: 0
; TotalNumVgprs: 0
; ScratchSize: 0
; MemoryBound: 0
; FloatMode: 240
; IeeeMode: 1
; LDSByteSize: 0 bytes/workgroup (compile time only)
; SGPRBlocks: 0
; VGPRBlocks: 0
; NumSGPRsForWavesPerEU: 4
; NumVGPRsForWavesPerEU: 1
; AccumOffset: 4
; Occupancy: 8
; WaveLimiterHint : 0
; COMPUTE_PGM_RSRC2:SCRATCH_EN: 0
; COMPUTE_PGM_RSRC2:USER_SGPR: 6
; COMPUTE_PGM_RSRC2:TRAP_HANDLER: 0
; COMPUTE_PGM_RSRC2:TGID_X_EN: 1
; COMPUTE_PGM_RSRC2:TGID_Y_EN: 0
; COMPUTE_PGM_RSRC2:TGID_Z_EN: 0
; COMPUTE_PGM_RSRC2:TIDIG_COMP_CNT: 0
; COMPUTE_PGM_RSRC3_GFX90A:ACCUM_OFFSET: 0
; COMPUTE_PGM_RSRC3_GFX90A:TG_SPLIT: 0
	.section	.text._ZN7rocprim17ROCPRIM_400000_NS6detail17trampoline_kernelINS0_14default_configENS1_20scan_config_selectorIdEEZZNS1_9scan_implILNS1_25lookback_scan_determinismE0ELb0ELb0ES3_PKdPddZZZN2at6native31launch_logcumsumexp_cuda_kernelERKNSB_10TensorBaseESF_lENKUlvE_clEvENKUlvE_clEvEUlddE_dEEDaPvRmT3_T4_T5_mT6_P12ihipStream_tbENKUlT_T0_E_clISt17integral_constantIbLb0EESW_EEDaSR_SS_EUlSR_E_NS1_11comp_targetILNS1_3genE10ELNS1_11target_archE1200ELNS1_3gpuE4ELNS1_3repE0EEENS1_30default_config_static_selectorELNS0_4arch9wavefront6targetE1EEEvT1_,"axG",@progbits,_ZN7rocprim17ROCPRIM_400000_NS6detail17trampoline_kernelINS0_14default_configENS1_20scan_config_selectorIdEEZZNS1_9scan_implILNS1_25lookback_scan_determinismE0ELb0ELb0ES3_PKdPddZZZN2at6native31launch_logcumsumexp_cuda_kernelERKNSB_10TensorBaseESF_lENKUlvE_clEvENKUlvE_clEvEUlddE_dEEDaPvRmT3_T4_T5_mT6_P12ihipStream_tbENKUlT_T0_E_clISt17integral_constantIbLb0EESW_EEDaSR_SS_EUlSR_E_NS1_11comp_targetILNS1_3genE10ELNS1_11target_archE1200ELNS1_3gpuE4ELNS1_3repE0EEENS1_30default_config_static_selectorELNS0_4arch9wavefront6targetE1EEEvT1_,comdat
	.globl	_ZN7rocprim17ROCPRIM_400000_NS6detail17trampoline_kernelINS0_14default_configENS1_20scan_config_selectorIdEEZZNS1_9scan_implILNS1_25lookback_scan_determinismE0ELb0ELb0ES3_PKdPddZZZN2at6native31launch_logcumsumexp_cuda_kernelERKNSB_10TensorBaseESF_lENKUlvE_clEvENKUlvE_clEvEUlddE_dEEDaPvRmT3_T4_T5_mT6_P12ihipStream_tbENKUlT_T0_E_clISt17integral_constantIbLb0EESW_EEDaSR_SS_EUlSR_E_NS1_11comp_targetILNS1_3genE10ELNS1_11target_archE1200ELNS1_3gpuE4ELNS1_3repE0EEENS1_30default_config_static_selectorELNS0_4arch9wavefront6targetE1EEEvT1_ ; -- Begin function _ZN7rocprim17ROCPRIM_400000_NS6detail17trampoline_kernelINS0_14default_configENS1_20scan_config_selectorIdEEZZNS1_9scan_implILNS1_25lookback_scan_determinismE0ELb0ELb0ES3_PKdPddZZZN2at6native31launch_logcumsumexp_cuda_kernelERKNSB_10TensorBaseESF_lENKUlvE_clEvENKUlvE_clEvEUlddE_dEEDaPvRmT3_T4_T5_mT6_P12ihipStream_tbENKUlT_T0_E_clISt17integral_constantIbLb0EESW_EEDaSR_SS_EUlSR_E_NS1_11comp_targetILNS1_3genE10ELNS1_11target_archE1200ELNS1_3gpuE4ELNS1_3repE0EEENS1_30default_config_static_selectorELNS0_4arch9wavefront6targetE1EEEvT1_
	.p2align	8
	.type	_ZN7rocprim17ROCPRIM_400000_NS6detail17trampoline_kernelINS0_14default_configENS1_20scan_config_selectorIdEEZZNS1_9scan_implILNS1_25lookback_scan_determinismE0ELb0ELb0ES3_PKdPddZZZN2at6native31launch_logcumsumexp_cuda_kernelERKNSB_10TensorBaseESF_lENKUlvE_clEvENKUlvE_clEvEUlddE_dEEDaPvRmT3_T4_T5_mT6_P12ihipStream_tbENKUlT_T0_E_clISt17integral_constantIbLb0EESW_EEDaSR_SS_EUlSR_E_NS1_11comp_targetILNS1_3genE10ELNS1_11target_archE1200ELNS1_3gpuE4ELNS1_3repE0EEENS1_30default_config_static_selectorELNS0_4arch9wavefront6targetE1EEEvT1_,@function
_ZN7rocprim17ROCPRIM_400000_NS6detail17trampoline_kernelINS0_14default_configENS1_20scan_config_selectorIdEEZZNS1_9scan_implILNS1_25lookback_scan_determinismE0ELb0ELb0ES3_PKdPddZZZN2at6native31launch_logcumsumexp_cuda_kernelERKNSB_10TensorBaseESF_lENKUlvE_clEvENKUlvE_clEvEUlddE_dEEDaPvRmT3_T4_T5_mT6_P12ihipStream_tbENKUlT_T0_E_clISt17integral_constantIbLb0EESW_EEDaSR_SS_EUlSR_E_NS1_11comp_targetILNS1_3genE10ELNS1_11target_archE1200ELNS1_3gpuE4ELNS1_3repE0EEENS1_30default_config_static_selectorELNS0_4arch9wavefront6targetE1EEEvT1_: ; @_ZN7rocprim17ROCPRIM_400000_NS6detail17trampoline_kernelINS0_14default_configENS1_20scan_config_selectorIdEEZZNS1_9scan_implILNS1_25lookback_scan_determinismE0ELb0ELb0ES3_PKdPddZZZN2at6native31launch_logcumsumexp_cuda_kernelERKNSB_10TensorBaseESF_lENKUlvE_clEvENKUlvE_clEvEUlddE_dEEDaPvRmT3_T4_T5_mT6_P12ihipStream_tbENKUlT_T0_E_clISt17integral_constantIbLb0EESW_EEDaSR_SS_EUlSR_E_NS1_11comp_targetILNS1_3genE10ELNS1_11target_archE1200ELNS1_3gpuE4ELNS1_3repE0EEENS1_30default_config_static_selectorELNS0_4arch9wavefront6targetE1EEEvT1_
; %bb.0:
	.section	.rodata,"a",@progbits
	.p2align	6, 0x0
	.amdhsa_kernel _ZN7rocprim17ROCPRIM_400000_NS6detail17trampoline_kernelINS0_14default_configENS1_20scan_config_selectorIdEEZZNS1_9scan_implILNS1_25lookback_scan_determinismE0ELb0ELb0ES3_PKdPddZZZN2at6native31launch_logcumsumexp_cuda_kernelERKNSB_10TensorBaseESF_lENKUlvE_clEvENKUlvE_clEvEUlddE_dEEDaPvRmT3_T4_T5_mT6_P12ihipStream_tbENKUlT_T0_E_clISt17integral_constantIbLb0EESW_EEDaSR_SS_EUlSR_E_NS1_11comp_targetILNS1_3genE10ELNS1_11target_archE1200ELNS1_3gpuE4ELNS1_3repE0EEENS1_30default_config_static_selectorELNS0_4arch9wavefront6targetE1EEEvT1_
		.amdhsa_group_segment_fixed_size 0
		.amdhsa_private_segment_fixed_size 0
		.amdhsa_kernarg_size 104
		.amdhsa_user_sgpr_count 6
		.amdhsa_user_sgpr_private_segment_buffer 1
		.amdhsa_user_sgpr_dispatch_ptr 0
		.amdhsa_user_sgpr_queue_ptr 0
		.amdhsa_user_sgpr_kernarg_segment_ptr 1
		.amdhsa_user_sgpr_dispatch_id 0
		.amdhsa_user_sgpr_flat_scratch_init 0
		.amdhsa_user_sgpr_kernarg_preload_length 0
		.amdhsa_user_sgpr_kernarg_preload_offset 0
		.amdhsa_user_sgpr_private_segment_size 0
		.amdhsa_uses_dynamic_stack 0
		.amdhsa_system_sgpr_private_segment_wavefront_offset 0
		.amdhsa_system_sgpr_workgroup_id_x 1
		.amdhsa_system_sgpr_workgroup_id_y 0
		.amdhsa_system_sgpr_workgroup_id_z 0
		.amdhsa_system_sgpr_workgroup_info 0
		.amdhsa_system_vgpr_workitem_id 0
		.amdhsa_next_free_vgpr 1
		.amdhsa_next_free_sgpr 0
		.amdhsa_accum_offset 4
		.amdhsa_reserve_vcc 0
		.amdhsa_reserve_flat_scratch 0
		.amdhsa_float_round_mode_32 0
		.amdhsa_float_round_mode_16_64 0
		.amdhsa_float_denorm_mode_32 3
		.amdhsa_float_denorm_mode_16_64 3
		.amdhsa_dx10_clamp 1
		.amdhsa_ieee_mode 1
		.amdhsa_fp16_overflow 0
		.amdhsa_tg_split 0
		.amdhsa_exception_fp_ieee_invalid_op 0
		.amdhsa_exception_fp_denorm_src 0
		.amdhsa_exception_fp_ieee_div_zero 0
		.amdhsa_exception_fp_ieee_overflow 0
		.amdhsa_exception_fp_ieee_underflow 0
		.amdhsa_exception_fp_ieee_inexact 0
		.amdhsa_exception_int_div_zero 0
	.end_amdhsa_kernel
	.section	.text._ZN7rocprim17ROCPRIM_400000_NS6detail17trampoline_kernelINS0_14default_configENS1_20scan_config_selectorIdEEZZNS1_9scan_implILNS1_25lookback_scan_determinismE0ELb0ELb0ES3_PKdPddZZZN2at6native31launch_logcumsumexp_cuda_kernelERKNSB_10TensorBaseESF_lENKUlvE_clEvENKUlvE_clEvEUlddE_dEEDaPvRmT3_T4_T5_mT6_P12ihipStream_tbENKUlT_T0_E_clISt17integral_constantIbLb0EESW_EEDaSR_SS_EUlSR_E_NS1_11comp_targetILNS1_3genE10ELNS1_11target_archE1200ELNS1_3gpuE4ELNS1_3repE0EEENS1_30default_config_static_selectorELNS0_4arch9wavefront6targetE1EEEvT1_,"axG",@progbits,_ZN7rocprim17ROCPRIM_400000_NS6detail17trampoline_kernelINS0_14default_configENS1_20scan_config_selectorIdEEZZNS1_9scan_implILNS1_25lookback_scan_determinismE0ELb0ELb0ES3_PKdPddZZZN2at6native31launch_logcumsumexp_cuda_kernelERKNSB_10TensorBaseESF_lENKUlvE_clEvENKUlvE_clEvEUlddE_dEEDaPvRmT3_T4_T5_mT6_P12ihipStream_tbENKUlT_T0_E_clISt17integral_constantIbLb0EESW_EEDaSR_SS_EUlSR_E_NS1_11comp_targetILNS1_3genE10ELNS1_11target_archE1200ELNS1_3gpuE4ELNS1_3repE0EEENS1_30default_config_static_selectorELNS0_4arch9wavefront6targetE1EEEvT1_,comdat
.Lfunc_end7:
	.size	_ZN7rocprim17ROCPRIM_400000_NS6detail17trampoline_kernelINS0_14default_configENS1_20scan_config_selectorIdEEZZNS1_9scan_implILNS1_25lookback_scan_determinismE0ELb0ELb0ES3_PKdPddZZZN2at6native31launch_logcumsumexp_cuda_kernelERKNSB_10TensorBaseESF_lENKUlvE_clEvENKUlvE_clEvEUlddE_dEEDaPvRmT3_T4_T5_mT6_P12ihipStream_tbENKUlT_T0_E_clISt17integral_constantIbLb0EESW_EEDaSR_SS_EUlSR_E_NS1_11comp_targetILNS1_3genE10ELNS1_11target_archE1200ELNS1_3gpuE4ELNS1_3repE0EEENS1_30default_config_static_selectorELNS0_4arch9wavefront6targetE1EEEvT1_, .Lfunc_end7-_ZN7rocprim17ROCPRIM_400000_NS6detail17trampoline_kernelINS0_14default_configENS1_20scan_config_selectorIdEEZZNS1_9scan_implILNS1_25lookback_scan_determinismE0ELb0ELb0ES3_PKdPddZZZN2at6native31launch_logcumsumexp_cuda_kernelERKNSB_10TensorBaseESF_lENKUlvE_clEvENKUlvE_clEvEUlddE_dEEDaPvRmT3_T4_T5_mT6_P12ihipStream_tbENKUlT_T0_E_clISt17integral_constantIbLb0EESW_EEDaSR_SS_EUlSR_E_NS1_11comp_targetILNS1_3genE10ELNS1_11target_archE1200ELNS1_3gpuE4ELNS1_3repE0EEENS1_30default_config_static_selectorELNS0_4arch9wavefront6targetE1EEEvT1_
                                        ; -- End function
	.section	.AMDGPU.csdata,"",@progbits
; Kernel info:
; codeLenInByte = 0
; NumSgprs: 4
; NumVgprs: 0
; NumAgprs: 0
; TotalNumVgprs: 0
; ScratchSize: 0
; MemoryBound: 0
; FloatMode: 240
; IeeeMode: 1
; LDSByteSize: 0 bytes/workgroup (compile time only)
; SGPRBlocks: 0
; VGPRBlocks: 0
; NumSGPRsForWavesPerEU: 4
; NumVGPRsForWavesPerEU: 1
; AccumOffset: 4
; Occupancy: 8
; WaveLimiterHint : 0
; COMPUTE_PGM_RSRC2:SCRATCH_EN: 0
; COMPUTE_PGM_RSRC2:USER_SGPR: 6
; COMPUTE_PGM_RSRC2:TRAP_HANDLER: 0
; COMPUTE_PGM_RSRC2:TGID_X_EN: 1
; COMPUTE_PGM_RSRC2:TGID_Y_EN: 0
; COMPUTE_PGM_RSRC2:TGID_Z_EN: 0
; COMPUTE_PGM_RSRC2:TIDIG_COMP_CNT: 0
; COMPUTE_PGM_RSRC3_GFX90A:ACCUM_OFFSET: 0
; COMPUTE_PGM_RSRC3_GFX90A:TG_SPLIT: 0
	.section	.text._ZN7rocprim17ROCPRIM_400000_NS6detail17trampoline_kernelINS0_14default_configENS1_20scan_config_selectorIdEEZZNS1_9scan_implILNS1_25lookback_scan_determinismE0ELb0ELb0ES3_PKdPddZZZN2at6native31launch_logcumsumexp_cuda_kernelERKNSB_10TensorBaseESF_lENKUlvE_clEvENKUlvE_clEvEUlddE_dEEDaPvRmT3_T4_T5_mT6_P12ihipStream_tbENKUlT_T0_E_clISt17integral_constantIbLb0EESW_EEDaSR_SS_EUlSR_E_NS1_11comp_targetILNS1_3genE9ELNS1_11target_archE1100ELNS1_3gpuE3ELNS1_3repE0EEENS1_30default_config_static_selectorELNS0_4arch9wavefront6targetE1EEEvT1_,"axG",@progbits,_ZN7rocprim17ROCPRIM_400000_NS6detail17trampoline_kernelINS0_14default_configENS1_20scan_config_selectorIdEEZZNS1_9scan_implILNS1_25lookback_scan_determinismE0ELb0ELb0ES3_PKdPddZZZN2at6native31launch_logcumsumexp_cuda_kernelERKNSB_10TensorBaseESF_lENKUlvE_clEvENKUlvE_clEvEUlddE_dEEDaPvRmT3_T4_T5_mT6_P12ihipStream_tbENKUlT_T0_E_clISt17integral_constantIbLb0EESW_EEDaSR_SS_EUlSR_E_NS1_11comp_targetILNS1_3genE9ELNS1_11target_archE1100ELNS1_3gpuE3ELNS1_3repE0EEENS1_30default_config_static_selectorELNS0_4arch9wavefront6targetE1EEEvT1_,comdat
	.globl	_ZN7rocprim17ROCPRIM_400000_NS6detail17trampoline_kernelINS0_14default_configENS1_20scan_config_selectorIdEEZZNS1_9scan_implILNS1_25lookback_scan_determinismE0ELb0ELb0ES3_PKdPddZZZN2at6native31launch_logcumsumexp_cuda_kernelERKNSB_10TensorBaseESF_lENKUlvE_clEvENKUlvE_clEvEUlddE_dEEDaPvRmT3_T4_T5_mT6_P12ihipStream_tbENKUlT_T0_E_clISt17integral_constantIbLb0EESW_EEDaSR_SS_EUlSR_E_NS1_11comp_targetILNS1_3genE9ELNS1_11target_archE1100ELNS1_3gpuE3ELNS1_3repE0EEENS1_30default_config_static_selectorELNS0_4arch9wavefront6targetE1EEEvT1_ ; -- Begin function _ZN7rocprim17ROCPRIM_400000_NS6detail17trampoline_kernelINS0_14default_configENS1_20scan_config_selectorIdEEZZNS1_9scan_implILNS1_25lookback_scan_determinismE0ELb0ELb0ES3_PKdPddZZZN2at6native31launch_logcumsumexp_cuda_kernelERKNSB_10TensorBaseESF_lENKUlvE_clEvENKUlvE_clEvEUlddE_dEEDaPvRmT3_T4_T5_mT6_P12ihipStream_tbENKUlT_T0_E_clISt17integral_constantIbLb0EESW_EEDaSR_SS_EUlSR_E_NS1_11comp_targetILNS1_3genE9ELNS1_11target_archE1100ELNS1_3gpuE3ELNS1_3repE0EEENS1_30default_config_static_selectorELNS0_4arch9wavefront6targetE1EEEvT1_
	.p2align	8
	.type	_ZN7rocprim17ROCPRIM_400000_NS6detail17trampoline_kernelINS0_14default_configENS1_20scan_config_selectorIdEEZZNS1_9scan_implILNS1_25lookback_scan_determinismE0ELb0ELb0ES3_PKdPddZZZN2at6native31launch_logcumsumexp_cuda_kernelERKNSB_10TensorBaseESF_lENKUlvE_clEvENKUlvE_clEvEUlddE_dEEDaPvRmT3_T4_T5_mT6_P12ihipStream_tbENKUlT_T0_E_clISt17integral_constantIbLb0EESW_EEDaSR_SS_EUlSR_E_NS1_11comp_targetILNS1_3genE9ELNS1_11target_archE1100ELNS1_3gpuE3ELNS1_3repE0EEENS1_30default_config_static_selectorELNS0_4arch9wavefront6targetE1EEEvT1_,@function
_ZN7rocprim17ROCPRIM_400000_NS6detail17trampoline_kernelINS0_14default_configENS1_20scan_config_selectorIdEEZZNS1_9scan_implILNS1_25lookback_scan_determinismE0ELb0ELb0ES3_PKdPddZZZN2at6native31launch_logcumsumexp_cuda_kernelERKNSB_10TensorBaseESF_lENKUlvE_clEvENKUlvE_clEvEUlddE_dEEDaPvRmT3_T4_T5_mT6_P12ihipStream_tbENKUlT_T0_E_clISt17integral_constantIbLb0EESW_EEDaSR_SS_EUlSR_E_NS1_11comp_targetILNS1_3genE9ELNS1_11target_archE1100ELNS1_3gpuE3ELNS1_3repE0EEENS1_30default_config_static_selectorELNS0_4arch9wavefront6targetE1EEEvT1_: ; @_ZN7rocprim17ROCPRIM_400000_NS6detail17trampoline_kernelINS0_14default_configENS1_20scan_config_selectorIdEEZZNS1_9scan_implILNS1_25lookback_scan_determinismE0ELb0ELb0ES3_PKdPddZZZN2at6native31launch_logcumsumexp_cuda_kernelERKNSB_10TensorBaseESF_lENKUlvE_clEvENKUlvE_clEvEUlddE_dEEDaPvRmT3_T4_T5_mT6_P12ihipStream_tbENKUlT_T0_E_clISt17integral_constantIbLb0EESW_EEDaSR_SS_EUlSR_E_NS1_11comp_targetILNS1_3genE9ELNS1_11target_archE1100ELNS1_3gpuE3ELNS1_3repE0EEENS1_30default_config_static_selectorELNS0_4arch9wavefront6targetE1EEEvT1_
; %bb.0:
	.section	.rodata,"a",@progbits
	.p2align	6, 0x0
	.amdhsa_kernel _ZN7rocprim17ROCPRIM_400000_NS6detail17trampoline_kernelINS0_14default_configENS1_20scan_config_selectorIdEEZZNS1_9scan_implILNS1_25lookback_scan_determinismE0ELb0ELb0ES3_PKdPddZZZN2at6native31launch_logcumsumexp_cuda_kernelERKNSB_10TensorBaseESF_lENKUlvE_clEvENKUlvE_clEvEUlddE_dEEDaPvRmT3_T4_T5_mT6_P12ihipStream_tbENKUlT_T0_E_clISt17integral_constantIbLb0EESW_EEDaSR_SS_EUlSR_E_NS1_11comp_targetILNS1_3genE9ELNS1_11target_archE1100ELNS1_3gpuE3ELNS1_3repE0EEENS1_30default_config_static_selectorELNS0_4arch9wavefront6targetE1EEEvT1_
		.amdhsa_group_segment_fixed_size 0
		.amdhsa_private_segment_fixed_size 0
		.amdhsa_kernarg_size 104
		.amdhsa_user_sgpr_count 6
		.amdhsa_user_sgpr_private_segment_buffer 1
		.amdhsa_user_sgpr_dispatch_ptr 0
		.amdhsa_user_sgpr_queue_ptr 0
		.amdhsa_user_sgpr_kernarg_segment_ptr 1
		.amdhsa_user_sgpr_dispatch_id 0
		.amdhsa_user_sgpr_flat_scratch_init 0
		.amdhsa_user_sgpr_kernarg_preload_length 0
		.amdhsa_user_sgpr_kernarg_preload_offset 0
		.amdhsa_user_sgpr_private_segment_size 0
		.amdhsa_uses_dynamic_stack 0
		.amdhsa_system_sgpr_private_segment_wavefront_offset 0
		.amdhsa_system_sgpr_workgroup_id_x 1
		.amdhsa_system_sgpr_workgroup_id_y 0
		.amdhsa_system_sgpr_workgroup_id_z 0
		.amdhsa_system_sgpr_workgroup_info 0
		.amdhsa_system_vgpr_workitem_id 0
		.amdhsa_next_free_vgpr 1
		.amdhsa_next_free_sgpr 0
		.amdhsa_accum_offset 4
		.amdhsa_reserve_vcc 0
		.amdhsa_reserve_flat_scratch 0
		.amdhsa_float_round_mode_32 0
		.amdhsa_float_round_mode_16_64 0
		.amdhsa_float_denorm_mode_32 3
		.amdhsa_float_denorm_mode_16_64 3
		.amdhsa_dx10_clamp 1
		.amdhsa_ieee_mode 1
		.amdhsa_fp16_overflow 0
		.amdhsa_tg_split 0
		.amdhsa_exception_fp_ieee_invalid_op 0
		.amdhsa_exception_fp_denorm_src 0
		.amdhsa_exception_fp_ieee_div_zero 0
		.amdhsa_exception_fp_ieee_overflow 0
		.amdhsa_exception_fp_ieee_underflow 0
		.amdhsa_exception_fp_ieee_inexact 0
		.amdhsa_exception_int_div_zero 0
	.end_amdhsa_kernel
	.section	.text._ZN7rocprim17ROCPRIM_400000_NS6detail17trampoline_kernelINS0_14default_configENS1_20scan_config_selectorIdEEZZNS1_9scan_implILNS1_25lookback_scan_determinismE0ELb0ELb0ES3_PKdPddZZZN2at6native31launch_logcumsumexp_cuda_kernelERKNSB_10TensorBaseESF_lENKUlvE_clEvENKUlvE_clEvEUlddE_dEEDaPvRmT3_T4_T5_mT6_P12ihipStream_tbENKUlT_T0_E_clISt17integral_constantIbLb0EESW_EEDaSR_SS_EUlSR_E_NS1_11comp_targetILNS1_3genE9ELNS1_11target_archE1100ELNS1_3gpuE3ELNS1_3repE0EEENS1_30default_config_static_selectorELNS0_4arch9wavefront6targetE1EEEvT1_,"axG",@progbits,_ZN7rocprim17ROCPRIM_400000_NS6detail17trampoline_kernelINS0_14default_configENS1_20scan_config_selectorIdEEZZNS1_9scan_implILNS1_25lookback_scan_determinismE0ELb0ELb0ES3_PKdPddZZZN2at6native31launch_logcumsumexp_cuda_kernelERKNSB_10TensorBaseESF_lENKUlvE_clEvENKUlvE_clEvEUlddE_dEEDaPvRmT3_T4_T5_mT6_P12ihipStream_tbENKUlT_T0_E_clISt17integral_constantIbLb0EESW_EEDaSR_SS_EUlSR_E_NS1_11comp_targetILNS1_3genE9ELNS1_11target_archE1100ELNS1_3gpuE3ELNS1_3repE0EEENS1_30default_config_static_selectorELNS0_4arch9wavefront6targetE1EEEvT1_,comdat
.Lfunc_end8:
	.size	_ZN7rocprim17ROCPRIM_400000_NS6detail17trampoline_kernelINS0_14default_configENS1_20scan_config_selectorIdEEZZNS1_9scan_implILNS1_25lookback_scan_determinismE0ELb0ELb0ES3_PKdPddZZZN2at6native31launch_logcumsumexp_cuda_kernelERKNSB_10TensorBaseESF_lENKUlvE_clEvENKUlvE_clEvEUlddE_dEEDaPvRmT3_T4_T5_mT6_P12ihipStream_tbENKUlT_T0_E_clISt17integral_constantIbLb0EESW_EEDaSR_SS_EUlSR_E_NS1_11comp_targetILNS1_3genE9ELNS1_11target_archE1100ELNS1_3gpuE3ELNS1_3repE0EEENS1_30default_config_static_selectorELNS0_4arch9wavefront6targetE1EEEvT1_, .Lfunc_end8-_ZN7rocprim17ROCPRIM_400000_NS6detail17trampoline_kernelINS0_14default_configENS1_20scan_config_selectorIdEEZZNS1_9scan_implILNS1_25lookback_scan_determinismE0ELb0ELb0ES3_PKdPddZZZN2at6native31launch_logcumsumexp_cuda_kernelERKNSB_10TensorBaseESF_lENKUlvE_clEvENKUlvE_clEvEUlddE_dEEDaPvRmT3_T4_T5_mT6_P12ihipStream_tbENKUlT_T0_E_clISt17integral_constantIbLb0EESW_EEDaSR_SS_EUlSR_E_NS1_11comp_targetILNS1_3genE9ELNS1_11target_archE1100ELNS1_3gpuE3ELNS1_3repE0EEENS1_30default_config_static_selectorELNS0_4arch9wavefront6targetE1EEEvT1_
                                        ; -- End function
	.section	.AMDGPU.csdata,"",@progbits
; Kernel info:
; codeLenInByte = 0
; NumSgprs: 4
; NumVgprs: 0
; NumAgprs: 0
; TotalNumVgprs: 0
; ScratchSize: 0
; MemoryBound: 0
; FloatMode: 240
; IeeeMode: 1
; LDSByteSize: 0 bytes/workgroup (compile time only)
; SGPRBlocks: 0
; VGPRBlocks: 0
; NumSGPRsForWavesPerEU: 4
; NumVGPRsForWavesPerEU: 1
; AccumOffset: 4
; Occupancy: 8
; WaveLimiterHint : 0
; COMPUTE_PGM_RSRC2:SCRATCH_EN: 0
; COMPUTE_PGM_RSRC2:USER_SGPR: 6
; COMPUTE_PGM_RSRC2:TRAP_HANDLER: 0
; COMPUTE_PGM_RSRC2:TGID_X_EN: 1
; COMPUTE_PGM_RSRC2:TGID_Y_EN: 0
; COMPUTE_PGM_RSRC2:TGID_Z_EN: 0
; COMPUTE_PGM_RSRC2:TIDIG_COMP_CNT: 0
; COMPUTE_PGM_RSRC3_GFX90A:ACCUM_OFFSET: 0
; COMPUTE_PGM_RSRC3_GFX90A:TG_SPLIT: 0
	.section	.text._ZN7rocprim17ROCPRIM_400000_NS6detail17trampoline_kernelINS0_14default_configENS1_20scan_config_selectorIdEEZZNS1_9scan_implILNS1_25lookback_scan_determinismE0ELb0ELb0ES3_PKdPddZZZN2at6native31launch_logcumsumexp_cuda_kernelERKNSB_10TensorBaseESF_lENKUlvE_clEvENKUlvE_clEvEUlddE_dEEDaPvRmT3_T4_T5_mT6_P12ihipStream_tbENKUlT_T0_E_clISt17integral_constantIbLb0EESW_EEDaSR_SS_EUlSR_E_NS1_11comp_targetILNS1_3genE8ELNS1_11target_archE1030ELNS1_3gpuE2ELNS1_3repE0EEENS1_30default_config_static_selectorELNS0_4arch9wavefront6targetE1EEEvT1_,"axG",@progbits,_ZN7rocprim17ROCPRIM_400000_NS6detail17trampoline_kernelINS0_14default_configENS1_20scan_config_selectorIdEEZZNS1_9scan_implILNS1_25lookback_scan_determinismE0ELb0ELb0ES3_PKdPddZZZN2at6native31launch_logcumsumexp_cuda_kernelERKNSB_10TensorBaseESF_lENKUlvE_clEvENKUlvE_clEvEUlddE_dEEDaPvRmT3_T4_T5_mT6_P12ihipStream_tbENKUlT_T0_E_clISt17integral_constantIbLb0EESW_EEDaSR_SS_EUlSR_E_NS1_11comp_targetILNS1_3genE8ELNS1_11target_archE1030ELNS1_3gpuE2ELNS1_3repE0EEENS1_30default_config_static_selectorELNS0_4arch9wavefront6targetE1EEEvT1_,comdat
	.globl	_ZN7rocprim17ROCPRIM_400000_NS6detail17trampoline_kernelINS0_14default_configENS1_20scan_config_selectorIdEEZZNS1_9scan_implILNS1_25lookback_scan_determinismE0ELb0ELb0ES3_PKdPddZZZN2at6native31launch_logcumsumexp_cuda_kernelERKNSB_10TensorBaseESF_lENKUlvE_clEvENKUlvE_clEvEUlddE_dEEDaPvRmT3_T4_T5_mT6_P12ihipStream_tbENKUlT_T0_E_clISt17integral_constantIbLb0EESW_EEDaSR_SS_EUlSR_E_NS1_11comp_targetILNS1_3genE8ELNS1_11target_archE1030ELNS1_3gpuE2ELNS1_3repE0EEENS1_30default_config_static_selectorELNS0_4arch9wavefront6targetE1EEEvT1_ ; -- Begin function _ZN7rocprim17ROCPRIM_400000_NS6detail17trampoline_kernelINS0_14default_configENS1_20scan_config_selectorIdEEZZNS1_9scan_implILNS1_25lookback_scan_determinismE0ELb0ELb0ES3_PKdPddZZZN2at6native31launch_logcumsumexp_cuda_kernelERKNSB_10TensorBaseESF_lENKUlvE_clEvENKUlvE_clEvEUlddE_dEEDaPvRmT3_T4_T5_mT6_P12ihipStream_tbENKUlT_T0_E_clISt17integral_constantIbLb0EESW_EEDaSR_SS_EUlSR_E_NS1_11comp_targetILNS1_3genE8ELNS1_11target_archE1030ELNS1_3gpuE2ELNS1_3repE0EEENS1_30default_config_static_selectorELNS0_4arch9wavefront6targetE1EEEvT1_
	.p2align	8
	.type	_ZN7rocprim17ROCPRIM_400000_NS6detail17trampoline_kernelINS0_14default_configENS1_20scan_config_selectorIdEEZZNS1_9scan_implILNS1_25lookback_scan_determinismE0ELb0ELb0ES3_PKdPddZZZN2at6native31launch_logcumsumexp_cuda_kernelERKNSB_10TensorBaseESF_lENKUlvE_clEvENKUlvE_clEvEUlddE_dEEDaPvRmT3_T4_T5_mT6_P12ihipStream_tbENKUlT_T0_E_clISt17integral_constantIbLb0EESW_EEDaSR_SS_EUlSR_E_NS1_11comp_targetILNS1_3genE8ELNS1_11target_archE1030ELNS1_3gpuE2ELNS1_3repE0EEENS1_30default_config_static_selectorELNS0_4arch9wavefront6targetE1EEEvT1_,@function
_ZN7rocprim17ROCPRIM_400000_NS6detail17trampoline_kernelINS0_14default_configENS1_20scan_config_selectorIdEEZZNS1_9scan_implILNS1_25lookback_scan_determinismE0ELb0ELb0ES3_PKdPddZZZN2at6native31launch_logcumsumexp_cuda_kernelERKNSB_10TensorBaseESF_lENKUlvE_clEvENKUlvE_clEvEUlddE_dEEDaPvRmT3_T4_T5_mT6_P12ihipStream_tbENKUlT_T0_E_clISt17integral_constantIbLb0EESW_EEDaSR_SS_EUlSR_E_NS1_11comp_targetILNS1_3genE8ELNS1_11target_archE1030ELNS1_3gpuE2ELNS1_3repE0EEENS1_30default_config_static_selectorELNS0_4arch9wavefront6targetE1EEEvT1_: ; @_ZN7rocprim17ROCPRIM_400000_NS6detail17trampoline_kernelINS0_14default_configENS1_20scan_config_selectorIdEEZZNS1_9scan_implILNS1_25lookback_scan_determinismE0ELb0ELb0ES3_PKdPddZZZN2at6native31launch_logcumsumexp_cuda_kernelERKNSB_10TensorBaseESF_lENKUlvE_clEvENKUlvE_clEvEUlddE_dEEDaPvRmT3_T4_T5_mT6_P12ihipStream_tbENKUlT_T0_E_clISt17integral_constantIbLb0EESW_EEDaSR_SS_EUlSR_E_NS1_11comp_targetILNS1_3genE8ELNS1_11target_archE1030ELNS1_3gpuE2ELNS1_3repE0EEENS1_30default_config_static_selectorELNS0_4arch9wavefront6targetE1EEEvT1_
; %bb.0:
	.section	.rodata,"a",@progbits
	.p2align	6, 0x0
	.amdhsa_kernel _ZN7rocprim17ROCPRIM_400000_NS6detail17trampoline_kernelINS0_14default_configENS1_20scan_config_selectorIdEEZZNS1_9scan_implILNS1_25lookback_scan_determinismE0ELb0ELb0ES3_PKdPddZZZN2at6native31launch_logcumsumexp_cuda_kernelERKNSB_10TensorBaseESF_lENKUlvE_clEvENKUlvE_clEvEUlddE_dEEDaPvRmT3_T4_T5_mT6_P12ihipStream_tbENKUlT_T0_E_clISt17integral_constantIbLb0EESW_EEDaSR_SS_EUlSR_E_NS1_11comp_targetILNS1_3genE8ELNS1_11target_archE1030ELNS1_3gpuE2ELNS1_3repE0EEENS1_30default_config_static_selectorELNS0_4arch9wavefront6targetE1EEEvT1_
		.amdhsa_group_segment_fixed_size 0
		.amdhsa_private_segment_fixed_size 0
		.amdhsa_kernarg_size 104
		.amdhsa_user_sgpr_count 6
		.amdhsa_user_sgpr_private_segment_buffer 1
		.amdhsa_user_sgpr_dispatch_ptr 0
		.amdhsa_user_sgpr_queue_ptr 0
		.amdhsa_user_sgpr_kernarg_segment_ptr 1
		.amdhsa_user_sgpr_dispatch_id 0
		.amdhsa_user_sgpr_flat_scratch_init 0
		.amdhsa_user_sgpr_kernarg_preload_length 0
		.amdhsa_user_sgpr_kernarg_preload_offset 0
		.amdhsa_user_sgpr_private_segment_size 0
		.amdhsa_uses_dynamic_stack 0
		.amdhsa_system_sgpr_private_segment_wavefront_offset 0
		.amdhsa_system_sgpr_workgroup_id_x 1
		.amdhsa_system_sgpr_workgroup_id_y 0
		.amdhsa_system_sgpr_workgroup_id_z 0
		.amdhsa_system_sgpr_workgroup_info 0
		.amdhsa_system_vgpr_workitem_id 0
		.amdhsa_next_free_vgpr 1
		.amdhsa_next_free_sgpr 0
		.amdhsa_accum_offset 4
		.amdhsa_reserve_vcc 0
		.amdhsa_reserve_flat_scratch 0
		.amdhsa_float_round_mode_32 0
		.amdhsa_float_round_mode_16_64 0
		.amdhsa_float_denorm_mode_32 3
		.amdhsa_float_denorm_mode_16_64 3
		.amdhsa_dx10_clamp 1
		.amdhsa_ieee_mode 1
		.amdhsa_fp16_overflow 0
		.amdhsa_tg_split 0
		.amdhsa_exception_fp_ieee_invalid_op 0
		.amdhsa_exception_fp_denorm_src 0
		.amdhsa_exception_fp_ieee_div_zero 0
		.amdhsa_exception_fp_ieee_overflow 0
		.amdhsa_exception_fp_ieee_underflow 0
		.amdhsa_exception_fp_ieee_inexact 0
		.amdhsa_exception_int_div_zero 0
	.end_amdhsa_kernel
	.section	.text._ZN7rocprim17ROCPRIM_400000_NS6detail17trampoline_kernelINS0_14default_configENS1_20scan_config_selectorIdEEZZNS1_9scan_implILNS1_25lookback_scan_determinismE0ELb0ELb0ES3_PKdPddZZZN2at6native31launch_logcumsumexp_cuda_kernelERKNSB_10TensorBaseESF_lENKUlvE_clEvENKUlvE_clEvEUlddE_dEEDaPvRmT3_T4_T5_mT6_P12ihipStream_tbENKUlT_T0_E_clISt17integral_constantIbLb0EESW_EEDaSR_SS_EUlSR_E_NS1_11comp_targetILNS1_3genE8ELNS1_11target_archE1030ELNS1_3gpuE2ELNS1_3repE0EEENS1_30default_config_static_selectorELNS0_4arch9wavefront6targetE1EEEvT1_,"axG",@progbits,_ZN7rocprim17ROCPRIM_400000_NS6detail17trampoline_kernelINS0_14default_configENS1_20scan_config_selectorIdEEZZNS1_9scan_implILNS1_25lookback_scan_determinismE0ELb0ELb0ES3_PKdPddZZZN2at6native31launch_logcumsumexp_cuda_kernelERKNSB_10TensorBaseESF_lENKUlvE_clEvENKUlvE_clEvEUlddE_dEEDaPvRmT3_T4_T5_mT6_P12ihipStream_tbENKUlT_T0_E_clISt17integral_constantIbLb0EESW_EEDaSR_SS_EUlSR_E_NS1_11comp_targetILNS1_3genE8ELNS1_11target_archE1030ELNS1_3gpuE2ELNS1_3repE0EEENS1_30default_config_static_selectorELNS0_4arch9wavefront6targetE1EEEvT1_,comdat
.Lfunc_end9:
	.size	_ZN7rocprim17ROCPRIM_400000_NS6detail17trampoline_kernelINS0_14default_configENS1_20scan_config_selectorIdEEZZNS1_9scan_implILNS1_25lookback_scan_determinismE0ELb0ELb0ES3_PKdPddZZZN2at6native31launch_logcumsumexp_cuda_kernelERKNSB_10TensorBaseESF_lENKUlvE_clEvENKUlvE_clEvEUlddE_dEEDaPvRmT3_T4_T5_mT6_P12ihipStream_tbENKUlT_T0_E_clISt17integral_constantIbLb0EESW_EEDaSR_SS_EUlSR_E_NS1_11comp_targetILNS1_3genE8ELNS1_11target_archE1030ELNS1_3gpuE2ELNS1_3repE0EEENS1_30default_config_static_selectorELNS0_4arch9wavefront6targetE1EEEvT1_, .Lfunc_end9-_ZN7rocprim17ROCPRIM_400000_NS6detail17trampoline_kernelINS0_14default_configENS1_20scan_config_selectorIdEEZZNS1_9scan_implILNS1_25lookback_scan_determinismE0ELb0ELb0ES3_PKdPddZZZN2at6native31launch_logcumsumexp_cuda_kernelERKNSB_10TensorBaseESF_lENKUlvE_clEvENKUlvE_clEvEUlddE_dEEDaPvRmT3_T4_T5_mT6_P12ihipStream_tbENKUlT_T0_E_clISt17integral_constantIbLb0EESW_EEDaSR_SS_EUlSR_E_NS1_11comp_targetILNS1_3genE8ELNS1_11target_archE1030ELNS1_3gpuE2ELNS1_3repE0EEENS1_30default_config_static_selectorELNS0_4arch9wavefront6targetE1EEEvT1_
                                        ; -- End function
	.section	.AMDGPU.csdata,"",@progbits
; Kernel info:
; codeLenInByte = 0
; NumSgprs: 4
; NumVgprs: 0
; NumAgprs: 0
; TotalNumVgprs: 0
; ScratchSize: 0
; MemoryBound: 0
; FloatMode: 240
; IeeeMode: 1
; LDSByteSize: 0 bytes/workgroup (compile time only)
; SGPRBlocks: 0
; VGPRBlocks: 0
; NumSGPRsForWavesPerEU: 4
; NumVGPRsForWavesPerEU: 1
; AccumOffset: 4
; Occupancy: 8
; WaveLimiterHint : 0
; COMPUTE_PGM_RSRC2:SCRATCH_EN: 0
; COMPUTE_PGM_RSRC2:USER_SGPR: 6
; COMPUTE_PGM_RSRC2:TRAP_HANDLER: 0
; COMPUTE_PGM_RSRC2:TGID_X_EN: 1
; COMPUTE_PGM_RSRC2:TGID_Y_EN: 0
; COMPUTE_PGM_RSRC2:TGID_Z_EN: 0
; COMPUTE_PGM_RSRC2:TIDIG_COMP_CNT: 0
; COMPUTE_PGM_RSRC3_GFX90A:ACCUM_OFFSET: 0
; COMPUTE_PGM_RSRC3_GFX90A:TG_SPLIT: 0
	.section	.text._ZN7rocprim17ROCPRIM_400000_NS6detail17trampoline_kernelINS0_14default_configENS1_25transform_config_selectorIdLb1EEEZNS1_14transform_implILb1ES3_S5_PdS7_NS0_8identityIdEEEE10hipError_tT2_T3_mT4_P12ihipStream_tbEUlT_E_NS1_11comp_targetILNS1_3genE0ELNS1_11target_archE4294967295ELNS1_3gpuE0ELNS1_3repE0EEENS1_30default_config_static_selectorELNS0_4arch9wavefront6targetE1EEEvT1_,"axG",@progbits,_ZN7rocprim17ROCPRIM_400000_NS6detail17trampoline_kernelINS0_14default_configENS1_25transform_config_selectorIdLb1EEEZNS1_14transform_implILb1ES3_S5_PdS7_NS0_8identityIdEEEE10hipError_tT2_T3_mT4_P12ihipStream_tbEUlT_E_NS1_11comp_targetILNS1_3genE0ELNS1_11target_archE4294967295ELNS1_3gpuE0ELNS1_3repE0EEENS1_30default_config_static_selectorELNS0_4arch9wavefront6targetE1EEEvT1_,comdat
	.protected	_ZN7rocprim17ROCPRIM_400000_NS6detail17trampoline_kernelINS0_14default_configENS1_25transform_config_selectorIdLb1EEEZNS1_14transform_implILb1ES3_S5_PdS7_NS0_8identityIdEEEE10hipError_tT2_T3_mT4_P12ihipStream_tbEUlT_E_NS1_11comp_targetILNS1_3genE0ELNS1_11target_archE4294967295ELNS1_3gpuE0ELNS1_3repE0EEENS1_30default_config_static_selectorELNS0_4arch9wavefront6targetE1EEEvT1_ ; -- Begin function _ZN7rocprim17ROCPRIM_400000_NS6detail17trampoline_kernelINS0_14default_configENS1_25transform_config_selectorIdLb1EEEZNS1_14transform_implILb1ES3_S5_PdS7_NS0_8identityIdEEEE10hipError_tT2_T3_mT4_P12ihipStream_tbEUlT_E_NS1_11comp_targetILNS1_3genE0ELNS1_11target_archE4294967295ELNS1_3gpuE0ELNS1_3repE0EEENS1_30default_config_static_selectorELNS0_4arch9wavefront6targetE1EEEvT1_
	.globl	_ZN7rocprim17ROCPRIM_400000_NS6detail17trampoline_kernelINS0_14default_configENS1_25transform_config_selectorIdLb1EEEZNS1_14transform_implILb1ES3_S5_PdS7_NS0_8identityIdEEEE10hipError_tT2_T3_mT4_P12ihipStream_tbEUlT_E_NS1_11comp_targetILNS1_3genE0ELNS1_11target_archE4294967295ELNS1_3gpuE0ELNS1_3repE0EEENS1_30default_config_static_selectorELNS0_4arch9wavefront6targetE1EEEvT1_
	.p2align	8
	.type	_ZN7rocprim17ROCPRIM_400000_NS6detail17trampoline_kernelINS0_14default_configENS1_25transform_config_selectorIdLb1EEEZNS1_14transform_implILb1ES3_S5_PdS7_NS0_8identityIdEEEE10hipError_tT2_T3_mT4_P12ihipStream_tbEUlT_E_NS1_11comp_targetILNS1_3genE0ELNS1_11target_archE4294967295ELNS1_3gpuE0ELNS1_3repE0EEENS1_30default_config_static_selectorELNS0_4arch9wavefront6targetE1EEEvT1_,@function
_ZN7rocprim17ROCPRIM_400000_NS6detail17trampoline_kernelINS0_14default_configENS1_25transform_config_selectorIdLb1EEEZNS1_14transform_implILb1ES3_S5_PdS7_NS0_8identityIdEEEE10hipError_tT2_T3_mT4_P12ihipStream_tbEUlT_E_NS1_11comp_targetILNS1_3genE0ELNS1_11target_archE4294967295ELNS1_3gpuE0ELNS1_3repE0EEENS1_30default_config_static_selectorELNS0_4arch9wavefront6targetE1EEEvT1_: ; @_ZN7rocprim17ROCPRIM_400000_NS6detail17trampoline_kernelINS0_14default_configENS1_25transform_config_selectorIdLb1EEEZNS1_14transform_implILb1ES3_S5_PdS7_NS0_8identityIdEEEE10hipError_tT2_T3_mT4_P12ihipStream_tbEUlT_E_NS1_11comp_targetILNS1_3genE0ELNS1_11target_archE4294967295ELNS1_3gpuE0ELNS1_3repE0EEENS1_30default_config_static_selectorELNS0_4arch9wavefront6targetE1EEEvT1_
; %bb.0:
	.section	.rodata,"a",@progbits
	.p2align	6, 0x0
	.amdhsa_kernel _ZN7rocprim17ROCPRIM_400000_NS6detail17trampoline_kernelINS0_14default_configENS1_25transform_config_selectorIdLb1EEEZNS1_14transform_implILb1ES3_S5_PdS7_NS0_8identityIdEEEE10hipError_tT2_T3_mT4_P12ihipStream_tbEUlT_E_NS1_11comp_targetILNS1_3genE0ELNS1_11target_archE4294967295ELNS1_3gpuE0ELNS1_3repE0EEENS1_30default_config_static_selectorELNS0_4arch9wavefront6targetE1EEEvT1_
		.amdhsa_group_segment_fixed_size 0
		.amdhsa_private_segment_fixed_size 0
		.amdhsa_kernarg_size 40
		.amdhsa_user_sgpr_count 6
		.amdhsa_user_sgpr_private_segment_buffer 1
		.amdhsa_user_sgpr_dispatch_ptr 0
		.amdhsa_user_sgpr_queue_ptr 0
		.amdhsa_user_sgpr_kernarg_segment_ptr 1
		.amdhsa_user_sgpr_dispatch_id 0
		.amdhsa_user_sgpr_flat_scratch_init 0
		.amdhsa_user_sgpr_kernarg_preload_length 0
		.amdhsa_user_sgpr_kernarg_preload_offset 0
		.amdhsa_user_sgpr_private_segment_size 0
		.amdhsa_uses_dynamic_stack 0
		.amdhsa_system_sgpr_private_segment_wavefront_offset 0
		.amdhsa_system_sgpr_workgroup_id_x 1
		.amdhsa_system_sgpr_workgroup_id_y 0
		.amdhsa_system_sgpr_workgroup_id_z 0
		.amdhsa_system_sgpr_workgroup_info 0
		.amdhsa_system_vgpr_workitem_id 0
		.amdhsa_next_free_vgpr 1
		.amdhsa_next_free_sgpr 0
		.amdhsa_accum_offset 4
		.amdhsa_reserve_vcc 0
		.amdhsa_reserve_flat_scratch 0
		.amdhsa_float_round_mode_32 0
		.amdhsa_float_round_mode_16_64 0
		.amdhsa_float_denorm_mode_32 3
		.amdhsa_float_denorm_mode_16_64 3
		.amdhsa_dx10_clamp 1
		.amdhsa_ieee_mode 1
		.amdhsa_fp16_overflow 0
		.amdhsa_tg_split 0
		.amdhsa_exception_fp_ieee_invalid_op 0
		.amdhsa_exception_fp_denorm_src 0
		.amdhsa_exception_fp_ieee_div_zero 0
		.amdhsa_exception_fp_ieee_overflow 0
		.amdhsa_exception_fp_ieee_underflow 0
		.amdhsa_exception_fp_ieee_inexact 0
		.amdhsa_exception_int_div_zero 0
	.end_amdhsa_kernel
	.section	.text._ZN7rocprim17ROCPRIM_400000_NS6detail17trampoline_kernelINS0_14default_configENS1_25transform_config_selectorIdLb1EEEZNS1_14transform_implILb1ES3_S5_PdS7_NS0_8identityIdEEEE10hipError_tT2_T3_mT4_P12ihipStream_tbEUlT_E_NS1_11comp_targetILNS1_3genE0ELNS1_11target_archE4294967295ELNS1_3gpuE0ELNS1_3repE0EEENS1_30default_config_static_selectorELNS0_4arch9wavefront6targetE1EEEvT1_,"axG",@progbits,_ZN7rocprim17ROCPRIM_400000_NS6detail17trampoline_kernelINS0_14default_configENS1_25transform_config_selectorIdLb1EEEZNS1_14transform_implILb1ES3_S5_PdS7_NS0_8identityIdEEEE10hipError_tT2_T3_mT4_P12ihipStream_tbEUlT_E_NS1_11comp_targetILNS1_3genE0ELNS1_11target_archE4294967295ELNS1_3gpuE0ELNS1_3repE0EEENS1_30default_config_static_selectorELNS0_4arch9wavefront6targetE1EEEvT1_,comdat
.Lfunc_end10:
	.size	_ZN7rocprim17ROCPRIM_400000_NS6detail17trampoline_kernelINS0_14default_configENS1_25transform_config_selectorIdLb1EEEZNS1_14transform_implILb1ES3_S5_PdS7_NS0_8identityIdEEEE10hipError_tT2_T3_mT4_P12ihipStream_tbEUlT_E_NS1_11comp_targetILNS1_3genE0ELNS1_11target_archE4294967295ELNS1_3gpuE0ELNS1_3repE0EEENS1_30default_config_static_selectorELNS0_4arch9wavefront6targetE1EEEvT1_, .Lfunc_end10-_ZN7rocprim17ROCPRIM_400000_NS6detail17trampoline_kernelINS0_14default_configENS1_25transform_config_selectorIdLb1EEEZNS1_14transform_implILb1ES3_S5_PdS7_NS0_8identityIdEEEE10hipError_tT2_T3_mT4_P12ihipStream_tbEUlT_E_NS1_11comp_targetILNS1_3genE0ELNS1_11target_archE4294967295ELNS1_3gpuE0ELNS1_3repE0EEENS1_30default_config_static_selectorELNS0_4arch9wavefront6targetE1EEEvT1_
                                        ; -- End function
	.section	.AMDGPU.csdata,"",@progbits
; Kernel info:
; codeLenInByte = 0
; NumSgprs: 4
; NumVgprs: 0
; NumAgprs: 0
; TotalNumVgprs: 0
; ScratchSize: 0
; MemoryBound: 0
; FloatMode: 240
; IeeeMode: 1
; LDSByteSize: 0 bytes/workgroup (compile time only)
; SGPRBlocks: 0
; VGPRBlocks: 0
; NumSGPRsForWavesPerEU: 4
; NumVGPRsForWavesPerEU: 1
; AccumOffset: 4
; Occupancy: 8
; WaveLimiterHint : 0
; COMPUTE_PGM_RSRC2:SCRATCH_EN: 0
; COMPUTE_PGM_RSRC2:USER_SGPR: 6
; COMPUTE_PGM_RSRC2:TRAP_HANDLER: 0
; COMPUTE_PGM_RSRC2:TGID_X_EN: 1
; COMPUTE_PGM_RSRC2:TGID_Y_EN: 0
; COMPUTE_PGM_RSRC2:TGID_Z_EN: 0
; COMPUTE_PGM_RSRC2:TIDIG_COMP_CNT: 0
; COMPUTE_PGM_RSRC3_GFX90A:ACCUM_OFFSET: 0
; COMPUTE_PGM_RSRC3_GFX90A:TG_SPLIT: 0
	.section	.text._ZN7rocprim17ROCPRIM_400000_NS6detail17trampoline_kernelINS0_14default_configENS1_25transform_config_selectorIdLb1EEEZNS1_14transform_implILb1ES3_S5_PdS7_NS0_8identityIdEEEE10hipError_tT2_T3_mT4_P12ihipStream_tbEUlT_E_NS1_11comp_targetILNS1_3genE10ELNS1_11target_archE1201ELNS1_3gpuE5ELNS1_3repE0EEENS1_30default_config_static_selectorELNS0_4arch9wavefront6targetE1EEEvT1_,"axG",@progbits,_ZN7rocprim17ROCPRIM_400000_NS6detail17trampoline_kernelINS0_14default_configENS1_25transform_config_selectorIdLb1EEEZNS1_14transform_implILb1ES3_S5_PdS7_NS0_8identityIdEEEE10hipError_tT2_T3_mT4_P12ihipStream_tbEUlT_E_NS1_11comp_targetILNS1_3genE10ELNS1_11target_archE1201ELNS1_3gpuE5ELNS1_3repE0EEENS1_30default_config_static_selectorELNS0_4arch9wavefront6targetE1EEEvT1_,comdat
	.protected	_ZN7rocprim17ROCPRIM_400000_NS6detail17trampoline_kernelINS0_14default_configENS1_25transform_config_selectorIdLb1EEEZNS1_14transform_implILb1ES3_S5_PdS7_NS0_8identityIdEEEE10hipError_tT2_T3_mT4_P12ihipStream_tbEUlT_E_NS1_11comp_targetILNS1_3genE10ELNS1_11target_archE1201ELNS1_3gpuE5ELNS1_3repE0EEENS1_30default_config_static_selectorELNS0_4arch9wavefront6targetE1EEEvT1_ ; -- Begin function _ZN7rocprim17ROCPRIM_400000_NS6detail17trampoline_kernelINS0_14default_configENS1_25transform_config_selectorIdLb1EEEZNS1_14transform_implILb1ES3_S5_PdS7_NS0_8identityIdEEEE10hipError_tT2_T3_mT4_P12ihipStream_tbEUlT_E_NS1_11comp_targetILNS1_3genE10ELNS1_11target_archE1201ELNS1_3gpuE5ELNS1_3repE0EEENS1_30default_config_static_selectorELNS0_4arch9wavefront6targetE1EEEvT1_
	.globl	_ZN7rocprim17ROCPRIM_400000_NS6detail17trampoline_kernelINS0_14default_configENS1_25transform_config_selectorIdLb1EEEZNS1_14transform_implILb1ES3_S5_PdS7_NS0_8identityIdEEEE10hipError_tT2_T3_mT4_P12ihipStream_tbEUlT_E_NS1_11comp_targetILNS1_3genE10ELNS1_11target_archE1201ELNS1_3gpuE5ELNS1_3repE0EEENS1_30default_config_static_selectorELNS0_4arch9wavefront6targetE1EEEvT1_
	.p2align	8
	.type	_ZN7rocprim17ROCPRIM_400000_NS6detail17trampoline_kernelINS0_14default_configENS1_25transform_config_selectorIdLb1EEEZNS1_14transform_implILb1ES3_S5_PdS7_NS0_8identityIdEEEE10hipError_tT2_T3_mT4_P12ihipStream_tbEUlT_E_NS1_11comp_targetILNS1_3genE10ELNS1_11target_archE1201ELNS1_3gpuE5ELNS1_3repE0EEENS1_30default_config_static_selectorELNS0_4arch9wavefront6targetE1EEEvT1_,@function
_ZN7rocprim17ROCPRIM_400000_NS6detail17trampoline_kernelINS0_14default_configENS1_25transform_config_selectorIdLb1EEEZNS1_14transform_implILb1ES3_S5_PdS7_NS0_8identityIdEEEE10hipError_tT2_T3_mT4_P12ihipStream_tbEUlT_E_NS1_11comp_targetILNS1_3genE10ELNS1_11target_archE1201ELNS1_3gpuE5ELNS1_3repE0EEENS1_30default_config_static_selectorELNS0_4arch9wavefront6targetE1EEEvT1_: ; @_ZN7rocprim17ROCPRIM_400000_NS6detail17trampoline_kernelINS0_14default_configENS1_25transform_config_selectorIdLb1EEEZNS1_14transform_implILb1ES3_S5_PdS7_NS0_8identityIdEEEE10hipError_tT2_T3_mT4_P12ihipStream_tbEUlT_E_NS1_11comp_targetILNS1_3genE10ELNS1_11target_archE1201ELNS1_3gpuE5ELNS1_3repE0EEENS1_30default_config_static_selectorELNS0_4arch9wavefront6targetE1EEEvT1_
; %bb.0:
	.section	.rodata,"a",@progbits
	.p2align	6, 0x0
	.amdhsa_kernel _ZN7rocprim17ROCPRIM_400000_NS6detail17trampoline_kernelINS0_14default_configENS1_25transform_config_selectorIdLb1EEEZNS1_14transform_implILb1ES3_S5_PdS7_NS0_8identityIdEEEE10hipError_tT2_T3_mT4_P12ihipStream_tbEUlT_E_NS1_11comp_targetILNS1_3genE10ELNS1_11target_archE1201ELNS1_3gpuE5ELNS1_3repE0EEENS1_30default_config_static_selectorELNS0_4arch9wavefront6targetE1EEEvT1_
		.amdhsa_group_segment_fixed_size 0
		.amdhsa_private_segment_fixed_size 0
		.amdhsa_kernarg_size 40
		.amdhsa_user_sgpr_count 6
		.amdhsa_user_sgpr_private_segment_buffer 1
		.amdhsa_user_sgpr_dispatch_ptr 0
		.amdhsa_user_sgpr_queue_ptr 0
		.amdhsa_user_sgpr_kernarg_segment_ptr 1
		.amdhsa_user_sgpr_dispatch_id 0
		.amdhsa_user_sgpr_flat_scratch_init 0
		.amdhsa_user_sgpr_kernarg_preload_length 0
		.amdhsa_user_sgpr_kernarg_preload_offset 0
		.amdhsa_user_sgpr_private_segment_size 0
		.amdhsa_uses_dynamic_stack 0
		.amdhsa_system_sgpr_private_segment_wavefront_offset 0
		.amdhsa_system_sgpr_workgroup_id_x 1
		.amdhsa_system_sgpr_workgroup_id_y 0
		.amdhsa_system_sgpr_workgroup_id_z 0
		.amdhsa_system_sgpr_workgroup_info 0
		.amdhsa_system_vgpr_workitem_id 0
		.amdhsa_next_free_vgpr 1
		.amdhsa_next_free_sgpr 0
		.amdhsa_accum_offset 4
		.amdhsa_reserve_vcc 0
		.amdhsa_reserve_flat_scratch 0
		.amdhsa_float_round_mode_32 0
		.amdhsa_float_round_mode_16_64 0
		.amdhsa_float_denorm_mode_32 3
		.amdhsa_float_denorm_mode_16_64 3
		.amdhsa_dx10_clamp 1
		.amdhsa_ieee_mode 1
		.amdhsa_fp16_overflow 0
		.amdhsa_tg_split 0
		.amdhsa_exception_fp_ieee_invalid_op 0
		.amdhsa_exception_fp_denorm_src 0
		.amdhsa_exception_fp_ieee_div_zero 0
		.amdhsa_exception_fp_ieee_overflow 0
		.amdhsa_exception_fp_ieee_underflow 0
		.amdhsa_exception_fp_ieee_inexact 0
		.amdhsa_exception_int_div_zero 0
	.end_amdhsa_kernel
	.section	.text._ZN7rocprim17ROCPRIM_400000_NS6detail17trampoline_kernelINS0_14default_configENS1_25transform_config_selectorIdLb1EEEZNS1_14transform_implILb1ES3_S5_PdS7_NS0_8identityIdEEEE10hipError_tT2_T3_mT4_P12ihipStream_tbEUlT_E_NS1_11comp_targetILNS1_3genE10ELNS1_11target_archE1201ELNS1_3gpuE5ELNS1_3repE0EEENS1_30default_config_static_selectorELNS0_4arch9wavefront6targetE1EEEvT1_,"axG",@progbits,_ZN7rocprim17ROCPRIM_400000_NS6detail17trampoline_kernelINS0_14default_configENS1_25transform_config_selectorIdLb1EEEZNS1_14transform_implILb1ES3_S5_PdS7_NS0_8identityIdEEEE10hipError_tT2_T3_mT4_P12ihipStream_tbEUlT_E_NS1_11comp_targetILNS1_3genE10ELNS1_11target_archE1201ELNS1_3gpuE5ELNS1_3repE0EEENS1_30default_config_static_selectorELNS0_4arch9wavefront6targetE1EEEvT1_,comdat
.Lfunc_end11:
	.size	_ZN7rocprim17ROCPRIM_400000_NS6detail17trampoline_kernelINS0_14default_configENS1_25transform_config_selectorIdLb1EEEZNS1_14transform_implILb1ES3_S5_PdS7_NS0_8identityIdEEEE10hipError_tT2_T3_mT4_P12ihipStream_tbEUlT_E_NS1_11comp_targetILNS1_3genE10ELNS1_11target_archE1201ELNS1_3gpuE5ELNS1_3repE0EEENS1_30default_config_static_selectorELNS0_4arch9wavefront6targetE1EEEvT1_, .Lfunc_end11-_ZN7rocprim17ROCPRIM_400000_NS6detail17trampoline_kernelINS0_14default_configENS1_25transform_config_selectorIdLb1EEEZNS1_14transform_implILb1ES3_S5_PdS7_NS0_8identityIdEEEE10hipError_tT2_T3_mT4_P12ihipStream_tbEUlT_E_NS1_11comp_targetILNS1_3genE10ELNS1_11target_archE1201ELNS1_3gpuE5ELNS1_3repE0EEENS1_30default_config_static_selectorELNS0_4arch9wavefront6targetE1EEEvT1_
                                        ; -- End function
	.section	.AMDGPU.csdata,"",@progbits
; Kernel info:
; codeLenInByte = 0
; NumSgprs: 4
; NumVgprs: 0
; NumAgprs: 0
; TotalNumVgprs: 0
; ScratchSize: 0
; MemoryBound: 0
; FloatMode: 240
; IeeeMode: 1
; LDSByteSize: 0 bytes/workgroup (compile time only)
; SGPRBlocks: 0
; VGPRBlocks: 0
; NumSGPRsForWavesPerEU: 4
; NumVGPRsForWavesPerEU: 1
; AccumOffset: 4
; Occupancy: 8
; WaveLimiterHint : 0
; COMPUTE_PGM_RSRC2:SCRATCH_EN: 0
; COMPUTE_PGM_RSRC2:USER_SGPR: 6
; COMPUTE_PGM_RSRC2:TRAP_HANDLER: 0
; COMPUTE_PGM_RSRC2:TGID_X_EN: 1
; COMPUTE_PGM_RSRC2:TGID_Y_EN: 0
; COMPUTE_PGM_RSRC2:TGID_Z_EN: 0
; COMPUTE_PGM_RSRC2:TIDIG_COMP_CNT: 0
; COMPUTE_PGM_RSRC3_GFX90A:ACCUM_OFFSET: 0
; COMPUTE_PGM_RSRC3_GFX90A:TG_SPLIT: 0
	.section	.text._ZN7rocprim17ROCPRIM_400000_NS6detail17trampoline_kernelINS0_14default_configENS1_25transform_config_selectorIdLb1EEEZNS1_14transform_implILb1ES3_S5_PdS7_NS0_8identityIdEEEE10hipError_tT2_T3_mT4_P12ihipStream_tbEUlT_E_NS1_11comp_targetILNS1_3genE5ELNS1_11target_archE942ELNS1_3gpuE9ELNS1_3repE0EEENS1_30default_config_static_selectorELNS0_4arch9wavefront6targetE1EEEvT1_,"axG",@progbits,_ZN7rocprim17ROCPRIM_400000_NS6detail17trampoline_kernelINS0_14default_configENS1_25transform_config_selectorIdLb1EEEZNS1_14transform_implILb1ES3_S5_PdS7_NS0_8identityIdEEEE10hipError_tT2_T3_mT4_P12ihipStream_tbEUlT_E_NS1_11comp_targetILNS1_3genE5ELNS1_11target_archE942ELNS1_3gpuE9ELNS1_3repE0EEENS1_30default_config_static_selectorELNS0_4arch9wavefront6targetE1EEEvT1_,comdat
	.protected	_ZN7rocprim17ROCPRIM_400000_NS6detail17trampoline_kernelINS0_14default_configENS1_25transform_config_selectorIdLb1EEEZNS1_14transform_implILb1ES3_S5_PdS7_NS0_8identityIdEEEE10hipError_tT2_T3_mT4_P12ihipStream_tbEUlT_E_NS1_11comp_targetILNS1_3genE5ELNS1_11target_archE942ELNS1_3gpuE9ELNS1_3repE0EEENS1_30default_config_static_selectorELNS0_4arch9wavefront6targetE1EEEvT1_ ; -- Begin function _ZN7rocprim17ROCPRIM_400000_NS6detail17trampoline_kernelINS0_14default_configENS1_25transform_config_selectorIdLb1EEEZNS1_14transform_implILb1ES3_S5_PdS7_NS0_8identityIdEEEE10hipError_tT2_T3_mT4_P12ihipStream_tbEUlT_E_NS1_11comp_targetILNS1_3genE5ELNS1_11target_archE942ELNS1_3gpuE9ELNS1_3repE0EEENS1_30default_config_static_selectorELNS0_4arch9wavefront6targetE1EEEvT1_
	.globl	_ZN7rocprim17ROCPRIM_400000_NS6detail17trampoline_kernelINS0_14default_configENS1_25transform_config_selectorIdLb1EEEZNS1_14transform_implILb1ES3_S5_PdS7_NS0_8identityIdEEEE10hipError_tT2_T3_mT4_P12ihipStream_tbEUlT_E_NS1_11comp_targetILNS1_3genE5ELNS1_11target_archE942ELNS1_3gpuE9ELNS1_3repE0EEENS1_30default_config_static_selectorELNS0_4arch9wavefront6targetE1EEEvT1_
	.p2align	8
	.type	_ZN7rocprim17ROCPRIM_400000_NS6detail17trampoline_kernelINS0_14default_configENS1_25transform_config_selectorIdLb1EEEZNS1_14transform_implILb1ES3_S5_PdS7_NS0_8identityIdEEEE10hipError_tT2_T3_mT4_P12ihipStream_tbEUlT_E_NS1_11comp_targetILNS1_3genE5ELNS1_11target_archE942ELNS1_3gpuE9ELNS1_3repE0EEENS1_30default_config_static_selectorELNS0_4arch9wavefront6targetE1EEEvT1_,@function
_ZN7rocprim17ROCPRIM_400000_NS6detail17trampoline_kernelINS0_14default_configENS1_25transform_config_selectorIdLb1EEEZNS1_14transform_implILb1ES3_S5_PdS7_NS0_8identityIdEEEE10hipError_tT2_T3_mT4_P12ihipStream_tbEUlT_E_NS1_11comp_targetILNS1_3genE5ELNS1_11target_archE942ELNS1_3gpuE9ELNS1_3repE0EEENS1_30default_config_static_selectorELNS0_4arch9wavefront6targetE1EEEvT1_: ; @_ZN7rocprim17ROCPRIM_400000_NS6detail17trampoline_kernelINS0_14default_configENS1_25transform_config_selectorIdLb1EEEZNS1_14transform_implILb1ES3_S5_PdS7_NS0_8identityIdEEEE10hipError_tT2_T3_mT4_P12ihipStream_tbEUlT_E_NS1_11comp_targetILNS1_3genE5ELNS1_11target_archE942ELNS1_3gpuE9ELNS1_3repE0EEENS1_30default_config_static_selectorELNS0_4arch9wavefront6targetE1EEEvT1_
; %bb.0:
	.section	.rodata,"a",@progbits
	.p2align	6, 0x0
	.amdhsa_kernel _ZN7rocprim17ROCPRIM_400000_NS6detail17trampoline_kernelINS0_14default_configENS1_25transform_config_selectorIdLb1EEEZNS1_14transform_implILb1ES3_S5_PdS7_NS0_8identityIdEEEE10hipError_tT2_T3_mT4_P12ihipStream_tbEUlT_E_NS1_11comp_targetILNS1_3genE5ELNS1_11target_archE942ELNS1_3gpuE9ELNS1_3repE0EEENS1_30default_config_static_selectorELNS0_4arch9wavefront6targetE1EEEvT1_
		.amdhsa_group_segment_fixed_size 0
		.amdhsa_private_segment_fixed_size 0
		.amdhsa_kernarg_size 40
		.amdhsa_user_sgpr_count 6
		.amdhsa_user_sgpr_private_segment_buffer 1
		.amdhsa_user_sgpr_dispatch_ptr 0
		.amdhsa_user_sgpr_queue_ptr 0
		.amdhsa_user_sgpr_kernarg_segment_ptr 1
		.amdhsa_user_sgpr_dispatch_id 0
		.amdhsa_user_sgpr_flat_scratch_init 0
		.amdhsa_user_sgpr_kernarg_preload_length 0
		.amdhsa_user_sgpr_kernarg_preload_offset 0
		.amdhsa_user_sgpr_private_segment_size 0
		.amdhsa_uses_dynamic_stack 0
		.amdhsa_system_sgpr_private_segment_wavefront_offset 0
		.amdhsa_system_sgpr_workgroup_id_x 1
		.amdhsa_system_sgpr_workgroup_id_y 0
		.amdhsa_system_sgpr_workgroup_id_z 0
		.amdhsa_system_sgpr_workgroup_info 0
		.amdhsa_system_vgpr_workitem_id 0
		.amdhsa_next_free_vgpr 1
		.amdhsa_next_free_sgpr 0
		.amdhsa_accum_offset 4
		.amdhsa_reserve_vcc 0
		.amdhsa_reserve_flat_scratch 0
		.amdhsa_float_round_mode_32 0
		.amdhsa_float_round_mode_16_64 0
		.amdhsa_float_denorm_mode_32 3
		.amdhsa_float_denorm_mode_16_64 3
		.amdhsa_dx10_clamp 1
		.amdhsa_ieee_mode 1
		.amdhsa_fp16_overflow 0
		.amdhsa_tg_split 0
		.amdhsa_exception_fp_ieee_invalid_op 0
		.amdhsa_exception_fp_denorm_src 0
		.amdhsa_exception_fp_ieee_div_zero 0
		.amdhsa_exception_fp_ieee_overflow 0
		.amdhsa_exception_fp_ieee_underflow 0
		.amdhsa_exception_fp_ieee_inexact 0
		.amdhsa_exception_int_div_zero 0
	.end_amdhsa_kernel
	.section	.text._ZN7rocprim17ROCPRIM_400000_NS6detail17trampoline_kernelINS0_14default_configENS1_25transform_config_selectorIdLb1EEEZNS1_14transform_implILb1ES3_S5_PdS7_NS0_8identityIdEEEE10hipError_tT2_T3_mT4_P12ihipStream_tbEUlT_E_NS1_11comp_targetILNS1_3genE5ELNS1_11target_archE942ELNS1_3gpuE9ELNS1_3repE0EEENS1_30default_config_static_selectorELNS0_4arch9wavefront6targetE1EEEvT1_,"axG",@progbits,_ZN7rocprim17ROCPRIM_400000_NS6detail17trampoline_kernelINS0_14default_configENS1_25transform_config_selectorIdLb1EEEZNS1_14transform_implILb1ES3_S5_PdS7_NS0_8identityIdEEEE10hipError_tT2_T3_mT4_P12ihipStream_tbEUlT_E_NS1_11comp_targetILNS1_3genE5ELNS1_11target_archE942ELNS1_3gpuE9ELNS1_3repE0EEENS1_30default_config_static_selectorELNS0_4arch9wavefront6targetE1EEEvT1_,comdat
.Lfunc_end12:
	.size	_ZN7rocprim17ROCPRIM_400000_NS6detail17trampoline_kernelINS0_14default_configENS1_25transform_config_selectorIdLb1EEEZNS1_14transform_implILb1ES3_S5_PdS7_NS0_8identityIdEEEE10hipError_tT2_T3_mT4_P12ihipStream_tbEUlT_E_NS1_11comp_targetILNS1_3genE5ELNS1_11target_archE942ELNS1_3gpuE9ELNS1_3repE0EEENS1_30default_config_static_selectorELNS0_4arch9wavefront6targetE1EEEvT1_, .Lfunc_end12-_ZN7rocprim17ROCPRIM_400000_NS6detail17trampoline_kernelINS0_14default_configENS1_25transform_config_selectorIdLb1EEEZNS1_14transform_implILb1ES3_S5_PdS7_NS0_8identityIdEEEE10hipError_tT2_T3_mT4_P12ihipStream_tbEUlT_E_NS1_11comp_targetILNS1_3genE5ELNS1_11target_archE942ELNS1_3gpuE9ELNS1_3repE0EEENS1_30default_config_static_selectorELNS0_4arch9wavefront6targetE1EEEvT1_
                                        ; -- End function
	.section	.AMDGPU.csdata,"",@progbits
; Kernel info:
; codeLenInByte = 0
; NumSgprs: 4
; NumVgprs: 0
; NumAgprs: 0
; TotalNumVgprs: 0
; ScratchSize: 0
; MemoryBound: 0
; FloatMode: 240
; IeeeMode: 1
; LDSByteSize: 0 bytes/workgroup (compile time only)
; SGPRBlocks: 0
; VGPRBlocks: 0
; NumSGPRsForWavesPerEU: 4
; NumVGPRsForWavesPerEU: 1
; AccumOffset: 4
; Occupancy: 8
; WaveLimiterHint : 0
; COMPUTE_PGM_RSRC2:SCRATCH_EN: 0
; COMPUTE_PGM_RSRC2:USER_SGPR: 6
; COMPUTE_PGM_RSRC2:TRAP_HANDLER: 0
; COMPUTE_PGM_RSRC2:TGID_X_EN: 1
; COMPUTE_PGM_RSRC2:TGID_Y_EN: 0
; COMPUTE_PGM_RSRC2:TGID_Z_EN: 0
; COMPUTE_PGM_RSRC2:TIDIG_COMP_CNT: 0
; COMPUTE_PGM_RSRC3_GFX90A:ACCUM_OFFSET: 0
; COMPUTE_PGM_RSRC3_GFX90A:TG_SPLIT: 0
	.section	.text._ZN7rocprim17ROCPRIM_400000_NS6detail17trampoline_kernelINS0_14default_configENS1_25transform_config_selectorIdLb1EEEZNS1_14transform_implILb1ES3_S5_PdS7_NS0_8identityIdEEEE10hipError_tT2_T3_mT4_P12ihipStream_tbEUlT_E_NS1_11comp_targetILNS1_3genE4ELNS1_11target_archE910ELNS1_3gpuE8ELNS1_3repE0EEENS1_30default_config_static_selectorELNS0_4arch9wavefront6targetE1EEEvT1_,"axG",@progbits,_ZN7rocprim17ROCPRIM_400000_NS6detail17trampoline_kernelINS0_14default_configENS1_25transform_config_selectorIdLb1EEEZNS1_14transform_implILb1ES3_S5_PdS7_NS0_8identityIdEEEE10hipError_tT2_T3_mT4_P12ihipStream_tbEUlT_E_NS1_11comp_targetILNS1_3genE4ELNS1_11target_archE910ELNS1_3gpuE8ELNS1_3repE0EEENS1_30default_config_static_selectorELNS0_4arch9wavefront6targetE1EEEvT1_,comdat
	.protected	_ZN7rocprim17ROCPRIM_400000_NS6detail17trampoline_kernelINS0_14default_configENS1_25transform_config_selectorIdLb1EEEZNS1_14transform_implILb1ES3_S5_PdS7_NS0_8identityIdEEEE10hipError_tT2_T3_mT4_P12ihipStream_tbEUlT_E_NS1_11comp_targetILNS1_3genE4ELNS1_11target_archE910ELNS1_3gpuE8ELNS1_3repE0EEENS1_30default_config_static_selectorELNS0_4arch9wavefront6targetE1EEEvT1_ ; -- Begin function _ZN7rocprim17ROCPRIM_400000_NS6detail17trampoline_kernelINS0_14default_configENS1_25transform_config_selectorIdLb1EEEZNS1_14transform_implILb1ES3_S5_PdS7_NS0_8identityIdEEEE10hipError_tT2_T3_mT4_P12ihipStream_tbEUlT_E_NS1_11comp_targetILNS1_3genE4ELNS1_11target_archE910ELNS1_3gpuE8ELNS1_3repE0EEENS1_30default_config_static_selectorELNS0_4arch9wavefront6targetE1EEEvT1_
	.globl	_ZN7rocprim17ROCPRIM_400000_NS6detail17trampoline_kernelINS0_14default_configENS1_25transform_config_selectorIdLb1EEEZNS1_14transform_implILb1ES3_S5_PdS7_NS0_8identityIdEEEE10hipError_tT2_T3_mT4_P12ihipStream_tbEUlT_E_NS1_11comp_targetILNS1_3genE4ELNS1_11target_archE910ELNS1_3gpuE8ELNS1_3repE0EEENS1_30default_config_static_selectorELNS0_4arch9wavefront6targetE1EEEvT1_
	.p2align	8
	.type	_ZN7rocprim17ROCPRIM_400000_NS6detail17trampoline_kernelINS0_14default_configENS1_25transform_config_selectorIdLb1EEEZNS1_14transform_implILb1ES3_S5_PdS7_NS0_8identityIdEEEE10hipError_tT2_T3_mT4_P12ihipStream_tbEUlT_E_NS1_11comp_targetILNS1_3genE4ELNS1_11target_archE910ELNS1_3gpuE8ELNS1_3repE0EEENS1_30default_config_static_selectorELNS0_4arch9wavefront6targetE1EEEvT1_,@function
_ZN7rocprim17ROCPRIM_400000_NS6detail17trampoline_kernelINS0_14default_configENS1_25transform_config_selectorIdLb1EEEZNS1_14transform_implILb1ES3_S5_PdS7_NS0_8identityIdEEEE10hipError_tT2_T3_mT4_P12ihipStream_tbEUlT_E_NS1_11comp_targetILNS1_3genE4ELNS1_11target_archE910ELNS1_3gpuE8ELNS1_3repE0EEENS1_30default_config_static_selectorELNS0_4arch9wavefront6targetE1EEEvT1_: ; @_ZN7rocprim17ROCPRIM_400000_NS6detail17trampoline_kernelINS0_14default_configENS1_25transform_config_selectorIdLb1EEEZNS1_14transform_implILb1ES3_S5_PdS7_NS0_8identityIdEEEE10hipError_tT2_T3_mT4_P12ihipStream_tbEUlT_E_NS1_11comp_targetILNS1_3genE4ELNS1_11target_archE910ELNS1_3gpuE8ELNS1_3repE0EEENS1_30default_config_static_selectorELNS0_4arch9wavefront6targetE1EEEvT1_
; %bb.0:
	s_load_dwordx8 s[8:15], s[4:5], 0x0
	s_load_dword s2, s[4:5], 0x28
	s_waitcnt lgkmcnt(0)
	s_lshl_b64 s[0:1], s[10:11], 3
	s_add_u32 s4, s8, s0
	s_addc_u32 s5, s9, s1
	s_add_u32 s8, s14, s0
	s_addc_u32 s9, s15, s1
	s_lshl_b32 s0, s6, 11
	s_mov_b32 s1, 0
	s_add_i32 s7, s2, -1
	s_lshl_b64 s[2:3], s[0:1], 3
	s_add_u32 s4, s4, s2
	s_addc_u32 s5, s5, s3
	s_cmp_lg_u32 s6, s7
	s_mov_b64 s[6:7], -1
	s_cbranch_scc0 .LBB13_2
; %bb.1:
	v_lshlrev_b32_e32 v1, 4, v0
	global_load_dwordx4 v[2:5], v1, s[4:5]
	s_add_u32 s6, s8, s2
	s_addc_u32 s7, s9, s3
	s_waitcnt vmcnt(0)
	global_store_dwordx4 v1, v[2:5], s[6:7]
	s_mov_b64 s[6:7], 0
.LBB13_2:
	s_andn2_b64 vcc, exec, s[6:7]
	s_cbranch_vccnz .LBB13_11
; %bb.3:
	s_sub_i32 s6, s12, s0
	v_cmp_gt_u32_e32 vcc, s6, v0
	v_lshlrev_b32_e32 v1, 3, v0
                                        ; implicit-def: $vgpr2_vgpr3_vgpr4_vgpr5
	s_and_saveexec_b64 s[0:1], vcc
	s_cbranch_execz .LBB13_5
; %bb.4:
	global_load_dwordx2 v[2:3], v1, s[4:5]
.LBB13_5:
	s_or_b64 exec, exec, s[0:1]
	v_or_b32_e32 v0, 0x400, v0
	v_cmp_gt_u32_e64 s[0:1], s6, v0
	s_and_saveexec_b64 s[6:7], s[0:1]
	s_cbranch_execz .LBB13_7
; %bb.6:
	v_lshlrev_b32_e32 v0, 3, v0
	global_load_dwordx2 v[4:5], v0, s[4:5]
.LBB13_7:
	s_or_b64 exec, exec, s[6:7]
	s_add_u32 s2, s8, s2
	s_addc_u32 s3, s9, s3
	v_mov_b32_e32 v6, s3
	v_add_co_u32_e64 v0, s[2:3], s2, v1
	v_addc_co_u32_e64 v1, s[2:3], 0, v6, s[2:3]
	s_and_saveexec_b64 s[2:3], vcc
	s_cbranch_execz .LBB13_9
; %bb.8:
	s_waitcnt vmcnt(0)
	global_store_dwordx2 v[0:1], v[2:3], off
.LBB13_9:
	s_or_b64 exec, exec, s[2:3]
	s_and_saveexec_b64 s[2:3], s[0:1]
	s_cbranch_execz .LBB13_11
; %bb.10:
	v_add_co_u32_e32 v0, vcc, 0x2000, v0
	v_addc_co_u32_e32 v1, vcc, 0, v1, vcc
	s_waitcnt vmcnt(0)
	global_store_dwordx2 v[0:1], v[4:5], off
.LBB13_11:
	s_endpgm
	.section	.rodata,"a",@progbits
	.p2align	6, 0x0
	.amdhsa_kernel _ZN7rocprim17ROCPRIM_400000_NS6detail17trampoline_kernelINS0_14default_configENS1_25transform_config_selectorIdLb1EEEZNS1_14transform_implILb1ES3_S5_PdS7_NS0_8identityIdEEEE10hipError_tT2_T3_mT4_P12ihipStream_tbEUlT_E_NS1_11comp_targetILNS1_3genE4ELNS1_11target_archE910ELNS1_3gpuE8ELNS1_3repE0EEENS1_30default_config_static_selectorELNS0_4arch9wavefront6targetE1EEEvT1_
		.amdhsa_group_segment_fixed_size 0
		.amdhsa_private_segment_fixed_size 0
		.amdhsa_kernarg_size 296
		.amdhsa_user_sgpr_count 6
		.amdhsa_user_sgpr_private_segment_buffer 1
		.amdhsa_user_sgpr_dispatch_ptr 0
		.amdhsa_user_sgpr_queue_ptr 0
		.amdhsa_user_sgpr_kernarg_segment_ptr 1
		.amdhsa_user_sgpr_dispatch_id 0
		.amdhsa_user_sgpr_flat_scratch_init 0
		.amdhsa_user_sgpr_kernarg_preload_length 0
		.amdhsa_user_sgpr_kernarg_preload_offset 0
		.amdhsa_user_sgpr_private_segment_size 0
		.amdhsa_uses_dynamic_stack 0
		.amdhsa_system_sgpr_private_segment_wavefront_offset 0
		.amdhsa_system_sgpr_workgroup_id_x 1
		.amdhsa_system_sgpr_workgroup_id_y 0
		.amdhsa_system_sgpr_workgroup_id_z 0
		.amdhsa_system_sgpr_workgroup_info 0
		.amdhsa_system_vgpr_workitem_id 0
		.amdhsa_next_free_vgpr 7
		.amdhsa_next_free_sgpr 16
		.amdhsa_accum_offset 8
		.amdhsa_reserve_vcc 1
		.amdhsa_reserve_flat_scratch 0
		.amdhsa_float_round_mode_32 0
		.amdhsa_float_round_mode_16_64 0
		.amdhsa_float_denorm_mode_32 3
		.amdhsa_float_denorm_mode_16_64 3
		.amdhsa_dx10_clamp 1
		.amdhsa_ieee_mode 1
		.amdhsa_fp16_overflow 0
		.amdhsa_tg_split 0
		.amdhsa_exception_fp_ieee_invalid_op 0
		.amdhsa_exception_fp_denorm_src 0
		.amdhsa_exception_fp_ieee_div_zero 0
		.amdhsa_exception_fp_ieee_overflow 0
		.amdhsa_exception_fp_ieee_underflow 0
		.amdhsa_exception_fp_ieee_inexact 0
		.amdhsa_exception_int_div_zero 0
	.end_amdhsa_kernel
	.section	.text._ZN7rocprim17ROCPRIM_400000_NS6detail17trampoline_kernelINS0_14default_configENS1_25transform_config_selectorIdLb1EEEZNS1_14transform_implILb1ES3_S5_PdS7_NS0_8identityIdEEEE10hipError_tT2_T3_mT4_P12ihipStream_tbEUlT_E_NS1_11comp_targetILNS1_3genE4ELNS1_11target_archE910ELNS1_3gpuE8ELNS1_3repE0EEENS1_30default_config_static_selectorELNS0_4arch9wavefront6targetE1EEEvT1_,"axG",@progbits,_ZN7rocprim17ROCPRIM_400000_NS6detail17trampoline_kernelINS0_14default_configENS1_25transform_config_selectorIdLb1EEEZNS1_14transform_implILb1ES3_S5_PdS7_NS0_8identityIdEEEE10hipError_tT2_T3_mT4_P12ihipStream_tbEUlT_E_NS1_11comp_targetILNS1_3genE4ELNS1_11target_archE910ELNS1_3gpuE8ELNS1_3repE0EEENS1_30default_config_static_selectorELNS0_4arch9wavefront6targetE1EEEvT1_,comdat
.Lfunc_end13:
	.size	_ZN7rocprim17ROCPRIM_400000_NS6detail17trampoline_kernelINS0_14default_configENS1_25transform_config_selectorIdLb1EEEZNS1_14transform_implILb1ES3_S5_PdS7_NS0_8identityIdEEEE10hipError_tT2_T3_mT4_P12ihipStream_tbEUlT_E_NS1_11comp_targetILNS1_3genE4ELNS1_11target_archE910ELNS1_3gpuE8ELNS1_3repE0EEENS1_30default_config_static_selectorELNS0_4arch9wavefront6targetE1EEEvT1_, .Lfunc_end13-_ZN7rocprim17ROCPRIM_400000_NS6detail17trampoline_kernelINS0_14default_configENS1_25transform_config_selectorIdLb1EEEZNS1_14transform_implILb1ES3_S5_PdS7_NS0_8identityIdEEEE10hipError_tT2_T3_mT4_P12ihipStream_tbEUlT_E_NS1_11comp_targetILNS1_3genE4ELNS1_11target_archE910ELNS1_3gpuE8ELNS1_3repE0EEENS1_30default_config_static_selectorELNS0_4arch9wavefront6targetE1EEEvT1_
                                        ; -- End function
	.section	.AMDGPU.csdata,"",@progbits
; Kernel info:
; codeLenInByte = 280
; NumSgprs: 20
; NumVgprs: 7
; NumAgprs: 0
; TotalNumVgprs: 7
; ScratchSize: 0
; MemoryBound: 1
; FloatMode: 240
; IeeeMode: 1
; LDSByteSize: 0 bytes/workgroup (compile time only)
; SGPRBlocks: 2
; VGPRBlocks: 0
; NumSGPRsForWavesPerEU: 20
; NumVGPRsForWavesPerEU: 7
; AccumOffset: 8
; Occupancy: 8
; WaveLimiterHint : 0
; COMPUTE_PGM_RSRC2:SCRATCH_EN: 0
; COMPUTE_PGM_RSRC2:USER_SGPR: 6
; COMPUTE_PGM_RSRC2:TRAP_HANDLER: 0
; COMPUTE_PGM_RSRC2:TGID_X_EN: 1
; COMPUTE_PGM_RSRC2:TGID_Y_EN: 0
; COMPUTE_PGM_RSRC2:TGID_Z_EN: 0
; COMPUTE_PGM_RSRC2:TIDIG_COMP_CNT: 0
; COMPUTE_PGM_RSRC3_GFX90A:ACCUM_OFFSET: 1
; COMPUTE_PGM_RSRC3_GFX90A:TG_SPLIT: 0
	.section	.text._ZN7rocprim17ROCPRIM_400000_NS6detail17trampoline_kernelINS0_14default_configENS1_25transform_config_selectorIdLb1EEEZNS1_14transform_implILb1ES3_S5_PdS7_NS0_8identityIdEEEE10hipError_tT2_T3_mT4_P12ihipStream_tbEUlT_E_NS1_11comp_targetILNS1_3genE3ELNS1_11target_archE908ELNS1_3gpuE7ELNS1_3repE0EEENS1_30default_config_static_selectorELNS0_4arch9wavefront6targetE1EEEvT1_,"axG",@progbits,_ZN7rocprim17ROCPRIM_400000_NS6detail17trampoline_kernelINS0_14default_configENS1_25transform_config_selectorIdLb1EEEZNS1_14transform_implILb1ES3_S5_PdS7_NS0_8identityIdEEEE10hipError_tT2_T3_mT4_P12ihipStream_tbEUlT_E_NS1_11comp_targetILNS1_3genE3ELNS1_11target_archE908ELNS1_3gpuE7ELNS1_3repE0EEENS1_30default_config_static_selectorELNS0_4arch9wavefront6targetE1EEEvT1_,comdat
	.protected	_ZN7rocprim17ROCPRIM_400000_NS6detail17trampoline_kernelINS0_14default_configENS1_25transform_config_selectorIdLb1EEEZNS1_14transform_implILb1ES3_S5_PdS7_NS0_8identityIdEEEE10hipError_tT2_T3_mT4_P12ihipStream_tbEUlT_E_NS1_11comp_targetILNS1_3genE3ELNS1_11target_archE908ELNS1_3gpuE7ELNS1_3repE0EEENS1_30default_config_static_selectorELNS0_4arch9wavefront6targetE1EEEvT1_ ; -- Begin function _ZN7rocprim17ROCPRIM_400000_NS6detail17trampoline_kernelINS0_14default_configENS1_25transform_config_selectorIdLb1EEEZNS1_14transform_implILb1ES3_S5_PdS7_NS0_8identityIdEEEE10hipError_tT2_T3_mT4_P12ihipStream_tbEUlT_E_NS1_11comp_targetILNS1_3genE3ELNS1_11target_archE908ELNS1_3gpuE7ELNS1_3repE0EEENS1_30default_config_static_selectorELNS0_4arch9wavefront6targetE1EEEvT1_
	.globl	_ZN7rocprim17ROCPRIM_400000_NS6detail17trampoline_kernelINS0_14default_configENS1_25transform_config_selectorIdLb1EEEZNS1_14transform_implILb1ES3_S5_PdS7_NS0_8identityIdEEEE10hipError_tT2_T3_mT4_P12ihipStream_tbEUlT_E_NS1_11comp_targetILNS1_3genE3ELNS1_11target_archE908ELNS1_3gpuE7ELNS1_3repE0EEENS1_30default_config_static_selectorELNS0_4arch9wavefront6targetE1EEEvT1_
	.p2align	8
	.type	_ZN7rocprim17ROCPRIM_400000_NS6detail17trampoline_kernelINS0_14default_configENS1_25transform_config_selectorIdLb1EEEZNS1_14transform_implILb1ES3_S5_PdS7_NS0_8identityIdEEEE10hipError_tT2_T3_mT4_P12ihipStream_tbEUlT_E_NS1_11comp_targetILNS1_3genE3ELNS1_11target_archE908ELNS1_3gpuE7ELNS1_3repE0EEENS1_30default_config_static_selectorELNS0_4arch9wavefront6targetE1EEEvT1_,@function
_ZN7rocprim17ROCPRIM_400000_NS6detail17trampoline_kernelINS0_14default_configENS1_25transform_config_selectorIdLb1EEEZNS1_14transform_implILb1ES3_S5_PdS7_NS0_8identityIdEEEE10hipError_tT2_T3_mT4_P12ihipStream_tbEUlT_E_NS1_11comp_targetILNS1_3genE3ELNS1_11target_archE908ELNS1_3gpuE7ELNS1_3repE0EEENS1_30default_config_static_selectorELNS0_4arch9wavefront6targetE1EEEvT1_: ; @_ZN7rocprim17ROCPRIM_400000_NS6detail17trampoline_kernelINS0_14default_configENS1_25transform_config_selectorIdLb1EEEZNS1_14transform_implILb1ES3_S5_PdS7_NS0_8identityIdEEEE10hipError_tT2_T3_mT4_P12ihipStream_tbEUlT_E_NS1_11comp_targetILNS1_3genE3ELNS1_11target_archE908ELNS1_3gpuE7ELNS1_3repE0EEENS1_30default_config_static_selectorELNS0_4arch9wavefront6targetE1EEEvT1_
; %bb.0:
	.section	.rodata,"a",@progbits
	.p2align	6, 0x0
	.amdhsa_kernel _ZN7rocprim17ROCPRIM_400000_NS6detail17trampoline_kernelINS0_14default_configENS1_25transform_config_selectorIdLb1EEEZNS1_14transform_implILb1ES3_S5_PdS7_NS0_8identityIdEEEE10hipError_tT2_T3_mT4_P12ihipStream_tbEUlT_E_NS1_11comp_targetILNS1_3genE3ELNS1_11target_archE908ELNS1_3gpuE7ELNS1_3repE0EEENS1_30default_config_static_selectorELNS0_4arch9wavefront6targetE1EEEvT1_
		.amdhsa_group_segment_fixed_size 0
		.amdhsa_private_segment_fixed_size 0
		.amdhsa_kernarg_size 40
		.amdhsa_user_sgpr_count 6
		.amdhsa_user_sgpr_private_segment_buffer 1
		.amdhsa_user_sgpr_dispatch_ptr 0
		.amdhsa_user_sgpr_queue_ptr 0
		.amdhsa_user_sgpr_kernarg_segment_ptr 1
		.amdhsa_user_sgpr_dispatch_id 0
		.amdhsa_user_sgpr_flat_scratch_init 0
		.amdhsa_user_sgpr_kernarg_preload_length 0
		.amdhsa_user_sgpr_kernarg_preload_offset 0
		.amdhsa_user_sgpr_private_segment_size 0
		.amdhsa_uses_dynamic_stack 0
		.amdhsa_system_sgpr_private_segment_wavefront_offset 0
		.amdhsa_system_sgpr_workgroup_id_x 1
		.amdhsa_system_sgpr_workgroup_id_y 0
		.amdhsa_system_sgpr_workgroup_id_z 0
		.amdhsa_system_sgpr_workgroup_info 0
		.amdhsa_system_vgpr_workitem_id 0
		.amdhsa_next_free_vgpr 1
		.amdhsa_next_free_sgpr 0
		.amdhsa_accum_offset 4
		.amdhsa_reserve_vcc 0
		.amdhsa_reserve_flat_scratch 0
		.amdhsa_float_round_mode_32 0
		.amdhsa_float_round_mode_16_64 0
		.amdhsa_float_denorm_mode_32 3
		.amdhsa_float_denorm_mode_16_64 3
		.amdhsa_dx10_clamp 1
		.amdhsa_ieee_mode 1
		.amdhsa_fp16_overflow 0
		.amdhsa_tg_split 0
		.amdhsa_exception_fp_ieee_invalid_op 0
		.amdhsa_exception_fp_denorm_src 0
		.amdhsa_exception_fp_ieee_div_zero 0
		.amdhsa_exception_fp_ieee_overflow 0
		.amdhsa_exception_fp_ieee_underflow 0
		.amdhsa_exception_fp_ieee_inexact 0
		.amdhsa_exception_int_div_zero 0
	.end_amdhsa_kernel
	.section	.text._ZN7rocprim17ROCPRIM_400000_NS6detail17trampoline_kernelINS0_14default_configENS1_25transform_config_selectorIdLb1EEEZNS1_14transform_implILb1ES3_S5_PdS7_NS0_8identityIdEEEE10hipError_tT2_T3_mT4_P12ihipStream_tbEUlT_E_NS1_11comp_targetILNS1_3genE3ELNS1_11target_archE908ELNS1_3gpuE7ELNS1_3repE0EEENS1_30default_config_static_selectorELNS0_4arch9wavefront6targetE1EEEvT1_,"axG",@progbits,_ZN7rocprim17ROCPRIM_400000_NS6detail17trampoline_kernelINS0_14default_configENS1_25transform_config_selectorIdLb1EEEZNS1_14transform_implILb1ES3_S5_PdS7_NS0_8identityIdEEEE10hipError_tT2_T3_mT4_P12ihipStream_tbEUlT_E_NS1_11comp_targetILNS1_3genE3ELNS1_11target_archE908ELNS1_3gpuE7ELNS1_3repE0EEENS1_30default_config_static_selectorELNS0_4arch9wavefront6targetE1EEEvT1_,comdat
.Lfunc_end14:
	.size	_ZN7rocprim17ROCPRIM_400000_NS6detail17trampoline_kernelINS0_14default_configENS1_25transform_config_selectorIdLb1EEEZNS1_14transform_implILb1ES3_S5_PdS7_NS0_8identityIdEEEE10hipError_tT2_T3_mT4_P12ihipStream_tbEUlT_E_NS1_11comp_targetILNS1_3genE3ELNS1_11target_archE908ELNS1_3gpuE7ELNS1_3repE0EEENS1_30default_config_static_selectorELNS0_4arch9wavefront6targetE1EEEvT1_, .Lfunc_end14-_ZN7rocprim17ROCPRIM_400000_NS6detail17trampoline_kernelINS0_14default_configENS1_25transform_config_selectorIdLb1EEEZNS1_14transform_implILb1ES3_S5_PdS7_NS0_8identityIdEEEE10hipError_tT2_T3_mT4_P12ihipStream_tbEUlT_E_NS1_11comp_targetILNS1_3genE3ELNS1_11target_archE908ELNS1_3gpuE7ELNS1_3repE0EEENS1_30default_config_static_selectorELNS0_4arch9wavefront6targetE1EEEvT1_
                                        ; -- End function
	.section	.AMDGPU.csdata,"",@progbits
; Kernel info:
; codeLenInByte = 0
; NumSgprs: 4
; NumVgprs: 0
; NumAgprs: 0
; TotalNumVgprs: 0
; ScratchSize: 0
; MemoryBound: 0
; FloatMode: 240
; IeeeMode: 1
; LDSByteSize: 0 bytes/workgroup (compile time only)
; SGPRBlocks: 0
; VGPRBlocks: 0
; NumSGPRsForWavesPerEU: 4
; NumVGPRsForWavesPerEU: 1
; AccumOffset: 4
; Occupancy: 8
; WaveLimiterHint : 0
; COMPUTE_PGM_RSRC2:SCRATCH_EN: 0
; COMPUTE_PGM_RSRC2:USER_SGPR: 6
; COMPUTE_PGM_RSRC2:TRAP_HANDLER: 0
; COMPUTE_PGM_RSRC2:TGID_X_EN: 1
; COMPUTE_PGM_RSRC2:TGID_Y_EN: 0
; COMPUTE_PGM_RSRC2:TGID_Z_EN: 0
; COMPUTE_PGM_RSRC2:TIDIG_COMP_CNT: 0
; COMPUTE_PGM_RSRC3_GFX90A:ACCUM_OFFSET: 0
; COMPUTE_PGM_RSRC3_GFX90A:TG_SPLIT: 0
	.section	.text._ZN7rocprim17ROCPRIM_400000_NS6detail17trampoline_kernelINS0_14default_configENS1_25transform_config_selectorIdLb1EEEZNS1_14transform_implILb1ES3_S5_PdS7_NS0_8identityIdEEEE10hipError_tT2_T3_mT4_P12ihipStream_tbEUlT_E_NS1_11comp_targetILNS1_3genE2ELNS1_11target_archE906ELNS1_3gpuE6ELNS1_3repE0EEENS1_30default_config_static_selectorELNS0_4arch9wavefront6targetE1EEEvT1_,"axG",@progbits,_ZN7rocprim17ROCPRIM_400000_NS6detail17trampoline_kernelINS0_14default_configENS1_25transform_config_selectorIdLb1EEEZNS1_14transform_implILb1ES3_S5_PdS7_NS0_8identityIdEEEE10hipError_tT2_T3_mT4_P12ihipStream_tbEUlT_E_NS1_11comp_targetILNS1_3genE2ELNS1_11target_archE906ELNS1_3gpuE6ELNS1_3repE0EEENS1_30default_config_static_selectorELNS0_4arch9wavefront6targetE1EEEvT1_,comdat
	.protected	_ZN7rocprim17ROCPRIM_400000_NS6detail17trampoline_kernelINS0_14default_configENS1_25transform_config_selectorIdLb1EEEZNS1_14transform_implILb1ES3_S5_PdS7_NS0_8identityIdEEEE10hipError_tT2_T3_mT4_P12ihipStream_tbEUlT_E_NS1_11comp_targetILNS1_3genE2ELNS1_11target_archE906ELNS1_3gpuE6ELNS1_3repE0EEENS1_30default_config_static_selectorELNS0_4arch9wavefront6targetE1EEEvT1_ ; -- Begin function _ZN7rocprim17ROCPRIM_400000_NS6detail17trampoline_kernelINS0_14default_configENS1_25transform_config_selectorIdLb1EEEZNS1_14transform_implILb1ES3_S5_PdS7_NS0_8identityIdEEEE10hipError_tT2_T3_mT4_P12ihipStream_tbEUlT_E_NS1_11comp_targetILNS1_3genE2ELNS1_11target_archE906ELNS1_3gpuE6ELNS1_3repE0EEENS1_30default_config_static_selectorELNS0_4arch9wavefront6targetE1EEEvT1_
	.globl	_ZN7rocprim17ROCPRIM_400000_NS6detail17trampoline_kernelINS0_14default_configENS1_25transform_config_selectorIdLb1EEEZNS1_14transform_implILb1ES3_S5_PdS7_NS0_8identityIdEEEE10hipError_tT2_T3_mT4_P12ihipStream_tbEUlT_E_NS1_11comp_targetILNS1_3genE2ELNS1_11target_archE906ELNS1_3gpuE6ELNS1_3repE0EEENS1_30default_config_static_selectorELNS0_4arch9wavefront6targetE1EEEvT1_
	.p2align	8
	.type	_ZN7rocprim17ROCPRIM_400000_NS6detail17trampoline_kernelINS0_14default_configENS1_25transform_config_selectorIdLb1EEEZNS1_14transform_implILb1ES3_S5_PdS7_NS0_8identityIdEEEE10hipError_tT2_T3_mT4_P12ihipStream_tbEUlT_E_NS1_11comp_targetILNS1_3genE2ELNS1_11target_archE906ELNS1_3gpuE6ELNS1_3repE0EEENS1_30default_config_static_selectorELNS0_4arch9wavefront6targetE1EEEvT1_,@function
_ZN7rocprim17ROCPRIM_400000_NS6detail17trampoline_kernelINS0_14default_configENS1_25transform_config_selectorIdLb1EEEZNS1_14transform_implILb1ES3_S5_PdS7_NS0_8identityIdEEEE10hipError_tT2_T3_mT4_P12ihipStream_tbEUlT_E_NS1_11comp_targetILNS1_3genE2ELNS1_11target_archE906ELNS1_3gpuE6ELNS1_3repE0EEENS1_30default_config_static_selectorELNS0_4arch9wavefront6targetE1EEEvT1_: ; @_ZN7rocprim17ROCPRIM_400000_NS6detail17trampoline_kernelINS0_14default_configENS1_25transform_config_selectorIdLb1EEEZNS1_14transform_implILb1ES3_S5_PdS7_NS0_8identityIdEEEE10hipError_tT2_T3_mT4_P12ihipStream_tbEUlT_E_NS1_11comp_targetILNS1_3genE2ELNS1_11target_archE906ELNS1_3gpuE6ELNS1_3repE0EEENS1_30default_config_static_selectorELNS0_4arch9wavefront6targetE1EEEvT1_
; %bb.0:
	.section	.rodata,"a",@progbits
	.p2align	6, 0x0
	.amdhsa_kernel _ZN7rocprim17ROCPRIM_400000_NS6detail17trampoline_kernelINS0_14default_configENS1_25transform_config_selectorIdLb1EEEZNS1_14transform_implILb1ES3_S5_PdS7_NS0_8identityIdEEEE10hipError_tT2_T3_mT4_P12ihipStream_tbEUlT_E_NS1_11comp_targetILNS1_3genE2ELNS1_11target_archE906ELNS1_3gpuE6ELNS1_3repE0EEENS1_30default_config_static_selectorELNS0_4arch9wavefront6targetE1EEEvT1_
		.amdhsa_group_segment_fixed_size 0
		.amdhsa_private_segment_fixed_size 0
		.amdhsa_kernarg_size 40
		.amdhsa_user_sgpr_count 6
		.amdhsa_user_sgpr_private_segment_buffer 1
		.amdhsa_user_sgpr_dispatch_ptr 0
		.amdhsa_user_sgpr_queue_ptr 0
		.amdhsa_user_sgpr_kernarg_segment_ptr 1
		.amdhsa_user_sgpr_dispatch_id 0
		.amdhsa_user_sgpr_flat_scratch_init 0
		.amdhsa_user_sgpr_kernarg_preload_length 0
		.amdhsa_user_sgpr_kernarg_preload_offset 0
		.amdhsa_user_sgpr_private_segment_size 0
		.amdhsa_uses_dynamic_stack 0
		.amdhsa_system_sgpr_private_segment_wavefront_offset 0
		.amdhsa_system_sgpr_workgroup_id_x 1
		.amdhsa_system_sgpr_workgroup_id_y 0
		.amdhsa_system_sgpr_workgroup_id_z 0
		.amdhsa_system_sgpr_workgroup_info 0
		.amdhsa_system_vgpr_workitem_id 0
		.amdhsa_next_free_vgpr 1
		.amdhsa_next_free_sgpr 0
		.amdhsa_accum_offset 4
		.amdhsa_reserve_vcc 0
		.amdhsa_reserve_flat_scratch 0
		.amdhsa_float_round_mode_32 0
		.amdhsa_float_round_mode_16_64 0
		.amdhsa_float_denorm_mode_32 3
		.amdhsa_float_denorm_mode_16_64 3
		.amdhsa_dx10_clamp 1
		.amdhsa_ieee_mode 1
		.amdhsa_fp16_overflow 0
		.amdhsa_tg_split 0
		.amdhsa_exception_fp_ieee_invalid_op 0
		.amdhsa_exception_fp_denorm_src 0
		.amdhsa_exception_fp_ieee_div_zero 0
		.amdhsa_exception_fp_ieee_overflow 0
		.amdhsa_exception_fp_ieee_underflow 0
		.amdhsa_exception_fp_ieee_inexact 0
		.amdhsa_exception_int_div_zero 0
	.end_amdhsa_kernel
	.section	.text._ZN7rocprim17ROCPRIM_400000_NS6detail17trampoline_kernelINS0_14default_configENS1_25transform_config_selectorIdLb1EEEZNS1_14transform_implILb1ES3_S5_PdS7_NS0_8identityIdEEEE10hipError_tT2_T3_mT4_P12ihipStream_tbEUlT_E_NS1_11comp_targetILNS1_3genE2ELNS1_11target_archE906ELNS1_3gpuE6ELNS1_3repE0EEENS1_30default_config_static_selectorELNS0_4arch9wavefront6targetE1EEEvT1_,"axG",@progbits,_ZN7rocprim17ROCPRIM_400000_NS6detail17trampoline_kernelINS0_14default_configENS1_25transform_config_selectorIdLb1EEEZNS1_14transform_implILb1ES3_S5_PdS7_NS0_8identityIdEEEE10hipError_tT2_T3_mT4_P12ihipStream_tbEUlT_E_NS1_11comp_targetILNS1_3genE2ELNS1_11target_archE906ELNS1_3gpuE6ELNS1_3repE0EEENS1_30default_config_static_selectorELNS0_4arch9wavefront6targetE1EEEvT1_,comdat
.Lfunc_end15:
	.size	_ZN7rocprim17ROCPRIM_400000_NS6detail17trampoline_kernelINS0_14default_configENS1_25transform_config_selectorIdLb1EEEZNS1_14transform_implILb1ES3_S5_PdS7_NS0_8identityIdEEEE10hipError_tT2_T3_mT4_P12ihipStream_tbEUlT_E_NS1_11comp_targetILNS1_3genE2ELNS1_11target_archE906ELNS1_3gpuE6ELNS1_3repE0EEENS1_30default_config_static_selectorELNS0_4arch9wavefront6targetE1EEEvT1_, .Lfunc_end15-_ZN7rocprim17ROCPRIM_400000_NS6detail17trampoline_kernelINS0_14default_configENS1_25transform_config_selectorIdLb1EEEZNS1_14transform_implILb1ES3_S5_PdS7_NS0_8identityIdEEEE10hipError_tT2_T3_mT4_P12ihipStream_tbEUlT_E_NS1_11comp_targetILNS1_3genE2ELNS1_11target_archE906ELNS1_3gpuE6ELNS1_3repE0EEENS1_30default_config_static_selectorELNS0_4arch9wavefront6targetE1EEEvT1_
                                        ; -- End function
	.section	.AMDGPU.csdata,"",@progbits
; Kernel info:
; codeLenInByte = 0
; NumSgprs: 4
; NumVgprs: 0
; NumAgprs: 0
; TotalNumVgprs: 0
; ScratchSize: 0
; MemoryBound: 0
; FloatMode: 240
; IeeeMode: 1
; LDSByteSize: 0 bytes/workgroup (compile time only)
; SGPRBlocks: 0
; VGPRBlocks: 0
; NumSGPRsForWavesPerEU: 4
; NumVGPRsForWavesPerEU: 1
; AccumOffset: 4
; Occupancy: 8
; WaveLimiterHint : 0
; COMPUTE_PGM_RSRC2:SCRATCH_EN: 0
; COMPUTE_PGM_RSRC2:USER_SGPR: 6
; COMPUTE_PGM_RSRC2:TRAP_HANDLER: 0
; COMPUTE_PGM_RSRC2:TGID_X_EN: 1
; COMPUTE_PGM_RSRC2:TGID_Y_EN: 0
; COMPUTE_PGM_RSRC2:TGID_Z_EN: 0
; COMPUTE_PGM_RSRC2:TIDIG_COMP_CNT: 0
; COMPUTE_PGM_RSRC3_GFX90A:ACCUM_OFFSET: 0
; COMPUTE_PGM_RSRC3_GFX90A:TG_SPLIT: 0
	.section	.text._ZN7rocprim17ROCPRIM_400000_NS6detail17trampoline_kernelINS0_14default_configENS1_25transform_config_selectorIdLb1EEEZNS1_14transform_implILb1ES3_S5_PdS7_NS0_8identityIdEEEE10hipError_tT2_T3_mT4_P12ihipStream_tbEUlT_E_NS1_11comp_targetILNS1_3genE9ELNS1_11target_archE1100ELNS1_3gpuE3ELNS1_3repE0EEENS1_30default_config_static_selectorELNS0_4arch9wavefront6targetE1EEEvT1_,"axG",@progbits,_ZN7rocprim17ROCPRIM_400000_NS6detail17trampoline_kernelINS0_14default_configENS1_25transform_config_selectorIdLb1EEEZNS1_14transform_implILb1ES3_S5_PdS7_NS0_8identityIdEEEE10hipError_tT2_T3_mT4_P12ihipStream_tbEUlT_E_NS1_11comp_targetILNS1_3genE9ELNS1_11target_archE1100ELNS1_3gpuE3ELNS1_3repE0EEENS1_30default_config_static_selectorELNS0_4arch9wavefront6targetE1EEEvT1_,comdat
	.protected	_ZN7rocprim17ROCPRIM_400000_NS6detail17trampoline_kernelINS0_14default_configENS1_25transform_config_selectorIdLb1EEEZNS1_14transform_implILb1ES3_S5_PdS7_NS0_8identityIdEEEE10hipError_tT2_T3_mT4_P12ihipStream_tbEUlT_E_NS1_11comp_targetILNS1_3genE9ELNS1_11target_archE1100ELNS1_3gpuE3ELNS1_3repE0EEENS1_30default_config_static_selectorELNS0_4arch9wavefront6targetE1EEEvT1_ ; -- Begin function _ZN7rocprim17ROCPRIM_400000_NS6detail17trampoline_kernelINS0_14default_configENS1_25transform_config_selectorIdLb1EEEZNS1_14transform_implILb1ES3_S5_PdS7_NS0_8identityIdEEEE10hipError_tT2_T3_mT4_P12ihipStream_tbEUlT_E_NS1_11comp_targetILNS1_3genE9ELNS1_11target_archE1100ELNS1_3gpuE3ELNS1_3repE0EEENS1_30default_config_static_selectorELNS0_4arch9wavefront6targetE1EEEvT1_
	.globl	_ZN7rocprim17ROCPRIM_400000_NS6detail17trampoline_kernelINS0_14default_configENS1_25transform_config_selectorIdLb1EEEZNS1_14transform_implILb1ES3_S5_PdS7_NS0_8identityIdEEEE10hipError_tT2_T3_mT4_P12ihipStream_tbEUlT_E_NS1_11comp_targetILNS1_3genE9ELNS1_11target_archE1100ELNS1_3gpuE3ELNS1_3repE0EEENS1_30default_config_static_selectorELNS0_4arch9wavefront6targetE1EEEvT1_
	.p2align	8
	.type	_ZN7rocprim17ROCPRIM_400000_NS6detail17trampoline_kernelINS0_14default_configENS1_25transform_config_selectorIdLb1EEEZNS1_14transform_implILb1ES3_S5_PdS7_NS0_8identityIdEEEE10hipError_tT2_T3_mT4_P12ihipStream_tbEUlT_E_NS1_11comp_targetILNS1_3genE9ELNS1_11target_archE1100ELNS1_3gpuE3ELNS1_3repE0EEENS1_30default_config_static_selectorELNS0_4arch9wavefront6targetE1EEEvT1_,@function
_ZN7rocprim17ROCPRIM_400000_NS6detail17trampoline_kernelINS0_14default_configENS1_25transform_config_selectorIdLb1EEEZNS1_14transform_implILb1ES3_S5_PdS7_NS0_8identityIdEEEE10hipError_tT2_T3_mT4_P12ihipStream_tbEUlT_E_NS1_11comp_targetILNS1_3genE9ELNS1_11target_archE1100ELNS1_3gpuE3ELNS1_3repE0EEENS1_30default_config_static_selectorELNS0_4arch9wavefront6targetE1EEEvT1_: ; @_ZN7rocprim17ROCPRIM_400000_NS6detail17trampoline_kernelINS0_14default_configENS1_25transform_config_selectorIdLb1EEEZNS1_14transform_implILb1ES3_S5_PdS7_NS0_8identityIdEEEE10hipError_tT2_T3_mT4_P12ihipStream_tbEUlT_E_NS1_11comp_targetILNS1_3genE9ELNS1_11target_archE1100ELNS1_3gpuE3ELNS1_3repE0EEENS1_30default_config_static_selectorELNS0_4arch9wavefront6targetE1EEEvT1_
; %bb.0:
	.section	.rodata,"a",@progbits
	.p2align	6, 0x0
	.amdhsa_kernel _ZN7rocprim17ROCPRIM_400000_NS6detail17trampoline_kernelINS0_14default_configENS1_25transform_config_selectorIdLb1EEEZNS1_14transform_implILb1ES3_S5_PdS7_NS0_8identityIdEEEE10hipError_tT2_T3_mT4_P12ihipStream_tbEUlT_E_NS1_11comp_targetILNS1_3genE9ELNS1_11target_archE1100ELNS1_3gpuE3ELNS1_3repE0EEENS1_30default_config_static_selectorELNS0_4arch9wavefront6targetE1EEEvT1_
		.amdhsa_group_segment_fixed_size 0
		.amdhsa_private_segment_fixed_size 0
		.amdhsa_kernarg_size 40
		.amdhsa_user_sgpr_count 6
		.amdhsa_user_sgpr_private_segment_buffer 1
		.amdhsa_user_sgpr_dispatch_ptr 0
		.amdhsa_user_sgpr_queue_ptr 0
		.amdhsa_user_sgpr_kernarg_segment_ptr 1
		.amdhsa_user_sgpr_dispatch_id 0
		.amdhsa_user_sgpr_flat_scratch_init 0
		.amdhsa_user_sgpr_kernarg_preload_length 0
		.amdhsa_user_sgpr_kernarg_preload_offset 0
		.amdhsa_user_sgpr_private_segment_size 0
		.amdhsa_uses_dynamic_stack 0
		.amdhsa_system_sgpr_private_segment_wavefront_offset 0
		.amdhsa_system_sgpr_workgroup_id_x 1
		.amdhsa_system_sgpr_workgroup_id_y 0
		.amdhsa_system_sgpr_workgroup_id_z 0
		.amdhsa_system_sgpr_workgroup_info 0
		.amdhsa_system_vgpr_workitem_id 0
		.amdhsa_next_free_vgpr 1
		.amdhsa_next_free_sgpr 0
		.amdhsa_accum_offset 4
		.amdhsa_reserve_vcc 0
		.amdhsa_reserve_flat_scratch 0
		.amdhsa_float_round_mode_32 0
		.amdhsa_float_round_mode_16_64 0
		.amdhsa_float_denorm_mode_32 3
		.amdhsa_float_denorm_mode_16_64 3
		.amdhsa_dx10_clamp 1
		.amdhsa_ieee_mode 1
		.amdhsa_fp16_overflow 0
		.amdhsa_tg_split 0
		.amdhsa_exception_fp_ieee_invalid_op 0
		.amdhsa_exception_fp_denorm_src 0
		.amdhsa_exception_fp_ieee_div_zero 0
		.amdhsa_exception_fp_ieee_overflow 0
		.amdhsa_exception_fp_ieee_underflow 0
		.amdhsa_exception_fp_ieee_inexact 0
		.amdhsa_exception_int_div_zero 0
	.end_amdhsa_kernel
	.section	.text._ZN7rocprim17ROCPRIM_400000_NS6detail17trampoline_kernelINS0_14default_configENS1_25transform_config_selectorIdLb1EEEZNS1_14transform_implILb1ES3_S5_PdS7_NS0_8identityIdEEEE10hipError_tT2_T3_mT4_P12ihipStream_tbEUlT_E_NS1_11comp_targetILNS1_3genE9ELNS1_11target_archE1100ELNS1_3gpuE3ELNS1_3repE0EEENS1_30default_config_static_selectorELNS0_4arch9wavefront6targetE1EEEvT1_,"axG",@progbits,_ZN7rocprim17ROCPRIM_400000_NS6detail17trampoline_kernelINS0_14default_configENS1_25transform_config_selectorIdLb1EEEZNS1_14transform_implILb1ES3_S5_PdS7_NS0_8identityIdEEEE10hipError_tT2_T3_mT4_P12ihipStream_tbEUlT_E_NS1_11comp_targetILNS1_3genE9ELNS1_11target_archE1100ELNS1_3gpuE3ELNS1_3repE0EEENS1_30default_config_static_selectorELNS0_4arch9wavefront6targetE1EEEvT1_,comdat
.Lfunc_end16:
	.size	_ZN7rocprim17ROCPRIM_400000_NS6detail17trampoline_kernelINS0_14default_configENS1_25transform_config_selectorIdLb1EEEZNS1_14transform_implILb1ES3_S5_PdS7_NS0_8identityIdEEEE10hipError_tT2_T3_mT4_P12ihipStream_tbEUlT_E_NS1_11comp_targetILNS1_3genE9ELNS1_11target_archE1100ELNS1_3gpuE3ELNS1_3repE0EEENS1_30default_config_static_selectorELNS0_4arch9wavefront6targetE1EEEvT1_, .Lfunc_end16-_ZN7rocprim17ROCPRIM_400000_NS6detail17trampoline_kernelINS0_14default_configENS1_25transform_config_selectorIdLb1EEEZNS1_14transform_implILb1ES3_S5_PdS7_NS0_8identityIdEEEE10hipError_tT2_T3_mT4_P12ihipStream_tbEUlT_E_NS1_11comp_targetILNS1_3genE9ELNS1_11target_archE1100ELNS1_3gpuE3ELNS1_3repE0EEENS1_30default_config_static_selectorELNS0_4arch9wavefront6targetE1EEEvT1_
                                        ; -- End function
	.section	.AMDGPU.csdata,"",@progbits
; Kernel info:
; codeLenInByte = 0
; NumSgprs: 4
; NumVgprs: 0
; NumAgprs: 0
; TotalNumVgprs: 0
; ScratchSize: 0
; MemoryBound: 0
; FloatMode: 240
; IeeeMode: 1
; LDSByteSize: 0 bytes/workgroup (compile time only)
; SGPRBlocks: 0
; VGPRBlocks: 0
; NumSGPRsForWavesPerEU: 4
; NumVGPRsForWavesPerEU: 1
; AccumOffset: 4
; Occupancy: 8
; WaveLimiterHint : 0
; COMPUTE_PGM_RSRC2:SCRATCH_EN: 0
; COMPUTE_PGM_RSRC2:USER_SGPR: 6
; COMPUTE_PGM_RSRC2:TRAP_HANDLER: 0
; COMPUTE_PGM_RSRC2:TGID_X_EN: 1
; COMPUTE_PGM_RSRC2:TGID_Y_EN: 0
; COMPUTE_PGM_RSRC2:TGID_Z_EN: 0
; COMPUTE_PGM_RSRC2:TIDIG_COMP_CNT: 0
; COMPUTE_PGM_RSRC3_GFX90A:ACCUM_OFFSET: 0
; COMPUTE_PGM_RSRC3_GFX90A:TG_SPLIT: 0
	.section	.text._ZN7rocprim17ROCPRIM_400000_NS6detail17trampoline_kernelINS0_14default_configENS1_25transform_config_selectorIdLb1EEEZNS1_14transform_implILb1ES3_S5_PdS7_NS0_8identityIdEEEE10hipError_tT2_T3_mT4_P12ihipStream_tbEUlT_E_NS1_11comp_targetILNS1_3genE8ELNS1_11target_archE1030ELNS1_3gpuE2ELNS1_3repE0EEENS1_30default_config_static_selectorELNS0_4arch9wavefront6targetE1EEEvT1_,"axG",@progbits,_ZN7rocprim17ROCPRIM_400000_NS6detail17trampoline_kernelINS0_14default_configENS1_25transform_config_selectorIdLb1EEEZNS1_14transform_implILb1ES3_S5_PdS7_NS0_8identityIdEEEE10hipError_tT2_T3_mT4_P12ihipStream_tbEUlT_E_NS1_11comp_targetILNS1_3genE8ELNS1_11target_archE1030ELNS1_3gpuE2ELNS1_3repE0EEENS1_30default_config_static_selectorELNS0_4arch9wavefront6targetE1EEEvT1_,comdat
	.protected	_ZN7rocprim17ROCPRIM_400000_NS6detail17trampoline_kernelINS0_14default_configENS1_25transform_config_selectorIdLb1EEEZNS1_14transform_implILb1ES3_S5_PdS7_NS0_8identityIdEEEE10hipError_tT2_T3_mT4_P12ihipStream_tbEUlT_E_NS1_11comp_targetILNS1_3genE8ELNS1_11target_archE1030ELNS1_3gpuE2ELNS1_3repE0EEENS1_30default_config_static_selectorELNS0_4arch9wavefront6targetE1EEEvT1_ ; -- Begin function _ZN7rocprim17ROCPRIM_400000_NS6detail17trampoline_kernelINS0_14default_configENS1_25transform_config_selectorIdLb1EEEZNS1_14transform_implILb1ES3_S5_PdS7_NS0_8identityIdEEEE10hipError_tT2_T3_mT4_P12ihipStream_tbEUlT_E_NS1_11comp_targetILNS1_3genE8ELNS1_11target_archE1030ELNS1_3gpuE2ELNS1_3repE0EEENS1_30default_config_static_selectorELNS0_4arch9wavefront6targetE1EEEvT1_
	.globl	_ZN7rocprim17ROCPRIM_400000_NS6detail17trampoline_kernelINS0_14default_configENS1_25transform_config_selectorIdLb1EEEZNS1_14transform_implILb1ES3_S5_PdS7_NS0_8identityIdEEEE10hipError_tT2_T3_mT4_P12ihipStream_tbEUlT_E_NS1_11comp_targetILNS1_3genE8ELNS1_11target_archE1030ELNS1_3gpuE2ELNS1_3repE0EEENS1_30default_config_static_selectorELNS0_4arch9wavefront6targetE1EEEvT1_
	.p2align	8
	.type	_ZN7rocprim17ROCPRIM_400000_NS6detail17trampoline_kernelINS0_14default_configENS1_25transform_config_selectorIdLb1EEEZNS1_14transform_implILb1ES3_S5_PdS7_NS0_8identityIdEEEE10hipError_tT2_T3_mT4_P12ihipStream_tbEUlT_E_NS1_11comp_targetILNS1_3genE8ELNS1_11target_archE1030ELNS1_3gpuE2ELNS1_3repE0EEENS1_30default_config_static_selectorELNS0_4arch9wavefront6targetE1EEEvT1_,@function
_ZN7rocprim17ROCPRIM_400000_NS6detail17trampoline_kernelINS0_14default_configENS1_25transform_config_selectorIdLb1EEEZNS1_14transform_implILb1ES3_S5_PdS7_NS0_8identityIdEEEE10hipError_tT2_T3_mT4_P12ihipStream_tbEUlT_E_NS1_11comp_targetILNS1_3genE8ELNS1_11target_archE1030ELNS1_3gpuE2ELNS1_3repE0EEENS1_30default_config_static_selectorELNS0_4arch9wavefront6targetE1EEEvT1_: ; @_ZN7rocprim17ROCPRIM_400000_NS6detail17trampoline_kernelINS0_14default_configENS1_25transform_config_selectorIdLb1EEEZNS1_14transform_implILb1ES3_S5_PdS7_NS0_8identityIdEEEE10hipError_tT2_T3_mT4_P12ihipStream_tbEUlT_E_NS1_11comp_targetILNS1_3genE8ELNS1_11target_archE1030ELNS1_3gpuE2ELNS1_3repE0EEENS1_30default_config_static_selectorELNS0_4arch9wavefront6targetE1EEEvT1_
; %bb.0:
	.section	.rodata,"a",@progbits
	.p2align	6, 0x0
	.amdhsa_kernel _ZN7rocprim17ROCPRIM_400000_NS6detail17trampoline_kernelINS0_14default_configENS1_25transform_config_selectorIdLb1EEEZNS1_14transform_implILb1ES3_S5_PdS7_NS0_8identityIdEEEE10hipError_tT2_T3_mT4_P12ihipStream_tbEUlT_E_NS1_11comp_targetILNS1_3genE8ELNS1_11target_archE1030ELNS1_3gpuE2ELNS1_3repE0EEENS1_30default_config_static_selectorELNS0_4arch9wavefront6targetE1EEEvT1_
		.amdhsa_group_segment_fixed_size 0
		.amdhsa_private_segment_fixed_size 0
		.amdhsa_kernarg_size 40
		.amdhsa_user_sgpr_count 6
		.amdhsa_user_sgpr_private_segment_buffer 1
		.amdhsa_user_sgpr_dispatch_ptr 0
		.amdhsa_user_sgpr_queue_ptr 0
		.amdhsa_user_sgpr_kernarg_segment_ptr 1
		.amdhsa_user_sgpr_dispatch_id 0
		.amdhsa_user_sgpr_flat_scratch_init 0
		.amdhsa_user_sgpr_kernarg_preload_length 0
		.amdhsa_user_sgpr_kernarg_preload_offset 0
		.amdhsa_user_sgpr_private_segment_size 0
		.amdhsa_uses_dynamic_stack 0
		.amdhsa_system_sgpr_private_segment_wavefront_offset 0
		.amdhsa_system_sgpr_workgroup_id_x 1
		.amdhsa_system_sgpr_workgroup_id_y 0
		.amdhsa_system_sgpr_workgroup_id_z 0
		.amdhsa_system_sgpr_workgroup_info 0
		.amdhsa_system_vgpr_workitem_id 0
		.amdhsa_next_free_vgpr 1
		.amdhsa_next_free_sgpr 0
		.amdhsa_accum_offset 4
		.amdhsa_reserve_vcc 0
		.amdhsa_reserve_flat_scratch 0
		.amdhsa_float_round_mode_32 0
		.amdhsa_float_round_mode_16_64 0
		.amdhsa_float_denorm_mode_32 3
		.amdhsa_float_denorm_mode_16_64 3
		.amdhsa_dx10_clamp 1
		.amdhsa_ieee_mode 1
		.amdhsa_fp16_overflow 0
		.amdhsa_tg_split 0
		.amdhsa_exception_fp_ieee_invalid_op 0
		.amdhsa_exception_fp_denorm_src 0
		.amdhsa_exception_fp_ieee_div_zero 0
		.amdhsa_exception_fp_ieee_overflow 0
		.amdhsa_exception_fp_ieee_underflow 0
		.amdhsa_exception_fp_ieee_inexact 0
		.amdhsa_exception_int_div_zero 0
	.end_amdhsa_kernel
	.section	.text._ZN7rocprim17ROCPRIM_400000_NS6detail17trampoline_kernelINS0_14default_configENS1_25transform_config_selectorIdLb1EEEZNS1_14transform_implILb1ES3_S5_PdS7_NS0_8identityIdEEEE10hipError_tT2_T3_mT4_P12ihipStream_tbEUlT_E_NS1_11comp_targetILNS1_3genE8ELNS1_11target_archE1030ELNS1_3gpuE2ELNS1_3repE0EEENS1_30default_config_static_selectorELNS0_4arch9wavefront6targetE1EEEvT1_,"axG",@progbits,_ZN7rocprim17ROCPRIM_400000_NS6detail17trampoline_kernelINS0_14default_configENS1_25transform_config_selectorIdLb1EEEZNS1_14transform_implILb1ES3_S5_PdS7_NS0_8identityIdEEEE10hipError_tT2_T3_mT4_P12ihipStream_tbEUlT_E_NS1_11comp_targetILNS1_3genE8ELNS1_11target_archE1030ELNS1_3gpuE2ELNS1_3repE0EEENS1_30default_config_static_selectorELNS0_4arch9wavefront6targetE1EEEvT1_,comdat
.Lfunc_end17:
	.size	_ZN7rocprim17ROCPRIM_400000_NS6detail17trampoline_kernelINS0_14default_configENS1_25transform_config_selectorIdLb1EEEZNS1_14transform_implILb1ES3_S5_PdS7_NS0_8identityIdEEEE10hipError_tT2_T3_mT4_P12ihipStream_tbEUlT_E_NS1_11comp_targetILNS1_3genE8ELNS1_11target_archE1030ELNS1_3gpuE2ELNS1_3repE0EEENS1_30default_config_static_selectorELNS0_4arch9wavefront6targetE1EEEvT1_, .Lfunc_end17-_ZN7rocprim17ROCPRIM_400000_NS6detail17trampoline_kernelINS0_14default_configENS1_25transform_config_selectorIdLb1EEEZNS1_14transform_implILb1ES3_S5_PdS7_NS0_8identityIdEEEE10hipError_tT2_T3_mT4_P12ihipStream_tbEUlT_E_NS1_11comp_targetILNS1_3genE8ELNS1_11target_archE1030ELNS1_3gpuE2ELNS1_3repE0EEENS1_30default_config_static_selectorELNS0_4arch9wavefront6targetE1EEEvT1_
                                        ; -- End function
	.section	.AMDGPU.csdata,"",@progbits
; Kernel info:
; codeLenInByte = 0
; NumSgprs: 4
; NumVgprs: 0
; NumAgprs: 0
; TotalNumVgprs: 0
; ScratchSize: 0
; MemoryBound: 0
; FloatMode: 240
; IeeeMode: 1
; LDSByteSize: 0 bytes/workgroup (compile time only)
; SGPRBlocks: 0
; VGPRBlocks: 0
; NumSGPRsForWavesPerEU: 4
; NumVGPRsForWavesPerEU: 1
; AccumOffset: 4
; Occupancy: 8
; WaveLimiterHint : 0
; COMPUTE_PGM_RSRC2:SCRATCH_EN: 0
; COMPUTE_PGM_RSRC2:USER_SGPR: 6
; COMPUTE_PGM_RSRC2:TRAP_HANDLER: 0
; COMPUTE_PGM_RSRC2:TGID_X_EN: 1
; COMPUTE_PGM_RSRC2:TGID_Y_EN: 0
; COMPUTE_PGM_RSRC2:TGID_Z_EN: 0
; COMPUTE_PGM_RSRC2:TIDIG_COMP_CNT: 0
; COMPUTE_PGM_RSRC3_GFX90A:ACCUM_OFFSET: 0
; COMPUTE_PGM_RSRC3_GFX90A:TG_SPLIT: 0
	.section	.text._ZN7rocprim17ROCPRIM_400000_NS6detail17trampoline_kernelINS0_14default_configENS1_20scan_config_selectorIdEEZZNS1_9scan_implILNS1_25lookback_scan_determinismE0ELb0ELb0ES3_PKdPddZZZN2at6native31launch_logcumsumexp_cuda_kernelERKNSB_10TensorBaseESF_lENKUlvE_clEvENKUlvE_clEvEUlddE_dEEDaPvRmT3_T4_T5_mT6_P12ihipStream_tbENKUlT_T0_E_clISt17integral_constantIbLb0EESW_EEDaSR_SS_EUlSR_E0_NS1_11comp_targetILNS1_3genE0ELNS1_11target_archE4294967295ELNS1_3gpuE0ELNS1_3repE0EEENS1_30default_config_static_selectorELNS0_4arch9wavefront6targetE1EEEvT1_,"axG",@progbits,_ZN7rocprim17ROCPRIM_400000_NS6detail17trampoline_kernelINS0_14default_configENS1_20scan_config_selectorIdEEZZNS1_9scan_implILNS1_25lookback_scan_determinismE0ELb0ELb0ES3_PKdPddZZZN2at6native31launch_logcumsumexp_cuda_kernelERKNSB_10TensorBaseESF_lENKUlvE_clEvENKUlvE_clEvEUlddE_dEEDaPvRmT3_T4_T5_mT6_P12ihipStream_tbENKUlT_T0_E_clISt17integral_constantIbLb0EESW_EEDaSR_SS_EUlSR_E0_NS1_11comp_targetILNS1_3genE0ELNS1_11target_archE4294967295ELNS1_3gpuE0ELNS1_3repE0EEENS1_30default_config_static_selectorELNS0_4arch9wavefront6targetE1EEEvT1_,comdat
	.globl	_ZN7rocprim17ROCPRIM_400000_NS6detail17trampoline_kernelINS0_14default_configENS1_20scan_config_selectorIdEEZZNS1_9scan_implILNS1_25lookback_scan_determinismE0ELb0ELb0ES3_PKdPddZZZN2at6native31launch_logcumsumexp_cuda_kernelERKNSB_10TensorBaseESF_lENKUlvE_clEvENKUlvE_clEvEUlddE_dEEDaPvRmT3_T4_T5_mT6_P12ihipStream_tbENKUlT_T0_E_clISt17integral_constantIbLb0EESW_EEDaSR_SS_EUlSR_E0_NS1_11comp_targetILNS1_3genE0ELNS1_11target_archE4294967295ELNS1_3gpuE0ELNS1_3repE0EEENS1_30default_config_static_selectorELNS0_4arch9wavefront6targetE1EEEvT1_ ; -- Begin function _ZN7rocprim17ROCPRIM_400000_NS6detail17trampoline_kernelINS0_14default_configENS1_20scan_config_selectorIdEEZZNS1_9scan_implILNS1_25lookback_scan_determinismE0ELb0ELb0ES3_PKdPddZZZN2at6native31launch_logcumsumexp_cuda_kernelERKNSB_10TensorBaseESF_lENKUlvE_clEvENKUlvE_clEvEUlddE_dEEDaPvRmT3_T4_T5_mT6_P12ihipStream_tbENKUlT_T0_E_clISt17integral_constantIbLb0EESW_EEDaSR_SS_EUlSR_E0_NS1_11comp_targetILNS1_3genE0ELNS1_11target_archE4294967295ELNS1_3gpuE0ELNS1_3repE0EEENS1_30default_config_static_selectorELNS0_4arch9wavefront6targetE1EEEvT1_
	.p2align	8
	.type	_ZN7rocprim17ROCPRIM_400000_NS6detail17trampoline_kernelINS0_14default_configENS1_20scan_config_selectorIdEEZZNS1_9scan_implILNS1_25lookback_scan_determinismE0ELb0ELb0ES3_PKdPddZZZN2at6native31launch_logcumsumexp_cuda_kernelERKNSB_10TensorBaseESF_lENKUlvE_clEvENKUlvE_clEvEUlddE_dEEDaPvRmT3_T4_T5_mT6_P12ihipStream_tbENKUlT_T0_E_clISt17integral_constantIbLb0EESW_EEDaSR_SS_EUlSR_E0_NS1_11comp_targetILNS1_3genE0ELNS1_11target_archE4294967295ELNS1_3gpuE0ELNS1_3repE0EEENS1_30default_config_static_selectorELNS0_4arch9wavefront6targetE1EEEvT1_,@function
_ZN7rocprim17ROCPRIM_400000_NS6detail17trampoline_kernelINS0_14default_configENS1_20scan_config_selectorIdEEZZNS1_9scan_implILNS1_25lookback_scan_determinismE0ELb0ELb0ES3_PKdPddZZZN2at6native31launch_logcumsumexp_cuda_kernelERKNSB_10TensorBaseESF_lENKUlvE_clEvENKUlvE_clEvEUlddE_dEEDaPvRmT3_T4_T5_mT6_P12ihipStream_tbENKUlT_T0_E_clISt17integral_constantIbLb0EESW_EEDaSR_SS_EUlSR_E0_NS1_11comp_targetILNS1_3genE0ELNS1_11target_archE4294967295ELNS1_3gpuE0ELNS1_3repE0EEENS1_30default_config_static_selectorELNS0_4arch9wavefront6targetE1EEEvT1_: ; @_ZN7rocprim17ROCPRIM_400000_NS6detail17trampoline_kernelINS0_14default_configENS1_20scan_config_selectorIdEEZZNS1_9scan_implILNS1_25lookback_scan_determinismE0ELb0ELb0ES3_PKdPddZZZN2at6native31launch_logcumsumexp_cuda_kernelERKNSB_10TensorBaseESF_lENKUlvE_clEvENKUlvE_clEvEUlddE_dEEDaPvRmT3_T4_T5_mT6_P12ihipStream_tbENKUlT_T0_E_clISt17integral_constantIbLb0EESW_EEDaSR_SS_EUlSR_E0_NS1_11comp_targetILNS1_3genE0ELNS1_11target_archE4294967295ELNS1_3gpuE0ELNS1_3repE0EEENS1_30default_config_static_selectorELNS0_4arch9wavefront6targetE1EEEvT1_
; %bb.0:
	.section	.rodata,"a",@progbits
	.p2align	6, 0x0
	.amdhsa_kernel _ZN7rocprim17ROCPRIM_400000_NS6detail17trampoline_kernelINS0_14default_configENS1_20scan_config_selectorIdEEZZNS1_9scan_implILNS1_25lookback_scan_determinismE0ELb0ELb0ES3_PKdPddZZZN2at6native31launch_logcumsumexp_cuda_kernelERKNSB_10TensorBaseESF_lENKUlvE_clEvENKUlvE_clEvEUlddE_dEEDaPvRmT3_T4_T5_mT6_P12ihipStream_tbENKUlT_T0_E_clISt17integral_constantIbLb0EESW_EEDaSR_SS_EUlSR_E0_NS1_11comp_targetILNS1_3genE0ELNS1_11target_archE4294967295ELNS1_3gpuE0ELNS1_3repE0EEENS1_30default_config_static_selectorELNS0_4arch9wavefront6targetE1EEEvT1_
		.amdhsa_group_segment_fixed_size 0
		.amdhsa_private_segment_fixed_size 0
		.amdhsa_kernarg_size 40
		.amdhsa_user_sgpr_count 6
		.amdhsa_user_sgpr_private_segment_buffer 1
		.amdhsa_user_sgpr_dispatch_ptr 0
		.amdhsa_user_sgpr_queue_ptr 0
		.amdhsa_user_sgpr_kernarg_segment_ptr 1
		.amdhsa_user_sgpr_dispatch_id 0
		.amdhsa_user_sgpr_flat_scratch_init 0
		.amdhsa_user_sgpr_kernarg_preload_length 0
		.amdhsa_user_sgpr_kernarg_preload_offset 0
		.amdhsa_user_sgpr_private_segment_size 0
		.amdhsa_uses_dynamic_stack 0
		.amdhsa_system_sgpr_private_segment_wavefront_offset 0
		.amdhsa_system_sgpr_workgroup_id_x 1
		.amdhsa_system_sgpr_workgroup_id_y 0
		.amdhsa_system_sgpr_workgroup_id_z 0
		.amdhsa_system_sgpr_workgroup_info 0
		.amdhsa_system_vgpr_workitem_id 0
		.amdhsa_next_free_vgpr 1
		.amdhsa_next_free_sgpr 0
		.amdhsa_accum_offset 4
		.amdhsa_reserve_vcc 0
		.amdhsa_reserve_flat_scratch 0
		.amdhsa_float_round_mode_32 0
		.amdhsa_float_round_mode_16_64 0
		.amdhsa_float_denorm_mode_32 3
		.amdhsa_float_denorm_mode_16_64 3
		.amdhsa_dx10_clamp 1
		.amdhsa_ieee_mode 1
		.amdhsa_fp16_overflow 0
		.amdhsa_tg_split 0
		.amdhsa_exception_fp_ieee_invalid_op 0
		.amdhsa_exception_fp_denorm_src 0
		.amdhsa_exception_fp_ieee_div_zero 0
		.amdhsa_exception_fp_ieee_overflow 0
		.amdhsa_exception_fp_ieee_underflow 0
		.amdhsa_exception_fp_ieee_inexact 0
		.amdhsa_exception_int_div_zero 0
	.end_amdhsa_kernel
	.section	.text._ZN7rocprim17ROCPRIM_400000_NS6detail17trampoline_kernelINS0_14default_configENS1_20scan_config_selectorIdEEZZNS1_9scan_implILNS1_25lookback_scan_determinismE0ELb0ELb0ES3_PKdPddZZZN2at6native31launch_logcumsumexp_cuda_kernelERKNSB_10TensorBaseESF_lENKUlvE_clEvENKUlvE_clEvEUlddE_dEEDaPvRmT3_T4_T5_mT6_P12ihipStream_tbENKUlT_T0_E_clISt17integral_constantIbLb0EESW_EEDaSR_SS_EUlSR_E0_NS1_11comp_targetILNS1_3genE0ELNS1_11target_archE4294967295ELNS1_3gpuE0ELNS1_3repE0EEENS1_30default_config_static_selectorELNS0_4arch9wavefront6targetE1EEEvT1_,"axG",@progbits,_ZN7rocprim17ROCPRIM_400000_NS6detail17trampoline_kernelINS0_14default_configENS1_20scan_config_selectorIdEEZZNS1_9scan_implILNS1_25lookback_scan_determinismE0ELb0ELb0ES3_PKdPddZZZN2at6native31launch_logcumsumexp_cuda_kernelERKNSB_10TensorBaseESF_lENKUlvE_clEvENKUlvE_clEvEUlddE_dEEDaPvRmT3_T4_T5_mT6_P12ihipStream_tbENKUlT_T0_E_clISt17integral_constantIbLb0EESW_EEDaSR_SS_EUlSR_E0_NS1_11comp_targetILNS1_3genE0ELNS1_11target_archE4294967295ELNS1_3gpuE0ELNS1_3repE0EEENS1_30default_config_static_selectorELNS0_4arch9wavefront6targetE1EEEvT1_,comdat
.Lfunc_end18:
	.size	_ZN7rocprim17ROCPRIM_400000_NS6detail17trampoline_kernelINS0_14default_configENS1_20scan_config_selectorIdEEZZNS1_9scan_implILNS1_25lookback_scan_determinismE0ELb0ELb0ES3_PKdPddZZZN2at6native31launch_logcumsumexp_cuda_kernelERKNSB_10TensorBaseESF_lENKUlvE_clEvENKUlvE_clEvEUlddE_dEEDaPvRmT3_T4_T5_mT6_P12ihipStream_tbENKUlT_T0_E_clISt17integral_constantIbLb0EESW_EEDaSR_SS_EUlSR_E0_NS1_11comp_targetILNS1_3genE0ELNS1_11target_archE4294967295ELNS1_3gpuE0ELNS1_3repE0EEENS1_30default_config_static_selectorELNS0_4arch9wavefront6targetE1EEEvT1_, .Lfunc_end18-_ZN7rocprim17ROCPRIM_400000_NS6detail17trampoline_kernelINS0_14default_configENS1_20scan_config_selectorIdEEZZNS1_9scan_implILNS1_25lookback_scan_determinismE0ELb0ELb0ES3_PKdPddZZZN2at6native31launch_logcumsumexp_cuda_kernelERKNSB_10TensorBaseESF_lENKUlvE_clEvENKUlvE_clEvEUlddE_dEEDaPvRmT3_T4_T5_mT6_P12ihipStream_tbENKUlT_T0_E_clISt17integral_constantIbLb0EESW_EEDaSR_SS_EUlSR_E0_NS1_11comp_targetILNS1_3genE0ELNS1_11target_archE4294967295ELNS1_3gpuE0ELNS1_3repE0EEENS1_30default_config_static_selectorELNS0_4arch9wavefront6targetE1EEEvT1_
                                        ; -- End function
	.section	.AMDGPU.csdata,"",@progbits
; Kernel info:
; codeLenInByte = 0
; NumSgprs: 4
; NumVgprs: 0
; NumAgprs: 0
; TotalNumVgprs: 0
; ScratchSize: 0
; MemoryBound: 0
; FloatMode: 240
; IeeeMode: 1
; LDSByteSize: 0 bytes/workgroup (compile time only)
; SGPRBlocks: 0
; VGPRBlocks: 0
; NumSGPRsForWavesPerEU: 4
; NumVGPRsForWavesPerEU: 1
; AccumOffset: 4
; Occupancy: 8
; WaveLimiterHint : 0
; COMPUTE_PGM_RSRC2:SCRATCH_EN: 0
; COMPUTE_PGM_RSRC2:USER_SGPR: 6
; COMPUTE_PGM_RSRC2:TRAP_HANDLER: 0
; COMPUTE_PGM_RSRC2:TGID_X_EN: 1
; COMPUTE_PGM_RSRC2:TGID_Y_EN: 0
; COMPUTE_PGM_RSRC2:TGID_Z_EN: 0
; COMPUTE_PGM_RSRC2:TIDIG_COMP_CNT: 0
; COMPUTE_PGM_RSRC3_GFX90A:ACCUM_OFFSET: 0
; COMPUTE_PGM_RSRC3_GFX90A:TG_SPLIT: 0
	.section	.text._ZN7rocprim17ROCPRIM_400000_NS6detail17trampoline_kernelINS0_14default_configENS1_20scan_config_selectorIdEEZZNS1_9scan_implILNS1_25lookback_scan_determinismE0ELb0ELb0ES3_PKdPddZZZN2at6native31launch_logcumsumexp_cuda_kernelERKNSB_10TensorBaseESF_lENKUlvE_clEvENKUlvE_clEvEUlddE_dEEDaPvRmT3_T4_T5_mT6_P12ihipStream_tbENKUlT_T0_E_clISt17integral_constantIbLb0EESW_EEDaSR_SS_EUlSR_E0_NS1_11comp_targetILNS1_3genE5ELNS1_11target_archE942ELNS1_3gpuE9ELNS1_3repE0EEENS1_30default_config_static_selectorELNS0_4arch9wavefront6targetE1EEEvT1_,"axG",@progbits,_ZN7rocprim17ROCPRIM_400000_NS6detail17trampoline_kernelINS0_14default_configENS1_20scan_config_selectorIdEEZZNS1_9scan_implILNS1_25lookback_scan_determinismE0ELb0ELb0ES3_PKdPddZZZN2at6native31launch_logcumsumexp_cuda_kernelERKNSB_10TensorBaseESF_lENKUlvE_clEvENKUlvE_clEvEUlddE_dEEDaPvRmT3_T4_T5_mT6_P12ihipStream_tbENKUlT_T0_E_clISt17integral_constantIbLb0EESW_EEDaSR_SS_EUlSR_E0_NS1_11comp_targetILNS1_3genE5ELNS1_11target_archE942ELNS1_3gpuE9ELNS1_3repE0EEENS1_30default_config_static_selectorELNS0_4arch9wavefront6targetE1EEEvT1_,comdat
	.globl	_ZN7rocprim17ROCPRIM_400000_NS6detail17trampoline_kernelINS0_14default_configENS1_20scan_config_selectorIdEEZZNS1_9scan_implILNS1_25lookback_scan_determinismE0ELb0ELb0ES3_PKdPddZZZN2at6native31launch_logcumsumexp_cuda_kernelERKNSB_10TensorBaseESF_lENKUlvE_clEvENKUlvE_clEvEUlddE_dEEDaPvRmT3_T4_T5_mT6_P12ihipStream_tbENKUlT_T0_E_clISt17integral_constantIbLb0EESW_EEDaSR_SS_EUlSR_E0_NS1_11comp_targetILNS1_3genE5ELNS1_11target_archE942ELNS1_3gpuE9ELNS1_3repE0EEENS1_30default_config_static_selectorELNS0_4arch9wavefront6targetE1EEEvT1_ ; -- Begin function _ZN7rocprim17ROCPRIM_400000_NS6detail17trampoline_kernelINS0_14default_configENS1_20scan_config_selectorIdEEZZNS1_9scan_implILNS1_25lookback_scan_determinismE0ELb0ELb0ES3_PKdPddZZZN2at6native31launch_logcumsumexp_cuda_kernelERKNSB_10TensorBaseESF_lENKUlvE_clEvENKUlvE_clEvEUlddE_dEEDaPvRmT3_T4_T5_mT6_P12ihipStream_tbENKUlT_T0_E_clISt17integral_constantIbLb0EESW_EEDaSR_SS_EUlSR_E0_NS1_11comp_targetILNS1_3genE5ELNS1_11target_archE942ELNS1_3gpuE9ELNS1_3repE0EEENS1_30default_config_static_selectorELNS0_4arch9wavefront6targetE1EEEvT1_
	.p2align	8
	.type	_ZN7rocprim17ROCPRIM_400000_NS6detail17trampoline_kernelINS0_14default_configENS1_20scan_config_selectorIdEEZZNS1_9scan_implILNS1_25lookback_scan_determinismE0ELb0ELb0ES3_PKdPddZZZN2at6native31launch_logcumsumexp_cuda_kernelERKNSB_10TensorBaseESF_lENKUlvE_clEvENKUlvE_clEvEUlddE_dEEDaPvRmT3_T4_T5_mT6_P12ihipStream_tbENKUlT_T0_E_clISt17integral_constantIbLb0EESW_EEDaSR_SS_EUlSR_E0_NS1_11comp_targetILNS1_3genE5ELNS1_11target_archE942ELNS1_3gpuE9ELNS1_3repE0EEENS1_30default_config_static_selectorELNS0_4arch9wavefront6targetE1EEEvT1_,@function
_ZN7rocprim17ROCPRIM_400000_NS6detail17trampoline_kernelINS0_14default_configENS1_20scan_config_selectorIdEEZZNS1_9scan_implILNS1_25lookback_scan_determinismE0ELb0ELb0ES3_PKdPddZZZN2at6native31launch_logcumsumexp_cuda_kernelERKNSB_10TensorBaseESF_lENKUlvE_clEvENKUlvE_clEvEUlddE_dEEDaPvRmT3_T4_T5_mT6_P12ihipStream_tbENKUlT_T0_E_clISt17integral_constantIbLb0EESW_EEDaSR_SS_EUlSR_E0_NS1_11comp_targetILNS1_3genE5ELNS1_11target_archE942ELNS1_3gpuE9ELNS1_3repE0EEENS1_30default_config_static_selectorELNS0_4arch9wavefront6targetE1EEEvT1_: ; @_ZN7rocprim17ROCPRIM_400000_NS6detail17trampoline_kernelINS0_14default_configENS1_20scan_config_selectorIdEEZZNS1_9scan_implILNS1_25lookback_scan_determinismE0ELb0ELb0ES3_PKdPddZZZN2at6native31launch_logcumsumexp_cuda_kernelERKNSB_10TensorBaseESF_lENKUlvE_clEvENKUlvE_clEvEUlddE_dEEDaPvRmT3_T4_T5_mT6_P12ihipStream_tbENKUlT_T0_E_clISt17integral_constantIbLb0EESW_EEDaSR_SS_EUlSR_E0_NS1_11comp_targetILNS1_3genE5ELNS1_11target_archE942ELNS1_3gpuE9ELNS1_3repE0EEENS1_30default_config_static_selectorELNS0_4arch9wavefront6targetE1EEEvT1_
; %bb.0:
	.section	.rodata,"a",@progbits
	.p2align	6, 0x0
	.amdhsa_kernel _ZN7rocprim17ROCPRIM_400000_NS6detail17trampoline_kernelINS0_14default_configENS1_20scan_config_selectorIdEEZZNS1_9scan_implILNS1_25lookback_scan_determinismE0ELb0ELb0ES3_PKdPddZZZN2at6native31launch_logcumsumexp_cuda_kernelERKNSB_10TensorBaseESF_lENKUlvE_clEvENKUlvE_clEvEUlddE_dEEDaPvRmT3_T4_T5_mT6_P12ihipStream_tbENKUlT_T0_E_clISt17integral_constantIbLb0EESW_EEDaSR_SS_EUlSR_E0_NS1_11comp_targetILNS1_3genE5ELNS1_11target_archE942ELNS1_3gpuE9ELNS1_3repE0EEENS1_30default_config_static_selectorELNS0_4arch9wavefront6targetE1EEEvT1_
		.amdhsa_group_segment_fixed_size 0
		.amdhsa_private_segment_fixed_size 0
		.amdhsa_kernarg_size 40
		.amdhsa_user_sgpr_count 6
		.amdhsa_user_sgpr_private_segment_buffer 1
		.amdhsa_user_sgpr_dispatch_ptr 0
		.amdhsa_user_sgpr_queue_ptr 0
		.amdhsa_user_sgpr_kernarg_segment_ptr 1
		.amdhsa_user_sgpr_dispatch_id 0
		.amdhsa_user_sgpr_flat_scratch_init 0
		.amdhsa_user_sgpr_kernarg_preload_length 0
		.amdhsa_user_sgpr_kernarg_preload_offset 0
		.amdhsa_user_sgpr_private_segment_size 0
		.amdhsa_uses_dynamic_stack 0
		.amdhsa_system_sgpr_private_segment_wavefront_offset 0
		.amdhsa_system_sgpr_workgroup_id_x 1
		.amdhsa_system_sgpr_workgroup_id_y 0
		.amdhsa_system_sgpr_workgroup_id_z 0
		.amdhsa_system_sgpr_workgroup_info 0
		.amdhsa_system_vgpr_workitem_id 0
		.amdhsa_next_free_vgpr 1
		.amdhsa_next_free_sgpr 0
		.amdhsa_accum_offset 4
		.amdhsa_reserve_vcc 0
		.amdhsa_reserve_flat_scratch 0
		.amdhsa_float_round_mode_32 0
		.amdhsa_float_round_mode_16_64 0
		.amdhsa_float_denorm_mode_32 3
		.amdhsa_float_denorm_mode_16_64 3
		.amdhsa_dx10_clamp 1
		.amdhsa_ieee_mode 1
		.amdhsa_fp16_overflow 0
		.amdhsa_tg_split 0
		.amdhsa_exception_fp_ieee_invalid_op 0
		.amdhsa_exception_fp_denorm_src 0
		.amdhsa_exception_fp_ieee_div_zero 0
		.amdhsa_exception_fp_ieee_overflow 0
		.amdhsa_exception_fp_ieee_underflow 0
		.amdhsa_exception_fp_ieee_inexact 0
		.amdhsa_exception_int_div_zero 0
	.end_amdhsa_kernel
	.section	.text._ZN7rocprim17ROCPRIM_400000_NS6detail17trampoline_kernelINS0_14default_configENS1_20scan_config_selectorIdEEZZNS1_9scan_implILNS1_25lookback_scan_determinismE0ELb0ELb0ES3_PKdPddZZZN2at6native31launch_logcumsumexp_cuda_kernelERKNSB_10TensorBaseESF_lENKUlvE_clEvENKUlvE_clEvEUlddE_dEEDaPvRmT3_T4_T5_mT6_P12ihipStream_tbENKUlT_T0_E_clISt17integral_constantIbLb0EESW_EEDaSR_SS_EUlSR_E0_NS1_11comp_targetILNS1_3genE5ELNS1_11target_archE942ELNS1_3gpuE9ELNS1_3repE0EEENS1_30default_config_static_selectorELNS0_4arch9wavefront6targetE1EEEvT1_,"axG",@progbits,_ZN7rocprim17ROCPRIM_400000_NS6detail17trampoline_kernelINS0_14default_configENS1_20scan_config_selectorIdEEZZNS1_9scan_implILNS1_25lookback_scan_determinismE0ELb0ELb0ES3_PKdPddZZZN2at6native31launch_logcumsumexp_cuda_kernelERKNSB_10TensorBaseESF_lENKUlvE_clEvENKUlvE_clEvEUlddE_dEEDaPvRmT3_T4_T5_mT6_P12ihipStream_tbENKUlT_T0_E_clISt17integral_constantIbLb0EESW_EEDaSR_SS_EUlSR_E0_NS1_11comp_targetILNS1_3genE5ELNS1_11target_archE942ELNS1_3gpuE9ELNS1_3repE0EEENS1_30default_config_static_selectorELNS0_4arch9wavefront6targetE1EEEvT1_,comdat
.Lfunc_end19:
	.size	_ZN7rocprim17ROCPRIM_400000_NS6detail17trampoline_kernelINS0_14default_configENS1_20scan_config_selectorIdEEZZNS1_9scan_implILNS1_25lookback_scan_determinismE0ELb0ELb0ES3_PKdPddZZZN2at6native31launch_logcumsumexp_cuda_kernelERKNSB_10TensorBaseESF_lENKUlvE_clEvENKUlvE_clEvEUlddE_dEEDaPvRmT3_T4_T5_mT6_P12ihipStream_tbENKUlT_T0_E_clISt17integral_constantIbLb0EESW_EEDaSR_SS_EUlSR_E0_NS1_11comp_targetILNS1_3genE5ELNS1_11target_archE942ELNS1_3gpuE9ELNS1_3repE0EEENS1_30default_config_static_selectorELNS0_4arch9wavefront6targetE1EEEvT1_, .Lfunc_end19-_ZN7rocprim17ROCPRIM_400000_NS6detail17trampoline_kernelINS0_14default_configENS1_20scan_config_selectorIdEEZZNS1_9scan_implILNS1_25lookback_scan_determinismE0ELb0ELb0ES3_PKdPddZZZN2at6native31launch_logcumsumexp_cuda_kernelERKNSB_10TensorBaseESF_lENKUlvE_clEvENKUlvE_clEvEUlddE_dEEDaPvRmT3_T4_T5_mT6_P12ihipStream_tbENKUlT_T0_E_clISt17integral_constantIbLb0EESW_EEDaSR_SS_EUlSR_E0_NS1_11comp_targetILNS1_3genE5ELNS1_11target_archE942ELNS1_3gpuE9ELNS1_3repE0EEENS1_30default_config_static_selectorELNS0_4arch9wavefront6targetE1EEEvT1_
                                        ; -- End function
	.section	.AMDGPU.csdata,"",@progbits
; Kernel info:
; codeLenInByte = 0
; NumSgprs: 4
; NumVgprs: 0
; NumAgprs: 0
; TotalNumVgprs: 0
; ScratchSize: 0
; MemoryBound: 0
; FloatMode: 240
; IeeeMode: 1
; LDSByteSize: 0 bytes/workgroup (compile time only)
; SGPRBlocks: 0
; VGPRBlocks: 0
; NumSGPRsForWavesPerEU: 4
; NumVGPRsForWavesPerEU: 1
; AccumOffset: 4
; Occupancy: 8
; WaveLimiterHint : 0
; COMPUTE_PGM_RSRC2:SCRATCH_EN: 0
; COMPUTE_PGM_RSRC2:USER_SGPR: 6
; COMPUTE_PGM_RSRC2:TRAP_HANDLER: 0
; COMPUTE_PGM_RSRC2:TGID_X_EN: 1
; COMPUTE_PGM_RSRC2:TGID_Y_EN: 0
; COMPUTE_PGM_RSRC2:TGID_Z_EN: 0
; COMPUTE_PGM_RSRC2:TIDIG_COMP_CNT: 0
; COMPUTE_PGM_RSRC3_GFX90A:ACCUM_OFFSET: 0
; COMPUTE_PGM_RSRC3_GFX90A:TG_SPLIT: 0
	.section	.text._ZN7rocprim17ROCPRIM_400000_NS6detail17trampoline_kernelINS0_14default_configENS1_20scan_config_selectorIdEEZZNS1_9scan_implILNS1_25lookback_scan_determinismE0ELb0ELb0ES3_PKdPddZZZN2at6native31launch_logcumsumexp_cuda_kernelERKNSB_10TensorBaseESF_lENKUlvE_clEvENKUlvE_clEvEUlddE_dEEDaPvRmT3_T4_T5_mT6_P12ihipStream_tbENKUlT_T0_E_clISt17integral_constantIbLb0EESW_EEDaSR_SS_EUlSR_E0_NS1_11comp_targetILNS1_3genE4ELNS1_11target_archE910ELNS1_3gpuE8ELNS1_3repE0EEENS1_30default_config_static_selectorELNS0_4arch9wavefront6targetE1EEEvT1_,"axG",@progbits,_ZN7rocprim17ROCPRIM_400000_NS6detail17trampoline_kernelINS0_14default_configENS1_20scan_config_selectorIdEEZZNS1_9scan_implILNS1_25lookback_scan_determinismE0ELb0ELb0ES3_PKdPddZZZN2at6native31launch_logcumsumexp_cuda_kernelERKNSB_10TensorBaseESF_lENKUlvE_clEvENKUlvE_clEvEUlddE_dEEDaPvRmT3_T4_T5_mT6_P12ihipStream_tbENKUlT_T0_E_clISt17integral_constantIbLb0EESW_EEDaSR_SS_EUlSR_E0_NS1_11comp_targetILNS1_3genE4ELNS1_11target_archE910ELNS1_3gpuE8ELNS1_3repE0EEENS1_30default_config_static_selectorELNS0_4arch9wavefront6targetE1EEEvT1_,comdat
	.globl	_ZN7rocprim17ROCPRIM_400000_NS6detail17trampoline_kernelINS0_14default_configENS1_20scan_config_selectorIdEEZZNS1_9scan_implILNS1_25lookback_scan_determinismE0ELb0ELb0ES3_PKdPddZZZN2at6native31launch_logcumsumexp_cuda_kernelERKNSB_10TensorBaseESF_lENKUlvE_clEvENKUlvE_clEvEUlddE_dEEDaPvRmT3_T4_T5_mT6_P12ihipStream_tbENKUlT_T0_E_clISt17integral_constantIbLb0EESW_EEDaSR_SS_EUlSR_E0_NS1_11comp_targetILNS1_3genE4ELNS1_11target_archE910ELNS1_3gpuE8ELNS1_3repE0EEENS1_30default_config_static_selectorELNS0_4arch9wavefront6targetE1EEEvT1_ ; -- Begin function _ZN7rocprim17ROCPRIM_400000_NS6detail17trampoline_kernelINS0_14default_configENS1_20scan_config_selectorIdEEZZNS1_9scan_implILNS1_25lookback_scan_determinismE0ELb0ELb0ES3_PKdPddZZZN2at6native31launch_logcumsumexp_cuda_kernelERKNSB_10TensorBaseESF_lENKUlvE_clEvENKUlvE_clEvEUlddE_dEEDaPvRmT3_T4_T5_mT6_P12ihipStream_tbENKUlT_T0_E_clISt17integral_constantIbLb0EESW_EEDaSR_SS_EUlSR_E0_NS1_11comp_targetILNS1_3genE4ELNS1_11target_archE910ELNS1_3gpuE8ELNS1_3repE0EEENS1_30default_config_static_selectorELNS0_4arch9wavefront6targetE1EEEvT1_
	.p2align	8
	.type	_ZN7rocprim17ROCPRIM_400000_NS6detail17trampoline_kernelINS0_14default_configENS1_20scan_config_selectorIdEEZZNS1_9scan_implILNS1_25lookback_scan_determinismE0ELb0ELb0ES3_PKdPddZZZN2at6native31launch_logcumsumexp_cuda_kernelERKNSB_10TensorBaseESF_lENKUlvE_clEvENKUlvE_clEvEUlddE_dEEDaPvRmT3_T4_T5_mT6_P12ihipStream_tbENKUlT_T0_E_clISt17integral_constantIbLb0EESW_EEDaSR_SS_EUlSR_E0_NS1_11comp_targetILNS1_3genE4ELNS1_11target_archE910ELNS1_3gpuE8ELNS1_3repE0EEENS1_30default_config_static_selectorELNS0_4arch9wavefront6targetE1EEEvT1_,@function
_ZN7rocprim17ROCPRIM_400000_NS6detail17trampoline_kernelINS0_14default_configENS1_20scan_config_selectorIdEEZZNS1_9scan_implILNS1_25lookback_scan_determinismE0ELb0ELb0ES3_PKdPddZZZN2at6native31launch_logcumsumexp_cuda_kernelERKNSB_10TensorBaseESF_lENKUlvE_clEvENKUlvE_clEvEUlddE_dEEDaPvRmT3_T4_T5_mT6_P12ihipStream_tbENKUlT_T0_E_clISt17integral_constantIbLb0EESW_EEDaSR_SS_EUlSR_E0_NS1_11comp_targetILNS1_3genE4ELNS1_11target_archE910ELNS1_3gpuE8ELNS1_3repE0EEENS1_30default_config_static_selectorELNS0_4arch9wavefront6targetE1EEEvT1_: ; @_ZN7rocprim17ROCPRIM_400000_NS6detail17trampoline_kernelINS0_14default_configENS1_20scan_config_selectorIdEEZZNS1_9scan_implILNS1_25lookback_scan_determinismE0ELb0ELb0ES3_PKdPddZZZN2at6native31launch_logcumsumexp_cuda_kernelERKNSB_10TensorBaseESF_lENKUlvE_clEvENKUlvE_clEvEUlddE_dEEDaPvRmT3_T4_T5_mT6_P12ihipStream_tbENKUlT_T0_E_clISt17integral_constantIbLb0EESW_EEDaSR_SS_EUlSR_E0_NS1_11comp_targetILNS1_3genE4ELNS1_11target_archE910ELNS1_3gpuE8ELNS1_3repE0EEENS1_30default_config_static_selectorELNS0_4arch9wavefront6targetE1EEEvT1_
; %bb.0:
	s_load_dwordx4 s[20:23], s[4:5], 0x0
	v_lshlrev_b32_e32 v54, 3, v0
	s_waitcnt lgkmcnt(0)
	s_load_dwordx2 s[18:19], s[20:21], 0x0
	v_cmp_gt_u32_e32 vcc, s22, v0
	s_waitcnt lgkmcnt(0)
	v_pk_mov_b32 v[2:3], s[18:19], s[18:19] op_sel:[0,1]
	s_and_saveexec_b64 s[0:1], vcc
	s_cbranch_execz .LBB20_2
; %bb.1:
	global_load_dwordx2 v[2:3], v54, s[20:21]
.LBB20_2:
	s_or_b64 exec, exec, s[0:1]
	v_or_b32_e32 v1, 0x80, v0
	v_cmp_gt_u32_e64 s[0:1], s22, v1
	v_pk_mov_b32 v[4:5], s[18:19], s[18:19] op_sel:[0,1]
	s_and_saveexec_b64 s[2:3], s[0:1]
	s_cbranch_execz .LBB20_4
; %bb.3:
	global_load_dwordx2 v[4:5], v54, s[20:21] offset:1024
.LBB20_4:
	s_or_b64 exec, exec, s[2:3]
	v_or_b32_e32 v1, 0x100, v0
	v_cmp_gt_u32_e64 s[2:3], s22, v1
	v_pk_mov_b32 v[6:7], s[18:19], s[18:19] op_sel:[0,1]
	s_and_saveexec_b64 s[6:7], s[2:3]
	s_cbranch_execz .LBB20_6
; %bb.5:
	global_load_dwordx2 v[6:7], v54, s[20:21] offset:2048
.LBB20_6:
	;; [unrolled: 9-line block ×3, first 2 shown]
	s_or_b64 exec, exec, s[6:7]
	v_or_b32_e32 v1, 0x200, v0
	v_cmp_gt_u32_e64 s[6:7], s22, v1
	v_pk_mov_b32 v[10:11], s[18:19], s[18:19] op_sel:[0,1]
	s_and_saveexec_b64 s[8:9], s[6:7]
	s_cbranch_execz .LBB20_10
; %bb.9:
	v_lshlrev_b32_e32 v1, 3, v1
	global_load_dwordx2 v[10:11], v1, s[20:21]
.LBB20_10:
	s_or_b64 exec, exec, s[8:9]
	v_or_b32_e32 v1, 0x280, v0
	v_cmp_gt_u32_e64 s[8:9], s22, v1
	v_pk_mov_b32 v[12:13], s[18:19], s[18:19] op_sel:[0,1]
	s_and_saveexec_b64 s[10:11], s[8:9]
	s_cbranch_execz .LBB20_12
; %bb.11:
	v_lshlrev_b32_e32 v1, 3, v1
	global_load_dwordx2 v[12:13], v1, s[20:21]
.LBB20_12:
	;; [unrolled: 10-line block ×6, first 2 shown]
	s_or_b64 exec, exec, s[18:19]
	s_movk_i32 s18, 0x48
	v_mad_u32_u24 v1, v0, s18, v54
	s_waitcnt vmcnt(0)
	ds_write2st64_b64 v54, v[2:3], v[4:5] offset1:2
	ds_write2st64_b64 v54, v[6:7], v[8:9] offset0:4 offset1:6
	ds_write2st64_b64 v54, v[10:11], v[12:13] offset0:8 offset1:10
	;; [unrolled: 1-line block ×4, first 2 shown]
	s_waitcnt lgkmcnt(0)
	s_barrier
	ds_read_b128 v[2:5], v1
	ds_read_b128 v[18:21], v1 offset:16
	ds_read_b128 v[14:17], v1 offset:32
	;; [unrolled: 1-line block ×4, first 2 shown]
	s_waitcnt lgkmcnt(4)
	v_max_f64 v[26:27], v[4:5], v[4:5]
	v_max_f64 v[40:41], v[2:3], v[2:3]
	v_min_f64 v[42:43], v[40:41], v[26:27]
	v_cmp_u_f64_e64 s[38:39], v[2:3], v[2:3]
	v_cndmask_b32_e64 v1, v42, v2, s[38:39]
	v_cndmask_b32_e64 v22, v43, v3, s[38:39]
	v_cmp_u_f64_e64 s[18:19], v[4:5], v[4:5]
	v_max_f64 v[44:45], v[40:41], v[26:27]
	v_cndmask_b32_e64 v25, v22, v5, s[18:19]
	v_cndmask_b32_e64 v24, v1, v4, s[18:19]
	;; [unrolled: 1-line block ×6, first 2 shown]
	s_movk_i32 s30, 0x1f8
	v_cmp_neq_f64_e64 s[20:21], v[24:25], v[22:23]
	v_cmp_class_f64_e64 s[22:23], v[24:25], s30
	s_or_b64 s[20:21], s[20:21], s[22:23]
	v_pk_mov_b32 v[46:47], v[2:3], v[2:3] op_sel:[0,1]
	s_waitcnt lgkmcnt(0)
	s_barrier
	s_and_saveexec_b64 s[24:25], s[20:21]
	s_cbranch_execz .LBB20_22
; %bb.21:
	s_mov_b32 s20, 0x652b82fe
	v_add_f64 v[24:25], v[24:25], -v[22:23]
	s_mov_b32 s21, 0x3ff71547
	v_mul_f64 v[28:29], v[24:25], s[20:21]
	v_rndne_f64_e32 v[28:29], v[28:29]
	s_mov_b32 s27, 0xbfe62e42
	s_mov_b32 s26, 0xfefa39ef
	v_fma_f64 v[30:31], s[26:27], v[28:29], v[24:25]
	s_mov_b32 s29, 0xbc7abc9e
	s_mov_b32 s28, 0x3b39803f
	;; [unrolled: 1-line block ×3, first 2 shown]
	v_fmac_f64_e32 v[30:31], s[28:29], v[28:29]
	v_mov_b32_e32 v32, 0xfca7ab0c
	v_mov_b32_e32 v33, 0x3e928af3
	s_mov_b32 s21, 0x3e5ade15
	v_fmac_f64_e32 v[32:33], s[20:21], v[30:31]
	v_mov_b32_e32 v34, 0x623fde64
	v_mov_b32_e32 v35, 0x3ec71dee
	v_fmac_f64_e32 v[34:35], v[30:31], v[32:33]
	v_mov_b32_e32 v32, 0x7c89e6b0
	v_mov_b32_e32 v33, 0x3efa0199
	;; [unrolled: 3-line block ×8, first 2 shown]
	v_fmac_f64_e32 v[32:33], v[30:31], v[34:35]
	v_fma_f64 v[32:33], v[30:31], v[32:33], 1.0
	s_mov_b32 s20, 0
	s_mov_b32 s22, 0
	v_fma_f64 v[30:31], v[30:31], v[32:33], 1.0
	v_cvt_i32_f64_e32 v1, v[28:29]
	s_mov_b32 s21, 0x40900000
	s_mov_b32 s23, 0xc090cc00
	v_ldexp_f64 v[28:29], v[30:31], v1
	v_mov_b32_e32 v1, 0x7ff00000
	v_cmp_nlt_f64_e64 s[20:21], s[20:21], v[24:25]
	v_cmp_ngt_f64_e64 s[22:23], s[22:23], v[24:25]
	v_cndmask_b32_e64 v1, v1, v29, s[20:21]
	s_and_b64 s[20:21], s[22:23], s[20:21]
	v_cndmask_b32_e64 v25, 0, v1, s[22:23]
	v_cndmask_b32_e64 v24, 0, v28, s[20:21]
	v_add_f64 v[28:29], v[24:25], 1.0
	v_add_f64 v[30:31], v[28:29], -1.0
	v_add_f64 v[32:33], v[30:31], -v[28:29]
	v_add_f64 v[32:33], v[32:33], 1.0
	v_add_f64 v[30:31], v[24:25], -v[30:31]
	s_mov_b32 s20, 0x55555555
	v_add_f64 v[30:31], v[30:31], v[32:33]
	v_frexp_mant_f64_e32 v[32:33], v[28:29]
	s_mov_b32 s21, 0x3fe55555
	v_frexp_exp_i32_f64_e32 v1, v[28:29]
	v_cmp_gt_f64_e64 s[20:21], s[20:21], v[32:33]
	v_subbrev_co_u32_e64 v1, s[20:21], 0, v1, s[20:21]
	v_sub_u32_e32 v32, 0, v1
	v_ldexp_f64 v[28:29], v[28:29], v32
	v_ldexp_f64 v[30:31], v[30:31], v32
	v_add_f64 v[32:33], v[28:29], -1.0
	v_add_f64 v[38:39], v[28:29], 1.0
	v_add_f64 v[34:35], v[32:33], 1.0
	v_add_f64 v[46:47], v[38:39], -1.0
	v_add_f64 v[34:35], v[28:29], -v[34:35]
	v_add_f64 v[28:29], v[28:29], -v[46:47]
	v_add_f64 v[28:29], v[30:31], v[28:29]
	v_add_f64 v[34:35], v[30:31], v[34:35]
	;; [unrolled: 1-line block ×3, first 2 shown]
	v_rcp_f64_e32 v[46:47], v[30:31]
	v_add_f64 v[36:37], v[32:33], v[34:35]
	v_add_f64 v[32:33], v[36:37], -v[32:33]
	v_add_f64 v[32:33], v[34:35], -v[32:33]
	;; [unrolled: 1-line block ×4, first 2 shown]
	v_fma_f64 v[34:35], -v[30:31], v[46:47], 1.0
	v_fmac_f64_e32 v[46:47], v[34:35], v[46:47]
	v_fma_f64 v[34:35], -v[30:31], v[46:47], 1.0
	v_fmac_f64_e32 v[46:47], v[34:35], v[46:47]
	v_mul_f64 v[34:35], v[36:37], v[46:47]
	v_mul_f64 v[38:39], v[30:31], v[34:35]
	v_fma_f64 v[48:49], v[34:35], v[30:31], -v[38:39]
	v_fmac_f64_e32 v[48:49], v[34:35], v[28:29]
	v_add_f64 v[50:51], v[38:39], v[48:49]
	v_add_f64 v[52:53], v[36:37], -v[50:51]
	v_add_f64 v[36:37], v[36:37], -v[52:53]
	;; [unrolled: 1-line block ×4, first 2 shown]
	v_add_f64 v[32:33], v[32:33], v[36:37]
	v_add_f64 v[36:37], v[38:39], -v[48:49]
	v_add_f64 v[32:33], v[36:37], v[32:33]
	v_add_f64 v[36:37], v[52:53], v[32:33]
	v_add_f64 v[38:39], v[52:53], -v[36:37]
	v_add_f64 v[32:33], v[32:33], v[38:39]
	v_mul_f64 v[38:39], v[46:47], v[36:37]
	v_mul_f64 v[48:49], v[30:31], v[38:39]
	v_fma_f64 v[30:31], v[38:39], v[30:31], -v[48:49]
	v_fmac_f64_e32 v[30:31], v[38:39], v[28:29]
	v_add_f64 v[28:29], v[48:49], v[30:31]
	v_add_f64 v[50:51], v[36:37], -v[28:29]
	v_add_f64 v[36:37], v[36:37], -v[50:51]
	;; [unrolled: 1-line block ×4, first 2 shown]
	v_add_f64 v[28:29], v[32:33], v[28:29]
	v_add_f64 v[30:31], v[48:49], -v[30:31]
	v_add_f64 v[28:29], v[30:31], v[28:29]
	v_add_f64 v[30:31], v[34:35], v[38:39]
	;; [unrolled: 1-line block ×3, first 2 shown]
	v_add_f64 v[32:33], v[30:31], -v[34:35]
	v_mul_f64 v[28:29], v[46:47], v[28:29]
	v_add_f64 v[32:33], v[38:39], -v[32:33]
	v_add_f64 v[28:29], v[32:33], v[28:29]
	v_add_f64 v[32:33], v[30:31], v[28:29]
	v_add_f64 v[30:31], v[32:33], -v[30:31]
	s_mov_b32 s20, 0xbf559e2b
	v_add_f64 v[28:29], v[28:29], -v[30:31]
	v_mul_f64 v[30:31], v[32:33], v[32:33]
	v_mov_b32_e32 v34, 0x6b47b09a
	v_mov_b32_e32 v35, 0x3fc38538
	s_mov_b32 s21, 0x3fc3ab76
	v_fmac_f64_e32 v[34:35], s[20:21], v[30:31]
	v_mov_b32_e32 v36, 0xd7f4df2e
	v_mov_b32_e32 v37, 0x3fc7474d
	v_fmac_f64_e32 v[36:37], v[30:31], v[34:35]
	v_mov_b32_e32 v34, 0x16291751
	v_mov_b32_e32 v35, 0x3fcc71c0
	;; [unrolled: 3-line block ×5, first 2 shown]
	v_fmac_f64_e32 v[36:37], v[30:31], v[34:35]
	v_cvt_f64_i32_e32 v[34:35], v1
	s_mov_b32 s27, 0x3fe62e42
	v_mul_f64 v[38:39], v[34:35], s[26:27]
	v_fma_f64 v[46:47], v[34:35], s[26:27], -v[38:39]
	s_mov_b32 s29, 0x3c7abc9e
	v_fmac_f64_e32 v[46:47], s[28:29], v[34:35]
	v_add_f64 v[34:35], v[38:39], v[46:47]
	v_add_f64 v[38:39], v[34:35], -v[38:39]
	v_mul_f64 v[30:31], v[32:33], v[30:31]
	v_add_f64 v[38:39], v[46:47], -v[38:39]
	v_ldexp_f64 v[46:47], v[32:33], 1
	v_mul_f64 v[30:31], v[30:31], v[36:37]
	v_add_f64 v[32:33], v[46:47], v[30:31]
	v_add_f64 v[36:37], v[32:33], -v[46:47]
	v_ldexp_f64 v[28:29], v[28:29], 1
	v_add_f64 v[30:31], v[30:31], -v[36:37]
	v_add_f64 v[28:29], v[28:29], v[30:31]
	v_add_f64 v[30:31], v[32:33], v[28:29]
	v_add_f64 v[32:33], v[30:31], -v[32:33]
	v_add_f64 v[28:29], v[28:29], -v[32:33]
	v_add_f64 v[32:33], v[34:35], v[30:31]
	v_add_f64 v[36:37], v[32:33], -v[34:35]
	v_add_f64 v[46:47], v[32:33], -v[36:37]
	;; [unrolled: 1-line block ×4, first 2 shown]
	v_add_f64 v[30:31], v[30:31], v[34:35]
	v_add_f64 v[34:35], v[38:39], v[28:29]
	v_add_f64 v[36:37], v[34:35], -v[38:39]
	v_add_f64 v[30:31], v[34:35], v[30:31]
	v_add_f64 v[46:47], v[34:35], -v[36:37]
	;; [unrolled: 2-line block ×3, first 2 shown]
	v_add_f64 v[28:29], v[28:29], -v[36:37]
	v_add_f64 v[32:33], v[34:35], -v[32:33]
	v_add_f64 v[28:29], v[28:29], v[38:39]
	v_add_f64 v[30:31], v[30:31], -v[32:33]
	s_mov_b32 s20, 0
	v_add_f64 v[28:29], v[28:29], v[30:31]
	s_mov_b32 s21, 0x7ff00000
	v_add_f64 v[28:29], v[34:35], v[28:29]
	v_cmp_eq_f64_e64 s[20:21], s[20:21], v[24:25]
	v_cndmask_b32_e64 v1, v28, v24, s[20:21]
	v_cndmask_b32_e64 v28, v29, v25, s[20:21]
	v_mov_b32_e32 v29, 0x7ff80000
	v_cmp_ngt_f64_e64 s[20:21], -1.0, v[24:25]
	v_cndmask_b32_e64 v29, v29, v28, s[20:21]
	v_cmp_nge_f64_e64 s[20:21], -1.0, v[24:25]
	v_cndmask_b32_e64 v28, 0, v1, s[20:21]
	v_mov_b32_e32 v1, 0xfff00000
	v_cmp_neq_f64_e64 s[20:21], -1.0, v[24:25]
	v_cndmask_b32_e64 v29, v1, v29, s[20:21]
	v_add_f64 v[46:47], v[22:23], v[28:29]
.LBB20_22:
	s_or_b64 exec, exec, s[24:25]
	v_max_f64 v[22:23], v[18:19], v[18:19]
	v_max_f64 v[24:25], v[46:47], v[46:47]
	v_min_f64 v[28:29], v[24:25], v[22:23]
	v_cmp_u_f64_e64 s[22:23], v[46:47], v[46:47]
	v_cndmask_b32_e64 v1, v28, v46, s[22:23]
	v_cndmask_b32_e64 v28, v29, v47, s[22:23]
	v_cmp_u_f64_e64 s[20:21], v[18:19], v[18:19]
	v_max_f64 v[24:25], v[24:25], v[22:23]
	v_cndmask_b32_e64 v29, v28, v19, s[20:21]
	v_cndmask_b32_e64 v28, v1, v18, s[20:21]
	;; [unrolled: 1-line block ×6, first 2 shown]
	v_cmp_neq_f64_e64 s[22:23], v[28:29], v[24:25]
	v_cmp_class_f64_e64 s[24:25], v[28:29], s30
	s_or_b64 s[22:23], s[22:23], s[24:25]
	s_and_saveexec_b64 s[26:27], s[22:23]
	s_cbranch_execz .LBB20_24
; %bb.23:
	s_mov_b32 s22, 0x652b82fe
	v_add_f64 v[28:29], v[28:29], -v[24:25]
	s_mov_b32 s23, 0x3ff71547
	v_mul_f64 v[30:31], v[28:29], s[22:23]
	v_rndne_f64_e32 v[30:31], v[30:31]
	s_mov_b32 s29, 0xbfe62e42
	s_mov_b32 s28, 0xfefa39ef
	v_fma_f64 v[32:33], s[28:29], v[30:31], v[28:29]
	s_mov_b32 s31, 0xbc7abc9e
	s_mov_b32 s30, 0x3b39803f
	;; [unrolled: 1-line block ×3, first 2 shown]
	v_fmac_f64_e32 v[32:33], s[30:31], v[30:31]
	v_mov_b32_e32 v34, 0xfca7ab0c
	v_mov_b32_e32 v35, 0x3e928af3
	s_mov_b32 s23, 0x3e5ade15
	v_fmac_f64_e32 v[34:35], s[22:23], v[32:33]
	v_mov_b32_e32 v36, 0x623fde64
	v_mov_b32_e32 v37, 0x3ec71dee
	v_fmac_f64_e32 v[36:37], v[32:33], v[34:35]
	v_mov_b32_e32 v34, 0x7c89e6b0
	v_mov_b32_e32 v35, 0x3efa0199
	;; [unrolled: 3-line block ×8, first 2 shown]
	v_fmac_f64_e32 v[34:35], v[32:33], v[36:37]
	v_fma_f64 v[34:35], v[32:33], v[34:35], 1.0
	s_mov_b32 s22, 0
	s_mov_b32 s24, 0
	v_fma_f64 v[32:33], v[32:33], v[34:35], 1.0
	v_cvt_i32_f64_e32 v1, v[30:31]
	s_mov_b32 s23, 0x40900000
	s_mov_b32 s25, 0xc090cc00
	v_ldexp_f64 v[30:31], v[32:33], v1
	v_mov_b32_e32 v1, 0x7ff00000
	v_cmp_nlt_f64_e64 s[22:23], s[22:23], v[28:29]
	v_cmp_ngt_f64_e64 s[24:25], s[24:25], v[28:29]
	v_cndmask_b32_e64 v1, v1, v31, s[22:23]
	s_and_b64 s[22:23], s[24:25], s[22:23]
	v_cndmask_b32_e64 v29, 0, v1, s[24:25]
	v_cndmask_b32_e64 v28, 0, v30, s[22:23]
	v_add_f64 v[30:31], v[28:29], 1.0
	v_add_f64 v[32:33], v[30:31], -1.0
	v_add_f64 v[34:35], v[32:33], -v[30:31]
	v_add_f64 v[34:35], v[34:35], 1.0
	v_add_f64 v[32:33], v[28:29], -v[32:33]
	s_mov_b32 s22, 0x55555555
	v_add_f64 v[32:33], v[32:33], v[34:35]
	v_frexp_mant_f64_e32 v[34:35], v[30:31]
	s_mov_b32 s23, 0x3fe55555
	v_frexp_exp_i32_f64_e32 v1, v[30:31]
	v_cmp_gt_f64_e64 s[22:23], s[22:23], v[34:35]
	v_subbrev_co_u32_e64 v1, s[22:23], 0, v1, s[22:23]
	v_sub_u32_e32 v34, 0, v1
	v_ldexp_f64 v[30:31], v[30:31], v34
	v_ldexp_f64 v[32:33], v[32:33], v34
	v_add_f64 v[34:35], v[30:31], -1.0
	v_add_f64 v[46:47], v[30:31], 1.0
	v_add_f64 v[36:37], v[34:35], 1.0
	v_add_f64 v[48:49], v[46:47], -1.0
	v_add_f64 v[36:37], v[30:31], -v[36:37]
	v_add_f64 v[30:31], v[30:31], -v[48:49]
	v_add_f64 v[30:31], v[32:33], v[30:31]
	v_add_f64 v[36:37], v[32:33], v[36:37]
	;; [unrolled: 1-line block ×3, first 2 shown]
	v_rcp_f64_e32 v[48:49], v[32:33]
	v_add_f64 v[38:39], v[34:35], v[36:37]
	v_add_f64 v[34:35], v[38:39], -v[34:35]
	v_add_f64 v[34:35], v[36:37], -v[34:35]
	;; [unrolled: 1-line block ×4, first 2 shown]
	v_fma_f64 v[36:37], -v[32:33], v[48:49], 1.0
	v_fmac_f64_e32 v[48:49], v[36:37], v[48:49]
	v_fma_f64 v[36:37], -v[32:33], v[48:49], 1.0
	v_fmac_f64_e32 v[48:49], v[36:37], v[48:49]
	v_mul_f64 v[36:37], v[38:39], v[48:49]
	v_mul_f64 v[46:47], v[32:33], v[36:37]
	v_fma_f64 v[50:51], v[36:37], v[32:33], -v[46:47]
	v_fmac_f64_e32 v[50:51], v[36:37], v[30:31]
	v_add_f64 v[52:53], v[46:47], v[50:51]
	v_add_f64 v[56:57], v[38:39], -v[52:53]
	v_add_f64 v[38:39], v[38:39], -v[56:57]
	;; [unrolled: 1-line block ×4, first 2 shown]
	v_add_f64 v[34:35], v[34:35], v[38:39]
	v_add_f64 v[38:39], v[46:47], -v[50:51]
	v_add_f64 v[34:35], v[38:39], v[34:35]
	v_add_f64 v[38:39], v[56:57], v[34:35]
	v_add_f64 v[46:47], v[56:57], -v[38:39]
	v_add_f64 v[34:35], v[34:35], v[46:47]
	v_mul_f64 v[46:47], v[48:49], v[38:39]
	v_mul_f64 v[50:51], v[32:33], v[46:47]
	v_fma_f64 v[32:33], v[46:47], v[32:33], -v[50:51]
	v_fmac_f64_e32 v[32:33], v[46:47], v[30:31]
	v_add_f64 v[30:31], v[50:51], v[32:33]
	v_add_f64 v[52:53], v[38:39], -v[30:31]
	v_add_f64 v[38:39], v[38:39], -v[52:53]
	;; [unrolled: 1-line block ×4, first 2 shown]
	v_add_f64 v[30:31], v[34:35], v[30:31]
	v_add_f64 v[32:33], v[50:51], -v[32:33]
	v_add_f64 v[30:31], v[32:33], v[30:31]
	v_add_f64 v[32:33], v[36:37], v[46:47]
	;; [unrolled: 1-line block ×3, first 2 shown]
	v_add_f64 v[34:35], v[32:33], -v[36:37]
	v_mul_f64 v[30:31], v[48:49], v[30:31]
	v_add_f64 v[34:35], v[46:47], -v[34:35]
	v_add_f64 v[30:31], v[34:35], v[30:31]
	v_add_f64 v[34:35], v[32:33], v[30:31]
	v_add_f64 v[32:33], v[34:35], -v[32:33]
	s_mov_b32 s22, 0xbf559e2b
	v_add_f64 v[30:31], v[30:31], -v[32:33]
	v_mul_f64 v[32:33], v[34:35], v[34:35]
	v_mov_b32_e32 v36, 0x6b47b09a
	v_mov_b32_e32 v37, 0x3fc38538
	s_mov_b32 s23, 0x3fc3ab76
	v_fmac_f64_e32 v[36:37], s[22:23], v[32:33]
	v_mov_b32_e32 v38, 0xd7f4df2e
	v_mov_b32_e32 v39, 0x3fc7474d
	v_fmac_f64_e32 v[38:39], v[32:33], v[36:37]
	v_mov_b32_e32 v36, 0x16291751
	v_mov_b32_e32 v37, 0x3fcc71c0
	;; [unrolled: 3-line block ×5, first 2 shown]
	v_fmac_f64_e32 v[38:39], v[32:33], v[36:37]
	v_cvt_f64_i32_e32 v[36:37], v1
	s_mov_b32 s29, 0x3fe62e42
	v_mul_f64 v[46:47], v[36:37], s[28:29]
	v_fma_f64 v[48:49], v[36:37], s[28:29], -v[46:47]
	s_mov_b32 s31, 0x3c7abc9e
	v_fmac_f64_e32 v[48:49], s[30:31], v[36:37]
	v_add_f64 v[36:37], v[46:47], v[48:49]
	v_add_f64 v[46:47], v[36:37], -v[46:47]
	v_mul_f64 v[32:33], v[34:35], v[32:33]
	v_add_f64 v[46:47], v[48:49], -v[46:47]
	v_ldexp_f64 v[48:49], v[34:35], 1
	v_mul_f64 v[32:33], v[32:33], v[38:39]
	v_add_f64 v[34:35], v[48:49], v[32:33]
	v_add_f64 v[38:39], v[34:35], -v[48:49]
	v_ldexp_f64 v[30:31], v[30:31], 1
	v_add_f64 v[32:33], v[32:33], -v[38:39]
	v_add_f64 v[30:31], v[30:31], v[32:33]
	v_add_f64 v[32:33], v[34:35], v[30:31]
	v_add_f64 v[34:35], v[32:33], -v[34:35]
	v_add_f64 v[30:31], v[30:31], -v[34:35]
	v_add_f64 v[34:35], v[36:37], v[32:33]
	v_add_f64 v[38:39], v[34:35], -v[36:37]
	v_add_f64 v[48:49], v[34:35], -v[38:39]
	;; [unrolled: 1-line block ×4, first 2 shown]
	v_add_f64 v[32:33], v[32:33], v[36:37]
	v_add_f64 v[36:37], v[46:47], v[30:31]
	v_add_f64 v[38:39], v[36:37], -v[46:47]
	v_add_f64 v[32:33], v[36:37], v[32:33]
	v_add_f64 v[48:49], v[36:37], -v[38:39]
	;; [unrolled: 2-line block ×3, first 2 shown]
	v_add_f64 v[30:31], v[30:31], -v[38:39]
	v_add_f64 v[34:35], v[36:37], -v[34:35]
	v_add_f64 v[30:31], v[30:31], v[46:47]
	v_add_f64 v[32:33], v[32:33], -v[34:35]
	s_mov_b32 s22, 0
	v_add_f64 v[30:31], v[30:31], v[32:33]
	s_mov_b32 s23, 0x7ff00000
	v_add_f64 v[30:31], v[36:37], v[30:31]
	v_cmp_eq_f64_e64 s[22:23], s[22:23], v[28:29]
	v_cndmask_b32_e64 v1, v30, v28, s[22:23]
	v_cndmask_b32_e64 v30, v31, v29, s[22:23]
	v_mov_b32_e32 v31, 0x7ff80000
	v_cmp_ngt_f64_e64 s[22:23], -1.0, v[28:29]
	v_cndmask_b32_e64 v31, v31, v30, s[22:23]
	v_cmp_nge_f64_e64 s[22:23], -1.0, v[28:29]
	v_cndmask_b32_e64 v30, 0, v1, s[22:23]
	v_mov_b32_e32 v1, 0xfff00000
	v_cmp_neq_f64_e64 s[22:23], -1.0, v[28:29]
	v_cndmask_b32_e64 v31, v1, v31, s[22:23]
	v_add_f64 v[46:47], v[24:25], v[30:31]
.LBB20_24:
	s_or_b64 exec, exec, s[26:27]
	v_max_f64 v[24:25], v[20:21], v[20:21]
	v_max_f64 v[28:29], v[46:47], v[46:47]
	v_min_f64 v[30:31], v[28:29], v[24:25]
	v_cmp_u_f64_e64 s[24:25], v[46:47], v[46:47]
	v_cndmask_b32_e64 v1, v30, v46, s[24:25]
	v_cndmask_b32_e64 v30, v31, v47, s[24:25]
	v_cmp_u_f64_e64 s[22:23], v[20:21], v[20:21]
	v_max_f64 v[28:29], v[28:29], v[24:25]
	v_cndmask_b32_e64 v31, v30, v21, s[22:23]
	v_cndmask_b32_e64 v30, v1, v20, s[22:23]
	;; [unrolled: 1-line block ×6, first 2 shown]
	s_movk_i32 s33, 0x1f8
	v_cmp_neq_f64_e64 s[24:25], v[30:31], v[28:29]
	v_cmp_class_f64_e64 s[26:27], v[30:31], s33
	s_or_b64 s[24:25], s[24:25], s[26:27]
	s_and_saveexec_b64 s[28:29], s[24:25]
	s_cbranch_execz .LBB20_26
; %bb.25:
	s_mov_b32 s24, 0x652b82fe
	v_add_f64 v[30:31], v[30:31], -v[28:29]
	s_mov_b32 s25, 0x3ff71547
	v_mul_f64 v[32:33], v[30:31], s[24:25]
	v_rndne_f64_e32 v[32:33], v[32:33]
	s_mov_b32 s31, 0xbfe62e42
	s_mov_b32 s30, 0xfefa39ef
	v_fma_f64 v[34:35], s[30:31], v[32:33], v[30:31]
	s_mov_b32 s35, 0xbc7abc9e
	s_mov_b32 s34, 0x3b39803f
	;; [unrolled: 1-line block ×3, first 2 shown]
	v_fmac_f64_e32 v[34:35], s[34:35], v[32:33]
	v_mov_b32_e32 v36, 0xfca7ab0c
	v_mov_b32_e32 v37, 0x3e928af3
	s_mov_b32 s25, 0x3e5ade15
	v_fmac_f64_e32 v[36:37], s[24:25], v[34:35]
	v_mov_b32_e32 v38, 0x623fde64
	v_mov_b32_e32 v39, 0x3ec71dee
	v_fmac_f64_e32 v[38:39], v[34:35], v[36:37]
	v_mov_b32_e32 v36, 0x7c89e6b0
	v_mov_b32_e32 v37, 0x3efa0199
	;; [unrolled: 3-line block ×8, first 2 shown]
	v_fmac_f64_e32 v[36:37], v[34:35], v[38:39]
	v_fma_f64 v[36:37], v[34:35], v[36:37], 1.0
	s_mov_b32 s24, 0
	s_mov_b32 s26, 0
	v_fma_f64 v[34:35], v[34:35], v[36:37], 1.0
	v_cvt_i32_f64_e32 v1, v[32:33]
	s_mov_b32 s25, 0x40900000
	s_mov_b32 s27, 0xc090cc00
	v_ldexp_f64 v[32:33], v[34:35], v1
	v_mov_b32_e32 v1, 0x7ff00000
	v_cmp_nlt_f64_e64 s[24:25], s[24:25], v[30:31]
	v_cmp_ngt_f64_e64 s[26:27], s[26:27], v[30:31]
	v_cndmask_b32_e64 v1, v1, v33, s[24:25]
	s_and_b64 s[24:25], s[26:27], s[24:25]
	v_cndmask_b32_e64 v31, 0, v1, s[26:27]
	v_cndmask_b32_e64 v30, 0, v32, s[24:25]
	v_add_f64 v[32:33], v[30:31], 1.0
	v_add_f64 v[34:35], v[32:33], -1.0
	v_add_f64 v[36:37], v[34:35], -v[32:33]
	v_add_f64 v[36:37], v[36:37], 1.0
	v_add_f64 v[34:35], v[30:31], -v[34:35]
	s_mov_b32 s24, 0x55555555
	v_add_f64 v[34:35], v[34:35], v[36:37]
	v_frexp_mant_f64_e32 v[36:37], v[32:33]
	s_mov_b32 s25, 0x3fe55555
	v_frexp_exp_i32_f64_e32 v1, v[32:33]
	v_cmp_gt_f64_e64 s[24:25], s[24:25], v[36:37]
	v_subbrev_co_u32_e64 v1, s[24:25], 0, v1, s[24:25]
	v_sub_u32_e32 v36, 0, v1
	v_ldexp_f64 v[32:33], v[32:33], v36
	v_ldexp_f64 v[34:35], v[34:35], v36
	v_add_f64 v[36:37], v[32:33], -1.0
	v_add_f64 v[48:49], v[32:33], 1.0
	v_add_f64 v[38:39], v[36:37], 1.0
	v_add_f64 v[50:51], v[48:49], -1.0
	v_add_f64 v[38:39], v[32:33], -v[38:39]
	v_add_f64 v[32:33], v[32:33], -v[50:51]
	v_add_f64 v[32:33], v[34:35], v[32:33]
	v_add_f64 v[38:39], v[34:35], v[38:39]
	;; [unrolled: 1-line block ×3, first 2 shown]
	v_rcp_f64_e32 v[50:51], v[34:35]
	v_add_f64 v[46:47], v[36:37], v[38:39]
	v_add_f64 v[36:37], v[46:47], -v[36:37]
	v_add_f64 v[36:37], v[38:39], -v[36:37]
	;; [unrolled: 1-line block ×4, first 2 shown]
	v_fma_f64 v[38:39], -v[34:35], v[50:51], 1.0
	v_fmac_f64_e32 v[50:51], v[38:39], v[50:51]
	v_fma_f64 v[38:39], -v[34:35], v[50:51], 1.0
	v_fmac_f64_e32 v[50:51], v[38:39], v[50:51]
	v_mul_f64 v[38:39], v[46:47], v[50:51]
	v_mul_f64 v[48:49], v[34:35], v[38:39]
	v_fma_f64 v[52:53], v[38:39], v[34:35], -v[48:49]
	v_fmac_f64_e32 v[52:53], v[38:39], v[32:33]
	v_add_f64 v[56:57], v[48:49], v[52:53]
	v_add_f64 v[58:59], v[46:47], -v[56:57]
	v_add_f64 v[46:47], v[46:47], -v[58:59]
	;; [unrolled: 1-line block ×4, first 2 shown]
	v_add_f64 v[36:37], v[36:37], v[46:47]
	v_add_f64 v[46:47], v[48:49], -v[52:53]
	v_add_f64 v[36:37], v[46:47], v[36:37]
	v_add_f64 v[46:47], v[58:59], v[36:37]
	v_add_f64 v[48:49], v[58:59], -v[46:47]
	v_add_f64 v[36:37], v[36:37], v[48:49]
	v_mul_f64 v[48:49], v[50:51], v[46:47]
	v_mul_f64 v[52:53], v[34:35], v[48:49]
	v_fma_f64 v[34:35], v[48:49], v[34:35], -v[52:53]
	v_fmac_f64_e32 v[34:35], v[48:49], v[32:33]
	v_add_f64 v[32:33], v[52:53], v[34:35]
	v_add_f64 v[56:57], v[46:47], -v[32:33]
	v_add_f64 v[46:47], v[46:47], -v[56:57]
	;; [unrolled: 1-line block ×4, first 2 shown]
	v_add_f64 v[32:33], v[36:37], v[32:33]
	v_add_f64 v[34:35], v[52:53], -v[34:35]
	v_add_f64 v[32:33], v[34:35], v[32:33]
	v_add_f64 v[34:35], v[38:39], v[48:49]
	;; [unrolled: 1-line block ×3, first 2 shown]
	v_add_f64 v[36:37], v[34:35], -v[38:39]
	v_mul_f64 v[32:33], v[50:51], v[32:33]
	v_add_f64 v[36:37], v[48:49], -v[36:37]
	v_add_f64 v[32:33], v[36:37], v[32:33]
	v_add_f64 v[36:37], v[34:35], v[32:33]
	v_add_f64 v[34:35], v[36:37], -v[34:35]
	s_mov_b32 s24, 0xbf559e2b
	v_add_f64 v[32:33], v[32:33], -v[34:35]
	v_mul_f64 v[34:35], v[36:37], v[36:37]
	v_mov_b32_e32 v38, 0x6b47b09a
	v_mov_b32_e32 v39, 0x3fc38538
	s_mov_b32 s25, 0x3fc3ab76
	v_fmac_f64_e32 v[38:39], s[24:25], v[34:35]
	v_mov_b32_e32 v46, 0xd7f4df2e
	v_mov_b32_e32 v47, 0x3fc7474d
	v_fmac_f64_e32 v[46:47], v[34:35], v[38:39]
	v_mov_b32_e32 v38, 0x16291751
	v_mov_b32_e32 v39, 0x3fcc71c0
	v_fmac_f64_e32 v[38:39], v[34:35], v[46:47]
	v_mov_b32_e32 v46, 0x9b27acf1
	v_mov_b32_e32 v47, 0x3fd24924
	v_fmac_f64_e32 v[46:47], v[34:35], v[38:39]
	v_mov_b32_e32 v38, 0x998ef7b6
	v_mov_b32_e32 v39, 0x3fd99999
	v_fmac_f64_e32 v[38:39], v[34:35], v[46:47]
	v_mov_b32_e32 v46, 0x55555780
	v_mov_b32_e32 v47, 0x3fe55555
	v_fmac_f64_e32 v[46:47], v[34:35], v[38:39]
	v_cvt_f64_i32_e32 v[38:39], v1
	s_mov_b32 s31, 0x3fe62e42
	v_mul_f64 v[48:49], v[38:39], s[30:31]
	v_fma_f64 v[50:51], v[38:39], s[30:31], -v[48:49]
	s_mov_b32 s35, 0x3c7abc9e
	v_fmac_f64_e32 v[50:51], s[34:35], v[38:39]
	v_add_f64 v[38:39], v[48:49], v[50:51]
	v_add_f64 v[48:49], v[38:39], -v[48:49]
	v_mul_f64 v[34:35], v[36:37], v[34:35]
	v_add_f64 v[48:49], v[50:51], -v[48:49]
	v_ldexp_f64 v[50:51], v[36:37], 1
	v_mul_f64 v[34:35], v[34:35], v[46:47]
	v_add_f64 v[36:37], v[50:51], v[34:35]
	v_add_f64 v[46:47], v[36:37], -v[50:51]
	v_ldexp_f64 v[32:33], v[32:33], 1
	v_add_f64 v[34:35], v[34:35], -v[46:47]
	v_add_f64 v[32:33], v[32:33], v[34:35]
	v_add_f64 v[34:35], v[36:37], v[32:33]
	v_add_f64 v[36:37], v[34:35], -v[36:37]
	v_add_f64 v[32:33], v[32:33], -v[36:37]
	v_add_f64 v[36:37], v[38:39], v[34:35]
	v_add_f64 v[46:47], v[36:37], -v[38:39]
	v_add_f64 v[50:51], v[36:37], -v[46:47]
	;; [unrolled: 1-line block ×4, first 2 shown]
	v_add_f64 v[34:35], v[34:35], v[38:39]
	v_add_f64 v[38:39], v[48:49], v[32:33]
	v_add_f64 v[46:47], v[38:39], -v[48:49]
	v_add_f64 v[34:35], v[38:39], v[34:35]
	v_add_f64 v[50:51], v[38:39], -v[46:47]
	;; [unrolled: 2-line block ×3, first 2 shown]
	v_add_f64 v[32:33], v[32:33], -v[46:47]
	v_add_f64 v[36:37], v[38:39], -v[36:37]
	v_add_f64 v[32:33], v[32:33], v[48:49]
	v_add_f64 v[34:35], v[34:35], -v[36:37]
	s_mov_b32 s24, 0
	v_add_f64 v[32:33], v[32:33], v[34:35]
	s_mov_b32 s25, 0x7ff00000
	v_add_f64 v[32:33], v[38:39], v[32:33]
	v_cmp_eq_f64_e64 s[24:25], s[24:25], v[30:31]
	v_cndmask_b32_e64 v1, v32, v30, s[24:25]
	v_cndmask_b32_e64 v32, v33, v31, s[24:25]
	v_mov_b32_e32 v33, 0x7ff80000
	v_cmp_ngt_f64_e64 s[24:25], -1.0, v[30:31]
	v_cndmask_b32_e64 v33, v33, v32, s[24:25]
	v_cmp_nge_f64_e64 s[24:25], -1.0, v[30:31]
	v_cndmask_b32_e64 v32, 0, v1, s[24:25]
	v_mov_b32_e32 v1, 0xfff00000
	v_cmp_neq_f64_e64 s[24:25], -1.0, v[30:31]
	v_cndmask_b32_e64 v33, v1, v33, s[24:25]
	v_add_f64 v[46:47], v[28:29], v[32:33]
.LBB20_26:
	s_or_b64 exec, exec, s[28:29]
	v_max_f64 v[28:29], v[14:15], v[14:15]
	v_max_f64 v[30:31], v[46:47], v[46:47]
	v_min_f64 v[32:33], v[30:31], v[28:29]
	v_cmp_u_f64_e64 s[26:27], v[46:47], v[46:47]
	v_cndmask_b32_e64 v1, v32, v46, s[26:27]
	v_cndmask_b32_e64 v32, v33, v47, s[26:27]
	v_cmp_u_f64_e64 s[24:25], v[14:15], v[14:15]
	v_max_f64 v[30:31], v[30:31], v[28:29]
	v_cndmask_b32_e64 v33, v32, v15, s[24:25]
	v_cndmask_b32_e64 v32, v1, v14, s[24:25]
	;; [unrolled: 1-line block ×6, first 2 shown]
	v_cmp_neq_f64_e64 s[26:27], v[32:33], v[30:31]
	v_cmp_class_f64_e64 s[28:29], v[32:33], s33
	s_or_b64 s[26:27], s[26:27], s[28:29]
	s_and_saveexec_b64 s[30:31], s[26:27]
	s_cbranch_execz .LBB20_28
; %bb.27:
	s_mov_b32 s26, 0x652b82fe
	v_add_f64 v[32:33], v[32:33], -v[30:31]
	s_mov_b32 s27, 0x3ff71547
	v_mul_f64 v[34:35], v[32:33], s[26:27]
	v_rndne_f64_e32 v[34:35], v[34:35]
	s_mov_b32 s35, 0xbfe62e42
	s_mov_b32 s34, 0xfefa39ef
	v_fma_f64 v[36:37], s[34:35], v[34:35], v[32:33]
	s_mov_b32 s37, 0xbc7abc9e
	s_mov_b32 s36, 0x3b39803f
	;; [unrolled: 1-line block ×3, first 2 shown]
	v_fmac_f64_e32 v[36:37], s[36:37], v[34:35]
	v_mov_b32_e32 v38, 0xfca7ab0c
	v_mov_b32_e32 v39, 0x3e928af3
	s_mov_b32 s27, 0x3e5ade15
	v_fmac_f64_e32 v[38:39], s[26:27], v[36:37]
	v_mov_b32_e32 v46, 0x623fde64
	v_mov_b32_e32 v47, 0x3ec71dee
	v_fmac_f64_e32 v[46:47], v[36:37], v[38:39]
	v_mov_b32_e32 v38, 0x7c89e6b0
	v_mov_b32_e32 v39, 0x3efa0199
	;; [unrolled: 3-line block ×8, first 2 shown]
	v_fmac_f64_e32 v[38:39], v[36:37], v[46:47]
	v_fma_f64 v[38:39], v[36:37], v[38:39], 1.0
	s_mov_b32 s26, 0
	s_mov_b32 s28, 0
	v_fma_f64 v[36:37], v[36:37], v[38:39], 1.0
	v_cvt_i32_f64_e32 v1, v[34:35]
	s_mov_b32 s27, 0x40900000
	s_mov_b32 s29, 0xc090cc00
	v_ldexp_f64 v[34:35], v[36:37], v1
	v_mov_b32_e32 v1, 0x7ff00000
	v_cmp_nlt_f64_e64 s[26:27], s[26:27], v[32:33]
	v_cmp_ngt_f64_e64 s[28:29], s[28:29], v[32:33]
	v_cndmask_b32_e64 v1, v1, v35, s[26:27]
	s_and_b64 s[26:27], s[28:29], s[26:27]
	v_cndmask_b32_e64 v33, 0, v1, s[28:29]
	v_cndmask_b32_e64 v32, 0, v34, s[26:27]
	v_add_f64 v[34:35], v[32:33], 1.0
	v_add_f64 v[36:37], v[34:35], -1.0
	v_add_f64 v[38:39], v[36:37], -v[34:35]
	v_add_f64 v[38:39], v[38:39], 1.0
	v_add_f64 v[36:37], v[32:33], -v[36:37]
	s_mov_b32 s26, 0x55555555
	v_add_f64 v[36:37], v[36:37], v[38:39]
	v_frexp_mant_f64_e32 v[38:39], v[34:35]
	s_mov_b32 s27, 0x3fe55555
	v_frexp_exp_i32_f64_e32 v1, v[34:35]
	v_cmp_gt_f64_e64 s[26:27], s[26:27], v[38:39]
	v_subbrev_co_u32_e64 v1, s[26:27], 0, v1, s[26:27]
	v_sub_u32_e32 v38, 0, v1
	v_ldexp_f64 v[34:35], v[34:35], v38
	v_ldexp_f64 v[36:37], v[36:37], v38
	v_add_f64 v[38:39], v[34:35], -1.0
	v_add_f64 v[50:51], v[34:35], 1.0
	v_add_f64 v[46:47], v[38:39], 1.0
	v_add_f64 v[52:53], v[50:51], -1.0
	v_add_f64 v[46:47], v[34:35], -v[46:47]
	v_add_f64 v[34:35], v[34:35], -v[52:53]
	v_add_f64 v[34:35], v[36:37], v[34:35]
	v_add_f64 v[46:47], v[36:37], v[46:47]
	;; [unrolled: 1-line block ×3, first 2 shown]
	v_rcp_f64_e32 v[52:53], v[36:37]
	v_add_f64 v[48:49], v[38:39], v[46:47]
	v_add_f64 v[38:39], v[48:49], -v[38:39]
	v_add_f64 v[38:39], v[46:47], -v[38:39]
	;; [unrolled: 1-line block ×4, first 2 shown]
	v_fma_f64 v[46:47], -v[36:37], v[52:53], 1.0
	v_fmac_f64_e32 v[52:53], v[46:47], v[52:53]
	v_fma_f64 v[46:47], -v[36:37], v[52:53], 1.0
	v_fmac_f64_e32 v[52:53], v[46:47], v[52:53]
	v_mul_f64 v[46:47], v[48:49], v[52:53]
	v_mul_f64 v[50:51], v[36:37], v[46:47]
	v_fma_f64 v[56:57], v[46:47], v[36:37], -v[50:51]
	v_fmac_f64_e32 v[56:57], v[46:47], v[34:35]
	v_add_f64 v[58:59], v[50:51], v[56:57]
	v_add_f64 v[60:61], v[48:49], -v[58:59]
	v_add_f64 v[48:49], v[48:49], -v[60:61]
	;; [unrolled: 1-line block ×4, first 2 shown]
	v_add_f64 v[38:39], v[38:39], v[48:49]
	v_add_f64 v[48:49], v[50:51], -v[56:57]
	v_add_f64 v[38:39], v[48:49], v[38:39]
	v_add_f64 v[48:49], v[60:61], v[38:39]
	v_add_f64 v[50:51], v[60:61], -v[48:49]
	v_add_f64 v[38:39], v[38:39], v[50:51]
	v_mul_f64 v[50:51], v[52:53], v[48:49]
	v_mul_f64 v[56:57], v[36:37], v[50:51]
	v_fma_f64 v[36:37], v[50:51], v[36:37], -v[56:57]
	v_fmac_f64_e32 v[36:37], v[50:51], v[34:35]
	v_add_f64 v[34:35], v[56:57], v[36:37]
	v_add_f64 v[58:59], v[48:49], -v[34:35]
	v_add_f64 v[48:49], v[48:49], -v[58:59]
	;; [unrolled: 1-line block ×4, first 2 shown]
	v_add_f64 v[34:35], v[38:39], v[34:35]
	v_add_f64 v[36:37], v[56:57], -v[36:37]
	v_add_f64 v[34:35], v[36:37], v[34:35]
	v_add_f64 v[36:37], v[46:47], v[50:51]
	v_add_f64 v[34:35], v[58:59], v[34:35]
	v_add_f64 v[38:39], v[36:37], -v[46:47]
	v_mul_f64 v[34:35], v[52:53], v[34:35]
	v_add_f64 v[38:39], v[50:51], -v[38:39]
	v_add_f64 v[34:35], v[38:39], v[34:35]
	v_add_f64 v[38:39], v[36:37], v[34:35]
	v_add_f64 v[36:37], v[38:39], -v[36:37]
	s_mov_b32 s26, 0xbf559e2b
	v_add_f64 v[34:35], v[34:35], -v[36:37]
	v_mul_f64 v[36:37], v[38:39], v[38:39]
	v_mov_b32_e32 v46, 0x6b47b09a
	v_mov_b32_e32 v47, 0x3fc38538
	s_mov_b32 s27, 0x3fc3ab76
	v_fmac_f64_e32 v[46:47], s[26:27], v[36:37]
	v_mov_b32_e32 v48, 0xd7f4df2e
	v_mov_b32_e32 v49, 0x3fc7474d
	v_fmac_f64_e32 v[48:49], v[36:37], v[46:47]
	v_mov_b32_e32 v46, 0x16291751
	v_mov_b32_e32 v47, 0x3fcc71c0
	;; [unrolled: 3-line block ×5, first 2 shown]
	v_fmac_f64_e32 v[48:49], v[36:37], v[46:47]
	v_cvt_f64_i32_e32 v[46:47], v1
	s_mov_b32 s35, 0x3fe62e42
	v_mul_f64 v[50:51], v[46:47], s[34:35]
	v_fma_f64 v[52:53], v[46:47], s[34:35], -v[50:51]
	s_mov_b32 s37, 0x3c7abc9e
	v_fmac_f64_e32 v[52:53], s[36:37], v[46:47]
	v_add_f64 v[46:47], v[50:51], v[52:53]
	v_add_f64 v[50:51], v[46:47], -v[50:51]
	v_mul_f64 v[36:37], v[38:39], v[36:37]
	v_add_f64 v[50:51], v[52:53], -v[50:51]
	v_ldexp_f64 v[52:53], v[38:39], 1
	v_mul_f64 v[36:37], v[36:37], v[48:49]
	v_add_f64 v[38:39], v[52:53], v[36:37]
	v_add_f64 v[48:49], v[38:39], -v[52:53]
	v_ldexp_f64 v[34:35], v[34:35], 1
	v_add_f64 v[36:37], v[36:37], -v[48:49]
	v_add_f64 v[34:35], v[34:35], v[36:37]
	v_add_f64 v[36:37], v[38:39], v[34:35]
	v_add_f64 v[38:39], v[36:37], -v[38:39]
	v_add_f64 v[34:35], v[34:35], -v[38:39]
	v_add_f64 v[38:39], v[46:47], v[36:37]
	v_add_f64 v[48:49], v[38:39], -v[46:47]
	v_add_f64 v[52:53], v[38:39], -v[48:49]
	;; [unrolled: 1-line block ×4, first 2 shown]
	v_add_f64 v[36:37], v[36:37], v[46:47]
	v_add_f64 v[46:47], v[50:51], v[34:35]
	v_add_f64 v[48:49], v[46:47], -v[50:51]
	v_add_f64 v[36:37], v[46:47], v[36:37]
	v_add_f64 v[52:53], v[46:47], -v[48:49]
	;; [unrolled: 2-line block ×3, first 2 shown]
	v_add_f64 v[34:35], v[34:35], -v[48:49]
	v_add_f64 v[38:39], v[46:47], -v[38:39]
	v_add_f64 v[34:35], v[34:35], v[50:51]
	v_add_f64 v[36:37], v[36:37], -v[38:39]
	s_mov_b32 s26, 0
	v_add_f64 v[34:35], v[34:35], v[36:37]
	s_mov_b32 s27, 0x7ff00000
	v_add_f64 v[34:35], v[46:47], v[34:35]
	v_cmp_eq_f64_e64 s[26:27], s[26:27], v[32:33]
	v_cndmask_b32_e64 v1, v34, v32, s[26:27]
	v_cndmask_b32_e64 v34, v35, v33, s[26:27]
	v_mov_b32_e32 v35, 0x7ff80000
	v_cmp_ngt_f64_e64 s[26:27], -1.0, v[32:33]
	v_cndmask_b32_e64 v35, v35, v34, s[26:27]
	v_cmp_nge_f64_e64 s[26:27], -1.0, v[32:33]
	v_cndmask_b32_e64 v34, 0, v1, s[26:27]
	v_mov_b32_e32 v1, 0xfff00000
	v_cmp_neq_f64_e64 s[26:27], -1.0, v[32:33]
	v_cndmask_b32_e64 v35, v1, v35, s[26:27]
	v_add_f64 v[46:47], v[30:31], v[34:35]
.LBB20_28:
	s_or_b64 exec, exec, s[30:31]
	v_max_f64 v[30:31], v[16:17], v[16:17]
	v_max_f64 v[32:33], v[46:47], v[46:47]
	v_min_f64 v[34:35], v[32:33], v[30:31]
	v_cmp_u_f64_e64 s[28:29], v[46:47], v[46:47]
	v_cndmask_b32_e64 v1, v34, v46, s[28:29]
	v_cndmask_b32_e64 v34, v35, v47, s[28:29]
	v_cmp_u_f64_e64 s[26:27], v[16:17], v[16:17]
	v_max_f64 v[32:33], v[32:33], v[30:31]
	v_cndmask_b32_e64 v35, v34, v17, s[26:27]
	v_cndmask_b32_e64 v34, v1, v16, s[26:27]
	;; [unrolled: 1-line block ×6, first 2 shown]
	v_cmp_neq_f64_e64 s[28:29], v[34:35], v[32:33]
	v_cmp_class_f64_e64 s[30:31], v[34:35], s33
	s_or_b64 s[28:29], s[28:29], s[30:31]
	s_and_saveexec_b64 s[34:35], s[28:29]
	s_cbranch_execz .LBB20_30
; %bb.29:
	s_mov_b32 s28, 0x652b82fe
	v_add_f64 v[34:35], v[34:35], -v[32:33]
	s_mov_b32 s29, 0x3ff71547
	v_mul_f64 v[36:37], v[34:35], s[28:29]
	v_rndne_f64_e32 v[36:37], v[36:37]
	s_mov_b32 s37, 0xbfe62e42
	s_mov_b32 s36, 0xfefa39ef
	v_fma_f64 v[38:39], s[36:37], v[36:37], v[34:35]
	s_mov_b32 s43, 0xbc7abc9e
	s_mov_b32 s42, 0x3b39803f
	;; [unrolled: 1-line block ×3, first 2 shown]
	v_fmac_f64_e32 v[38:39], s[42:43], v[36:37]
	v_mov_b32_e32 v46, 0xfca7ab0c
	v_mov_b32_e32 v47, 0x3e928af3
	s_mov_b32 s29, 0x3e5ade15
	v_fmac_f64_e32 v[46:47], s[28:29], v[38:39]
	v_mov_b32_e32 v48, 0x623fde64
	v_mov_b32_e32 v49, 0x3ec71dee
	v_fmac_f64_e32 v[48:49], v[38:39], v[46:47]
	v_mov_b32_e32 v46, 0x7c89e6b0
	v_mov_b32_e32 v47, 0x3efa0199
	;; [unrolled: 3-line block ×8, first 2 shown]
	v_fmac_f64_e32 v[46:47], v[38:39], v[48:49]
	v_fma_f64 v[46:47], v[38:39], v[46:47], 1.0
	s_mov_b32 s28, 0
	s_mov_b32 s30, 0
	v_fma_f64 v[38:39], v[38:39], v[46:47], 1.0
	v_cvt_i32_f64_e32 v1, v[36:37]
	s_mov_b32 s29, 0x40900000
	s_mov_b32 s31, 0xc090cc00
	v_ldexp_f64 v[36:37], v[38:39], v1
	v_mov_b32_e32 v1, 0x7ff00000
	v_cmp_nlt_f64_e64 s[28:29], s[28:29], v[34:35]
	v_cmp_ngt_f64_e64 s[30:31], s[30:31], v[34:35]
	v_cndmask_b32_e64 v1, v1, v37, s[28:29]
	s_and_b64 s[28:29], s[30:31], s[28:29]
	v_cndmask_b32_e64 v35, 0, v1, s[30:31]
	v_cndmask_b32_e64 v34, 0, v36, s[28:29]
	v_add_f64 v[36:37], v[34:35], 1.0
	v_add_f64 v[38:39], v[36:37], -1.0
	v_add_f64 v[46:47], v[38:39], -v[36:37]
	v_add_f64 v[46:47], v[46:47], 1.0
	v_add_f64 v[38:39], v[34:35], -v[38:39]
	s_mov_b32 s28, 0x55555555
	v_add_f64 v[38:39], v[38:39], v[46:47]
	v_frexp_mant_f64_e32 v[46:47], v[36:37]
	s_mov_b32 s29, 0x3fe55555
	v_frexp_exp_i32_f64_e32 v1, v[36:37]
	v_cmp_gt_f64_e64 s[28:29], s[28:29], v[46:47]
	v_subbrev_co_u32_e64 v1, s[28:29], 0, v1, s[28:29]
	v_sub_u32_e32 v46, 0, v1
	v_ldexp_f64 v[36:37], v[36:37], v46
	v_ldexp_f64 v[38:39], v[38:39], v46
	v_add_f64 v[46:47], v[36:37], -1.0
	v_add_f64 v[52:53], v[36:37], 1.0
	v_add_f64 v[48:49], v[46:47], 1.0
	v_add_f64 v[56:57], v[52:53], -1.0
	v_add_f64 v[48:49], v[36:37], -v[48:49]
	v_add_f64 v[36:37], v[36:37], -v[56:57]
	v_add_f64 v[36:37], v[38:39], v[36:37]
	v_add_f64 v[48:49], v[38:39], v[48:49]
	;; [unrolled: 1-line block ×3, first 2 shown]
	v_rcp_f64_e32 v[56:57], v[38:39]
	v_add_f64 v[50:51], v[46:47], v[48:49]
	v_add_f64 v[46:47], v[50:51], -v[46:47]
	v_add_f64 v[46:47], v[48:49], -v[46:47]
	;; [unrolled: 1-line block ×4, first 2 shown]
	v_fma_f64 v[48:49], -v[38:39], v[56:57], 1.0
	v_fmac_f64_e32 v[56:57], v[48:49], v[56:57]
	v_fma_f64 v[48:49], -v[38:39], v[56:57], 1.0
	v_fmac_f64_e32 v[56:57], v[48:49], v[56:57]
	v_mul_f64 v[48:49], v[50:51], v[56:57]
	v_mul_f64 v[52:53], v[38:39], v[48:49]
	v_fma_f64 v[58:59], v[48:49], v[38:39], -v[52:53]
	v_fmac_f64_e32 v[58:59], v[48:49], v[36:37]
	v_add_f64 v[60:61], v[52:53], v[58:59]
	v_add_f64 v[62:63], v[50:51], -v[60:61]
	v_add_f64 v[50:51], v[50:51], -v[62:63]
	;; [unrolled: 1-line block ×4, first 2 shown]
	v_add_f64 v[46:47], v[46:47], v[50:51]
	v_add_f64 v[50:51], v[52:53], -v[58:59]
	v_add_f64 v[46:47], v[50:51], v[46:47]
	v_add_f64 v[50:51], v[62:63], v[46:47]
	v_add_f64 v[52:53], v[62:63], -v[50:51]
	v_add_f64 v[46:47], v[46:47], v[52:53]
	v_mul_f64 v[52:53], v[56:57], v[50:51]
	v_mul_f64 v[58:59], v[38:39], v[52:53]
	v_fma_f64 v[38:39], v[52:53], v[38:39], -v[58:59]
	v_fmac_f64_e32 v[38:39], v[52:53], v[36:37]
	v_add_f64 v[36:37], v[58:59], v[38:39]
	v_add_f64 v[60:61], v[50:51], -v[36:37]
	v_add_f64 v[50:51], v[50:51], -v[60:61]
	;; [unrolled: 1-line block ×4, first 2 shown]
	v_add_f64 v[36:37], v[46:47], v[36:37]
	v_add_f64 v[38:39], v[58:59], -v[38:39]
	v_add_f64 v[36:37], v[38:39], v[36:37]
	v_add_f64 v[38:39], v[48:49], v[52:53]
	;; [unrolled: 1-line block ×3, first 2 shown]
	v_add_f64 v[46:47], v[38:39], -v[48:49]
	v_mul_f64 v[36:37], v[56:57], v[36:37]
	v_add_f64 v[46:47], v[52:53], -v[46:47]
	v_add_f64 v[36:37], v[46:47], v[36:37]
	v_add_f64 v[46:47], v[38:39], v[36:37]
	v_add_f64 v[38:39], v[46:47], -v[38:39]
	s_mov_b32 s28, 0xbf559e2b
	v_add_f64 v[36:37], v[36:37], -v[38:39]
	v_mul_f64 v[38:39], v[46:47], v[46:47]
	v_mov_b32_e32 v48, 0x6b47b09a
	v_mov_b32_e32 v49, 0x3fc38538
	s_mov_b32 s29, 0x3fc3ab76
	v_fmac_f64_e32 v[48:49], s[28:29], v[38:39]
	v_mov_b32_e32 v50, 0xd7f4df2e
	v_mov_b32_e32 v51, 0x3fc7474d
	v_fmac_f64_e32 v[50:51], v[38:39], v[48:49]
	v_mov_b32_e32 v48, 0x16291751
	v_mov_b32_e32 v49, 0x3fcc71c0
	;; [unrolled: 3-line block ×5, first 2 shown]
	v_fmac_f64_e32 v[50:51], v[38:39], v[48:49]
	v_cvt_f64_i32_e32 v[48:49], v1
	s_mov_b32 s37, 0x3fe62e42
	v_mul_f64 v[52:53], v[48:49], s[36:37]
	v_fma_f64 v[56:57], v[48:49], s[36:37], -v[52:53]
	s_mov_b32 s43, 0x3c7abc9e
	v_fmac_f64_e32 v[56:57], s[42:43], v[48:49]
	v_add_f64 v[48:49], v[52:53], v[56:57]
	v_add_f64 v[52:53], v[48:49], -v[52:53]
	v_mul_f64 v[38:39], v[46:47], v[38:39]
	v_add_f64 v[52:53], v[56:57], -v[52:53]
	v_ldexp_f64 v[56:57], v[46:47], 1
	v_mul_f64 v[38:39], v[38:39], v[50:51]
	v_add_f64 v[46:47], v[56:57], v[38:39]
	v_add_f64 v[50:51], v[46:47], -v[56:57]
	v_ldexp_f64 v[36:37], v[36:37], 1
	v_add_f64 v[38:39], v[38:39], -v[50:51]
	v_add_f64 v[36:37], v[36:37], v[38:39]
	v_add_f64 v[38:39], v[46:47], v[36:37]
	v_add_f64 v[46:47], v[38:39], -v[46:47]
	v_add_f64 v[36:37], v[36:37], -v[46:47]
	v_add_f64 v[46:47], v[48:49], v[38:39]
	v_add_f64 v[50:51], v[46:47], -v[48:49]
	v_add_f64 v[56:57], v[46:47], -v[50:51]
	;; [unrolled: 1-line block ×4, first 2 shown]
	v_add_f64 v[38:39], v[38:39], v[48:49]
	v_add_f64 v[48:49], v[52:53], v[36:37]
	v_add_f64 v[50:51], v[48:49], -v[52:53]
	v_add_f64 v[38:39], v[48:49], v[38:39]
	v_add_f64 v[56:57], v[48:49], -v[50:51]
	;; [unrolled: 2-line block ×3, first 2 shown]
	v_add_f64 v[36:37], v[36:37], -v[50:51]
	v_add_f64 v[46:47], v[48:49], -v[46:47]
	v_add_f64 v[36:37], v[36:37], v[52:53]
	v_add_f64 v[38:39], v[38:39], -v[46:47]
	s_mov_b32 s28, 0
	v_add_f64 v[36:37], v[36:37], v[38:39]
	s_mov_b32 s29, 0x7ff00000
	v_add_f64 v[36:37], v[48:49], v[36:37]
	v_cmp_eq_f64_e64 s[28:29], s[28:29], v[34:35]
	v_cndmask_b32_e64 v1, v36, v34, s[28:29]
	v_cndmask_b32_e64 v36, v37, v35, s[28:29]
	v_mov_b32_e32 v37, 0x7ff80000
	v_cmp_ngt_f64_e64 s[28:29], -1.0, v[34:35]
	v_cndmask_b32_e64 v37, v37, v36, s[28:29]
	v_cmp_nge_f64_e64 s[28:29], -1.0, v[34:35]
	v_cndmask_b32_e64 v36, 0, v1, s[28:29]
	v_mov_b32_e32 v1, 0xfff00000
	v_cmp_neq_f64_e64 s[28:29], -1.0, v[34:35]
	v_cndmask_b32_e64 v37, v1, v37, s[28:29]
	v_add_f64 v[46:47], v[32:33], v[36:37]
.LBB20_30:
	s_or_b64 exec, exec, s[34:35]
	v_max_f64 v[32:33], v[10:11], v[10:11]
	v_max_f64 v[34:35], v[46:47], v[46:47]
	v_min_f64 v[36:37], v[34:35], v[32:33]
	v_cmp_u_f64_e64 s[30:31], v[46:47], v[46:47]
	v_cndmask_b32_e64 v1, v36, v46, s[30:31]
	v_cndmask_b32_e64 v36, v37, v47, s[30:31]
	v_cmp_u_f64_e64 s[28:29], v[10:11], v[10:11]
	v_max_f64 v[34:35], v[34:35], v[32:33]
	v_cndmask_b32_e64 v37, v36, v11, s[28:29]
	v_cndmask_b32_e64 v36, v1, v10, s[28:29]
	;; [unrolled: 1-line block ×6, first 2 shown]
	v_cmp_neq_f64_e64 s[30:31], v[36:37], v[34:35]
	v_cmp_class_f64_e64 s[34:35], v[36:37], s33
	s_or_b64 s[30:31], s[30:31], s[34:35]
	s_and_saveexec_b64 s[36:37], s[30:31]
	s_cbranch_execz .LBB20_32
; %bb.31:
	s_mov_b32 s30, 0x652b82fe
	v_add_f64 v[36:37], v[36:37], -v[34:35]
	s_mov_b32 s31, 0x3ff71547
	v_mul_f64 v[38:39], v[36:37], s[30:31]
	v_rndne_f64_e32 v[38:39], v[38:39]
	s_mov_b32 s43, 0xbfe62e42
	s_mov_b32 s42, 0xfefa39ef
	v_fma_f64 v[46:47], s[42:43], v[38:39], v[36:37]
	s_mov_b32 s45, 0xbc7abc9e
	s_mov_b32 s44, 0x3b39803f
	;; [unrolled: 1-line block ×3, first 2 shown]
	v_fmac_f64_e32 v[46:47], s[44:45], v[38:39]
	v_mov_b32_e32 v48, 0xfca7ab0c
	v_mov_b32_e32 v49, 0x3e928af3
	s_mov_b32 s31, 0x3e5ade15
	v_fmac_f64_e32 v[48:49], s[30:31], v[46:47]
	v_mov_b32_e32 v50, 0x623fde64
	v_mov_b32_e32 v51, 0x3ec71dee
	v_fmac_f64_e32 v[50:51], v[46:47], v[48:49]
	v_mov_b32_e32 v48, 0x7c89e6b0
	v_mov_b32_e32 v49, 0x3efa0199
	;; [unrolled: 3-line block ×8, first 2 shown]
	v_fmac_f64_e32 v[48:49], v[46:47], v[50:51]
	v_fma_f64 v[48:49], v[46:47], v[48:49], 1.0
	s_mov_b32 s30, 0
	s_mov_b32 s34, 0
	v_fma_f64 v[46:47], v[46:47], v[48:49], 1.0
	v_cvt_i32_f64_e32 v1, v[38:39]
	s_mov_b32 s31, 0x40900000
	s_mov_b32 s35, 0xc090cc00
	v_ldexp_f64 v[38:39], v[46:47], v1
	v_mov_b32_e32 v1, 0x7ff00000
	v_cmp_nlt_f64_e64 s[30:31], s[30:31], v[36:37]
	v_cmp_ngt_f64_e64 s[34:35], s[34:35], v[36:37]
	v_cndmask_b32_e64 v1, v1, v39, s[30:31]
	s_and_b64 s[30:31], s[34:35], s[30:31]
	v_cndmask_b32_e64 v37, 0, v1, s[34:35]
	v_cndmask_b32_e64 v36, 0, v38, s[30:31]
	v_add_f64 v[38:39], v[36:37], 1.0
	v_add_f64 v[46:47], v[38:39], -1.0
	v_add_f64 v[48:49], v[46:47], -v[38:39]
	v_add_f64 v[48:49], v[48:49], 1.0
	v_add_f64 v[46:47], v[36:37], -v[46:47]
	s_mov_b32 s30, 0x55555555
	v_add_f64 v[46:47], v[46:47], v[48:49]
	v_frexp_mant_f64_e32 v[48:49], v[38:39]
	s_mov_b32 s31, 0x3fe55555
	v_frexp_exp_i32_f64_e32 v1, v[38:39]
	v_cmp_gt_f64_e64 s[30:31], s[30:31], v[48:49]
	v_subbrev_co_u32_e64 v1, s[30:31], 0, v1, s[30:31]
	v_sub_u32_e32 v48, 0, v1
	v_ldexp_f64 v[38:39], v[38:39], v48
	v_ldexp_f64 v[46:47], v[46:47], v48
	v_add_f64 v[48:49], v[38:39], -1.0
	v_add_f64 v[56:57], v[38:39], 1.0
	v_add_f64 v[50:51], v[48:49], 1.0
	v_add_f64 v[58:59], v[56:57], -1.0
	v_add_f64 v[50:51], v[38:39], -v[50:51]
	v_add_f64 v[38:39], v[38:39], -v[58:59]
	v_add_f64 v[38:39], v[46:47], v[38:39]
	v_add_f64 v[50:51], v[46:47], v[50:51]
	;; [unrolled: 1-line block ×3, first 2 shown]
	v_rcp_f64_e32 v[58:59], v[46:47]
	v_add_f64 v[52:53], v[48:49], v[50:51]
	v_add_f64 v[48:49], v[52:53], -v[48:49]
	v_add_f64 v[48:49], v[50:51], -v[48:49]
	;; [unrolled: 1-line block ×4, first 2 shown]
	v_fma_f64 v[50:51], -v[46:47], v[58:59], 1.0
	v_fmac_f64_e32 v[58:59], v[50:51], v[58:59]
	v_fma_f64 v[50:51], -v[46:47], v[58:59], 1.0
	v_fmac_f64_e32 v[58:59], v[50:51], v[58:59]
	v_mul_f64 v[50:51], v[52:53], v[58:59]
	v_mul_f64 v[56:57], v[46:47], v[50:51]
	v_fma_f64 v[60:61], v[50:51], v[46:47], -v[56:57]
	v_fmac_f64_e32 v[60:61], v[50:51], v[38:39]
	v_add_f64 v[62:63], v[56:57], v[60:61]
	v_add_f64 v[64:65], v[52:53], -v[62:63]
	v_add_f64 v[52:53], v[52:53], -v[64:65]
	;; [unrolled: 1-line block ×4, first 2 shown]
	v_add_f64 v[48:49], v[48:49], v[52:53]
	v_add_f64 v[52:53], v[56:57], -v[60:61]
	v_add_f64 v[48:49], v[52:53], v[48:49]
	v_add_f64 v[52:53], v[64:65], v[48:49]
	v_add_f64 v[56:57], v[64:65], -v[52:53]
	v_add_f64 v[48:49], v[48:49], v[56:57]
	v_mul_f64 v[56:57], v[58:59], v[52:53]
	v_mul_f64 v[60:61], v[46:47], v[56:57]
	v_fma_f64 v[46:47], v[56:57], v[46:47], -v[60:61]
	v_fmac_f64_e32 v[46:47], v[56:57], v[38:39]
	v_add_f64 v[38:39], v[60:61], v[46:47]
	v_add_f64 v[62:63], v[52:53], -v[38:39]
	v_add_f64 v[52:53], v[52:53], -v[62:63]
	;; [unrolled: 1-line block ×4, first 2 shown]
	v_add_f64 v[38:39], v[48:49], v[38:39]
	v_add_f64 v[46:47], v[60:61], -v[46:47]
	v_add_f64 v[38:39], v[46:47], v[38:39]
	v_add_f64 v[46:47], v[50:51], v[56:57]
	;; [unrolled: 1-line block ×3, first 2 shown]
	v_add_f64 v[48:49], v[46:47], -v[50:51]
	v_mul_f64 v[38:39], v[58:59], v[38:39]
	v_add_f64 v[48:49], v[56:57], -v[48:49]
	v_add_f64 v[38:39], v[48:49], v[38:39]
	v_add_f64 v[48:49], v[46:47], v[38:39]
	v_add_f64 v[46:47], v[48:49], -v[46:47]
	s_mov_b32 s30, 0xbf559e2b
	v_add_f64 v[38:39], v[38:39], -v[46:47]
	v_mul_f64 v[46:47], v[48:49], v[48:49]
	v_mov_b32_e32 v50, 0x6b47b09a
	v_mov_b32_e32 v51, 0x3fc38538
	s_mov_b32 s31, 0x3fc3ab76
	v_fmac_f64_e32 v[50:51], s[30:31], v[46:47]
	v_mov_b32_e32 v52, 0xd7f4df2e
	v_mov_b32_e32 v53, 0x3fc7474d
	v_fmac_f64_e32 v[52:53], v[46:47], v[50:51]
	v_mov_b32_e32 v50, 0x16291751
	v_mov_b32_e32 v51, 0x3fcc71c0
	;; [unrolled: 3-line block ×5, first 2 shown]
	v_fmac_f64_e32 v[52:53], v[46:47], v[50:51]
	v_cvt_f64_i32_e32 v[50:51], v1
	s_mov_b32 s43, 0x3fe62e42
	v_mul_f64 v[56:57], v[50:51], s[42:43]
	v_fma_f64 v[58:59], v[50:51], s[42:43], -v[56:57]
	s_mov_b32 s45, 0x3c7abc9e
	v_fmac_f64_e32 v[58:59], s[44:45], v[50:51]
	v_add_f64 v[50:51], v[56:57], v[58:59]
	v_add_f64 v[56:57], v[50:51], -v[56:57]
	v_mul_f64 v[46:47], v[48:49], v[46:47]
	v_add_f64 v[56:57], v[58:59], -v[56:57]
	v_ldexp_f64 v[58:59], v[48:49], 1
	v_mul_f64 v[46:47], v[46:47], v[52:53]
	v_add_f64 v[48:49], v[58:59], v[46:47]
	v_add_f64 v[52:53], v[48:49], -v[58:59]
	v_ldexp_f64 v[38:39], v[38:39], 1
	v_add_f64 v[46:47], v[46:47], -v[52:53]
	v_add_f64 v[38:39], v[38:39], v[46:47]
	v_add_f64 v[46:47], v[48:49], v[38:39]
	v_add_f64 v[48:49], v[46:47], -v[48:49]
	v_add_f64 v[38:39], v[38:39], -v[48:49]
	v_add_f64 v[48:49], v[50:51], v[46:47]
	v_add_f64 v[52:53], v[48:49], -v[50:51]
	v_add_f64 v[58:59], v[48:49], -v[52:53]
	v_add_f64 v[50:51], v[50:51], -v[58:59]
	v_add_f64 v[46:47], v[46:47], -v[52:53]
	v_add_f64 v[46:47], v[46:47], v[50:51]
	v_add_f64 v[50:51], v[56:57], v[38:39]
	v_add_f64 v[52:53], v[50:51], -v[56:57]
	v_add_f64 v[46:47], v[50:51], v[46:47]
	v_add_f64 v[58:59], v[50:51], -v[52:53]
	;; [unrolled: 2-line block ×3, first 2 shown]
	v_add_f64 v[38:39], v[38:39], -v[52:53]
	v_add_f64 v[48:49], v[50:51], -v[48:49]
	v_add_f64 v[38:39], v[38:39], v[56:57]
	v_add_f64 v[46:47], v[46:47], -v[48:49]
	s_mov_b32 s30, 0
	v_add_f64 v[38:39], v[38:39], v[46:47]
	s_mov_b32 s31, 0x7ff00000
	v_add_f64 v[38:39], v[50:51], v[38:39]
	v_cmp_eq_f64_e64 s[30:31], s[30:31], v[36:37]
	v_cndmask_b32_e64 v1, v38, v36, s[30:31]
	v_cndmask_b32_e64 v38, v39, v37, s[30:31]
	v_mov_b32_e32 v39, 0x7ff80000
	v_cmp_ngt_f64_e64 s[30:31], -1.0, v[36:37]
	v_cndmask_b32_e64 v39, v39, v38, s[30:31]
	v_cmp_nge_f64_e64 s[30:31], -1.0, v[36:37]
	v_cndmask_b32_e64 v38, 0, v1, s[30:31]
	v_mov_b32_e32 v1, 0xfff00000
	v_cmp_neq_f64_e64 s[30:31], -1.0, v[36:37]
	v_cndmask_b32_e64 v39, v1, v39, s[30:31]
	v_add_f64 v[46:47], v[34:35], v[38:39]
.LBB20_32:
	s_or_b64 exec, exec, s[36:37]
	v_max_f64 v[34:35], v[12:13], v[12:13]
	v_max_f64 v[36:37], v[46:47], v[46:47]
	v_min_f64 v[38:39], v[36:37], v[34:35]
	v_cmp_u_f64_e64 s[34:35], v[46:47], v[46:47]
	v_cndmask_b32_e64 v1, v38, v46, s[34:35]
	v_cndmask_b32_e64 v38, v39, v47, s[34:35]
	v_cmp_u_f64_e64 s[30:31], v[12:13], v[12:13]
	v_max_f64 v[36:37], v[36:37], v[34:35]
	v_cndmask_b32_e64 v39, v38, v13, s[30:31]
	v_cndmask_b32_e64 v38, v1, v12, s[30:31]
	;; [unrolled: 1-line block ×6, first 2 shown]
	v_cmp_neq_f64_e64 s[34:35], v[38:39], v[36:37]
	v_cmp_class_f64_e64 s[36:37], v[38:39], s33
	s_or_b64 s[34:35], s[34:35], s[36:37]
	s_and_saveexec_b64 s[42:43], s[34:35]
	s_cbranch_execz .LBB20_34
; %bb.33:
	s_mov_b32 s34, 0x652b82fe
	v_add_f64 v[38:39], v[38:39], -v[36:37]
	s_mov_b32 s35, 0x3ff71547
	v_mul_f64 v[46:47], v[38:39], s[34:35]
	v_rndne_f64_e32 v[46:47], v[46:47]
	s_mov_b32 s45, 0xbfe62e42
	s_mov_b32 s44, 0xfefa39ef
	v_fma_f64 v[48:49], s[44:45], v[46:47], v[38:39]
	s_mov_b32 s47, 0xbc7abc9e
	s_mov_b32 s46, 0x3b39803f
	;; [unrolled: 1-line block ×3, first 2 shown]
	v_fmac_f64_e32 v[48:49], s[46:47], v[46:47]
	v_mov_b32_e32 v50, 0xfca7ab0c
	v_mov_b32_e32 v51, 0x3e928af3
	s_mov_b32 s35, 0x3e5ade15
	v_fmac_f64_e32 v[50:51], s[34:35], v[48:49]
	v_mov_b32_e32 v52, 0x623fde64
	v_mov_b32_e32 v53, 0x3ec71dee
	v_fmac_f64_e32 v[52:53], v[48:49], v[50:51]
	v_mov_b32_e32 v50, 0x7c89e6b0
	v_mov_b32_e32 v51, 0x3efa0199
	;; [unrolled: 3-line block ×8, first 2 shown]
	v_fmac_f64_e32 v[50:51], v[48:49], v[52:53]
	v_fma_f64 v[50:51], v[48:49], v[50:51], 1.0
	s_mov_b32 s34, 0
	s_mov_b32 s36, 0
	v_fma_f64 v[48:49], v[48:49], v[50:51], 1.0
	v_cvt_i32_f64_e32 v1, v[46:47]
	s_mov_b32 s35, 0x40900000
	s_mov_b32 s37, 0xc090cc00
	v_ldexp_f64 v[46:47], v[48:49], v1
	v_mov_b32_e32 v1, 0x7ff00000
	v_cmp_nlt_f64_e64 s[34:35], s[34:35], v[38:39]
	v_cmp_ngt_f64_e64 s[36:37], s[36:37], v[38:39]
	v_cndmask_b32_e64 v1, v1, v47, s[34:35]
	s_and_b64 s[34:35], s[36:37], s[34:35]
	v_cndmask_b32_e64 v39, 0, v1, s[36:37]
	v_cndmask_b32_e64 v38, 0, v46, s[34:35]
	v_add_f64 v[46:47], v[38:39], 1.0
	v_add_f64 v[48:49], v[46:47], -1.0
	v_add_f64 v[50:51], v[48:49], -v[46:47]
	v_add_f64 v[50:51], v[50:51], 1.0
	v_add_f64 v[48:49], v[38:39], -v[48:49]
	s_mov_b32 s34, 0x55555555
	v_add_f64 v[48:49], v[48:49], v[50:51]
	v_frexp_mant_f64_e32 v[50:51], v[46:47]
	s_mov_b32 s35, 0x3fe55555
	v_frexp_exp_i32_f64_e32 v1, v[46:47]
	v_cmp_gt_f64_e64 s[34:35], s[34:35], v[50:51]
	v_subbrev_co_u32_e64 v1, s[34:35], 0, v1, s[34:35]
	v_sub_u32_e32 v50, 0, v1
	v_ldexp_f64 v[46:47], v[46:47], v50
	v_ldexp_f64 v[48:49], v[48:49], v50
	v_add_f64 v[50:51], v[46:47], -1.0
	v_add_f64 v[58:59], v[46:47], 1.0
	v_add_f64 v[52:53], v[50:51], 1.0
	v_add_f64 v[60:61], v[58:59], -1.0
	v_add_f64 v[52:53], v[46:47], -v[52:53]
	v_add_f64 v[46:47], v[46:47], -v[60:61]
	v_add_f64 v[46:47], v[48:49], v[46:47]
	v_add_f64 v[52:53], v[48:49], v[52:53]
	;; [unrolled: 1-line block ×3, first 2 shown]
	v_rcp_f64_e32 v[60:61], v[48:49]
	v_add_f64 v[56:57], v[50:51], v[52:53]
	v_add_f64 v[50:51], v[56:57], -v[50:51]
	v_add_f64 v[50:51], v[52:53], -v[50:51]
	;; [unrolled: 1-line block ×4, first 2 shown]
	v_fma_f64 v[52:53], -v[48:49], v[60:61], 1.0
	v_fmac_f64_e32 v[60:61], v[52:53], v[60:61]
	v_fma_f64 v[52:53], -v[48:49], v[60:61], 1.0
	v_fmac_f64_e32 v[60:61], v[52:53], v[60:61]
	v_mul_f64 v[52:53], v[56:57], v[60:61]
	v_mul_f64 v[58:59], v[48:49], v[52:53]
	v_fma_f64 v[62:63], v[52:53], v[48:49], -v[58:59]
	v_fmac_f64_e32 v[62:63], v[52:53], v[46:47]
	v_add_f64 v[64:65], v[58:59], v[62:63]
	v_add_f64 v[66:67], v[56:57], -v[64:65]
	v_add_f64 v[56:57], v[56:57], -v[66:67]
	;; [unrolled: 1-line block ×4, first 2 shown]
	v_add_f64 v[50:51], v[50:51], v[56:57]
	v_add_f64 v[56:57], v[58:59], -v[62:63]
	v_add_f64 v[50:51], v[56:57], v[50:51]
	v_add_f64 v[56:57], v[66:67], v[50:51]
	v_add_f64 v[58:59], v[66:67], -v[56:57]
	v_add_f64 v[50:51], v[50:51], v[58:59]
	v_mul_f64 v[58:59], v[60:61], v[56:57]
	v_mul_f64 v[62:63], v[48:49], v[58:59]
	v_fma_f64 v[48:49], v[58:59], v[48:49], -v[62:63]
	v_fmac_f64_e32 v[48:49], v[58:59], v[46:47]
	v_add_f64 v[46:47], v[62:63], v[48:49]
	v_add_f64 v[64:65], v[56:57], -v[46:47]
	v_add_f64 v[56:57], v[56:57], -v[64:65]
	;; [unrolled: 1-line block ×4, first 2 shown]
	v_add_f64 v[46:47], v[50:51], v[46:47]
	v_add_f64 v[48:49], v[62:63], -v[48:49]
	v_add_f64 v[46:47], v[48:49], v[46:47]
	v_add_f64 v[48:49], v[52:53], v[58:59]
	;; [unrolled: 1-line block ×3, first 2 shown]
	v_add_f64 v[50:51], v[48:49], -v[52:53]
	v_mul_f64 v[46:47], v[60:61], v[46:47]
	v_add_f64 v[50:51], v[58:59], -v[50:51]
	v_add_f64 v[46:47], v[50:51], v[46:47]
	v_add_f64 v[50:51], v[48:49], v[46:47]
	v_add_f64 v[48:49], v[50:51], -v[48:49]
	s_mov_b32 s34, 0xbf559e2b
	v_add_f64 v[46:47], v[46:47], -v[48:49]
	v_mul_f64 v[48:49], v[50:51], v[50:51]
	v_mov_b32_e32 v52, 0x6b47b09a
	v_mov_b32_e32 v53, 0x3fc38538
	s_mov_b32 s35, 0x3fc3ab76
	v_fmac_f64_e32 v[52:53], s[34:35], v[48:49]
	v_mov_b32_e32 v56, 0xd7f4df2e
	v_mov_b32_e32 v57, 0x3fc7474d
	v_fmac_f64_e32 v[56:57], v[48:49], v[52:53]
	v_mov_b32_e32 v52, 0x16291751
	v_mov_b32_e32 v53, 0x3fcc71c0
	;; [unrolled: 3-line block ×5, first 2 shown]
	v_fmac_f64_e32 v[56:57], v[48:49], v[52:53]
	v_cvt_f64_i32_e32 v[52:53], v1
	s_mov_b32 s45, 0x3fe62e42
	v_mul_f64 v[58:59], v[52:53], s[44:45]
	v_fma_f64 v[60:61], v[52:53], s[44:45], -v[58:59]
	s_mov_b32 s47, 0x3c7abc9e
	v_fmac_f64_e32 v[60:61], s[46:47], v[52:53]
	v_add_f64 v[52:53], v[58:59], v[60:61]
	v_add_f64 v[58:59], v[52:53], -v[58:59]
	v_mul_f64 v[48:49], v[50:51], v[48:49]
	v_add_f64 v[58:59], v[60:61], -v[58:59]
	v_ldexp_f64 v[60:61], v[50:51], 1
	v_mul_f64 v[48:49], v[48:49], v[56:57]
	v_add_f64 v[50:51], v[60:61], v[48:49]
	v_add_f64 v[56:57], v[50:51], -v[60:61]
	v_ldexp_f64 v[46:47], v[46:47], 1
	v_add_f64 v[48:49], v[48:49], -v[56:57]
	v_add_f64 v[46:47], v[46:47], v[48:49]
	v_add_f64 v[48:49], v[50:51], v[46:47]
	v_add_f64 v[50:51], v[48:49], -v[50:51]
	v_add_f64 v[46:47], v[46:47], -v[50:51]
	v_add_f64 v[50:51], v[52:53], v[48:49]
	v_add_f64 v[56:57], v[50:51], -v[52:53]
	v_add_f64 v[60:61], v[50:51], -v[56:57]
	;; [unrolled: 1-line block ×4, first 2 shown]
	v_add_f64 v[48:49], v[48:49], v[52:53]
	v_add_f64 v[52:53], v[58:59], v[46:47]
	v_add_f64 v[56:57], v[52:53], -v[58:59]
	v_add_f64 v[48:49], v[52:53], v[48:49]
	v_add_f64 v[60:61], v[52:53], -v[56:57]
	;; [unrolled: 2-line block ×3, first 2 shown]
	v_add_f64 v[46:47], v[46:47], -v[56:57]
	v_add_f64 v[50:51], v[52:53], -v[50:51]
	v_add_f64 v[46:47], v[46:47], v[58:59]
	v_add_f64 v[48:49], v[48:49], -v[50:51]
	s_mov_b32 s34, 0
	v_add_f64 v[46:47], v[46:47], v[48:49]
	s_mov_b32 s35, 0x7ff00000
	v_add_f64 v[46:47], v[52:53], v[46:47]
	v_cmp_eq_f64_e64 s[34:35], s[34:35], v[38:39]
	v_cndmask_b32_e64 v1, v46, v38, s[34:35]
	v_cndmask_b32_e64 v46, v47, v39, s[34:35]
	v_mov_b32_e32 v47, 0x7ff80000
	v_cmp_ngt_f64_e64 s[34:35], -1.0, v[38:39]
	v_cndmask_b32_e64 v47, v47, v46, s[34:35]
	v_cmp_nge_f64_e64 s[34:35], -1.0, v[38:39]
	v_cndmask_b32_e64 v46, 0, v1, s[34:35]
	v_mov_b32_e32 v1, 0xfff00000
	v_cmp_neq_f64_e64 s[34:35], -1.0, v[38:39]
	v_cndmask_b32_e64 v47, v1, v47, s[34:35]
	v_add_f64 v[46:47], v[36:37], v[46:47]
.LBB20_34:
	s_or_b64 exec, exec, s[42:43]
	v_max_f64 v[36:37], v[6:7], v[6:7]
	v_max_f64 v[38:39], v[46:47], v[46:47]
	v_min_f64 v[48:49], v[38:39], v[36:37]
	v_cmp_u_f64_e64 s[36:37], v[46:47], v[46:47]
	v_cndmask_b32_e64 v1, v48, v46, s[36:37]
	v_cndmask_b32_e64 v48, v49, v47, s[36:37]
	v_cmp_u_f64_e64 s[34:35], v[6:7], v[6:7]
	v_max_f64 v[38:39], v[38:39], v[36:37]
	v_cndmask_b32_e64 v49, v48, v7, s[34:35]
	v_cndmask_b32_e64 v48, v1, v6, s[34:35]
	;; [unrolled: 1-line block ×6, first 2 shown]
	v_cmp_neq_f64_e64 s[36:37], v[48:49], v[38:39]
	v_cmp_class_f64_e64 s[42:43], v[48:49], s33
	s_or_b64 s[36:37], s[36:37], s[42:43]
	s_and_saveexec_b64 s[44:45], s[36:37]
	s_cbranch_execz .LBB20_36
; %bb.35:
	s_mov_b32 s36, 0x652b82fe
	v_add_f64 v[46:47], v[48:49], -v[38:39]
	s_mov_b32 s37, 0x3ff71547
	v_mul_f64 v[48:49], v[46:47], s[36:37]
	v_rndne_f64_e32 v[48:49], v[48:49]
	s_mov_b32 s47, 0xbfe62e42
	s_mov_b32 s46, 0xfefa39ef
	v_fma_f64 v[50:51], s[46:47], v[48:49], v[46:47]
	s_mov_b32 s49, 0xbc7abc9e
	s_mov_b32 s48, 0x3b39803f
	;; [unrolled: 1-line block ×3, first 2 shown]
	v_fmac_f64_e32 v[50:51], s[48:49], v[48:49]
	v_mov_b32_e32 v52, 0xfca7ab0c
	v_mov_b32_e32 v53, 0x3e928af3
	s_mov_b32 s37, 0x3e5ade15
	v_fmac_f64_e32 v[52:53], s[36:37], v[50:51]
	v_mov_b32_e32 v56, 0x623fde64
	v_mov_b32_e32 v57, 0x3ec71dee
	v_fmac_f64_e32 v[56:57], v[50:51], v[52:53]
	v_mov_b32_e32 v52, 0x7c89e6b0
	v_mov_b32_e32 v53, 0x3efa0199
	;; [unrolled: 3-line block ×8, first 2 shown]
	v_fmac_f64_e32 v[52:53], v[50:51], v[56:57]
	v_fma_f64 v[52:53], v[50:51], v[52:53], 1.0
	s_mov_b32 s36, 0
	s_mov_b32 s42, 0
	v_fma_f64 v[50:51], v[50:51], v[52:53], 1.0
	v_cvt_i32_f64_e32 v1, v[48:49]
	s_mov_b32 s37, 0x40900000
	s_mov_b32 s43, 0xc090cc00
	v_ldexp_f64 v[48:49], v[50:51], v1
	v_mov_b32_e32 v1, 0x7ff00000
	v_cmp_nlt_f64_e64 s[36:37], s[36:37], v[46:47]
	v_cmp_ngt_f64_e64 s[42:43], s[42:43], v[46:47]
	v_cndmask_b32_e64 v1, v1, v49, s[36:37]
	s_and_b64 s[36:37], s[42:43], s[36:37]
	v_cndmask_b32_e64 v47, 0, v1, s[42:43]
	v_cndmask_b32_e64 v46, 0, v48, s[36:37]
	v_add_f64 v[48:49], v[46:47], 1.0
	v_add_f64 v[50:51], v[48:49], -1.0
	v_add_f64 v[52:53], v[50:51], -v[48:49]
	v_add_f64 v[52:53], v[52:53], 1.0
	v_add_f64 v[50:51], v[46:47], -v[50:51]
	s_mov_b32 s36, 0x55555555
	v_add_f64 v[50:51], v[50:51], v[52:53]
	v_frexp_mant_f64_e32 v[52:53], v[48:49]
	s_mov_b32 s37, 0x3fe55555
	v_frexp_exp_i32_f64_e32 v1, v[48:49]
	v_cmp_gt_f64_e64 s[36:37], s[36:37], v[52:53]
	v_subbrev_co_u32_e64 v1, s[36:37], 0, v1, s[36:37]
	v_sub_u32_e32 v52, 0, v1
	v_ldexp_f64 v[48:49], v[48:49], v52
	v_ldexp_f64 v[50:51], v[50:51], v52
	v_add_f64 v[52:53], v[48:49], -1.0
	v_add_f64 v[60:61], v[48:49], 1.0
	v_add_f64 v[56:57], v[52:53], 1.0
	v_add_f64 v[62:63], v[60:61], -1.0
	v_add_f64 v[56:57], v[48:49], -v[56:57]
	v_add_f64 v[48:49], v[48:49], -v[62:63]
	v_add_f64 v[48:49], v[50:51], v[48:49]
	v_add_f64 v[56:57], v[50:51], v[56:57]
	;; [unrolled: 1-line block ×3, first 2 shown]
	v_rcp_f64_e32 v[62:63], v[50:51]
	v_add_f64 v[58:59], v[52:53], v[56:57]
	v_add_f64 v[52:53], v[58:59], -v[52:53]
	v_add_f64 v[52:53], v[56:57], -v[52:53]
	;; [unrolled: 1-line block ×4, first 2 shown]
	v_fma_f64 v[56:57], -v[50:51], v[62:63], 1.0
	v_fmac_f64_e32 v[62:63], v[56:57], v[62:63]
	v_fma_f64 v[56:57], -v[50:51], v[62:63], 1.0
	v_fmac_f64_e32 v[62:63], v[56:57], v[62:63]
	v_mul_f64 v[56:57], v[58:59], v[62:63]
	v_mul_f64 v[60:61], v[50:51], v[56:57]
	v_fma_f64 v[64:65], v[56:57], v[50:51], -v[60:61]
	v_fmac_f64_e32 v[64:65], v[56:57], v[48:49]
	v_add_f64 v[66:67], v[60:61], v[64:65]
	v_add_f64 v[68:69], v[58:59], -v[66:67]
	v_add_f64 v[58:59], v[58:59], -v[68:69]
	;; [unrolled: 1-line block ×4, first 2 shown]
	v_add_f64 v[52:53], v[52:53], v[58:59]
	v_add_f64 v[58:59], v[60:61], -v[64:65]
	v_add_f64 v[52:53], v[58:59], v[52:53]
	v_add_f64 v[58:59], v[68:69], v[52:53]
	v_add_f64 v[60:61], v[68:69], -v[58:59]
	v_add_f64 v[52:53], v[52:53], v[60:61]
	v_mul_f64 v[60:61], v[62:63], v[58:59]
	v_mul_f64 v[64:65], v[50:51], v[60:61]
	v_fma_f64 v[50:51], v[60:61], v[50:51], -v[64:65]
	v_fmac_f64_e32 v[50:51], v[60:61], v[48:49]
	v_add_f64 v[48:49], v[64:65], v[50:51]
	v_add_f64 v[66:67], v[58:59], -v[48:49]
	v_add_f64 v[58:59], v[58:59], -v[66:67]
	;; [unrolled: 1-line block ×4, first 2 shown]
	v_add_f64 v[48:49], v[52:53], v[48:49]
	v_add_f64 v[50:51], v[64:65], -v[50:51]
	v_add_f64 v[48:49], v[50:51], v[48:49]
	v_add_f64 v[50:51], v[56:57], v[60:61]
	;; [unrolled: 1-line block ×3, first 2 shown]
	v_add_f64 v[52:53], v[50:51], -v[56:57]
	v_mul_f64 v[48:49], v[62:63], v[48:49]
	v_add_f64 v[52:53], v[60:61], -v[52:53]
	v_add_f64 v[48:49], v[52:53], v[48:49]
	v_add_f64 v[52:53], v[50:51], v[48:49]
	v_add_f64 v[50:51], v[52:53], -v[50:51]
	s_mov_b32 s36, 0xbf559e2b
	v_add_f64 v[48:49], v[48:49], -v[50:51]
	v_mul_f64 v[50:51], v[52:53], v[52:53]
	v_mov_b32_e32 v56, 0x6b47b09a
	v_mov_b32_e32 v57, 0x3fc38538
	s_mov_b32 s37, 0x3fc3ab76
	v_fmac_f64_e32 v[56:57], s[36:37], v[50:51]
	v_mov_b32_e32 v58, 0xd7f4df2e
	v_mov_b32_e32 v59, 0x3fc7474d
	v_fmac_f64_e32 v[58:59], v[50:51], v[56:57]
	v_mov_b32_e32 v56, 0x16291751
	v_mov_b32_e32 v57, 0x3fcc71c0
	;; [unrolled: 3-line block ×5, first 2 shown]
	v_fmac_f64_e32 v[58:59], v[50:51], v[56:57]
	v_cvt_f64_i32_e32 v[56:57], v1
	s_mov_b32 s47, 0x3fe62e42
	v_mul_f64 v[60:61], v[56:57], s[46:47]
	v_fma_f64 v[62:63], v[56:57], s[46:47], -v[60:61]
	s_mov_b32 s49, 0x3c7abc9e
	v_fmac_f64_e32 v[62:63], s[48:49], v[56:57]
	v_add_f64 v[56:57], v[60:61], v[62:63]
	v_add_f64 v[60:61], v[56:57], -v[60:61]
	v_mul_f64 v[50:51], v[52:53], v[50:51]
	v_add_f64 v[60:61], v[62:63], -v[60:61]
	v_ldexp_f64 v[62:63], v[52:53], 1
	v_mul_f64 v[50:51], v[50:51], v[58:59]
	v_add_f64 v[52:53], v[62:63], v[50:51]
	v_add_f64 v[58:59], v[52:53], -v[62:63]
	v_ldexp_f64 v[48:49], v[48:49], 1
	v_add_f64 v[50:51], v[50:51], -v[58:59]
	v_add_f64 v[48:49], v[48:49], v[50:51]
	v_add_f64 v[50:51], v[52:53], v[48:49]
	v_add_f64 v[52:53], v[50:51], -v[52:53]
	v_add_f64 v[48:49], v[48:49], -v[52:53]
	v_add_f64 v[52:53], v[56:57], v[50:51]
	v_add_f64 v[58:59], v[52:53], -v[56:57]
	v_add_f64 v[62:63], v[52:53], -v[58:59]
	;; [unrolled: 1-line block ×4, first 2 shown]
	v_add_f64 v[50:51], v[50:51], v[56:57]
	v_add_f64 v[56:57], v[60:61], v[48:49]
	v_add_f64 v[58:59], v[56:57], -v[60:61]
	v_add_f64 v[50:51], v[56:57], v[50:51]
	v_add_f64 v[62:63], v[56:57], -v[58:59]
	;; [unrolled: 2-line block ×3, first 2 shown]
	v_add_f64 v[48:49], v[48:49], -v[58:59]
	v_add_f64 v[52:53], v[56:57], -v[52:53]
	v_add_f64 v[48:49], v[48:49], v[60:61]
	v_add_f64 v[50:51], v[50:51], -v[52:53]
	s_mov_b32 s36, 0
	v_add_f64 v[48:49], v[48:49], v[50:51]
	s_mov_b32 s37, 0x7ff00000
	v_add_f64 v[48:49], v[56:57], v[48:49]
	v_cmp_eq_f64_e64 s[36:37], s[36:37], v[46:47]
	v_cndmask_b32_e64 v1, v48, v46, s[36:37]
	v_cndmask_b32_e64 v48, v49, v47, s[36:37]
	v_mov_b32_e32 v49, 0x7ff80000
	v_cmp_ngt_f64_e64 s[36:37], -1.0, v[46:47]
	v_cndmask_b32_e64 v49, v49, v48, s[36:37]
	v_cmp_nge_f64_e64 s[36:37], -1.0, v[46:47]
	v_cndmask_b32_e64 v48, 0, v1, s[36:37]
	v_mov_b32_e32 v1, 0xfff00000
	v_cmp_neq_f64_e64 s[36:37], -1.0, v[46:47]
	v_cndmask_b32_e64 v49, v1, v49, s[36:37]
	v_add_f64 v[46:47], v[38:39], v[48:49]
.LBB20_36:
	s_or_b64 exec, exec, s[44:45]
	v_max_f64 v[38:39], v[8:9], v[8:9]
	v_max_f64 v[48:49], v[46:47], v[46:47]
	v_min_f64 v[50:51], v[48:49], v[38:39]
	v_cmp_u_f64_e64 s[42:43], v[46:47], v[46:47]
	v_cndmask_b32_e64 v1, v50, v46, s[42:43]
	v_cndmask_b32_e64 v50, v51, v47, s[42:43]
	v_cmp_u_f64_e64 s[36:37], v[8:9], v[8:9]
	v_max_f64 v[48:49], v[48:49], v[38:39]
	v_cndmask_b32_e64 v51, v50, v9, s[36:37]
	v_cndmask_b32_e64 v50, v1, v8, s[36:37]
	;; [unrolled: 1-line block ×6, first 2 shown]
	v_cmp_neq_f64_e64 s[42:43], v[50:51], v[48:49]
	v_cmp_class_f64_e64 s[44:45], v[50:51], s33
	s_or_b64 s[42:43], s[42:43], s[44:45]
	s_and_saveexec_b64 s[46:47], s[42:43]
	s_cbranch_execz .LBB20_38
; %bb.37:
	s_mov_b32 s42, 0x652b82fe
	v_add_f64 v[46:47], v[50:51], -v[48:49]
	s_mov_b32 s43, 0x3ff71547
	v_mul_f64 v[50:51], v[46:47], s[42:43]
	v_rndne_f64_e32 v[50:51], v[50:51]
	s_mov_b32 s49, 0xbfe62e42
	s_mov_b32 s48, 0xfefa39ef
	v_fma_f64 v[52:53], s[48:49], v[50:51], v[46:47]
	s_mov_b32 s51, 0xbc7abc9e
	s_mov_b32 s50, 0x3b39803f
	;; [unrolled: 1-line block ×3, first 2 shown]
	v_fmac_f64_e32 v[52:53], s[50:51], v[50:51]
	v_mov_b32_e32 v56, 0xfca7ab0c
	v_mov_b32_e32 v57, 0x3e928af3
	s_mov_b32 s43, 0x3e5ade15
	v_fmac_f64_e32 v[56:57], s[42:43], v[52:53]
	v_mov_b32_e32 v58, 0x623fde64
	v_mov_b32_e32 v59, 0x3ec71dee
	v_fmac_f64_e32 v[58:59], v[52:53], v[56:57]
	v_mov_b32_e32 v56, 0x7c89e6b0
	v_mov_b32_e32 v57, 0x3efa0199
	;; [unrolled: 3-line block ×8, first 2 shown]
	v_fmac_f64_e32 v[56:57], v[52:53], v[58:59]
	v_fma_f64 v[56:57], v[52:53], v[56:57], 1.0
	s_mov_b32 s42, 0
	s_mov_b32 s44, 0
	v_fma_f64 v[52:53], v[52:53], v[56:57], 1.0
	v_cvt_i32_f64_e32 v1, v[50:51]
	s_mov_b32 s43, 0x40900000
	s_mov_b32 s45, 0xc090cc00
	v_ldexp_f64 v[50:51], v[52:53], v1
	v_mov_b32_e32 v1, 0x7ff00000
	v_cmp_nlt_f64_e64 s[42:43], s[42:43], v[46:47]
	v_cmp_ngt_f64_e64 s[44:45], s[44:45], v[46:47]
	v_cndmask_b32_e64 v1, v1, v51, s[42:43]
	s_and_b64 s[42:43], s[44:45], s[42:43]
	v_cndmask_b32_e64 v47, 0, v1, s[44:45]
	v_cndmask_b32_e64 v46, 0, v50, s[42:43]
	v_add_f64 v[50:51], v[46:47], 1.0
	v_add_f64 v[52:53], v[50:51], -1.0
	v_add_f64 v[56:57], v[52:53], -v[50:51]
	v_add_f64 v[56:57], v[56:57], 1.0
	v_add_f64 v[52:53], v[46:47], -v[52:53]
	s_mov_b32 s42, 0x55555555
	v_add_f64 v[52:53], v[52:53], v[56:57]
	v_frexp_mant_f64_e32 v[56:57], v[50:51]
	s_mov_b32 s43, 0x3fe55555
	v_frexp_exp_i32_f64_e32 v1, v[50:51]
	v_cmp_gt_f64_e64 s[42:43], s[42:43], v[56:57]
	v_subbrev_co_u32_e64 v1, s[42:43], 0, v1, s[42:43]
	v_sub_u32_e32 v55, 0, v1
	v_ldexp_f64 v[50:51], v[50:51], v55
	v_add_f64 v[56:57], v[50:51], -1.0
	v_add_f64 v[62:63], v[50:51], 1.0
	v_add_f64 v[58:59], v[56:57], 1.0
	v_add_f64 v[64:65], v[62:63], -1.0
	v_ldexp_f64 v[52:53], v[52:53], v55
	v_add_f64 v[58:59], v[50:51], -v[58:59]
	v_add_f64 v[50:51], v[50:51], -v[64:65]
	v_add_f64 v[50:51], v[52:53], v[50:51]
	v_add_f64 v[58:59], v[52:53], v[58:59]
	;; [unrolled: 1-line block ×3, first 2 shown]
	v_rcp_f64_e32 v[64:65], v[52:53]
	v_add_f64 v[60:61], v[56:57], v[58:59]
	v_add_f64 v[56:57], v[60:61], -v[56:57]
	v_add_f64 v[56:57], v[58:59], -v[56:57]
	v_add_f64 v[58:59], v[52:53], -v[62:63]
	v_add_f64 v[50:51], v[50:51], -v[58:59]
	v_fma_f64 v[58:59], -v[52:53], v[64:65], 1.0
	v_fmac_f64_e32 v[64:65], v[58:59], v[64:65]
	v_fma_f64 v[58:59], -v[52:53], v[64:65], 1.0
	v_fmac_f64_e32 v[64:65], v[58:59], v[64:65]
	v_mul_f64 v[58:59], v[60:61], v[64:65]
	v_mul_f64 v[62:63], v[52:53], v[58:59]
	v_fma_f64 v[66:67], v[58:59], v[52:53], -v[62:63]
	v_fmac_f64_e32 v[66:67], v[58:59], v[50:51]
	v_add_f64 v[68:69], v[62:63], v[66:67]
	v_add_f64 v[70:71], v[60:61], -v[68:69]
	v_add_f64 v[60:61], v[60:61], -v[70:71]
	;; [unrolled: 1-line block ×4, first 2 shown]
	v_add_f64 v[56:57], v[56:57], v[60:61]
	v_add_f64 v[60:61], v[62:63], -v[66:67]
	v_add_f64 v[56:57], v[60:61], v[56:57]
	v_add_f64 v[60:61], v[70:71], v[56:57]
	v_add_f64 v[62:63], v[70:71], -v[60:61]
	v_add_f64 v[56:57], v[56:57], v[62:63]
	v_mul_f64 v[62:63], v[64:65], v[60:61]
	v_mul_f64 v[66:67], v[52:53], v[62:63]
	v_fma_f64 v[52:53], v[62:63], v[52:53], -v[66:67]
	v_fmac_f64_e32 v[52:53], v[62:63], v[50:51]
	v_add_f64 v[50:51], v[66:67], v[52:53]
	v_add_f64 v[68:69], v[60:61], -v[50:51]
	v_add_f64 v[60:61], v[60:61], -v[68:69]
	;; [unrolled: 1-line block ×4, first 2 shown]
	v_add_f64 v[50:51], v[56:57], v[50:51]
	v_add_f64 v[52:53], v[66:67], -v[52:53]
	v_add_f64 v[50:51], v[52:53], v[50:51]
	v_add_f64 v[52:53], v[58:59], v[62:63]
	;; [unrolled: 1-line block ×3, first 2 shown]
	v_add_f64 v[56:57], v[52:53], -v[58:59]
	v_mul_f64 v[50:51], v[64:65], v[50:51]
	v_add_f64 v[56:57], v[62:63], -v[56:57]
	v_add_f64 v[50:51], v[56:57], v[50:51]
	v_add_f64 v[56:57], v[52:53], v[50:51]
	v_add_f64 v[52:53], v[56:57], -v[52:53]
	s_mov_b32 s42, 0xbf559e2b
	v_add_f64 v[50:51], v[50:51], -v[52:53]
	v_mul_f64 v[52:53], v[56:57], v[56:57]
	v_mov_b32_e32 v58, 0x6b47b09a
	v_mov_b32_e32 v59, 0x3fc38538
	s_mov_b32 s43, 0x3fc3ab76
	v_fmac_f64_e32 v[58:59], s[42:43], v[52:53]
	v_mov_b32_e32 v60, 0xd7f4df2e
	v_mov_b32_e32 v61, 0x3fc7474d
	v_fmac_f64_e32 v[60:61], v[52:53], v[58:59]
	v_mov_b32_e32 v58, 0x16291751
	v_mov_b32_e32 v59, 0x3fcc71c0
	;; [unrolled: 3-line block ×5, first 2 shown]
	v_fmac_f64_e32 v[60:61], v[52:53], v[58:59]
	v_cvt_f64_i32_e32 v[58:59], v1
	s_mov_b32 s49, 0x3fe62e42
	v_mul_f64 v[62:63], v[58:59], s[48:49]
	v_fma_f64 v[64:65], v[58:59], s[48:49], -v[62:63]
	s_mov_b32 s51, 0x3c7abc9e
	v_fmac_f64_e32 v[64:65], s[50:51], v[58:59]
	v_add_f64 v[58:59], v[62:63], v[64:65]
	v_add_f64 v[62:63], v[58:59], -v[62:63]
	v_mul_f64 v[52:53], v[56:57], v[52:53]
	v_add_f64 v[62:63], v[64:65], -v[62:63]
	v_ldexp_f64 v[64:65], v[56:57], 1
	v_mul_f64 v[52:53], v[52:53], v[60:61]
	v_add_f64 v[56:57], v[64:65], v[52:53]
	v_add_f64 v[60:61], v[56:57], -v[64:65]
	v_ldexp_f64 v[50:51], v[50:51], 1
	v_add_f64 v[52:53], v[52:53], -v[60:61]
	v_add_f64 v[50:51], v[50:51], v[52:53]
	v_add_f64 v[52:53], v[56:57], v[50:51]
	v_add_f64 v[56:57], v[52:53], -v[56:57]
	v_add_f64 v[50:51], v[50:51], -v[56:57]
	v_add_f64 v[56:57], v[58:59], v[52:53]
	v_add_f64 v[60:61], v[56:57], -v[58:59]
	v_add_f64 v[64:65], v[56:57], -v[60:61]
	;; [unrolled: 1-line block ×4, first 2 shown]
	v_add_f64 v[52:53], v[52:53], v[58:59]
	v_add_f64 v[58:59], v[62:63], v[50:51]
	v_add_f64 v[60:61], v[58:59], -v[62:63]
	v_add_f64 v[52:53], v[58:59], v[52:53]
	v_add_f64 v[64:65], v[58:59], -v[60:61]
	;; [unrolled: 2-line block ×3, first 2 shown]
	v_add_f64 v[50:51], v[50:51], -v[60:61]
	v_add_f64 v[56:57], v[58:59], -v[56:57]
	v_add_f64 v[50:51], v[50:51], v[62:63]
	v_add_f64 v[52:53], v[52:53], -v[56:57]
	s_mov_b32 s42, 0
	v_add_f64 v[50:51], v[50:51], v[52:53]
	s_mov_b32 s43, 0x7ff00000
	v_add_f64 v[50:51], v[58:59], v[50:51]
	v_cmp_eq_f64_e64 s[42:43], s[42:43], v[46:47]
	v_cndmask_b32_e64 v1, v50, v46, s[42:43]
	v_cndmask_b32_e64 v50, v51, v47, s[42:43]
	v_mov_b32_e32 v51, 0x7ff80000
	v_cmp_ngt_f64_e64 s[42:43], -1.0, v[46:47]
	v_cndmask_b32_e64 v51, v51, v50, s[42:43]
	v_cmp_nge_f64_e64 s[42:43], -1.0, v[46:47]
	v_cndmask_b32_e64 v50, 0, v1, s[42:43]
	v_mov_b32_e32 v1, 0xfff00000
	v_cmp_neq_f64_e64 s[42:43], -1.0, v[46:47]
	v_cndmask_b32_e64 v51, v1, v51, s[42:43]
	v_add_f64 v[46:47], v[48:49], v[50:51]
.LBB20_38:
	s_or_b64 exec, exec, s[46:47]
	s_load_dwordx2 s[44:45], s[4:5], 0x20
	v_mbcnt_lo_u32_b32 v1, -1, 0
	v_mbcnt_hi_u32_b32 v1, -1, v1
	v_and_b32_e32 v52, 15, v1
	v_mov_b32_dpp v48, v46 row_shr:1 row_mask:0xf bank_mask:0xf
	v_mov_b32_dpp v49, v47 row_shr:1 row_mask:0xf bank_mask:0xf
	v_cmp_ne_u32_e64 s[4:5], 0, v52
	v_mov_b32_e32 v50, v46
	v_mov_b32_e32 v51, v47
	s_and_saveexec_b64 s[46:47], s[4:5]
	s_cbranch_execz .LBB20_42
; %bb.39:
	v_max_f64 v[56:57], v[48:49], v[48:49]
	v_max_f64 v[58:59], v[46:47], v[46:47]
	v_min_f64 v[50:51], v[56:57], v[58:59]
	v_cmp_u_f64_e64 s[4:5], v[48:49], v[48:49]
	v_max_f64 v[56:57], v[56:57], v[58:59]
	v_cndmask_b32_e64 v50, v50, v48, s[4:5]
	v_cndmask_b32_e64 v51, v51, v49, s[4:5]
	v_cmp_u_f64_e64 s[42:43], v[46:47], v[46:47]
	v_cndmask_b32_e64 v53, v56, v48, s[4:5]
	v_cndmask_b32_e64 v55, v57, v49, s[4:5]
	;; [unrolled: 1-line block ×6, first 2 shown]
	v_cmp_neq_f64_e64 s[4:5], v[50:51], v[46:47]
	v_cmp_class_f64_e64 s[42:43], v[50:51], s33
	s_or_b64 s[4:5], s[4:5], s[42:43]
	s_and_saveexec_b64 s[48:49], s[4:5]
	s_cbranch_execz .LBB20_41
; %bb.40:
	s_mov_b32 s4, 0x652b82fe
	v_add_f64 v[48:49], v[50:51], -v[46:47]
	s_mov_b32 s5, 0x3ff71547
	v_mul_f64 v[50:51], v[48:49], s[4:5]
	v_rndne_f64_e32 v[50:51], v[50:51]
	s_mov_b32 s51, 0xbfe62e42
	s_mov_b32 s50, 0xfefa39ef
	v_fma_f64 v[56:57], s[50:51], v[50:51], v[48:49]
	s_mov_b32 s53, 0xbc7abc9e
	s_mov_b32 s52, 0x3b39803f
	;; [unrolled: 1-line block ×3, first 2 shown]
	v_fmac_f64_e32 v[56:57], s[52:53], v[50:51]
	v_mov_b32_e32 v58, 0xfca7ab0c
	v_mov_b32_e32 v59, 0x3e928af3
	s_mov_b32 s5, 0x3e5ade15
	v_fmac_f64_e32 v[58:59], s[4:5], v[56:57]
	v_mov_b32_e32 v60, 0x623fde64
	v_mov_b32_e32 v61, 0x3ec71dee
	v_fmac_f64_e32 v[60:61], v[56:57], v[58:59]
	v_mov_b32_e32 v58, 0x7c89e6b0
	v_mov_b32_e32 v59, 0x3efa0199
	;; [unrolled: 3-line block ×8, first 2 shown]
	v_fmac_f64_e32 v[58:59], v[56:57], v[60:61]
	v_fma_f64 v[58:59], v[56:57], v[58:59], 1.0
	s_mov_b32 s4, 0
	s_mov_b32 s42, 0
	v_fma_f64 v[56:57], v[56:57], v[58:59], 1.0
	v_cvt_i32_f64_e32 v50, v[50:51]
	s_mov_b32 s5, 0x40900000
	s_mov_b32 s43, 0xc090cc00
	v_ldexp_f64 v[50:51], v[56:57], v50
	v_mov_b32_e32 v53, 0x7ff00000
	v_cmp_nlt_f64_e64 s[4:5], s[4:5], v[48:49]
	v_cmp_ngt_f64_e64 s[42:43], s[42:43], v[48:49]
	v_cndmask_b32_e64 v51, v53, v51, s[4:5]
	s_and_b64 s[4:5], s[42:43], s[4:5]
	v_cndmask_b32_e64 v49, 0, v51, s[42:43]
	v_cndmask_b32_e64 v48, 0, v50, s[4:5]
	v_add_f64 v[50:51], v[48:49], 1.0
	v_add_f64 v[56:57], v[50:51], -1.0
	v_add_f64 v[58:59], v[56:57], -v[50:51]
	v_add_f64 v[58:59], v[58:59], 1.0
	v_add_f64 v[56:57], v[48:49], -v[56:57]
	s_mov_b32 s4, 0x55555555
	v_add_f64 v[56:57], v[56:57], v[58:59]
	v_frexp_mant_f64_e32 v[58:59], v[50:51]
	s_mov_b32 s5, 0x3fe55555
	v_frexp_exp_i32_f64_e32 v53, v[50:51]
	v_cmp_gt_f64_e64 s[4:5], s[4:5], v[58:59]
	v_subbrev_co_u32_e64 v53, s[4:5], 0, v53, s[4:5]
	v_sub_u32_e32 v55, 0, v53
	v_ldexp_f64 v[50:51], v[50:51], v55
	v_add_f64 v[58:59], v[50:51], -1.0
	v_add_f64 v[64:65], v[50:51], 1.0
	v_add_f64 v[60:61], v[58:59], 1.0
	v_add_f64 v[66:67], v[64:65], -1.0
	v_ldexp_f64 v[56:57], v[56:57], v55
	v_add_f64 v[60:61], v[50:51], -v[60:61]
	v_add_f64 v[50:51], v[50:51], -v[66:67]
	v_add_f64 v[50:51], v[56:57], v[50:51]
	v_add_f64 v[60:61], v[56:57], v[60:61]
	;; [unrolled: 1-line block ×3, first 2 shown]
	v_rcp_f64_e32 v[66:67], v[56:57]
	v_add_f64 v[62:63], v[58:59], v[60:61]
	v_add_f64 v[58:59], v[62:63], -v[58:59]
	v_add_f64 v[58:59], v[60:61], -v[58:59]
	;; [unrolled: 1-line block ×4, first 2 shown]
	v_fma_f64 v[60:61], -v[56:57], v[66:67], 1.0
	v_fmac_f64_e32 v[66:67], v[60:61], v[66:67]
	v_fma_f64 v[60:61], -v[56:57], v[66:67], 1.0
	v_fmac_f64_e32 v[66:67], v[60:61], v[66:67]
	v_mul_f64 v[60:61], v[62:63], v[66:67]
	v_mul_f64 v[64:65], v[56:57], v[60:61]
	v_fma_f64 v[68:69], v[60:61], v[56:57], -v[64:65]
	v_fmac_f64_e32 v[68:69], v[60:61], v[50:51]
	v_add_f64 v[70:71], v[64:65], v[68:69]
	v_add_f64 v[72:73], v[62:63], -v[70:71]
	v_add_f64 v[62:63], v[62:63], -v[72:73]
	;; [unrolled: 1-line block ×4, first 2 shown]
	v_add_f64 v[58:59], v[58:59], v[62:63]
	v_add_f64 v[62:63], v[64:65], -v[68:69]
	v_add_f64 v[58:59], v[62:63], v[58:59]
	v_add_f64 v[62:63], v[72:73], v[58:59]
	v_add_f64 v[64:65], v[72:73], -v[62:63]
	v_add_f64 v[58:59], v[58:59], v[64:65]
	v_mul_f64 v[64:65], v[66:67], v[62:63]
	v_mul_f64 v[68:69], v[56:57], v[64:65]
	v_fma_f64 v[56:57], v[64:65], v[56:57], -v[68:69]
	v_fmac_f64_e32 v[56:57], v[64:65], v[50:51]
	v_add_f64 v[50:51], v[68:69], v[56:57]
	v_add_f64 v[70:71], v[62:63], -v[50:51]
	v_add_f64 v[62:63], v[62:63], -v[70:71]
	;; [unrolled: 1-line block ×4, first 2 shown]
	v_add_f64 v[50:51], v[58:59], v[50:51]
	v_add_f64 v[56:57], v[68:69], -v[56:57]
	v_add_f64 v[50:51], v[56:57], v[50:51]
	v_add_f64 v[56:57], v[60:61], v[64:65]
	;; [unrolled: 1-line block ×3, first 2 shown]
	v_add_f64 v[58:59], v[56:57], -v[60:61]
	v_mul_f64 v[50:51], v[66:67], v[50:51]
	v_add_f64 v[58:59], v[64:65], -v[58:59]
	v_add_f64 v[50:51], v[58:59], v[50:51]
	v_add_f64 v[58:59], v[56:57], v[50:51]
	v_add_f64 v[56:57], v[58:59], -v[56:57]
	s_mov_b32 s4, 0xbf559e2b
	v_add_f64 v[50:51], v[50:51], -v[56:57]
	v_mul_f64 v[56:57], v[58:59], v[58:59]
	v_mov_b32_e32 v60, 0x6b47b09a
	v_mov_b32_e32 v61, 0x3fc38538
	s_mov_b32 s5, 0x3fc3ab76
	v_fmac_f64_e32 v[60:61], s[4:5], v[56:57]
	v_mov_b32_e32 v62, 0xd7f4df2e
	v_mov_b32_e32 v63, 0x3fc7474d
	v_fmac_f64_e32 v[62:63], v[56:57], v[60:61]
	v_mov_b32_e32 v60, 0x16291751
	v_mov_b32_e32 v61, 0x3fcc71c0
	;; [unrolled: 3-line block ×5, first 2 shown]
	v_fmac_f64_e32 v[62:63], v[56:57], v[60:61]
	v_cvt_f64_i32_e32 v[60:61], v53
	s_mov_b32 s51, 0x3fe62e42
	v_mul_f64 v[64:65], v[60:61], s[50:51]
	v_fma_f64 v[66:67], v[60:61], s[50:51], -v[64:65]
	s_mov_b32 s53, 0x3c7abc9e
	v_fmac_f64_e32 v[66:67], s[52:53], v[60:61]
	v_add_f64 v[60:61], v[64:65], v[66:67]
	v_add_f64 v[64:65], v[60:61], -v[64:65]
	v_mul_f64 v[56:57], v[58:59], v[56:57]
	v_add_f64 v[64:65], v[66:67], -v[64:65]
	v_ldexp_f64 v[66:67], v[58:59], 1
	v_mul_f64 v[56:57], v[56:57], v[62:63]
	v_add_f64 v[58:59], v[66:67], v[56:57]
	v_add_f64 v[62:63], v[58:59], -v[66:67]
	v_ldexp_f64 v[50:51], v[50:51], 1
	v_add_f64 v[56:57], v[56:57], -v[62:63]
	v_add_f64 v[50:51], v[50:51], v[56:57]
	v_add_f64 v[56:57], v[58:59], v[50:51]
	v_add_f64 v[58:59], v[56:57], -v[58:59]
	v_add_f64 v[50:51], v[50:51], -v[58:59]
	v_add_f64 v[58:59], v[60:61], v[56:57]
	v_add_f64 v[62:63], v[58:59], -v[60:61]
	v_add_f64 v[66:67], v[58:59], -v[62:63]
	;; [unrolled: 1-line block ×4, first 2 shown]
	v_add_f64 v[56:57], v[56:57], v[60:61]
	v_add_f64 v[60:61], v[64:65], v[50:51]
	v_add_f64 v[62:63], v[60:61], -v[64:65]
	v_add_f64 v[56:57], v[60:61], v[56:57]
	v_add_f64 v[66:67], v[60:61], -v[62:63]
	;; [unrolled: 2-line block ×3, first 2 shown]
	v_add_f64 v[50:51], v[50:51], -v[62:63]
	v_add_f64 v[58:59], v[60:61], -v[58:59]
	v_add_f64 v[50:51], v[50:51], v[64:65]
	v_add_f64 v[56:57], v[56:57], -v[58:59]
	s_mov_b32 s4, 0
	v_add_f64 v[50:51], v[50:51], v[56:57]
	s_mov_b32 s5, 0x7ff00000
	v_add_f64 v[50:51], v[60:61], v[50:51]
	v_cmp_eq_f64_e64 s[4:5], s[4:5], v[48:49]
	v_cndmask_b32_e64 v50, v50, v48, s[4:5]
	v_cndmask_b32_e64 v51, v51, v49, s[4:5]
	v_mov_b32_e32 v53, 0x7ff80000
	v_cmp_ngt_f64_e64 s[4:5], -1.0, v[48:49]
	v_cndmask_b32_e64 v51, v53, v51, s[4:5]
	v_cmp_nge_f64_e64 s[4:5], -1.0, v[48:49]
	v_cndmask_b32_e64 v50, 0, v50, s[4:5]
	v_mov_b32_e32 v53, 0xfff00000
	v_cmp_neq_f64_e64 s[4:5], -1.0, v[48:49]
	v_cndmask_b32_e64 v51, v53, v51, s[4:5]
	v_add_f64 v[48:49], v[46:47], v[50:51]
.LBB20_41:
	s_or_b64 exec, exec, s[48:49]
	v_mov_b32_e32 v50, v48
	v_mov_b32_e32 v51, v49
	v_pk_mov_b32 v[46:47], v[48:49], v[48:49] op_sel:[0,1]
.LBB20_42:
	s_or_b64 exec, exec, s[46:47]
	v_mul_u32_u24_e32 v55, 0x48, v0
	v_mov_b32_dpp v48, v50 row_shr:2 row_mask:0xf bank_mask:0xf
	v_mov_b32_dpp v49, v51 row_shr:2 row_mask:0xf bank_mask:0xf
	v_cmp_lt_u32_e64 s[4:5], 1, v52
	s_and_saveexec_b64 s[46:47], s[4:5]
	s_cbranch_execz .LBB20_46
; %bb.43:
	v_max_f64 v[56:57], v[48:49], v[48:49]
	v_max_f64 v[58:59], v[46:47], v[46:47]
	v_min_f64 v[50:51], v[56:57], v[58:59]
	v_cmp_u_f64_e64 s[4:5], v[48:49], v[48:49]
	v_max_f64 v[56:57], v[56:57], v[58:59]
	v_cndmask_b32_e64 v50, v50, v48, s[4:5]
	v_cndmask_b32_e64 v51, v51, v49, s[4:5]
	v_cmp_u_f64_e64 s[42:43], v[46:47], v[46:47]
	v_cndmask_b32_e64 v53, v56, v48, s[4:5]
	v_cndmask_b32_e64 v56, v57, v49, s[4:5]
	;; [unrolled: 1-line block ×6, first 2 shown]
	v_cmp_neq_f64_e64 s[4:5], v[50:51], v[46:47]
	v_cmp_class_f64_e64 s[42:43], v[50:51], s33
	s_or_b64 s[4:5], s[4:5], s[42:43]
	s_and_saveexec_b64 s[48:49], s[4:5]
	s_cbranch_execz .LBB20_45
; %bb.44:
	s_mov_b32 s4, 0x652b82fe
	v_add_f64 v[48:49], v[50:51], -v[46:47]
	s_mov_b32 s5, 0x3ff71547
	v_mul_f64 v[50:51], v[48:49], s[4:5]
	v_rndne_f64_e32 v[50:51], v[50:51]
	s_mov_b32 s51, 0xbfe62e42
	s_mov_b32 s50, 0xfefa39ef
	v_fma_f64 v[56:57], s[50:51], v[50:51], v[48:49]
	s_mov_b32 s53, 0xbc7abc9e
	s_mov_b32 s52, 0x3b39803f
	;; [unrolled: 1-line block ×3, first 2 shown]
	v_fmac_f64_e32 v[56:57], s[52:53], v[50:51]
	v_mov_b32_e32 v58, 0xfca7ab0c
	v_mov_b32_e32 v59, 0x3e928af3
	s_mov_b32 s5, 0x3e5ade15
	v_fmac_f64_e32 v[58:59], s[4:5], v[56:57]
	v_mov_b32_e32 v60, 0x623fde64
	v_mov_b32_e32 v61, 0x3ec71dee
	v_fmac_f64_e32 v[60:61], v[56:57], v[58:59]
	v_mov_b32_e32 v58, 0x7c89e6b0
	v_mov_b32_e32 v59, 0x3efa0199
	;; [unrolled: 3-line block ×8, first 2 shown]
	v_fmac_f64_e32 v[58:59], v[56:57], v[60:61]
	v_fma_f64 v[58:59], v[56:57], v[58:59], 1.0
	s_mov_b32 s4, 0
	s_mov_b32 s42, 0
	v_fma_f64 v[56:57], v[56:57], v[58:59], 1.0
	v_cvt_i32_f64_e32 v50, v[50:51]
	s_mov_b32 s5, 0x40900000
	s_mov_b32 s43, 0xc090cc00
	v_ldexp_f64 v[50:51], v[56:57], v50
	v_mov_b32_e32 v53, 0x7ff00000
	v_cmp_nlt_f64_e64 s[4:5], s[4:5], v[48:49]
	v_cmp_ngt_f64_e64 s[42:43], s[42:43], v[48:49]
	v_cndmask_b32_e64 v51, v53, v51, s[4:5]
	s_and_b64 s[4:5], s[42:43], s[4:5]
	v_cndmask_b32_e64 v49, 0, v51, s[42:43]
	v_cndmask_b32_e64 v48, 0, v50, s[4:5]
	v_add_f64 v[50:51], v[48:49], 1.0
	v_add_f64 v[56:57], v[50:51], -1.0
	v_add_f64 v[58:59], v[56:57], -v[50:51]
	v_add_f64 v[58:59], v[58:59], 1.0
	v_add_f64 v[56:57], v[48:49], -v[56:57]
	s_mov_b32 s4, 0x55555555
	v_add_f64 v[56:57], v[56:57], v[58:59]
	v_frexp_mant_f64_e32 v[58:59], v[50:51]
	s_mov_b32 s5, 0x3fe55555
	v_frexp_exp_i32_f64_e32 v53, v[50:51]
	v_cmp_gt_f64_e64 s[4:5], s[4:5], v[58:59]
	v_subbrev_co_u32_e64 v53, s[4:5], 0, v53, s[4:5]
	v_sub_u32_e32 v58, 0, v53
	v_ldexp_f64 v[50:51], v[50:51], v58
	v_ldexp_f64 v[56:57], v[56:57], v58
	v_add_f64 v[58:59], v[50:51], -1.0
	v_add_f64 v[64:65], v[50:51], 1.0
	v_add_f64 v[60:61], v[58:59], 1.0
	v_add_f64 v[66:67], v[64:65], -1.0
	v_add_f64 v[60:61], v[50:51], -v[60:61]
	v_add_f64 v[50:51], v[50:51], -v[66:67]
	v_add_f64 v[50:51], v[56:57], v[50:51]
	v_add_f64 v[60:61], v[56:57], v[60:61]
	;; [unrolled: 1-line block ×3, first 2 shown]
	v_rcp_f64_e32 v[66:67], v[56:57]
	v_add_f64 v[62:63], v[58:59], v[60:61]
	v_add_f64 v[58:59], v[62:63], -v[58:59]
	v_add_f64 v[58:59], v[60:61], -v[58:59]
	;; [unrolled: 1-line block ×4, first 2 shown]
	v_fma_f64 v[60:61], -v[56:57], v[66:67], 1.0
	v_fmac_f64_e32 v[66:67], v[60:61], v[66:67]
	v_fma_f64 v[60:61], -v[56:57], v[66:67], 1.0
	v_fmac_f64_e32 v[66:67], v[60:61], v[66:67]
	v_mul_f64 v[60:61], v[62:63], v[66:67]
	v_mul_f64 v[64:65], v[56:57], v[60:61]
	v_fma_f64 v[68:69], v[60:61], v[56:57], -v[64:65]
	v_fmac_f64_e32 v[68:69], v[60:61], v[50:51]
	v_add_f64 v[70:71], v[64:65], v[68:69]
	v_add_f64 v[72:73], v[62:63], -v[70:71]
	v_add_f64 v[62:63], v[62:63], -v[72:73]
	;; [unrolled: 1-line block ×4, first 2 shown]
	v_add_f64 v[58:59], v[58:59], v[62:63]
	v_add_f64 v[62:63], v[64:65], -v[68:69]
	v_add_f64 v[58:59], v[62:63], v[58:59]
	v_add_f64 v[62:63], v[72:73], v[58:59]
	v_add_f64 v[64:65], v[72:73], -v[62:63]
	v_add_f64 v[58:59], v[58:59], v[64:65]
	v_mul_f64 v[64:65], v[66:67], v[62:63]
	v_mul_f64 v[68:69], v[56:57], v[64:65]
	v_fma_f64 v[56:57], v[64:65], v[56:57], -v[68:69]
	v_fmac_f64_e32 v[56:57], v[64:65], v[50:51]
	v_add_f64 v[50:51], v[68:69], v[56:57]
	v_add_f64 v[70:71], v[62:63], -v[50:51]
	v_add_f64 v[62:63], v[62:63], -v[70:71]
	;; [unrolled: 1-line block ×4, first 2 shown]
	v_add_f64 v[50:51], v[58:59], v[50:51]
	v_add_f64 v[56:57], v[68:69], -v[56:57]
	v_add_f64 v[50:51], v[56:57], v[50:51]
	v_add_f64 v[56:57], v[60:61], v[64:65]
	;; [unrolled: 1-line block ×3, first 2 shown]
	v_add_f64 v[58:59], v[56:57], -v[60:61]
	v_mul_f64 v[50:51], v[66:67], v[50:51]
	v_add_f64 v[58:59], v[64:65], -v[58:59]
	v_add_f64 v[50:51], v[58:59], v[50:51]
	v_add_f64 v[58:59], v[56:57], v[50:51]
	v_add_f64 v[56:57], v[58:59], -v[56:57]
	s_mov_b32 s4, 0xbf559e2b
	v_add_f64 v[50:51], v[50:51], -v[56:57]
	v_mul_f64 v[56:57], v[58:59], v[58:59]
	v_mov_b32_e32 v60, 0x6b47b09a
	v_mov_b32_e32 v61, 0x3fc38538
	s_mov_b32 s5, 0x3fc3ab76
	v_fmac_f64_e32 v[60:61], s[4:5], v[56:57]
	v_mov_b32_e32 v62, 0xd7f4df2e
	v_mov_b32_e32 v63, 0x3fc7474d
	v_fmac_f64_e32 v[62:63], v[56:57], v[60:61]
	v_mov_b32_e32 v60, 0x16291751
	v_mov_b32_e32 v61, 0x3fcc71c0
	;; [unrolled: 3-line block ×5, first 2 shown]
	v_fmac_f64_e32 v[62:63], v[56:57], v[60:61]
	v_cvt_f64_i32_e32 v[60:61], v53
	s_mov_b32 s51, 0x3fe62e42
	v_mul_f64 v[64:65], v[60:61], s[50:51]
	v_fma_f64 v[66:67], v[60:61], s[50:51], -v[64:65]
	s_mov_b32 s53, 0x3c7abc9e
	v_fmac_f64_e32 v[66:67], s[52:53], v[60:61]
	v_add_f64 v[60:61], v[64:65], v[66:67]
	v_add_f64 v[64:65], v[60:61], -v[64:65]
	v_mul_f64 v[56:57], v[58:59], v[56:57]
	v_add_f64 v[64:65], v[66:67], -v[64:65]
	v_ldexp_f64 v[66:67], v[58:59], 1
	v_mul_f64 v[56:57], v[56:57], v[62:63]
	v_add_f64 v[58:59], v[66:67], v[56:57]
	v_add_f64 v[62:63], v[58:59], -v[66:67]
	v_ldexp_f64 v[50:51], v[50:51], 1
	v_add_f64 v[56:57], v[56:57], -v[62:63]
	v_add_f64 v[50:51], v[50:51], v[56:57]
	v_add_f64 v[56:57], v[58:59], v[50:51]
	v_add_f64 v[58:59], v[56:57], -v[58:59]
	v_add_f64 v[50:51], v[50:51], -v[58:59]
	v_add_f64 v[58:59], v[60:61], v[56:57]
	v_add_f64 v[62:63], v[58:59], -v[60:61]
	v_add_f64 v[66:67], v[58:59], -v[62:63]
	;; [unrolled: 1-line block ×4, first 2 shown]
	v_add_f64 v[56:57], v[56:57], v[60:61]
	v_add_f64 v[60:61], v[64:65], v[50:51]
	v_add_f64 v[62:63], v[60:61], -v[64:65]
	v_add_f64 v[56:57], v[60:61], v[56:57]
	v_add_f64 v[66:67], v[60:61], -v[62:63]
	;; [unrolled: 2-line block ×3, first 2 shown]
	v_add_f64 v[50:51], v[50:51], -v[62:63]
	v_add_f64 v[58:59], v[60:61], -v[58:59]
	v_add_f64 v[50:51], v[50:51], v[64:65]
	v_add_f64 v[56:57], v[56:57], -v[58:59]
	s_mov_b32 s4, 0
	v_add_f64 v[50:51], v[50:51], v[56:57]
	s_mov_b32 s5, 0x7ff00000
	v_add_f64 v[50:51], v[60:61], v[50:51]
	v_cmp_eq_f64_e64 s[4:5], s[4:5], v[48:49]
	v_cndmask_b32_e64 v50, v50, v48, s[4:5]
	v_cndmask_b32_e64 v51, v51, v49, s[4:5]
	v_mov_b32_e32 v53, 0x7ff80000
	v_cmp_ngt_f64_e64 s[4:5], -1.0, v[48:49]
	v_cndmask_b32_e64 v51, v53, v51, s[4:5]
	v_cmp_nge_f64_e64 s[4:5], -1.0, v[48:49]
	v_cndmask_b32_e64 v50, 0, v50, s[4:5]
	v_mov_b32_e32 v53, 0xfff00000
	v_cmp_neq_f64_e64 s[4:5], -1.0, v[48:49]
	v_cndmask_b32_e64 v51, v53, v51, s[4:5]
	v_add_f64 v[48:49], v[46:47], v[50:51]
.LBB20_45:
	s_or_b64 exec, exec, s[48:49]
	v_pk_mov_b32 v[46:47], v[48:49], v[48:49] op_sel:[0,1]
	v_mov_b32_e32 v50, v48
	v_mov_b32_e32 v51, v49
.LBB20_46:
	s_or_b64 exec, exec, s[46:47]
	v_mov_b32_dpp v48, v50 row_shr:4 row_mask:0xf bank_mask:0xf
	v_mov_b32_dpp v49, v51 row_shr:4 row_mask:0xf bank_mask:0xf
	v_cmp_lt_u32_e64 s[4:5], 3, v52
	s_and_saveexec_b64 s[46:47], s[4:5]
	s_cbranch_execz .LBB20_50
; %bb.47:
	v_max_f64 v[56:57], v[48:49], v[48:49]
	v_max_f64 v[58:59], v[46:47], v[46:47]
	v_min_f64 v[50:51], v[56:57], v[58:59]
	v_cmp_u_f64_e64 s[4:5], v[48:49], v[48:49]
	v_max_f64 v[56:57], v[56:57], v[58:59]
	v_cndmask_b32_e64 v50, v50, v48, s[4:5]
	v_cndmask_b32_e64 v51, v51, v49, s[4:5]
	v_cmp_u_f64_e64 s[42:43], v[46:47], v[46:47]
	v_cndmask_b32_e64 v53, v56, v48, s[4:5]
	v_cndmask_b32_e64 v56, v57, v49, s[4:5]
	;; [unrolled: 1-line block ×6, first 2 shown]
	v_cmp_neq_f64_e64 s[4:5], v[50:51], v[46:47]
	v_cmp_class_f64_e64 s[42:43], v[50:51], s33
	s_or_b64 s[4:5], s[4:5], s[42:43]
	s_and_saveexec_b64 s[48:49], s[4:5]
	s_cbranch_execz .LBB20_49
; %bb.48:
	s_mov_b32 s4, 0x652b82fe
	v_add_f64 v[48:49], v[50:51], -v[46:47]
	s_mov_b32 s5, 0x3ff71547
	v_mul_f64 v[50:51], v[48:49], s[4:5]
	v_rndne_f64_e32 v[50:51], v[50:51]
	s_mov_b32 s51, 0xbfe62e42
	s_mov_b32 s50, 0xfefa39ef
	v_fma_f64 v[56:57], s[50:51], v[50:51], v[48:49]
	s_mov_b32 s53, 0xbc7abc9e
	s_mov_b32 s52, 0x3b39803f
	;; [unrolled: 1-line block ×3, first 2 shown]
	v_fmac_f64_e32 v[56:57], s[52:53], v[50:51]
	v_mov_b32_e32 v58, 0xfca7ab0c
	v_mov_b32_e32 v59, 0x3e928af3
	s_mov_b32 s5, 0x3e5ade15
	v_fmac_f64_e32 v[58:59], s[4:5], v[56:57]
	v_mov_b32_e32 v60, 0x623fde64
	v_mov_b32_e32 v61, 0x3ec71dee
	v_fmac_f64_e32 v[60:61], v[56:57], v[58:59]
	v_mov_b32_e32 v58, 0x7c89e6b0
	v_mov_b32_e32 v59, 0x3efa0199
	;; [unrolled: 3-line block ×8, first 2 shown]
	v_fmac_f64_e32 v[58:59], v[56:57], v[60:61]
	v_fma_f64 v[58:59], v[56:57], v[58:59], 1.0
	s_mov_b32 s4, 0
	s_mov_b32 s42, 0
	v_fma_f64 v[56:57], v[56:57], v[58:59], 1.0
	v_cvt_i32_f64_e32 v50, v[50:51]
	s_mov_b32 s5, 0x40900000
	s_mov_b32 s43, 0xc090cc00
	v_ldexp_f64 v[50:51], v[56:57], v50
	v_mov_b32_e32 v53, 0x7ff00000
	v_cmp_nlt_f64_e64 s[4:5], s[4:5], v[48:49]
	v_cmp_ngt_f64_e64 s[42:43], s[42:43], v[48:49]
	v_cndmask_b32_e64 v51, v53, v51, s[4:5]
	s_and_b64 s[4:5], s[42:43], s[4:5]
	v_cndmask_b32_e64 v49, 0, v51, s[42:43]
	v_cndmask_b32_e64 v48, 0, v50, s[4:5]
	v_add_f64 v[50:51], v[48:49], 1.0
	v_add_f64 v[56:57], v[50:51], -1.0
	v_add_f64 v[58:59], v[56:57], -v[50:51]
	v_add_f64 v[58:59], v[58:59], 1.0
	v_add_f64 v[56:57], v[48:49], -v[56:57]
	s_mov_b32 s4, 0x55555555
	v_add_f64 v[56:57], v[56:57], v[58:59]
	v_frexp_mant_f64_e32 v[58:59], v[50:51]
	s_mov_b32 s5, 0x3fe55555
	v_frexp_exp_i32_f64_e32 v53, v[50:51]
	v_cmp_gt_f64_e64 s[4:5], s[4:5], v[58:59]
	v_subbrev_co_u32_e64 v53, s[4:5], 0, v53, s[4:5]
	v_sub_u32_e32 v58, 0, v53
	v_ldexp_f64 v[50:51], v[50:51], v58
	v_ldexp_f64 v[56:57], v[56:57], v58
	v_add_f64 v[58:59], v[50:51], -1.0
	v_add_f64 v[64:65], v[50:51], 1.0
	v_add_f64 v[60:61], v[58:59], 1.0
	v_add_f64 v[66:67], v[64:65], -1.0
	v_add_f64 v[60:61], v[50:51], -v[60:61]
	v_add_f64 v[50:51], v[50:51], -v[66:67]
	v_add_f64 v[50:51], v[56:57], v[50:51]
	v_add_f64 v[60:61], v[56:57], v[60:61]
	;; [unrolled: 1-line block ×3, first 2 shown]
	v_rcp_f64_e32 v[66:67], v[56:57]
	v_add_f64 v[62:63], v[58:59], v[60:61]
	v_add_f64 v[58:59], v[62:63], -v[58:59]
	v_add_f64 v[58:59], v[60:61], -v[58:59]
	;; [unrolled: 1-line block ×4, first 2 shown]
	v_fma_f64 v[60:61], -v[56:57], v[66:67], 1.0
	v_fmac_f64_e32 v[66:67], v[60:61], v[66:67]
	v_fma_f64 v[60:61], -v[56:57], v[66:67], 1.0
	v_fmac_f64_e32 v[66:67], v[60:61], v[66:67]
	v_mul_f64 v[60:61], v[62:63], v[66:67]
	v_mul_f64 v[64:65], v[56:57], v[60:61]
	v_fma_f64 v[68:69], v[60:61], v[56:57], -v[64:65]
	v_fmac_f64_e32 v[68:69], v[60:61], v[50:51]
	v_add_f64 v[70:71], v[64:65], v[68:69]
	v_add_f64 v[72:73], v[62:63], -v[70:71]
	v_add_f64 v[62:63], v[62:63], -v[72:73]
	;; [unrolled: 1-line block ×4, first 2 shown]
	v_add_f64 v[58:59], v[58:59], v[62:63]
	v_add_f64 v[62:63], v[64:65], -v[68:69]
	v_add_f64 v[58:59], v[62:63], v[58:59]
	v_add_f64 v[62:63], v[72:73], v[58:59]
	v_add_f64 v[64:65], v[72:73], -v[62:63]
	v_add_f64 v[58:59], v[58:59], v[64:65]
	v_mul_f64 v[64:65], v[66:67], v[62:63]
	v_mul_f64 v[68:69], v[56:57], v[64:65]
	v_fma_f64 v[56:57], v[64:65], v[56:57], -v[68:69]
	v_fmac_f64_e32 v[56:57], v[64:65], v[50:51]
	v_add_f64 v[50:51], v[68:69], v[56:57]
	v_add_f64 v[70:71], v[62:63], -v[50:51]
	v_add_f64 v[62:63], v[62:63], -v[70:71]
	;; [unrolled: 1-line block ×4, first 2 shown]
	v_add_f64 v[50:51], v[58:59], v[50:51]
	v_add_f64 v[56:57], v[68:69], -v[56:57]
	v_add_f64 v[50:51], v[56:57], v[50:51]
	v_add_f64 v[56:57], v[60:61], v[64:65]
	;; [unrolled: 1-line block ×3, first 2 shown]
	v_add_f64 v[58:59], v[56:57], -v[60:61]
	v_mul_f64 v[50:51], v[66:67], v[50:51]
	v_add_f64 v[58:59], v[64:65], -v[58:59]
	v_add_f64 v[50:51], v[58:59], v[50:51]
	v_add_f64 v[58:59], v[56:57], v[50:51]
	v_add_f64 v[56:57], v[58:59], -v[56:57]
	s_mov_b32 s4, 0xbf559e2b
	v_add_f64 v[50:51], v[50:51], -v[56:57]
	v_mul_f64 v[56:57], v[58:59], v[58:59]
	v_mov_b32_e32 v60, 0x6b47b09a
	v_mov_b32_e32 v61, 0x3fc38538
	s_mov_b32 s5, 0x3fc3ab76
	v_fmac_f64_e32 v[60:61], s[4:5], v[56:57]
	v_mov_b32_e32 v62, 0xd7f4df2e
	v_mov_b32_e32 v63, 0x3fc7474d
	v_fmac_f64_e32 v[62:63], v[56:57], v[60:61]
	v_mov_b32_e32 v60, 0x16291751
	v_mov_b32_e32 v61, 0x3fcc71c0
	;; [unrolled: 3-line block ×5, first 2 shown]
	v_fmac_f64_e32 v[62:63], v[56:57], v[60:61]
	v_cvt_f64_i32_e32 v[60:61], v53
	s_mov_b32 s51, 0x3fe62e42
	v_mul_f64 v[64:65], v[60:61], s[50:51]
	v_fma_f64 v[66:67], v[60:61], s[50:51], -v[64:65]
	s_mov_b32 s53, 0x3c7abc9e
	v_fmac_f64_e32 v[66:67], s[52:53], v[60:61]
	v_add_f64 v[60:61], v[64:65], v[66:67]
	v_add_f64 v[64:65], v[60:61], -v[64:65]
	v_mul_f64 v[56:57], v[58:59], v[56:57]
	v_add_f64 v[64:65], v[66:67], -v[64:65]
	v_ldexp_f64 v[66:67], v[58:59], 1
	v_mul_f64 v[56:57], v[56:57], v[62:63]
	v_add_f64 v[58:59], v[66:67], v[56:57]
	v_add_f64 v[62:63], v[58:59], -v[66:67]
	v_ldexp_f64 v[50:51], v[50:51], 1
	v_add_f64 v[56:57], v[56:57], -v[62:63]
	v_add_f64 v[50:51], v[50:51], v[56:57]
	v_add_f64 v[56:57], v[58:59], v[50:51]
	v_add_f64 v[58:59], v[56:57], -v[58:59]
	v_add_f64 v[50:51], v[50:51], -v[58:59]
	v_add_f64 v[58:59], v[60:61], v[56:57]
	v_add_f64 v[62:63], v[58:59], -v[60:61]
	v_add_f64 v[66:67], v[58:59], -v[62:63]
	;; [unrolled: 1-line block ×4, first 2 shown]
	v_add_f64 v[56:57], v[56:57], v[60:61]
	v_add_f64 v[60:61], v[64:65], v[50:51]
	v_add_f64 v[62:63], v[60:61], -v[64:65]
	v_add_f64 v[56:57], v[60:61], v[56:57]
	v_add_f64 v[66:67], v[60:61], -v[62:63]
	;; [unrolled: 2-line block ×3, first 2 shown]
	v_add_f64 v[50:51], v[50:51], -v[62:63]
	v_add_f64 v[58:59], v[60:61], -v[58:59]
	v_add_f64 v[50:51], v[50:51], v[64:65]
	v_add_f64 v[56:57], v[56:57], -v[58:59]
	s_mov_b32 s4, 0
	v_add_f64 v[50:51], v[50:51], v[56:57]
	s_mov_b32 s5, 0x7ff00000
	v_add_f64 v[50:51], v[60:61], v[50:51]
	v_cmp_eq_f64_e64 s[4:5], s[4:5], v[48:49]
	v_cndmask_b32_e64 v50, v50, v48, s[4:5]
	v_cndmask_b32_e64 v51, v51, v49, s[4:5]
	v_mov_b32_e32 v53, 0x7ff80000
	v_cmp_ngt_f64_e64 s[4:5], -1.0, v[48:49]
	v_cndmask_b32_e64 v51, v53, v51, s[4:5]
	v_cmp_nge_f64_e64 s[4:5], -1.0, v[48:49]
	v_cndmask_b32_e64 v50, 0, v50, s[4:5]
	v_mov_b32_e32 v53, 0xfff00000
	v_cmp_neq_f64_e64 s[4:5], -1.0, v[48:49]
	v_cndmask_b32_e64 v51, v53, v51, s[4:5]
	v_add_f64 v[48:49], v[46:47], v[50:51]
.LBB20_49:
	s_or_b64 exec, exec, s[48:49]
	v_pk_mov_b32 v[46:47], v[48:49], v[48:49] op_sel:[0,1]
	v_mov_b32_e32 v50, v48
	v_mov_b32_e32 v51, v49
.LBB20_50:
	s_or_b64 exec, exec, s[46:47]
	v_mov_b32_dpp v48, v50 row_shr:8 row_mask:0xf bank_mask:0xf
	v_mov_b32_dpp v49, v51 row_shr:8 row_mask:0xf bank_mask:0xf
	v_cmp_lt_u32_e64 s[4:5], 7, v52
	s_and_saveexec_b64 s[46:47], s[4:5]
	s_cbranch_execz .LBB20_54
; %bb.51:
	v_max_f64 v[52:53], v[48:49], v[48:49]
	v_max_f64 v[56:57], v[46:47], v[46:47]
	v_min_f64 v[50:51], v[52:53], v[56:57]
	v_cmp_u_f64_e64 s[4:5], v[48:49], v[48:49]
	v_max_f64 v[52:53], v[52:53], v[56:57]
	v_cndmask_b32_e64 v50, v50, v48, s[4:5]
	v_cndmask_b32_e64 v51, v51, v49, s[4:5]
	v_cmp_u_f64_e64 s[42:43], v[46:47], v[46:47]
	v_cndmask_b32_e64 v52, v52, v48, s[4:5]
	v_cndmask_b32_e64 v53, v53, v49, s[4:5]
	;; [unrolled: 1-line block ×6, first 2 shown]
	v_cmp_neq_f64_e64 s[4:5], v[50:51], v[46:47]
	v_cmp_class_f64_e64 s[42:43], v[50:51], s33
	s_or_b64 s[4:5], s[4:5], s[42:43]
	s_and_saveexec_b64 s[48:49], s[4:5]
	s_cbranch_execz .LBB20_53
; %bb.52:
	s_mov_b32 s4, 0x652b82fe
	v_add_f64 v[48:49], v[50:51], -v[46:47]
	s_mov_b32 s5, 0x3ff71547
	v_mul_f64 v[50:51], v[48:49], s[4:5]
	v_rndne_f64_e32 v[50:51], v[50:51]
	s_mov_b32 s51, 0xbfe62e42
	s_mov_b32 s50, 0xfefa39ef
	v_fma_f64 v[52:53], s[50:51], v[50:51], v[48:49]
	s_mov_b32 s53, 0xbc7abc9e
	s_mov_b32 s52, 0x3b39803f
	;; [unrolled: 1-line block ×3, first 2 shown]
	v_fmac_f64_e32 v[52:53], s[52:53], v[50:51]
	v_mov_b32_e32 v56, 0xfca7ab0c
	v_mov_b32_e32 v57, 0x3e928af3
	s_mov_b32 s5, 0x3e5ade15
	v_fmac_f64_e32 v[56:57], s[4:5], v[52:53]
	v_mov_b32_e32 v58, 0x623fde64
	v_mov_b32_e32 v59, 0x3ec71dee
	v_fmac_f64_e32 v[58:59], v[52:53], v[56:57]
	v_mov_b32_e32 v56, 0x7c89e6b0
	v_mov_b32_e32 v57, 0x3efa0199
	;; [unrolled: 3-line block ×8, first 2 shown]
	v_fmac_f64_e32 v[56:57], v[52:53], v[58:59]
	v_fma_f64 v[56:57], v[52:53], v[56:57], 1.0
	s_mov_b32 s4, 0
	s_mov_b32 s42, 0
	v_fma_f64 v[52:53], v[52:53], v[56:57], 1.0
	v_cvt_i32_f64_e32 v50, v[50:51]
	s_mov_b32 s5, 0x40900000
	s_mov_b32 s43, 0xc090cc00
	v_ldexp_f64 v[50:51], v[52:53], v50
	v_mov_b32_e32 v52, 0x7ff00000
	v_cmp_nlt_f64_e64 s[4:5], s[4:5], v[48:49]
	v_cmp_ngt_f64_e64 s[42:43], s[42:43], v[48:49]
	v_cndmask_b32_e64 v51, v52, v51, s[4:5]
	s_and_b64 s[4:5], s[42:43], s[4:5]
	v_cndmask_b32_e64 v49, 0, v51, s[42:43]
	v_cndmask_b32_e64 v48, 0, v50, s[4:5]
	v_add_f64 v[50:51], v[48:49], 1.0
	v_add_f64 v[52:53], v[50:51], -1.0
	v_add_f64 v[56:57], v[52:53], -v[50:51]
	v_add_f64 v[56:57], v[56:57], 1.0
	v_add_f64 v[52:53], v[48:49], -v[52:53]
	s_mov_b32 s4, 0x55555555
	v_add_f64 v[52:53], v[52:53], v[56:57]
	v_frexp_mant_f64_e32 v[56:57], v[50:51]
	s_mov_b32 s5, 0x3fe55555
	v_frexp_exp_i32_f64_e32 v58, v[50:51]
	v_cmp_gt_f64_e64 s[4:5], s[4:5], v[56:57]
	v_subbrev_co_u32_e64 v72, s[4:5], 0, v58, s[4:5]
	v_sub_u32_e32 v56, 0, v72
	v_ldexp_f64 v[50:51], v[50:51], v56
	v_ldexp_f64 v[52:53], v[52:53], v56
	v_add_f64 v[56:57], v[50:51], -1.0
	v_add_f64 v[62:63], v[50:51], 1.0
	v_add_f64 v[58:59], v[56:57], 1.0
	v_add_f64 v[64:65], v[62:63], -1.0
	v_add_f64 v[58:59], v[50:51], -v[58:59]
	v_add_f64 v[50:51], v[50:51], -v[64:65]
	v_add_f64 v[50:51], v[52:53], v[50:51]
	v_add_f64 v[58:59], v[52:53], v[58:59]
	;; [unrolled: 1-line block ×3, first 2 shown]
	v_rcp_f64_e32 v[64:65], v[52:53]
	v_add_f64 v[60:61], v[56:57], v[58:59]
	v_add_f64 v[56:57], v[60:61], -v[56:57]
	v_add_f64 v[56:57], v[58:59], -v[56:57]
	;; [unrolled: 1-line block ×4, first 2 shown]
	v_fma_f64 v[58:59], -v[52:53], v[64:65], 1.0
	v_fmac_f64_e32 v[64:65], v[58:59], v[64:65]
	v_fma_f64 v[58:59], -v[52:53], v[64:65], 1.0
	v_fmac_f64_e32 v[64:65], v[58:59], v[64:65]
	v_mul_f64 v[58:59], v[60:61], v[64:65]
	v_mul_f64 v[62:63], v[52:53], v[58:59]
	v_fma_f64 v[66:67], v[58:59], v[52:53], -v[62:63]
	v_fmac_f64_e32 v[66:67], v[58:59], v[50:51]
	v_add_f64 v[68:69], v[62:63], v[66:67]
	v_add_f64 v[70:71], v[60:61], -v[68:69]
	v_add_f64 v[60:61], v[60:61], -v[70:71]
	;; [unrolled: 1-line block ×4, first 2 shown]
	v_add_f64 v[56:57], v[56:57], v[60:61]
	v_add_f64 v[60:61], v[62:63], -v[66:67]
	v_add_f64 v[56:57], v[60:61], v[56:57]
	v_add_f64 v[60:61], v[70:71], v[56:57]
	v_add_f64 v[62:63], v[70:71], -v[60:61]
	v_add_f64 v[56:57], v[56:57], v[62:63]
	v_mul_f64 v[62:63], v[64:65], v[60:61]
	v_mul_f64 v[66:67], v[52:53], v[62:63]
	v_fma_f64 v[52:53], v[62:63], v[52:53], -v[66:67]
	v_fmac_f64_e32 v[52:53], v[62:63], v[50:51]
	v_add_f64 v[50:51], v[66:67], v[52:53]
	v_add_f64 v[68:69], v[60:61], -v[50:51]
	v_add_f64 v[60:61], v[60:61], -v[68:69]
	;; [unrolled: 1-line block ×4, first 2 shown]
	v_add_f64 v[50:51], v[56:57], v[50:51]
	v_add_f64 v[52:53], v[66:67], -v[52:53]
	v_add_f64 v[50:51], v[52:53], v[50:51]
	v_add_f64 v[52:53], v[58:59], v[62:63]
	;; [unrolled: 1-line block ×3, first 2 shown]
	v_add_f64 v[56:57], v[52:53], -v[58:59]
	v_mul_f64 v[50:51], v[64:65], v[50:51]
	v_add_f64 v[56:57], v[62:63], -v[56:57]
	v_add_f64 v[50:51], v[56:57], v[50:51]
	v_add_f64 v[56:57], v[52:53], v[50:51]
	v_add_f64 v[52:53], v[56:57], -v[52:53]
	s_mov_b32 s4, 0xbf559e2b
	v_add_f64 v[50:51], v[50:51], -v[52:53]
	v_mul_f64 v[52:53], v[56:57], v[56:57]
	v_mov_b32_e32 v58, 0x6b47b09a
	v_mov_b32_e32 v59, 0x3fc38538
	s_mov_b32 s5, 0x3fc3ab76
	v_fmac_f64_e32 v[58:59], s[4:5], v[52:53]
	v_mov_b32_e32 v60, 0xd7f4df2e
	v_mov_b32_e32 v61, 0x3fc7474d
	v_fmac_f64_e32 v[60:61], v[52:53], v[58:59]
	v_mov_b32_e32 v58, 0x16291751
	v_mov_b32_e32 v59, 0x3fcc71c0
	;; [unrolled: 3-line block ×5, first 2 shown]
	v_fmac_f64_e32 v[60:61], v[52:53], v[58:59]
	v_cvt_f64_i32_e32 v[58:59], v72
	s_mov_b32 s51, 0x3fe62e42
	v_mul_f64 v[62:63], v[58:59], s[50:51]
	v_fma_f64 v[64:65], v[58:59], s[50:51], -v[62:63]
	s_mov_b32 s53, 0x3c7abc9e
	v_fmac_f64_e32 v[64:65], s[52:53], v[58:59]
	v_add_f64 v[58:59], v[62:63], v[64:65]
	v_add_f64 v[62:63], v[58:59], -v[62:63]
	v_mul_f64 v[52:53], v[56:57], v[52:53]
	v_add_f64 v[62:63], v[64:65], -v[62:63]
	v_ldexp_f64 v[64:65], v[56:57], 1
	v_mul_f64 v[52:53], v[52:53], v[60:61]
	v_add_f64 v[56:57], v[64:65], v[52:53]
	v_add_f64 v[60:61], v[56:57], -v[64:65]
	v_ldexp_f64 v[50:51], v[50:51], 1
	v_add_f64 v[52:53], v[52:53], -v[60:61]
	v_add_f64 v[50:51], v[50:51], v[52:53]
	v_add_f64 v[52:53], v[56:57], v[50:51]
	v_add_f64 v[56:57], v[52:53], -v[56:57]
	v_add_f64 v[50:51], v[50:51], -v[56:57]
	v_add_f64 v[56:57], v[58:59], v[52:53]
	v_add_f64 v[60:61], v[56:57], -v[58:59]
	v_add_f64 v[64:65], v[56:57], -v[60:61]
	;; [unrolled: 1-line block ×4, first 2 shown]
	v_add_f64 v[52:53], v[52:53], v[58:59]
	v_add_f64 v[58:59], v[62:63], v[50:51]
	v_add_f64 v[60:61], v[58:59], -v[62:63]
	v_add_f64 v[52:53], v[58:59], v[52:53]
	v_add_f64 v[64:65], v[58:59], -v[60:61]
	;; [unrolled: 2-line block ×3, first 2 shown]
	v_add_f64 v[50:51], v[50:51], -v[60:61]
	v_add_f64 v[56:57], v[58:59], -v[56:57]
	v_add_f64 v[50:51], v[50:51], v[62:63]
	v_add_f64 v[52:53], v[52:53], -v[56:57]
	s_mov_b32 s4, 0
	v_add_f64 v[50:51], v[50:51], v[52:53]
	s_mov_b32 s5, 0x7ff00000
	v_add_f64 v[50:51], v[58:59], v[50:51]
	v_cmp_eq_f64_e64 s[4:5], s[4:5], v[48:49]
	v_cndmask_b32_e64 v50, v50, v48, s[4:5]
	v_cndmask_b32_e64 v51, v51, v49, s[4:5]
	v_mov_b32_e32 v52, 0x7ff80000
	v_cmp_ngt_f64_e64 s[4:5], -1.0, v[48:49]
	v_cndmask_b32_e64 v51, v52, v51, s[4:5]
	v_cmp_nge_f64_e64 s[4:5], -1.0, v[48:49]
	v_cndmask_b32_e64 v50, 0, v50, s[4:5]
	v_mov_b32_e32 v52, 0xfff00000
	v_cmp_neq_f64_e64 s[4:5], -1.0, v[48:49]
	v_cndmask_b32_e64 v51, v52, v51, s[4:5]
	v_add_f64 v[48:49], v[46:47], v[50:51]
.LBB20_53:
	s_or_b64 exec, exec, s[48:49]
	v_pk_mov_b32 v[46:47], v[48:49], v[48:49] op_sel:[0,1]
	v_mov_b32_e32 v50, v48
	v_mov_b32_e32 v51, v49
.LBB20_54:
	s_or_b64 exec, exec, s[46:47]
	v_and_b32_e32 v52, 16, v1
	v_mov_b32_dpp v48, v50 row_bcast:15 row_mask:0xf bank_mask:0xf
	v_mov_b32_dpp v49, v51 row_bcast:15 row_mask:0xf bank_mask:0xf
	v_cmp_ne_u32_e64 s[4:5], 0, v52
	s_and_saveexec_b64 s[46:47], s[4:5]
	s_cbranch_execz .LBB20_58
; %bb.55:
	v_max_f64 v[52:53], v[48:49], v[48:49]
	v_max_f64 v[56:57], v[46:47], v[46:47]
	v_min_f64 v[50:51], v[52:53], v[56:57]
	v_cmp_u_f64_e64 s[4:5], v[48:49], v[48:49]
	v_max_f64 v[52:53], v[52:53], v[56:57]
	v_cndmask_b32_e64 v50, v50, v48, s[4:5]
	v_cndmask_b32_e64 v51, v51, v49, s[4:5]
	v_cmp_u_f64_e64 s[42:43], v[46:47], v[46:47]
	v_cndmask_b32_e64 v52, v52, v48, s[4:5]
	v_cndmask_b32_e64 v53, v53, v49, s[4:5]
	v_cndmask_b32_e64 v51, v51, v47, s[42:43]
	v_cndmask_b32_e64 v50, v50, v46, s[42:43]
	v_cndmask_b32_e64 v47, v53, v47, s[42:43]
	v_cndmask_b32_e64 v46, v52, v46, s[42:43]
	v_cmp_neq_f64_e64 s[4:5], v[50:51], v[46:47]
	v_cmp_class_f64_e64 s[42:43], v[50:51], s33
	s_or_b64 s[4:5], s[4:5], s[42:43]
	s_and_saveexec_b64 s[48:49], s[4:5]
	s_cbranch_execz .LBB20_57
; %bb.56:
	s_mov_b32 s4, 0x652b82fe
	v_add_f64 v[48:49], v[50:51], -v[46:47]
	s_mov_b32 s5, 0x3ff71547
	v_mul_f64 v[50:51], v[48:49], s[4:5]
	v_rndne_f64_e32 v[50:51], v[50:51]
	s_mov_b32 s51, 0xbfe62e42
	s_mov_b32 s50, 0xfefa39ef
	v_fma_f64 v[52:53], s[50:51], v[50:51], v[48:49]
	s_mov_b32 s53, 0xbc7abc9e
	s_mov_b32 s52, 0x3b39803f
	;; [unrolled: 1-line block ×3, first 2 shown]
	v_fmac_f64_e32 v[52:53], s[52:53], v[50:51]
	v_mov_b32_e32 v56, 0xfca7ab0c
	v_mov_b32_e32 v57, 0x3e928af3
	s_mov_b32 s5, 0x3e5ade15
	v_fmac_f64_e32 v[56:57], s[4:5], v[52:53]
	v_mov_b32_e32 v58, 0x623fde64
	v_mov_b32_e32 v59, 0x3ec71dee
	v_fmac_f64_e32 v[58:59], v[52:53], v[56:57]
	v_mov_b32_e32 v56, 0x7c89e6b0
	v_mov_b32_e32 v57, 0x3efa0199
	;; [unrolled: 3-line block ×8, first 2 shown]
	v_fmac_f64_e32 v[56:57], v[52:53], v[58:59]
	v_fma_f64 v[56:57], v[52:53], v[56:57], 1.0
	s_mov_b32 s4, 0
	s_mov_b32 s42, 0
	v_fma_f64 v[52:53], v[52:53], v[56:57], 1.0
	v_cvt_i32_f64_e32 v50, v[50:51]
	s_mov_b32 s5, 0x40900000
	s_mov_b32 s43, 0xc090cc00
	v_ldexp_f64 v[50:51], v[52:53], v50
	v_mov_b32_e32 v52, 0x7ff00000
	v_cmp_nlt_f64_e64 s[4:5], s[4:5], v[48:49]
	v_cmp_ngt_f64_e64 s[42:43], s[42:43], v[48:49]
	v_cndmask_b32_e64 v51, v52, v51, s[4:5]
	s_and_b64 s[4:5], s[42:43], s[4:5]
	v_cndmask_b32_e64 v49, 0, v51, s[42:43]
	v_cndmask_b32_e64 v48, 0, v50, s[4:5]
	v_add_f64 v[50:51], v[48:49], 1.0
	v_add_f64 v[52:53], v[50:51], -1.0
	v_add_f64 v[56:57], v[52:53], -v[50:51]
	v_add_f64 v[56:57], v[56:57], 1.0
	v_add_f64 v[52:53], v[48:49], -v[52:53]
	s_mov_b32 s4, 0x55555555
	v_add_f64 v[52:53], v[52:53], v[56:57]
	v_frexp_mant_f64_e32 v[56:57], v[50:51]
	s_mov_b32 s5, 0x3fe55555
	v_frexp_exp_i32_f64_e32 v58, v[50:51]
	v_cmp_gt_f64_e64 s[4:5], s[4:5], v[56:57]
	v_subbrev_co_u32_e64 v72, s[4:5], 0, v58, s[4:5]
	v_sub_u32_e32 v56, 0, v72
	v_ldexp_f64 v[50:51], v[50:51], v56
	v_ldexp_f64 v[52:53], v[52:53], v56
	v_add_f64 v[56:57], v[50:51], -1.0
	v_add_f64 v[62:63], v[50:51], 1.0
	v_add_f64 v[58:59], v[56:57], 1.0
	v_add_f64 v[64:65], v[62:63], -1.0
	v_add_f64 v[58:59], v[50:51], -v[58:59]
	v_add_f64 v[50:51], v[50:51], -v[64:65]
	v_add_f64 v[50:51], v[52:53], v[50:51]
	v_add_f64 v[58:59], v[52:53], v[58:59]
	;; [unrolled: 1-line block ×3, first 2 shown]
	v_rcp_f64_e32 v[64:65], v[52:53]
	v_add_f64 v[60:61], v[56:57], v[58:59]
	v_add_f64 v[56:57], v[60:61], -v[56:57]
	v_add_f64 v[56:57], v[58:59], -v[56:57]
	;; [unrolled: 1-line block ×4, first 2 shown]
	v_fma_f64 v[58:59], -v[52:53], v[64:65], 1.0
	v_fmac_f64_e32 v[64:65], v[58:59], v[64:65]
	v_fma_f64 v[58:59], -v[52:53], v[64:65], 1.0
	v_fmac_f64_e32 v[64:65], v[58:59], v[64:65]
	v_mul_f64 v[58:59], v[60:61], v[64:65]
	v_mul_f64 v[62:63], v[52:53], v[58:59]
	v_fma_f64 v[66:67], v[58:59], v[52:53], -v[62:63]
	v_fmac_f64_e32 v[66:67], v[58:59], v[50:51]
	v_add_f64 v[68:69], v[62:63], v[66:67]
	v_add_f64 v[70:71], v[60:61], -v[68:69]
	v_add_f64 v[60:61], v[60:61], -v[70:71]
	v_add_f64 v[62:63], v[68:69], -v[62:63]
	v_add_f64 v[60:61], v[60:61], -v[68:69]
	v_add_f64 v[56:57], v[56:57], v[60:61]
	v_add_f64 v[60:61], v[62:63], -v[66:67]
	v_add_f64 v[56:57], v[60:61], v[56:57]
	v_add_f64 v[60:61], v[70:71], v[56:57]
	v_add_f64 v[62:63], v[70:71], -v[60:61]
	v_add_f64 v[56:57], v[56:57], v[62:63]
	v_mul_f64 v[62:63], v[64:65], v[60:61]
	v_mul_f64 v[66:67], v[52:53], v[62:63]
	v_fma_f64 v[52:53], v[62:63], v[52:53], -v[66:67]
	v_fmac_f64_e32 v[52:53], v[62:63], v[50:51]
	v_add_f64 v[50:51], v[66:67], v[52:53]
	v_add_f64 v[68:69], v[60:61], -v[50:51]
	v_add_f64 v[60:61], v[60:61], -v[68:69]
	;; [unrolled: 1-line block ×4, first 2 shown]
	v_add_f64 v[50:51], v[56:57], v[50:51]
	v_add_f64 v[52:53], v[66:67], -v[52:53]
	v_add_f64 v[50:51], v[52:53], v[50:51]
	v_add_f64 v[52:53], v[58:59], v[62:63]
	v_add_f64 v[50:51], v[68:69], v[50:51]
	v_add_f64 v[56:57], v[52:53], -v[58:59]
	v_mul_f64 v[50:51], v[64:65], v[50:51]
	v_add_f64 v[56:57], v[62:63], -v[56:57]
	v_add_f64 v[50:51], v[56:57], v[50:51]
	v_add_f64 v[56:57], v[52:53], v[50:51]
	v_add_f64 v[52:53], v[56:57], -v[52:53]
	s_mov_b32 s4, 0xbf559e2b
	v_add_f64 v[50:51], v[50:51], -v[52:53]
	v_mul_f64 v[52:53], v[56:57], v[56:57]
	v_mov_b32_e32 v58, 0x6b47b09a
	v_mov_b32_e32 v59, 0x3fc38538
	s_mov_b32 s5, 0x3fc3ab76
	v_fmac_f64_e32 v[58:59], s[4:5], v[52:53]
	v_mov_b32_e32 v60, 0xd7f4df2e
	v_mov_b32_e32 v61, 0x3fc7474d
	v_fmac_f64_e32 v[60:61], v[52:53], v[58:59]
	v_mov_b32_e32 v58, 0x16291751
	v_mov_b32_e32 v59, 0x3fcc71c0
	;; [unrolled: 3-line block ×5, first 2 shown]
	v_fmac_f64_e32 v[60:61], v[52:53], v[58:59]
	v_cvt_f64_i32_e32 v[58:59], v72
	s_mov_b32 s51, 0x3fe62e42
	v_mul_f64 v[62:63], v[58:59], s[50:51]
	v_fma_f64 v[64:65], v[58:59], s[50:51], -v[62:63]
	s_mov_b32 s53, 0x3c7abc9e
	v_fmac_f64_e32 v[64:65], s[52:53], v[58:59]
	v_add_f64 v[58:59], v[62:63], v[64:65]
	v_add_f64 v[62:63], v[58:59], -v[62:63]
	v_mul_f64 v[52:53], v[56:57], v[52:53]
	v_add_f64 v[62:63], v[64:65], -v[62:63]
	v_ldexp_f64 v[64:65], v[56:57], 1
	v_mul_f64 v[52:53], v[52:53], v[60:61]
	v_add_f64 v[56:57], v[64:65], v[52:53]
	v_add_f64 v[60:61], v[56:57], -v[64:65]
	v_ldexp_f64 v[50:51], v[50:51], 1
	v_add_f64 v[52:53], v[52:53], -v[60:61]
	v_add_f64 v[50:51], v[50:51], v[52:53]
	v_add_f64 v[52:53], v[56:57], v[50:51]
	v_add_f64 v[56:57], v[52:53], -v[56:57]
	v_add_f64 v[50:51], v[50:51], -v[56:57]
	v_add_f64 v[56:57], v[58:59], v[52:53]
	v_add_f64 v[60:61], v[56:57], -v[58:59]
	v_add_f64 v[64:65], v[56:57], -v[60:61]
	;; [unrolled: 1-line block ×4, first 2 shown]
	v_add_f64 v[52:53], v[52:53], v[58:59]
	v_add_f64 v[58:59], v[62:63], v[50:51]
	v_add_f64 v[60:61], v[58:59], -v[62:63]
	v_add_f64 v[52:53], v[58:59], v[52:53]
	v_add_f64 v[64:65], v[58:59], -v[60:61]
	v_add_f64 v[58:59], v[56:57], v[52:53]
	v_add_f64 v[62:63], v[62:63], -v[64:65]
	v_add_f64 v[50:51], v[50:51], -v[60:61]
	v_add_f64 v[56:57], v[58:59], -v[56:57]
	v_add_f64 v[50:51], v[50:51], v[62:63]
	v_add_f64 v[52:53], v[52:53], -v[56:57]
	s_mov_b32 s4, 0
	v_add_f64 v[50:51], v[50:51], v[52:53]
	s_mov_b32 s5, 0x7ff00000
	v_add_f64 v[50:51], v[58:59], v[50:51]
	v_cmp_eq_f64_e64 s[4:5], s[4:5], v[48:49]
	v_cndmask_b32_e64 v50, v50, v48, s[4:5]
	v_cndmask_b32_e64 v51, v51, v49, s[4:5]
	v_mov_b32_e32 v52, 0x7ff80000
	v_cmp_ngt_f64_e64 s[4:5], -1.0, v[48:49]
	v_cndmask_b32_e64 v51, v52, v51, s[4:5]
	v_cmp_nge_f64_e64 s[4:5], -1.0, v[48:49]
	v_cndmask_b32_e64 v50, 0, v50, s[4:5]
	v_mov_b32_e32 v52, 0xfff00000
	v_cmp_neq_f64_e64 s[4:5], -1.0, v[48:49]
	v_cndmask_b32_e64 v51, v52, v51, s[4:5]
	v_add_f64 v[48:49], v[46:47], v[50:51]
.LBB20_57:
	s_or_b64 exec, exec, s[48:49]
	v_mov_b32_e32 v50, v48
	v_mov_b32_e32 v51, v49
	v_pk_mov_b32 v[46:47], v[48:49], v[48:49] op_sel:[0,1]
.LBB20_58:
	s_or_b64 exec, exec, s[46:47]
	v_mov_b32_dpp v48, v50 row_bcast:31 row_mask:0xf bank_mask:0xf
	v_mov_b32_dpp v49, v51 row_bcast:31 row_mask:0xf bank_mask:0xf
	v_cmp_lt_u32_e64 s[4:5], 31, v1
	s_and_saveexec_b64 s[46:47], s[4:5]
	s_cbranch_execz .LBB20_62
; %bb.59:
	v_max_f64 v[52:53], v[48:49], v[48:49]
	v_max_f64 v[56:57], v[46:47], v[46:47]
	v_min_f64 v[50:51], v[52:53], v[56:57]
	v_cmp_u_f64_e64 s[4:5], v[48:49], v[48:49]
	v_max_f64 v[52:53], v[52:53], v[56:57]
	v_cndmask_b32_e64 v50, v50, v48, s[4:5]
	v_cndmask_b32_e64 v51, v51, v49, s[4:5]
	v_cmp_u_f64_e64 s[42:43], v[46:47], v[46:47]
	v_cndmask_b32_e64 v52, v52, v48, s[4:5]
	v_cndmask_b32_e64 v53, v53, v49, s[4:5]
	v_cndmask_b32_e64 v51, v51, v47, s[42:43]
	v_cndmask_b32_e64 v50, v50, v46, s[42:43]
	v_cndmask_b32_e64 v47, v53, v47, s[42:43]
	v_cndmask_b32_e64 v46, v52, v46, s[42:43]
	v_cmp_neq_f64_e64 s[4:5], v[50:51], v[46:47]
	v_cmp_class_f64_e64 s[42:43], v[50:51], s33
	s_or_b64 s[4:5], s[4:5], s[42:43]
	s_and_saveexec_b64 s[48:49], s[4:5]
	s_cbranch_execz .LBB20_61
; %bb.60:
	s_mov_b32 s4, 0x652b82fe
	v_add_f64 v[48:49], v[50:51], -v[46:47]
	s_mov_b32 s5, 0x3ff71547
	v_mul_f64 v[50:51], v[48:49], s[4:5]
	v_rndne_f64_e32 v[50:51], v[50:51]
	s_mov_b32 s51, 0xbfe62e42
	s_mov_b32 s50, 0xfefa39ef
	v_fma_f64 v[52:53], s[50:51], v[50:51], v[48:49]
	s_mov_b32 s53, 0xbc7abc9e
	s_mov_b32 s52, 0x3b39803f
	;; [unrolled: 1-line block ×3, first 2 shown]
	v_fmac_f64_e32 v[52:53], s[52:53], v[50:51]
	v_mov_b32_e32 v56, 0xfca7ab0c
	v_mov_b32_e32 v57, 0x3e928af3
	s_mov_b32 s5, 0x3e5ade15
	v_fmac_f64_e32 v[56:57], s[4:5], v[52:53]
	v_mov_b32_e32 v58, 0x623fde64
	v_mov_b32_e32 v59, 0x3ec71dee
	v_fmac_f64_e32 v[58:59], v[52:53], v[56:57]
	v_mov_b32_e32 v56, 0x7c89e6b0
	v_mov_b32_e32 v57, 0x3efa0199
	v_fmac_f64_e32 v[56:57], v[52:53], v[58:59]
	v_mov_b32_e32 v58, 0x14761f6e
	v_mov_b32_e32 v59, 0x3f2a01a0
	v_fmac_f64_e32 v[58:59], v[52:53], v[56:57]
	v_mov_b32_e32 v56, 0x1852b7b0
	v_mov_b32_e32 v57, 0x3f56c16c
	v_fmac_f64_e32 v[56:57], v[52:53], v[58:59]
	v_mov_b32_e32 v58, 0x11122322
	v_mov_b32_e32 v59, 0x3f811111
	v_fmac_f64_e32 v[58:59], v[52:53], v[56:57]
	v_mov_b32_e32 v56, 0x555502a1
	v_mov_b32_e32 v57, 0x3fa55555
	v_fmac_f64_e32 v[56:57], v[52:53], v[58:59]
	v_mov_b32_e32 v58, 0x55555511
	v_mov_b32_e32 v59, 0x3fc55555
	v_fmac_f64_e32 v[58:59], v[52:53], v[56:57]
	v_mov_b32_e32 v56, 11
	v_mov_b32_e32 v57, 0x3fe00000
	v_fmac_f64_e32 v[56:57], v[52:53], v[58:59]
	v_fma_f64 v[56:57], v[52:53], v[56:57], 1.0
	s_mov_b32 s4, 0
	s_mov_b32 s42, 0
	v_fma_f64 v[52:53], v[52:53], v[56:57], 1.0
	v_cvt_i32_f64_e32 v50, v[50:51]
	s_mov_b32 s5, 0x40900000
	s_mov_b32 s43, 0xc090cc00
	v_ldexp_f64 v[50:51], v[52:53], v50
	v_mov_b32_e32 v52, 0x7ff00000
	v_cmp_nlt_f64_e64 s[4:5], s[4:5], v[48:49]
	v_cmp_ngt_f64_e64 s[42:43], s[42:43], v[48:49]
	v_cndmask_b32_e64 v51, v52, v51, s[4:5]
	s_and_b64 s[4:5], s[42:43], s[4:5]
	v_cndmask_b32_e64 v49, 0, v51, s[42:43]
	v_cndmask_b32_e64 v48, 0, v50, s[4:5]
	v_add_f64 v[50:51], v[48:49], 1.0
	v_add_f64 v[52:53], v[50:51], -1.0
	v_add_f64 v[56:57], v[52:53], -v[50:51]
	v_add_f64 v[56:57], v[56:57], 1.0
	v_add_f64 v[52:53], v[48:49], -v[52:53]
	s_mov_b32 s4, 0x55555555
	v_add_f64 v[52:53], v[52:53], v[56:57]
	v_frexp_mant_f64_e32 v[56:57], v[50:51]
	s_mov_b32 s5, 0x3fe55555
	v_frexp_exp_i32_f64_e32 v58, v[50:51]
	v_cmp_gt_f64_e64 s[4:5], s[4:5], v[56:57]
	v_subbrev_co_u32_e64 v72, s[4:5], 0, v58, s[4:5]
	v_sub_u32_e32 v56, 0, v72
	v_ldexp_f64 v[50:51], v[50:51], v56
	v_ldexp_f64 v[52:53], v[52:53], v56
	v_add_f64 v[56:57], v[50:51], -1.0
	v_add_f64 v[62:63], v[50:51], 1.0
	v_add_f64 v[58:59], v[56:57], 1.0
	v_add_f64 v[64:65], v[62:63], -1.0
	v_add_f64 v[58:59], v[50:51], -v[58:59]
	v_add_f64 v[50:51], v[50:51], -v[64:65]
	v_add_f64 v[50:51], v[52:53], v[50:51]
	v_add_f64 v[58:59], v[52:53], v[58:59]
	;; [unrolled: 1-line block ×3, first 2 shown]
	v_rcp_f64_e32 v[64:65], v[52:53]
	v_add_f64 v[60:61], v[56:57], v[58:59]
	v_add_f64 v[56:57], v[60:61], -v[56:57]
	v_add_f64 v[56:57], v[58:59], -v[56:57]
	;; [unrolled: 1-line block ×4, first 2 shown]
	v_fma_f64 v[58:59], -v[52:53], v[64:65], 1.0
	v_fmac_f64_e32 v[64:65], v[58:59], v[64:65]
	v_fma_f64 v[58:59], -v[52:53], v[64:65], 1.0
	v_fmac_f64_e32 v[64:65], v[58:59], v[64:65]
	v_mul_f64 v[58:59], v[60:61], v[64:65]
	v_mul_f64 v[62:63], v[52:53], v[58:59]
	v_fma_f64 v[66:67], v[58:59], v[52:53], -v[62:63]
	v_fmac_f64_e32 v[66:67], v[58:59], v[50:51]
	v_add_f64 v[68:69], v[62:63], v[66:67]
	v_add_f64 v[70:71], v[60:61], -v[68:69]
	v_add_f64 v[60:61], v[60:61], -v[70:71]
	;; [unrolled: 1-line block ×4, first 2 shown]
	v_add_f64 v[56:57], v[56:57], v[60:61]
	v_add_f64 v[60:61], v[62:63], -v[66:67]
	v_add_f64 v[56:57], v[60:61], v[56:57]
	v_add_f64 v[60:61], v[70:71], v[56:57]
	v_add_f64 v[62:63], v[70:71], -v[60:61]
	v_add_f64 v[56:57], v[56:57], v[62:63]
	v_mul_f64 v[62:63], v[64:65], v[60:61]
	v_mul_f64 v[66:67], v[52:53], v[62:63]
	v_fma_f64 v[52:53], v[62:63], v[52:53], -v[66:67]
	v_fmac_f64_e32 v[52:53], v[62:63], v[50:51]
	v_add_f64 v[50:51], v[66:67], v[52:53]
	v_add_f64 v[68:69], v[60:61], -v[50:51]
	v_add_f64 v[60:61], v[60:61], -v[68:69]
	v_add_f64 v[66:67], v[50:51], -v[66:67]
	v_add_f64 v[50:51], v[60:61], -v[50:51]
	v_add_f64 v[50:51], v[56:57], v[50:51]
	v_add_f64 v[52:53], v[66:67], -v[52:53]
	v_add_f64 v[50:51], v[52:53], v[50:51]
	v_add_f64 v[52:53], v[58:59], v[62:63]
	;; [unrolled: 1-line block ×3, first 2 shown]
	v_add_f64 v[56:57], v[52:53], -v[58:59]
	v_mul_f64 v[50:51], v[64:65], v[50:51]
	v_add_f64 v[56:57], v[62:63], -v[56:57]
	v_add_f64 v[50:51], v[56:57], v[50:51]
	v_add_f64 v[56:57], v[52:53], v[50:51]
	v_add_f64 v[52:53], v[56:57], -v[52:53]
	s_mov_b32 s4, 0xbf559e2b
	v_add_f64 v[50:51], v[50:51], -v[52:53]
	v_mul_f64 v[52:53], v[56:57], v[56:57]
	v_mov_b32_e32 v58, 0x6b47b09a
	v_mov_b32_e32 v59, 0x3fc38538
	s_mov_b32 s5, 0x3fc3ab76
	v_fmac_f64_e32 v[58:59], s[4:5], v[52:53]
	v_mov_b32_e32 v60, 0xd7f4df2e
	v_mov_b32_e32 v61, 0x3fc7474d
	v_fmac_f64_e32 v[60:61], v[52:53], v[58:59]
	v_mov_b32_e32 v58, 0x16291751
	v_mov_b32_e32 v59, 0x3fcc71c0
	;; [unrolled: 3-line block ×5, first 2 shown]
	v_fmac_f64_e32 v[60:61], v[52:53], v[58:59]
	v_cvt_f64_i32_e32 v[58:59], v72
	s_mov_b32 s51, 0x3fe62e42
	v_mul_f64 v[62:63], v[58:59], s[50:51]
	v_fma_f64 v[64:65], v[58:59], s[50:51], -v[62:63]
	s_mov_b32 s53, 0x3c7abc9e
	v_fmac_f64_e32 v[64:65], s[52:53], v[58:59]
	v_add_f64 v[58:59], v[62:63], v[64:65]
	v_add_f64 v[62:63], v[58:59], -v[62:63]
	v_mul_f64 v[52:53], v[56:57], v[52:53]
	v_add_f64 v[62:63], v[64:65], -v[62:63]
	v_ldexp_f64 v[64:65], v[56:57], 1
	v_mul_f64 v[52:53], v[52:53], v[60:61]
	v_add_f64 v[56:57], v[64:65], v[52:53]
	v_add_f64 v[60:61], v[56:57], -v[64:65]
	v_ldexp_f64 v[50:51], v[50:51], 1
	v_add_f64 v[52:53], v[52:53], -v[60:61]
	v_add_f64 v[50:51], v[50:51], v[52:53]
	v_add_f64 v[52:53], v[56:57], v[50:51]
	v_add_f64 v[56:57], v[52:53], -v[56:57]
	v_add_f64 v[50:51], v[50:51], -v[56:57]
	v_add_f64 v[56:57], v[58:59], v[52:53]
	v_add_f64 v[60:61], v[56:57], -v[58:59]
	v_add_f64 v[64:65], v[56:57], -v[60:61]
	;; [unrolled: 1-line block ×4, first 2 shown]
	v_add_f64 v[52:53], v[52:53], v[58:59]
	v_add_f64 v[58:59], v[62:63], v[50:51]
	v_add_f64 v[60:61], v[58:59], -v[62:63]
	v_add_f64 v[52:53], v[58:59], v[52:53]
	v_add_f64 v[64:65], v[58:59], -v[60:61]
	v_add_f64 v[58:59], v[56:57], v[52:53]
	v_add_f64 v[62:63], v[62:63], -v[64:65]
	v_add_f64 v[50:51], v[50:51], -v[60:61]
	v_add_f64 v[56:57], v[58:59], -v[56:57]
	v_add_f64 v[50:51], v[50:51], v[62:63]
	v_add_f64 v[52:53], v[52:53], -v[56:57]
	s_mov_b32 s4, 0
	v_add_f64 v[50:51], v[50:51], v[52:53]
	s_mov_b32 s5, 0x7ff00000
	v_add_f64 v[50:51], v[58:59], v[50:51]
	v_cmp_eq_f64_e64 s[4:5], s[4:5], v[48:49]
	v_cndmask_b32_e64 v50, v50, v48, s[4:5]
	v_cndmask_b32_e64 v51, v51, v49, s[4:5]
	v_mov_b32_e32 v52, 0x7ff80000
	v_cmp_ngt_f64_e64 s[4:5], -1.0, v[48:49]
	v_cndmask_b32_e64 v51, v52, v51, s[4:5]
	v_cmp_nge_f64_e64 s[4:5], -1.0, v[48:49]
	v_cndmask_b32_e64 v50, 0, v50, s[4:5]
	v_mov_b32_e32 v52, 0xfff00000
	v_cmp_neq_f64_e64 s[4:5], -1.0, v[48:49]
	v_cndmask_b32_e64 v51, v52, v51, s[4:5]
	v_add_f64 v[48:49], v[46:47], v[50:51]
.LBB20_61:
	s_or_b64 exec, exec, s[48:49]
	v_pk_mov_b32 v[46:47], v[48:49], v[48:49] op_sel:[0,1]
.LBB20_62:
	s_or_b64 exec, exec, s[46:47]
	v_or_b32_e32 v48, 63, v0
	v_lshrrev_b32_e32 v56, 6, v0
	v_cmp_eq_u32_e64 s[4:5], v48, v0
	s_and_saveexec_b64 s[42:43], s[4:5]
	s_cbranch_execz .LBB20_64
; %bb.63:
	v_lshlrev_b32_e32 v48, 3, v56
	ds_write_b64 v48, v[46:47]
.LBB20_64:
	s_or_b64 exec, exec, s[42:43]
	v_cmp_gt_u32_e64 s[4:5], 2, v0
	s_waitcnt lgkmcnt(0)
	s_barrier
	s_and_saveexec_b64 s[46:47], s[4:5]
	s_cbranch_execz .LBB20_70
; %bb.65:
	ds_read_b64 v[48:49], v54
	v_and_b32_e32 v52, 1, v1
	v_cmp_eq_u32_e64 s[4:5], 1, v52
	s_waitcnt lgkmcnt(0)
	v_mov_b32_dpp v50, v48 row_shr:1 row_mask:0xf bank_mask:0xf
	v_mov_b32_dpp v51, v49 row_shr:1 row_mask:0xf bank_mask:0xf
	s_and_saveexec_b64 s[48:49], s[4:5]
	s_cbranch_execz .LBB20_69
; %bb.66:
	v_max_f64 v[58:59], v[50:51], v[50:51]
	v_max_f64 v[60:61], v[48:49], v[48:49]
	v_min_f64 v[52:53], v[58:59], v[60:61]
	v_cmp_u_f64_e64 s[4:5], v[50:51], v[50:51]
	v_max_f64 v[58:59], v[58:59], v[60:61]
	v_cndmask_b32_e64 v52, v52, v50, s[4:5]
	v_cndmask_b32_e64 v53, v53, v51, s[4:5]
	v_cmp_u_f64_e64 s[42:43], v[48:49], v[48:49]
	v_cndmask_b32_e64 v57, v58, v50, s[4:5]
	v_cndmask_b32_e64 v58, v59, v51, s[4:5]
	;; [unrolled: 1-line block ×6, first 2 shown]
	v_cmp_neq_f64_e64 s[4:5], v[52:53], v[48:49]
	v_cmp_class_f64_e64 s[42:43], v[52:53], s33
	s_or_b64 s[4:5], s[4:5], s[42:43]
	s_and_saveexec_b64 s[50:51], s[4:5]
	s_cbranch_execz .LBB20_68
; %bb.67:
	s_mov_b32 s4, 0x652b82fe
	v_add_f64 v[50:51], v[52:53], -v[48:49]
	s_mov_b32 s5, 0x3ff71547
	v_mul_f64 v[52:53], v[50:51], s[4:5]
	v_rndne_f64_e32 v[52:53], v[52:53]
	s_mov_b32 s53, 0xbfe62e42
	s_mov_b32 s52, 0xfefa39ef
	v_fma_f64 v[58:59], s[52:53], v[52:53], v[50:51]
	s_mov_b32 s55, 0xbc7abc9e
	s_mov_b32 s54, 0x3b39803f
	;; [unrolled: 1-line block ×3, first 2 shown]
	v_fmac_f64_e32 v[58:59], s[54:55], v[52:53]
	v_mov_b32_e32 v60, 0xfca7ab0c
	v_mov_b32_e32 v61, 0x3e928af3
	s_mov_b32 s5, 0x3e5ade15
	v_fmac_f64_e32 v[60:61], s[4:5], v[58:59]
	v_mov_b32_e32 v62, 0x623fde64
	v_mov_b32_e32 v63, 0x3ec71dee
	v_fmac_f64_e32 v[62:63], v[58:59], v[60:61]
	v_mov_b32_e32 v60, 0x7c89e6b0
	v_mov_b32_e32 v61, 0x3efa0199
	;; [unrolled: 3-line block ×8, first 2 shown]
	v_fmac_f64_e32 v[60:61], v[58:59], v[62:63]
	v_fma_f64 v[60:61], v[58:59], v[60:61], 1.0
	s_mov_b32 s4, 0
	s_mov_b32 s42, 0
	v_fma_f64 v[58:59], v[58:59], v[60:61], 1.0
	v_cvt_i32_f64_e32 v52, v[52:53]
	s_mov_b32 s5, 0x40900000
	s_mov_b32 s43, 0xc090cc00
	v_ldexp_f64 v[52:53], v[58:59], v52
	v_mov_b32_e32 v57, 0x7ff00000
	v_cmp_nlt_f64_e64 s[4:5], s[4:5], v[50:51]
	v_cmp_ngt_f64_e64 s[42:43], s[42:43], v[50:51]
	v_cndmask_b32_e64 v53, v57, v53, s[4:5]
	s_and_b64 s[4:5], s[42:43], s[4:5]
	v_cndmask_b32_e64 v51, 0, v53, s[42:43]
	v_cndmask_b32_e64 v50, 0, v52, s[4:5]
	v_add_f64 v[52:53], v[50:51], 1.0
	v_add_f64 v[58:59], v[52:53], -1.0
	v_add_f64 v[60:61], v[58:59], -v[52:53]
	v_add_f64 v[60:61], v[60:61], 1.0
	v_add_f64 v[58:59], v[50:51], -v[58:59]
	s_mov_b32 s4, 0x55555555
	v_add_f64 v[58:59], v[58:59], v[60:61]
	v_frexp_mant_f64_e32 v[60:61], v[52:53]
	s_mov_b32 s5, 0x3fe55555
	v_frexp_exp_i32_f64_e32 v57, v[52:53]
	v_cmp_gt_f64_e64 s[4:5], s[4:5], v[60:61]
	v_subbrev_co_u32_e64 v57, s[4:5], 0, v57, s[4:5]
	v_sub_u32_e32 v60, 0, v57
	v_ldexp_f64 v[52:53], v[52:53], v60
	v_ldexp_f64 v[58:59], v[58:59], v60
	v_add_f64 v[60:61], v[52:53], -1.0
	v_add_f64 v[66:67], v[52:53], 1.0
	v_add_f64 v[62:63], v[60:61], 1.0
	v_add_f64 v[68:69], v[66:67], -1.0
	v_add_f64 v[62:63], v[52:53], -v[62:63]
	v_add_f64 v[52:53], v[52:53], -v[68:69]
	v_add_f64 v[52:53], v[58:59], v[52:53]
	v_add_f64 v[62:63], v[58:59], v[62:63]
	;; [unrolled: 1-line block ×3, first 2 shown]
	v_rcp_f64_e32 v[68:69], v[58:59]
	v_add_f64 v[64:65], v[60:61], v[62:63]
	v_add_f64 v[60:61], v[64:65], -v[60:61]
	v_add_f64 v[60:61], v[62:63], -v[60:61]
	v_add_f64 v[62:63], v[58:59], -v[66:67]
	v_add_f64 v[52:53], v[52:53], -v[62:63]
	v_fma_f64 v[62:63], -v[58:59], v[68:69], 1.0
	v_fmac_f64_e32 v[68:69], v[62:63], v[68:69]
	v_fma_f64 v[62:63], -v[58:59], v[68:69], 1.0
	v_fmac_f64_e32 v[68:69], v[62:63], v[68:69]
	v_mul_f64 v[62:63], v[64:65], v[68:69]
	v_mul_f64 v[66:67], v[58:59], v[62:63]
	v_fma_f64 v[70:71], v[62:63], v[58:59], -v[66:67]
	v_fmac_f64_e32 v[70:71], v[62:63], v[52:53]
	v_add_f64 v[72:73], v[66:67], v[70:71]
	v_add_f64 v[74:75], v[64:65], -v[72:73]
	v_add_f64 v[64:65], v[64:65], -v[74:75]
	v_add_f64 v[66:67], v[72:73], -v[66:67]
	v_add_f64 v[64:65], v[64:65], -v[72:73]
	v_add_f64 v[60:61], v[60:61], v[64:65]
	v_add_f64 v[64:65], v[66:67], -v[70:71]
	v_add_f64 v[60:61], v[64:65], v[60:61]
	v_add_f64 v[64:65], v[74:75], v[60:61]
	v_add_f64 v[66:67], v[74:75], -v[64:65]
	v_add_f64 v[60:61], v[60:61], v[66:67]
	v_mul_f64 v[66:67], v[68:69], v[64:65]
	v_mul_f64 v[70:71], v[58:59], v[66:67]
	v_fma_f64 v[58:59], v[66:67], v[58:59], -v[70:71]
	v_fmac_f64_e32 v[58:59], v[66:67], v[52:53]
	v_add_f64 v[52:53], v[70:71], v[58:59]
	v_add_f64 v[72:73], v[64:65], -v[52:53]
	v_add_f64 v[64:65], v[64:65], -v[72:73]
	;; [unrolled: 1-line block ×4, first 2 shown]
	v_add_f64 v[52:53], v[60:61], v[52:53]
	v_add_f64 v[58:59], v[70:71], -v[58:59]
	v_add_f64 v[52:53], v[58:59], v[52:53]
	v_add_f64 v[58:59], v[62:63], v[66:67]
	;; [unrolled: 1-line block ×3, first 2 shown]
	v_add_f64 v[60:61], v[58:59], -v[62:63]
	v_mul_f64 v[52:53], v[68:69], v[52:53]
	v_add_f64 v[60:61], v[66:67], -v[60:61]
	v_add_f64 v[52:53], v[60:61], v[52:53]
	v_add_f64 v[60:61], v[58:59], v[52:53]
	v_add_f64 v[58:59], v[60:61], -v[58:59]
	s_mov_b32 s4, 0xbf559e2b
	v_add_f64 v[52:53], v[52:53], -v[58:59]
	v_mul_f64 v[58:59], v[60:61], v[60:61]
	v_mov_b32_e32 v62, 0x6b47b09a
	v_mov_b32_e32 v63, 0x3fc38538
	s_mov_b32 s5, 0x3fc3ab76
	v_fmac_f64_e32 v[62:63], s[4:5], v[58:59]
	v_mov_b32_e32 v64, 0xd7f4df2e
	v_mov_b32_e32 v65, 0x3fc7474d
	v_fmac_f64_e32 v[64:65], v[58:59], v[62:63]
	v_mov_b32_e32 v62, 0x16291751
	v_mov_b32_e32 v63, 0x3fcc71c0
	;; [unrolled: 3-line block ×5, first 2 shown]
	v_fmac_f64_e32 v[64:65], v[58:59], v[62:63]
	v_cvt_f64_i32_e32 v[62:63], v57
	s_mov_b32 s53, 0x3fe62e42
	v_mul_f64 v[66:67], v[62:63], s[52:53]
	v_fma_f64 v[68:69], v[62:63], s[52:53], -v[66:67]
	s_mov_b32 s55, 0x3c7abc9e
	v_fmac_f64_e32 v[68:69], s[54:55], v[62:63]
	v_add_f64 v[62:63], v[66:67], v[68:69]
	v_add_f64 v[66:67], v[62:63], -v[66:67]
	v_mul_f64 v[58:59], v[60:61], v[58:59]
	v_add_f64 v[66:67], v[68:69], -v[66:67]
	v_ldexp_f64 v[68:69], v[60:61], 1
	v_mul_f64 v[58:59], v[58:59], v[64:65]
	v_add_f64 v[60:61], v[68:69], v[58:59]
	v_add_f64 v[64:65], v[60:61], -v[68:69]
	v_ldexp_f64 v[52:53], v[52:53], 1
	v_add_f64 v[58:59], v[58:59], -v[64:65]
	v_add_f64 v[52:53], v[52:53], v[58:59]
	v_add_f64 v[58:59], v[60:61], v[52:53]
	v_add_f64 v[60:61], v[58:59], -v[60:61]
	v_add_f64 v[52:53], v[52:53], -v[60:61]
	v_add_f64 v[60:61], v[62:63], v[58:59]
	v_add_f64 v[64:65], v[60:61], -v[62:63]
	v_add_f64 v[68:69], v[60:61], -v[64:65]
	;; [unrolled: 1-line block ×4, first 2 shown]
	v_add_f64 v[58:59], v[58:59], v[62:63]
	v_add_f64 v[62:63], v[66:67], v[52:53]
	v_add_f64 v[64:65], v[62:63], -v[66:67]
	v_add_f64 v[58:59], v[62:63], v[58:59]
	v_add_f64 v[68:69], v[62:63], -v[64:65]
	;; [unrolled: 2-line block ×3, first 2 shown]
	v_add_f64 v[52:53], v[52:53], -v[64:65]
	v_add_f64 v[60:61], v[62:63], -v[60:61]
	v_add_f64 v[52:53], v[52:53], v[66:67]
	v_add_f64 v[58:59], v[58:59], -v[60:61]
	s_mov_b32 s4, 0
	v_add_f64 v[52:53], v[52:53], v[58:59]
	s_mov_b32 s5, 0x7ff00000
	v_add_f64 v[52:53], v[62:63], v[52:53]
	v_cmp_eq_f64_e64 s[4:5], s[4:5], v[50:51]
	v_cndmask_b32_e64 v52, v52, v50, s[4:5]
	v_cndmask_b32_e64 v53, v53, v51, s[4:5]
	v_mov_b32_e32 v57, 0x7ff80000
	v_cmp_ngt_f64_e64 s[4:5], -1.0, v[50:51]
	v_cndmask_b32_e64 v53, v57, v53, s[4:5]
	v_cmp_nge_f64_e64 s[4:5], -1.0, v[50:51]
	v_cndmask_b32_e64 v52, 0, v52, s[4:5]
	v_mov_b32_e32 v57, 0xfff00000
	v_cmp_neq_f64_e64 s[4:5], -1.0, v[50:51]
	v_cndmask_b32_e64 v53, v57, v53, s[4:5]
	v_add_f64 v[50:51], v[48:49], v[52:53]
.LBB20_68:
	s_or_b64 exec, exec, s[50:51]
	v_pk_mov_b32 v[48:49], v[50:51], v[50:51] op_sel:[0,1]
.LBB20_69:
	s_or_b64 exec, exec, s[48:49]
	ds_write_b64 v54, v[48:49]
.LBB20_70:
	s_or_b64 exec, exec, s[46:47]
	v_cmp_lt_u32_e64 s[4:5], 63, v0
	s_waitcnt lgkmcnt(0)
	s_barrier
	s_waitcnt lgkmcnt(0)
                                        ; implicit-def: $vgpr48_vgpr49
	s_and_saveexec_b64 s[46:47], s[4:5]
	s_cbranch_execz .LBB20_74
; %bb.71:
	v_lshl_add_u32 v48, v56, 3, -8
	ds_read_b64 v[48:49], v48
	v_max_f64 v[50:51], v[46:47], v[46:47]
	v_cmp_u_f64_e64 s[42:43], v[46:47], v[46:47]
	s_waitcnt lgkmcnt(0)
	v_max_f64 v[56:57], v[48:49], v[48:49]
	v_min_f64 v[52:53], v[56:57], v[50:51]
	v_cmp_u_f64_e64 s[4:5], v[48:49], v[48:49]
	v_max_f64 v[50:51], v[56:57], v[50:51]
	v_cndmask_b32_e64 v52, v52, v48, s[4:5]
	v_cndmask_b32_e64 v53, v53, v49, s[4:5]
	;; [unrolled: 1-line block ×8, first 2 shown]
	v_cmp_neq_f64_e64 s[4:5], v[52:53], v[50:51]
	v_cmp_class_f64_e64 s[42:43], v[52:53], s33
	s_or_b64 s[4:5], s[4:5], s[42:43]
	v_pk_mov_b32 v[46:47], v[48:49], v[48:49] op_sel:[0,1]
	s_and_saveexec_b64 s[48:49], s[4:5]
	s_cbranch_execz .LBB20_73
; %bb.72:
	s_mov_b32 s4, 0x652b82fe
	v_add_f64 v[46:47], v[52:53], -v[50:51]
	s_mov_b32 s5, 0x3ff71547
	v_mul_f64 v[52:53], v[46:47], s[4:5]
	v_rndne_f64_e32 v[52:53], v[52:53]
	s_mov_b32 s51, 0xbfe62e42
	s_mov_b32 s50, 0xfefa39ef
	v_fma_f64 v[56:57], s[50:51], v[52:53], v[46:47]
	s_mov_b32 s53, 0xbc7abc9e
	s_mov_b32 s52, 0x3b39803f
	;; [unrolled: 1-line block ×3, first 2 shown]
	v_fmac_f64_e32 v[56:57], s[52:53], v[52:53]
	v_mov_b32_e32 v58, 0xfca7ab0c
	v_mov_b32_e32 v59, 0x3e928af3
	s_mov_b32 s5, 0x3e5ade15
	v_fmac_f64_e32 v[58:59], s[4:5], v[56:57]
	v_mov_b32_e32 v60, 0x623fde64
	v_mov_b32_e32 v61, 0x3ec71dee
	v_fmac_f64_e32 v[60:61], v[56:57], v[58:59]
	v_mov_b32_e32 v58, 0x7c89e6b0
	v_mov_b32_e32 v59, 0x3efa0199
	;; [unrolled: 3-line block ×8, first 2 shown]
	v_fmac_f64_e32 v[58:59], v[56:57], v[60:61]
	v_fma_f64 v[58:59], v[56:57], v[58:59], 1.0
	s_mov_b32 s4, 0
	s_mov_b32 s42, 0
	v_fma_f64 v[56:57], v[56:57], v[58:59], 1.0
	v_cvt_i32_f64_e32 v52, v[52:53]
	s_mov_b32 s5, 0x40900000
	s_mov_b32 s43, 0xc090cc00
	v_ldexp_f64 v[52:53], v[56:57], v52
	v_mov_b32_e32 v56, 0x7ff00000
	v_cmp_nlt_f64_e64 s[4:5], s[4:5], v[46:47]
	v_cmp_ngt_f64_e64 s[42:43], s[42:43], v[46:47]
	v_cndmask_b32_e64 v53, v56, v53, s[4:5]
	s_and_b64 s[4:5], s[42:43], s[4:5]
	v_cndmask_b32_e64 v47, 0, v53, s[42:43]
	v_cndmask_b32_e64 v46, 0, v52, s[4:5]
	v_add_f64 v[52:53], v[46:47], 1.0
	v_add_f64 v[56:57], v[52:53], -1.0
	v_add_f64 v[58:59], v[56:57], -v[52:53]
	v_add_f64 v[58:59], v[58:59], 1.0
	v_add_f64 v[56:57], v[46:47], -v[56:57]
	s_mov_b32 s4, 0x55555555
	v_add_f64 v[56:57], v[56:57], v[58:59]
	v_frexp_mant_f64_e32 v[58:59], v[52:53]
	s_mov_b32 s5, 0x3fe55555
	v_frexp_exp_i32_f64_e32 v60, v[52:53]
	v_cmp_gt_f64_e64 s[4:5], s[4:5], v[58:59]
	v_subbrev_co_u32_e64 v74, s[4:5], 0, v60, s[4:5]
	v_sub_u32_e32 v58, 0, v74
	v_ldexp_f64 v[52:53], v[52:53], v58
	v_ldexp_f64 v[56:57], v[56:57], v58
	v_add_f64 v[58:59], v[52:53], -1.0
	v_add_f64 v[64:65], v[52:53], 1.0
	v_add_f64 v[60:61], v[58:59], 1.0
	v_add_f64 v[66:67], v[64:65], -1.0
	v_add_f64 v[60:61], v[52:53], -v[60:61]
	v_add_f64 v[52:53], v[52:53], -v[66:67]
	v_add_f64 v[52:53], v[56:57], v[52:53]
	v_add_f64 v[60:61], v[56:57], v[60:61]
	;; [unrolled: 1-line block ×3, first 2 shown]
	v_rcp_f64_e32 v[66:67], v[56:57]
	v_add_f64 v[62:63], v[58:59], v[60:61]
	v_add_f64 v[58:59], v[62:63], -v[58:59]
	v_add_f64 v[58:59], v[60:61], -v[58:59]
	;; [unrolled: 1-line block ×4, first 2 shown]
	v_fma_f64 v[60:61], -v[56:57], v[66:67], 1.0
	v_fmac_f64_e32 v[66:67], v[60:61], v[66:67]
	v_fma_f64 v[60:61], -v[56:57], v[66:67], 1.0
	v_fmac_f64_e32 v[66:67], v[60:61], v[66:67]
	v_mul_f64 v[60:61], v[62:63], v[66:67]
	v_mul_f64 v[64:65], v[56:57], v[60:61]
	v_fma_f64 v[68:69], v[60:61], v[56:57], -v[64:65]
	v_fmac_f64_e32 v[68:69], v[60:61], v[52:53]
	v_add_f64 v[70:71], v[64:65], v[68:69]
	v_add_f64 v[72:73], v[62:63], -v[70:71]
	v_add_f64 v[62:63], v[62:63], -v[72:73]
	;; [unrolled: 1-line block ×4, first 2 shown]
	v_add_f64 v[58:59], v[58:59], v[62:63]
	v_add_f64 v[62:63], v[64:65], -v[68:69]
	v_add_f64 v[58:59], v[62:63], v[58:59]
	v_add_f64 v[62:63], v[72:73], v[58:59]
	v_add_f64 v[64:65], v[72:73], -v[62:63]
	v_add_f64 v[58:59], v[58:59], v[64:65]
	v_mul_f64 v[64:65], v[66:67], v[62:63]
	v_mul_f64 v[68:69], v[56:57], v[64:65]
	v_fma_f64 v[56:57], v[64:65], v[56:57], -v[68:69]
	v_fmac_f64_e32 v[56:57], v[64:65], v[52:53]
	v_add_f64 v[52:53], v[68:69], v[56:57]
	v_add_f64 v[70:71], v[62:63], -v[52:53]
	v_add_f64 v[62:63], v[62:63], -v[70:71]
	;; [unrolled: 1-line block ×4, first 2 shown]
	v_add_f64 v[52:53], v[58:59], v[52:53]
	v_add_f64 v[56:57], v[68:69], -v[56:57]
	v_add_f64 v[52:53], v[56:57], v[52:53]
	v_add_f64 v[56:57], v[60:61], v[64:65]
	;; [unrolled: 1-line block ×3, first 2 shown]
	v_add_f64 v[58:59], v[56:57], -v[60:61]
	v_mul_f64 v[52:53], v[66:67], v[52:53]
	v_add_f64 v[58:59], v[64:65], -v[58:59]
	v_add_f64 v[52:53], v[58:59], v[52:53]
	v_add_f64 v[58:59], v[56:57], v[52:53]
	v_add_f64 v[56:57], v[58:59], -v[56:57]
	s_mov_b32 s4, 0xbf559e2b
	v_add_f64 v[52:53], v[52:53], -v[56:57]
	v_mul_f64 v[56:57], v[58:59], v[58:59]
	v_mov_b32_e32 v60, 0x6b47b09a
	v_mov_b32_e32 v61, 0x3fc38538
	s_mov_b32 s5, 0x3fc3ab76
	v_fmac_f64_e32 v[60:61], s[4:5], v[56:57]
	v_mov_b32_e32 v62, 0xd7f4df2e
	v_mov_b32_e32 v63, 0x3fc7474d
	v_fmac_f64_e32 v[62:63], v[56:57], v[60:61]
	v_mov_b32_e32 v60, 0x16291751
	v_mov_b32_e32 v61, 0x3fcc71c0
	;; [unrolled: 3-line block ×5, first 2 shown]
	v_fmac_f64_e32 v[62:63], v[56:57], v[60:61]
	v_cvt_f64_i32_e32 v[60:61], v74
	s_mov_b32 s51, 0x3fe62e42
	v_mul_f64 v[64:65], v[60:61], s[50:51]
	v_fma_f64 v[66:67], v[60:61], s[50:51], -v[64:65]
	s_mov_b32 s53, 0x3c7abc9e
	v_fmac_f64_e32 v[66:67], s[52:53], v[60:61]
	v_add_f64 v[60:61], v[64:65], v[66:67]
	v_add_f64 v[64:65], v[60:61], -v[64:65]
	v_mul_f64 v[56:57], v[58:59], v[56:57]
	v_add_f64 v[64:65], v[66:67], -v[64:65]
	v_ldexp_f64 v[66:67], v[58:59], 1
	v_mul_f64 v[56:57], v[56:57], v[62:63]
	v_add_f64 v[58:59], v[66:67], v[56:57]
	v_add_f64 v[62:63], v[58:59], -v[66:67]
	v_ldexp_f64 v[52:53], v[52:53], 1
	v_add_f64 v[56:57], v[56:57], -v[62:63]
	v_add_f64 v[52:53], v[52:53], v[56:57]
	v_add_f64 v[56:57], v[58:59], v[52:53]
	v_add_f64 v[58:59], v[56:57], -v[58:59]
	v_add_f64 v[52:53], v[52:53], -v[58:59]
	v_add_f64 v[58:59], v[60:61], v[56:57]
	v_add_f64 v[62:63], v[58:59], -v[60:61]
	v_add_f64 v[66:67], v[58:59], -v[62:63]
	;; [unrolled: 1-line block ×4, first 2 shown]
	v_add_f64 v[56:57], v[56:57], v[60:61]
	v_add_f64 v[60:61], v[64:65], v[52:53]
	v_add_f64 v[62:63], v[60:61], -v[64:65]
	v_add_f64 v[56:57], v[60:61], v[56:57]
	v_add_f64 v[66:67], v[60:61], -v[62:63]
	;; [unrolled: 2-line block ×3, first 2 shown]
	v_add_f64 v[52:53], v[52:53], -v[62:63]
	v_add_f64 v[58:59], v[60:61], -v[58:59]
	v_add_f64 v[52:53], v[52:53], v[64:65]
	v_add_f64 v[56:57], v[56:57], -v[58:59]
	s_mov_b32 s4, 0
	v_add_f64 v[52:53], v[52:53], v[56:57]
	s_mov_b32 s5, 0x7ff00000
	v_add_f64 v[52:53], v[60:61], v[52:53]
	v_cmp_eq_f64_e64 s[4:5], s[4:5], v[46:47]
	v_cndmask_b32_e64 v52, v52, v46, s[4:5]
	v_cndmask_b32_e64 v53, v53, v47, s[4:5]
	v_mov_b32_e32 v56, 0x7ff80000
	v_cmp_ngt_f64_e64 s[4:5], -1.0, v[46:47]
	v_cndmask_b32_e64 v53, v56, v53, s[4:5]
	v_cmp_nge_f64_e64 s[4:5], -1.0, v[46:47]
	v_cndmask_b32_e64 v52, 0, v52, s[4:5]
	v_mov_b32_e32 v56, 0xfff00000
	v_cmp_neq_f64_e64 s[4:5], -1.0, v[46:47]
	v_cndmask_b32_e64 v53, v56, v53, s[4:5]
	v_add_f64 v[46:47], v[50:51], v[52:53]
.LBB20_73:
	s_or_b64 exec, exec, s[48:49]
.LBB20_74:
	s_or_b64 exec, exec, s[46:47]
	v_add_u32_e32 v50, -1, v1
	v_and_b32_e32 v51, 64, v1
	v_cmp_lt_i32_e64 s[4:5], v50, v51
	v_cndmask_b32_e64 v50, v50, v1, s[4:5]
	v_lshlrev_b32_e32 v50, 2, v50
	ds_bpermute_b32 v46, v50, v46
	ds_bpermute_b32 v47, v50, v47
	v_cmp_ne_u32_e64 s[4:5], 0, v0
	s_and_saveexec_b64 s[42:43], s[4:5]
	s_cbranch_execz .LBB20_78
; %bb.75:
	v_cmp_eq_u32_e64 s[4:5], 0, v1
	s_waitcnt lgkmcnt(0)
	v_cndmask_b32_e64 v47, v47, v49, s[4:5]
	v_cndmask_b32_e64 v46, v46, v48, s[4:5]
	v_max_f64 v[0:1], v[46:47], v[46:47]
	v_min_f64 v[42:43], v[0:1], v[40:41]
	v_cmp_u_f64_e64 s[4:5], v[46:47], v[46:47]
	v_max_f64 v[0:1], v[0:1], v[40:41]
	v_cndmask_b32_e64 v42, v42, v46, s[4:5]
	v_cndmask_b32_e64 v43, v43, v47, s[4:5]
	v_cndmask_b32_e64 v0, v0, v46, s[4:5]
	v_cndmask_b32_e64 v1, v1, v47, s[4:5]
	v_cndmask_b32_e64 v43, v43, v3, s[38:39]
	v_cndmask_b32_e64 v42, v42, v2, s[38:39]
	v_cndmask_b32_e64 v1, v1, v3, s[38:39]
	v_cndmask_b32_e64 v0, v0, v2, s[38:39]
	v_cmp_neq_f64_e64 s[4:5], v[42:43], v[0:1]
	v_cmp_class_f64_e64 s[38:39], v[42:43], s33
	s_or_b64 s[4:5], s[4:5], s[38:39]
	s_and_saveexec_b64 s[46:47], s[4:5]
	s_cbranch_execz .LBB20_77
; %bb.76:
	s_mov_b32 s4, 0x652b82fe
	v_add_f64 v[2:3], v[42:43], -v[0:1]
	s_mov_b32 s5, 0x3ff71547
	v_mul_f64 v[40:41], v[2:3], s[4:5]
	v_rndne_f64_e32 v[40:41], v[40:41]
	s_mov_b32 s49, 0xbfe62e42
	s_mov_b32 s48, 0xfefa39ef
	v_fma_f64 v[42:43], s[48:49], v[40:41], v[2:3]
	s_mov_b32 s51, 0xbc7abc9e
	s_mov_b32 s50, 0x3b39803f
	;; [unrolled: 1-line block ×3, first 2 shown]
	v_fmac_f64_e32 v[42:43], s[50:51], v[40:41]
	v_mov_b32_e32 v44, 0xfca7ab0c
	v_mov_b32_e32 v45, 0x3e928af3
	s_mov_b32 s5, 0x3e5ade15
	v_fmac_f64_e32 v[44:45], s[4:5], v[42:43]
	v_mov_b32_e32 v46, 0x623fde64
	v_mov_b32_e32 v47, 0x3ec71dee
	v_fmac_f64_e32 v[46:47], v[42:43], v[44:45]
	v_mov_b32_e32 v44, 0x7c89e6b0
	v_mov_b32_e32 v45, 0x3efa0199
	;; [unrolled: 3-line block ×8, first 2 shown]
	v_fmac_f64_e32 v[44:45], v[42:43], v[46:47]
	v_fma_f64 v[44:45], v[42:43], v[44:45], 1.0
	s_mov_b32 s4, 0
	s_mov_b32 s38, 0
	v_fma_f64 v[42:43], v[42:43], v[44:45], 1.0
	v_cvt_i32_f64_e32 v40, v[40:41]
	s_mov_b32 s5, 0x40900000
	s_mov_b32 s39, 0xc090cc00
	v_ldexp_f64 v[40:41], v[42:43], v40
	v_mov_b32_e32 v42, 0x7ff00000
	v_cmp_nlt_f64_e64 s[4:5], s[4:5], v[2:3]
	v_cmp_ngt_f64_e64 s[38:39], s[38:39], v[2:3]
	v_cndmask_b32_e64 v41, v42, v41, s[4:5]
	s_and_b64 s[4:5], s[38:39], s[4:5]
	v_cndmask_b32_e64 v3, 0, v41, s[38:39]
	v_cndmask_b32_e64 v2, 0, v40, s[4:5]
	v_add_f64 v[40:41], v[2:3], 1.0
	v_add_f64 v[42:43], v[40:41], -1.0
	v_add_f64 v[44:45], v[42:43], -v[40:41]
	v_add_f64 v[44:45], v[44:45], 1.0
	v_add_f64 v[42:43], v[2:3], -v[42:43]
	s_mov_b32 s4, 0x55555555
	v_add_f64 v[42:43], v[42:43], v[44:45]
	v_frexp_mant_f64_e32 v[44:45], v[40:41]
	s_mov_b32 s5, 0x3fe55555
	v_frexp_exp_i32_f64_e32 v46, v[40:41]
	v_cmp_gt_f64_e64 s[4:5], s[4:5], v[44:45]
	v_subbrev_co_u32_e64 v62, s[4:5], 0, v46, s[4:5]
	v_sub_u32_e32 v44, 0, v62
	v_ldexp_f64 v[40:41], v[40:41], v44
	v_ldexp_f64 v[42:43], v[42:43], v44
	v_add_f64 v[44:45], v[40:41], -1.0
	v_add_f64 v[50:51], v[40:41], 1.0
	v_add_f64 v[46:47], v[44:45], 1.0
	v_add_f64 v[52:53], v[50:51], -1.0
	v_add_f64 v[46:47], v[40:41], -v[46:47]
	v_add_f64 v[40:41], v[40:41], -v[52:53]
	v_add_f64 v[40:41], v[42:43], v[40:41]
	v_add_f64 v[46:47], v[42:43], v[46:47]
	;; [unrolled: 1-line block ×3, first 2 shown]
	v_rcp_f64_e32 v[52:53], v[42:43]
	v_add_f64 v[48:49], v[44:45], v[46:47]
	v_add_f64 v[44:45], v[48:49], -v[44:45]
	v_add_f64 v[44:45], v[46:47], -v[44:45]
	v_add_f64 v[46:47], v[42:43], -v[50:51]
	v_add_f64 v[40:41], v[40:41], -v[46:47]
	v_fma_f64 v[46:47], -v[42:43], v[52:53], 1.0
	v_fmac_f64_e32 v[52:53], v[46:47], v[52:53]
	v_fma_f64 v[46:47], -v[42:43], v[52:53], 1.0
	v_fmac_f64_e32 v[52:53], v[46:47], v[52:53]
	v_mul_f64 v[46:47], v[48:49], v[52:53]
	v_mul_f64 v[50:51], v[42:43], v[46:47]
	v_fma_f64 v[56:57], v[46:47], v[42:43], -v[50:51]
	v_fmac_f64_e32 v[56:57], v[46:47], v[40:41]
	v_add_f64 v[58:59], v[50:51], v[56:57]
	v_add_f64 v[60:61], v[48:49], -v[58:59]
	v_add_f64 v[48:49], v[48:49], -v[60:61]
	;; [unrolled: 1-line block ×4, first 2 shown]
	v_add_f64 v[44:45], v[44:45], v[48:49]
	v_add_f64 v[48:49], v[50:51], -v[56:57]
	v_add_f64 v[44:45], v[48:49], v[44:45]
	v_add_f64 v[48:49], v[60:61], v[44:45]
	v_add_f64 v[50:51], v[60:61], -v[48:49]
	v_add_f64 v[44:45], v[44:45], v[50:51]
	v_mul_f64 v[50:51], v[52:53], v[48:49]
	v_mul_f64 v[56:57], v[42:43], v[50:51]
	v_fma_f64 v[42:43], v[50:51], v[42:43], -v[56:57]
	v_fmac_f64_e32 v[42:43], v[50:51], v[40:41]
	v_add_f64 v[40:41], v[56:57], v[42:43]
	v_add_f64 v[58:59], v[48:49], -v[40:41]
	v_add_f64 v[48:49], v[48:49], -v[58:59]
	v_add_f64 v[56:57], v[40:41], -v[56:57]
	v_add_f64 v[40:41], v[48:49], -v[40:41]
	v_add_f64 v[40:41], v[44:45], v[40:41]
	v_add_f64 v[42:43], v[56:57], -v[42:43]
	v_add_f64 v[40:41], v[42:43], v[40:41]
	v_add_f64 v[42:43], v[46:47], v[50:51]
	;; [unrolled: 1-line block ×3, first 2 shown]
	v_add_f64 v[44:45], v[42:43], -v[46:47]
	v_mul_f64 v[40:41], v[52:53], v[40:41]
	v_add_f64 v[44:45], v[50:51], -v[44:45]
	v_add_f64 v[40:41], v[44:45], v[40:41]
	v_add_f64 v[44:45], v[42:43], v[40:41]
	v_add_f64 v[42:43], v[44:45], -v[42:43]
	s_mov_b32 s4, 0xbf559e2b
	v_add_f64 v[40:41], v[40:41], -v[42:43]
	v_mul_f64 v[42:43], v[44:45], v[44:45]
	v_mov_b32_e32 v46, 0x6b47b09a
	v_mov_b32_e32 v47, 0x3fc38538
	s_mov_b32 s5, 0x3fc3ab76
	v_fmac_f64_e32 v[46:47], s[4:5], v[42:43]
	v_mov_b32_e32 v48, 0xd7f4df2e
	v_mov_b32_e32 v49, 0x3fc7474d
	v_fmac_f64_e32 v[48:49], v[42:43], v[46:47]
	v_mov_b32_e32 v46, 0x16291751
	v_mov_b32_e32 v47, 0x3fcc71c0
	;; [unrolled: 3-line block ×5, first 2 shown]
	v_fmac_f64_e32 v[48:49], v[42:43], v[46:47]
	v_cvt_f64_i32_e32 v[46:47], v62
	s_mov_b32 s49, 0x3fe62e42
	v_mul_f64 v[50:51], v[46:47], s[48:49]
	v_fma_f64 v[52:53], v[46:47], s[48:49], -v[50:51]
	s_mov_b32 s51, 0x3c7abc9e
	v_fmac_f64_e32 v[52:53], s[50:51], v[46:47]
	v_add_f64 v[46:47], v[50:51], v[52:53]
	v_add_f64 v[50:51], v[46:47], -v[50:51]
	v_mul_f64 v[42:43], v[44:45], v[42:43]
	v_add_f64 v[50:51], v[52:53], -v[50:51]
	v_ldexp_f64 v[52:53], v[44:45], 1
	v_mul_f64 v[42:43], v[42:43], v[48:49]
	v_add_f64 v[44:45], v[52:53], v[42:43]
	v_add_f64 v[48:49], v[44:45], -v[52:53]
	v_ldexp_f64 v[40:41], v[40:41], 1
	v_add_f64 v[42:43], v[42:43], -v[48:49]
	v_add_f64 v[40:41], v[40:41], v[42:43]
	v_add_f64 v[42:43], v[44:45], v[40:41]
	v_add_f64 v[44:45], v[42:43], -v[44:45]
	v_add_f64 v[40:41], v[40:41], -v[44:45]
	v_add_f64 v[44:45], v[46:47], v[42:43]
	v_add_f64 v[48:49], v[44:45], -v[46:47]
	v_add_f64 v[52:53], v[44:45], -v[48:49]
	;; [unrolled: 1-line block ×4, first 2 shown]
	v_add_f64 v[42:43], v[42:43], v[46:47]
	v_add_f64 v[46:47], v[50:51], v[40:41]
	v_add_f64 v[48:49], v[46:47], -v[50:51]
	v_add_f64 v[42:43], v[46:47], v[42:43]
	v_add_f64 v[52:53], v[46:47], -v[48:49]
	;; [unrolled: 2-line block ×3, first 2 shown]
	v_add_f64 v[40:41], v[40:41], -v[48:49]
	v_add_f64 v[44:45], v[46:47], -v[44:45]
	v_add_f64 v[40:41], v[40:41], v[50:51]
	v_add_f64 v[42:43], v[42:43], -v[44:45]
	s_mov_b32 s4, 0
	v_add_f64 v[40:41], v[40:41], v[42:43]
	s_mov_b32 s5, 0x7ff00000
	v_add_f64 v[40:41], v[46:47], v[40:41]
	v_cmp_eq_f64_e64 s[4:5], s[4:5], v[2:3]
	v_cndmask_b32_e64 v40, v40, v2, s[4:5]
	v_cndmask_b32_e64 v41, v41, v3, s[4:5]
	v_mov_b32_e32 v42, 0x7ff80000
	v_cmp_ngt_f64_e64 s[4:5], -1.0, v[2:3]
	v_cndmask_b32_e64 v41, v42, v41, s[4:5]
	v_cmp_nge_f64_e64 s[4:5], -1.0, v[2:3]
	v_cndmask_b32_e64 v40, 0, v40, s[4:5]
	v_mov_b32_e32 v42, 0xfff00000
	v_cmp_neq_f64_e64 s[4:5], -1.0, v[2:3]
	v_cndmask_b32_e64 v41, v42, v41, s[4:5]
	v_add_f64 v[46:47], v[0:1], v[40:41]
.LBB20_77:
	s_or_b64 exec, exec, s[46:47]
	v_max_f64 v[0:1], v[46:47], v[46:47]
	v_min_f64 v[42:43], v[0:1], v[26:27]
	v_max_f64 v[44:45], v[0:1], v[26:27]
	v_pk_mov_b32 v[2:3], v[46:47], v[46:47] op_sel:[0,1]
	;;#ASMSTART
	;;#ASMEND
.LBB20_78:
	s_or_b64 exec, exec, s[42:43]
	v_cmp_u_f64_e64 s[4:5], v[2:3], v[2:3]
	v_cndmask_b32_e64 v0, v42, v2, s[4:5]
	v_cndmask_b32_e64 v1, v43, v3, s[4:5]
	;; [unrolled: 1-line block ×8, first 2 shown]
	v_cmp_neq_f64_e64 s[4:5], v[26:27], v[0:1]
	v_cmp_class_f64_e64 s[18:19], v[26:27], s33
	s_or_b64 s[4:5], s[4:5], s[18:19]
	v_pk_mov_b32 v[4:5], v[2:3], v[2:3] op_sel:[0,1]
	s_and_saveexec_b64 s[38:39], s[4:5]
	s_cbranch_execz .LBB20_80
; %bb.79:
	s_mov_b32 s4, 0x652b82fe
	v_add_f64 v[4:5], v[26:27], -v[0:1]
	s_mov_b32 s5, 0x3ff71547
	v_mul_f64 v[26:27], v[4:5], s[4:5]
	v_rndne_f64_e32 v[26:27], v[26:27]
	s_mov_b32 s43, 0xbfe62e42
	s_mov_b32 s42, 0xfefa39ef
	v_fma_f64 v[40:41], s[42:43], v[26:27], v[4:5]
	s_mov_b32 s47, 0xbc7abc9e
	s_mov_b32 s46, 0x3b39803f
	;; [unrolled: 1-line block ×3, first 2 shown]
	v_fmac_f64_e32 v[40:41], s[46:47], v[26:27]
	v_mov_b32_e32 v42, 0xfca7ab0c
	v_mov_b32_e32 v43, 0x3e928af3
	s_mov_b32 s5, 0x3e5ade15
	v_fmac_f64_e32 v[42:43], s[4:5], v[40:41]
	v_mov_b32_e32 v44, 0x623fde64
	v_mov_b32_e32 v45, 0x3ec71dee
	v_fmac_f64_e32 v[44:45], v[40:41], v[42:43]
	v_mov_b32_e32 v42, 0x7c89e6b0
	v_mov_b32_e32 v43, 0x3efa0199
	;; [unrolled: 3-line block ×8, first 2 shown]
	v_fmac_f64_e32 v[42:43], v[40:41], v[44:45]
	v_fma_f64 v[42:43], v[40:41], v[42:43], 1.0
	s_mov_b32 s4, 0
	s_mov_b32 s18, 0
	v_fma_f64 v[40:41], v[40:41], v[42:43], 1.0
	v_cvt_i32_f64_e32 v26, v[26:27]
	s_mov_b32 s5, 0x40900000
	s_mov_b32 s19, 0xc090cc00
	v_ldexp_f64 v[26:27], v[40:41], v26
	v_mov_b32_e32 v40, 0x7ff00000
	v_cmp_nlt_f64_e64 s[4:5], s[4:5], v[4:5]
	v_cmp_ngt_f64_e64 s[18:19], s[18:19], v[4:5]
	v_cndmask_b32_e64 v27, v40, v27, s[4:5]
	s_and_b64 s[4:5], s[18:19], s[4:5]
	v_cndmask_b32_e64 v5, 0, v27, s[18:19]
	v_cndmask_b32_e64 v4, 0, v26, s[4:5]
	v_add_f64 v[26:27], v[4:5], 1.0
	v_add_f64 v[40:41], v[26:27], -1.0
	v_add_f64 v[42:43], v[40:41], -v[26:27]
	v_add_f64 v[42:43], v[42:43], 1.0
	v_add_f64 v[40:41], v[4:5], -v[40:41]
	s_mov_b32 s4, 0x55555555
	v_add_f64 v[40:41], v[40:41], v[42:43]
	v_frexp_mant_f64_e32 v[42:43], v[26:27]
	s_mov_b32 s5, 0x3fe55555
	v_frexp_exp_i32_f64_e32 v44, v[26:27]
	v_cmp_gt_f64_e64 s[4:5], s[4:5], v[42:43]
	v_subbrev_co_u32_e64 v60, s[4:5], 0, v44, s[4:5]
	v_sub_u32_e32 v42, 0, v60
	v_ldexp_f64 v[26:27], v[26:27], v42
	v_ldexp_f64 v[40:41], v[40:41], v42
	v_add_f64 v[42:43], v[26:27], -1.0
	v_add_f64 v[48:49], v[26:27], 1.0
	v_add_f64 v[44:45], v[42:43], 1.0
	v_add_f64 v[50:51], v[48:49], -1.0
	v_add_f64 v[44:45], v[26:27], -v[44:45]
	v_add_f64 v[26:27], v[26:27], -v[50:51]
	v_add_f64 v[26:27], v[40:41], v[26:27]
	v_add_f64 v[44:45], v[40:41], v[44:45]
	;; [unrolled: 1-line block ×3, first 2 shown]
	v_rcp_f64_e32 v[50:51], v[40:41]
	s_waitcnt lgkmcnt(0)
	v_add_f64 v[46:47], v[42:43], v[44:45]
	v_add_f64 v[42:43], v[46:47], -v[42:43]
	v_add_f64 v[42:43], v[44:45], -v[42:43]
	;; [unrolled: 1-line block ×4, first 2 shown]
	v_fma_f64 v[44:45], -v[40:41], v[50:51], 1.0
	v_fmac_f64_e32 v[50:51], v[44:45], v[50:51]
	v_fma_f64 v[44:45], -v[40:41], v[50:51], 1.0
	v_fmac_f64_e32 v[50:51], v[44:45], v[50:51]
	v_mul_f64 v[44:45], v[46:47], v[50:51]
	v_mul_f64 v[48:49], v[40:41], v[44:45]
	v_fma_f64 v[52:53], v[44:45], v[40:41], -v[48:49]
	v_fmac_f64_e32 v[52:53], v[44:45], v[26:27]
	v_add_f64 v[56:57], v[48:49], v[52:53]
	v_add_f64 v[58:59], v[46:47], -v[56:57]
	v_add_f64 v[46:47], v[46:47], -v[58:59]
	;; [unrolled: 1-line block ×4, first 2 shown]
	v_add_f64 v[42:43], v[42:43], v[46:47]
	v_add_f64 v[46:47], v[48:49], -v[52:53]
	v_add_f64 v[42:43], v[46:47], v[42:43]
	v_add_f64 v[46:47], v[58:59], v[42:43]
	v_add_f64 v[48:49], v[58:59], -v[46:47]
	v_add_f64 v[42:43], v[42:43], v[48:49]
	v_mul_f64 v[48:49], v[50:51], v[46:47]
	v_mul_f64 v[52:53], v[40:41], v[48:49]
	v_fma_f64 v[40:41], v[48:49], v[40:41], -v[52:53]
	v_fmac_f64_e32 v[40:41], v[48:49], v[26:27]
	v_add_f64 v[26:27], v[52:53], v[40:41]
	v_add_f64 v[56:57], v[46:47], -v[26:27]
	v_add_f64 v[46:47], v[46:47], -v[56:57]
	;; [unrolled: 1-line block ×4, first 2 shown]
	v_add_f64 v[26:27], v[42:43], v[26:27]
	v_add_f64 v[40:41], v[52:53], -v[40:41]
	v_add_f64 v[26:27], v[40:41], v[26:27]
	v_add_f64 v[40:41], v[44:45], v[48:49]
	;; [unrolled: 1-line block ×3, first 2 shown]
	v_add_f64 v[42:43], v[40:41], -v[44:45]
	v_mul_f64 v[26:27], v[50:51], v[26:27]
	v_add_f64 v[42:43], v[48:49], -v[42:43]
	v_add_f64 v[26:27], v[42:43], v[26:27]
	v_add_f64 v[42:43], v[40:41], v[26:27]
	v_add_f64 v[40:41], v[42:43], -v[40:41]
	s_mov_b32 s4, 0xbf559e2b
	v_add_f64 v[26:27], v[26:27], -v[40:41]
	v_mul_f64 v[40:41], v[42:43], v[42:43]
	v_mov_b32_e32 v44, 0x6b47b09a
	v_mov_b32_e32 v45, 0x3fc38538
	s_mov_b32 s5, 0x3fc3ab76
	v_fmac_f64_e32 v[44:45], s[4:5], v[40:41]
	v_mov_b32_e32 v46, 0xd7f4df2e
	v_mov_b32_e32 v47, 0x3fc7474d
	v_fmac_f64_e32 v[46:47], v[40:41], v[44:45]
	v_mov_b32_e32 v44, 0x16291751
	v_mov_b32_e32 v45, 0x3fcc71c0
	;; [unrolled: 3-line block ×5, first 2 shown]
	v_fmac_f64_e32 v[46:47], v[40:41], v[44:45]
	v_cvt_f64_i32_e32 v[44:45], v60
	s_mov_b32 s43, 0x3fe62e42
	v_mul_f64 v[48:49], v[44:45], s[42:43]
	v_fma_f64 v[50:51], v[44:45], s[42:43], -v[48:49]
	s_mov_b32 s47, 0x3c7abc9e
	v_fmac_f64_e32 v[50:51], s[46:47], v[44:45]
	v_add_f64 v[44:45], v[48:49], v[50:51]
	v_add_f64 v[48:49], v[44:45], -v[48:49]
	v_mul_f64 v[40:41], v[42:43], v[40:41]
	v_add_f64 v[48:49], v[50:51], -v[48:49]
	v_ldexp_f64 v[50:51], v[42:43], 1
	v_mul_f64 v[40:41], v[40:41], v[46:47]
	v_add_f64 v[42:43], v[50:51], v[40:41]
	v_add_f64 v[46:47], v[42:43], -v[50:51]
	v_ldexp_f64 v[26:27], v[26:27], 1
	v_add_f64 v[40:41], v[40:41], -v[46:47]
	v_add_f64 v[26:27], v[26:27], v[40:41]
	v_add_f64 v[40:41], v[42:43], v[26:27]
	v_add_f64 v[42:43], v[40:41], -v[42:43]
	v_add_f64 v[26:27], v[26:27], -v[42:43]
	v_add_f64 v[42:43], v[44:45], v[40:41]
	v_add_f64 v[46:47], v[42:43], -v[44:45]
	v_add_f64 v[50:51], v[42:43], -v[46:47]
	v_add_f64 v[44:45], v[44:45], -v[50:51]
	v_add_f64 v[40:41], v[40:41], -v[46:47]
	v_add_f64 v[40:41], v[40:41], v[44:45]
	v_add_f64 v[44:45], v[48:49], v[26:27]
	v_add_f64 v[46:47], v[44:45], -v[48:49]
	v_add_f64 v[40:41], v[44:45], v[40:41]
	v_add_f64 v[50:51], v[44:45], -v[46:47]
	;; [unrolled: 2-line block ×3, first 2 shown]
	v_add_f64 v[26:27], v[26:27], -v[46:47]
	v_add_f64 v[42:43], v[44:45], -v[42:43]
	v_add_f64 v[26:27], v[26:27], v[48:49]
	v_add_f64 v[40:41], v[40:41], -v[42:43]
	s_mov_b32 s4, 0
	v_add_f64 v[26:27], v[26:27], v[40:41]
	s_mov_b32 s5, 0x7ff00000
	v_add_f64 v[26:27], v[44:45], v[26:27]
	v_cmp_eq_f64_e64 s[4:5], s[4:5], v[4:5]
	v_cndmask_b32_e64 v26, v26, v4, s[4:5]
	v_cndmask_b32_e64 v27, v27, v5, s[4:5]
	v_mov_b32_e32 v40, 0x7ff80000
	v_cmp_ngt_f64_e64 s[4:5], -1.0, v[4:5]
	v_cndmask_b32_e64 v27, v40, v27, s[4:5]
	v_cmp_nge_f64_e64 s[4:5], -1.0, v[4:5]
	v_cndmask_b32_e64 v26, 0, v26, s[4:5]
	v_mov_b32_e32 v40, 0xfff00000
	v_cmp_neq_f64_e64 s[4:5], -1.0, v[4:5]
	v_cndmask_b32_e64 v27, v40, v27, s[4:5]
	v_add_f64 v[4:5], v[0:1], v[26:27]
.LBB20_80:
	s_or_b64 exec, exec, s[38:39]
	v_max_f64 v[0:1], v[4:5], v[4:5]
	v_min_f64 v[26:27], v[0:1], v[22:23]
	v_cmp_u_f64_e64 s[4:5], v[4:5], v[4:5]
	v_max_f64 v[0:1], v[0:1], v[22:23]
	v_cndmask_b32_e64 v26, v26, v4, s[4:5]
	v_cndmask_b32_e64 v27, v27, v5, s[4:5]
	;; [unrolled: 1-line block ×8, first 2 shown]
	v_cmp_neq_f64_e64 s[4:5], v[26:27], v[0:1]
	v_cmp_class_f64_e64 s[18:19], v[26:27], s33
	s_or_b64 s[4:5], s[4:5], s[18:19]
	v_pk_mov_b32 v[18:19], v[4:5], v[4:5] op_sel:[0,1]
	s_and_saveexec_b64 s[20:21], s[4:5]
	s_cbranch_execz .LBB20_82
; %bb.81:
	s_mov_b32 s4, 0x652b82fe
	v_add_f64 v[18:19], v[26:27], -v[0:1]
	s_mov_b32 s5, 0x3ff71547
	v_mul_f64 v[22:23], v[18:19], s[4:5]
	v_rndne_f64_e32 v[22:23], v[22:23]
	s_mov_b32 s39, 0xbfe62e42
	s_mov_b32 s38, 0xfefa39ef
	v_fma_f64 v[26:27], s[38:39], v[22:23], v[18:19]
	s_mov_b32 s43, 0xbc7abc9e
	s_mov_b32 s42, 0x3b39803f
	;; [unrolled: 1-line block ×3, first 2 shown]
	v_fmac_f64_e32 v[26:27], s[42:43], v[22:23]
	v_mov_b32_e32 v40, 0xfca7ab0c
	v_mov_b32_e32 v41, 0x3e928af3
	s_mov_b32 s5, 0x3e5ade15
	v_fmac_f64_e32 v[40:41], s[4:5], v[26:27]
	v_mov_b32_e32 v42, 0x623fde64
	v_mov_b32_e32 v43, 0x3ec71dee
	v_fmac_f64_e32 v[42:43], v[26:27], v[40:41]
	v_mov_b32_e32 v40, 0x7c89e6b0
	v_mov_b32_e32 v41, 0x3efa0199
	;; [unrolled: 3-line block ×8, first 2 shown]
	v_fmac_f64_e32 v[40:41], v[26:27], v[42:43]
	v_fma_f64 v[40:41], v[26:27], v[40:41], 1.0
	s_mov_b32 s4, 0
	s_mov_b32 s18, 0
	v_fma_f64 v[26:27], v[26:27], v[40:41], 1.0
	v_cvt_i32_f64_e32 v22, v[22:23]
	s_mov_b32 s5, 0x40900000
	s_mov_b32 s19, 0xc090cc00
	v_ldexp_f64 v[22:23], v[26:27], v22
	v_mov_b32_e32 v26, 0x7ff00000
	v_cmp_nlt_f64_e64 s[4:5], s[4:5], v[18:19]
	v_cmp_ngt_f64_e64 s[18:19], s[18:19], v[18:19]
	v_cndmask_b32_e64 v23, v26, v23, s[4:5]
	s_and_b64 s[4:5], s[18:19], s[4:5]
	v_cndmask_b32_e64 v19, 0, v23, s[18:19]
	v_cndmask_b32_e64 v18, 0, v22, s[4:5]
	v_add_f64 v[22:23], v[18:19], 1.0
	v_add_f64 v[26:27], v[22:23], -1.0
	v_add_f64 v[40:41], v[26:27], -v[22:23]
	v_add_f64 v[40:41], v[40:41], 1.0
	v_add_f64 v[26:27], v[18:19], -v[26:27]
	s_mov_b32 s4, 0x55555555
	v_add_f64 v[26:27], v[26:27], v[40:41]
	v_frexp_mant_f64_e32 v[40:41], v[22:23]
	s_mov_b32 s5, 0x3fe55555
	v_frexp_exp_i32_f64_e32 v42, v[22:23]
	v_cmp_gt_f64_e64 s[4:5], s[4:5], v[40:41]
	v_subbrev_co_u32_e64 v58, s[4:5], 0, v42, s[4:5]
	v_sub_u32_e32 v40, 0, v58
	v_ldexp_f64 v[22:23], v[22:23], v40
	v_ldexp_f64 v[26:27], v[26:27], v40
	v_add_f64 v[40:41], v[22:23], -1.0
	s_waitcnt lgkmcnt(0)
	v_add_f64 v[46:47], v[22:23], 1.0
	v_add_f64 v[42:43], v[40:41], 1.0
	v_add_f64 v[48:49], v[46:47], -1.0
	v_add_f64 v[42:43], v[22:23], -v[42:43]
	v_add_f64 v[22:23], v[22:23], -v[48:49]
	v_add_f64 v[22:23], v[26:27], v[22:23]
	v_add_f64 v[42:43], v[26:27], v[42:43]
	;; [unrolled: 1-line block ×3, first 2 shown]
	v_rcp_f64_e32 v[48:49], v[26:27]
	v_add_f64 v[44:45], v[40:41], v[42:43]
	v_add_f64 v[40:41], v[44:45], -v[40:41]
	v_add_f64 v[40:41], v[42:43], -v[40:41]
	;; [unrolled: 1-line block ×4, first 2 shown]
	v_fma_f64 v[42:43], -v[26:27], v[48:49], 1.0
	v_fmac_f64_e32 v[48:49], v[42:43], v[48:49]
	v_fma_f64 v[42:43], -v[26:27], v[48:49], 1.0
	v_fmac_f64_e32 v[48:49], v[42:43], v[48:49]
	v_mul_f64 v[42:43], v[44:45], v[48:49]
	v_mul_f64 v[46:47], v[26:27], v[42:43]
	v_fma_f64 v[50:51], v[42:43], v[26:27], -v[46:47]
	v_fmac_f64_e32 v[50:51], v[42:43], v[22:23]
	v_add_f64 v[52:53], v[46:47], v[50:51]
	v_add_f64 v[56:57], v[44:45], -v[52:53]
	v_add_f64 v[44:45], v[44:45], -v[56:57]
	;; [unrolled: 1-line block ×4, first 2 shown]
	v_add_f64 v[40:41], v[40:41], v[44:45]
	v_add_f64 v[44:45], v[46:47], -v[50:51]
	v_add_f64 v[40:41], v[44:45], v[40:41]
	v_add_f64 v[44:45], v[56:57], v[40:41]
	v_add_f64 v[46:47], v[56:57], -v[44:45]
	v_add_f64 v[40:41], v[40:41], v[46:47]
	v_mul_f64 v[46:47], v[48:49], v[44:45]
	v_mul_f64 v[50:51], v[26:27], v[46:47]
	v_fma_f64 v[26:27], v[46:47], v[26:27], -v[50:51]
	v_fmac_f64_e32 v[26:27], v[46:47], v[22:23]
	v_add_f64 v[22:23], v[50:51], v[26:27]
	v_add_f64 v[52:53], v[44:45], -v[22:23]
	v_add_f64 v[44:45], v[44:45], -v[52:53]
	;; [unrolled: 1-line block ×4, first 2 shown]
	v_add_f64 v[22:23], v[40:41], v[22:23]
	v_add_f64 v[26:27], v[50:51], -v[26:27]
	v_add_f64 v[22:23], v[26:27], v[22:23]
	v_add_f64 v[26:27], v[42:43], v[46:47]
	;; [unrolled: 1-line block ×3, first 2 shown]
	v_add_f64 v[40:41], v[26:27], -v[42:43]
	v_mul_f64 v[22:23], v[48:49], v[22:23]
	v_add_f64 v[40:41], v[46:47], -v[40:41]
	v_add_f64 v[22:23], v[40:41], v[22:23]
	v_add_f64 v[40:41], v[26:27], v[22:23]
	v_add_f64 v[26:27], v[40:41], -v[26:27]
	s_mov_b32 s4, 0xbf559e2b
	v_add_f64 v[22:23], v[22:23], -v[26:27]
	v_mul_f64 v[26:27], v[40:41], v[40:41]
	v_mov_b32_e32 v42, 0x6b47b09a
	v_mov_b32_e32 v43, 0x3fc38538
	s_mov_b32 s5, 0x3fc3ab76
	v_fmac_f64_e32 v[42:43], s[4:5], v[26:27]
	v_mov_b32_e32 v44, 0xd7f4df2e
	v_mov_b32_e32 v45, 0x3fc7474d
	v_fmac_f64_e32 v[44:45], v[26:27], v[42:43]
	v_mov_b32_e32 v42, 0x16291751
	v_mov_b32_e32 v43, 0x3fcc71c0
	v_fmac_f64_e32 v[42:43], v[26:27], v[44:45]
	v_mov_b32_e32 v44, 0x9b27acf1
	v_mov_b32_e32 v45, 0x3fd24924
	v_fmac_f64_e32 v[44:45], v[26:27], v[42:43]
	v_mov_b32_e32 v42, 0x998ef7b6
	v_mov_b32_e32 v43, 0x3fd99999
	v_fmac_f64_e32 v[42:43], v[26:27], v[44:45]
	v_mov_b32_e32 v44, 0x55555780
	v_mov_b32_e32 v45, 0x3fe55555
	v_fmac_f64_e32 v[44:45], v[26:27], v[42:43]
	v_cvt_f64_i32_e32 v[42:43], v58
	s_mov_b32 s39, 0x3fe62e42
	v_mul_f64 v[46:47], v[42:43], s[38:39]
	v_fma_f64 v[48:49], v[42:43], s[38:39], -v[46:47]
	s_mov_b32 s43, 0x3c7abc9e
	v_fmac_f64_e32 v[48:49], s[42:43], v[42:43]
	v_add_f64 v[42:43], v[46:47], v[48:49]
	v_add_f64 v[46:47], v[42:43], -v[46:47]
	v_mul_f64 v[26:27], v[40:41], v[26:27]
	v_add_f64 v[46:47], v[48:49], -v[46:47]
	v_ldexp_f64 v[48:49], v[40:41], 1
	v_mul_f64 v[26:27], v[26:27], v[44:45]
	v_add_f64 v[40:41], v[48:49], v[26:27]
	v_add_f64 v[44:45], v[40:41], -v[48:49]
	v_ldexp_f64 v[22:23], v[22:23], 1
	v_add_f64 v[26:27], v[26:27], -v[44:45]
	v_add_f64 v[22:23], v[22:23], v[26:27]
	v_add_f64 v[26:27], v[40:41], v[22:23]
	v_add_f64 v[40:41], v[26:27], -v[40:41]
	v_add_f64 v[22:23], v[22:23], -v[40:41]
	v_add_f64 v[40:41], v[42:43], v[26:27]
	v_add_f64 v[44:45], v[40:41], -v[42:43]
	v_add_f64 v[48:49], v[40:41], -v[44:45]
	;; [unrolled: 1-line block ×4, first 2 shown]
	v_add_f64 v[26:27], v[26:27], v[42:43]
	v_add_f64 v[42:43], v[46:47], v[22:23]
	v_add_f64 v[44:45], v[42:43], -v[46:47]
	v_add_f64 v[26:27], v[42:43], v[26:27]
	v_add_f64 v[48:49], v[42:43], -v[44:45]
	;; [unrolled: 2-line block ×3, first 2 shown]
	v_add_f64 v[22:23], v[22:23], -v[44:45]
	v_add_f64 v[40:41], v[42:43], -v[40:41]
	v_add_f64 v[22:23], v[22:23], v[46:47]
	v_add_f64 v[26:27], v[26:27], -v[40:41]
	s_mov_b32 s4, 0
	v_add_f64 v[22:23], v[22:23], v[26:27]
	s_mov_b32 s5, 0x7ff00000
	v_add_f64 v[22:23], v[42:43], v[22:23]
	v_cmp_eq_f64_e64 s[4:5], s[4:5], v[18:19]
	v_cndmask_b32_e64 v22, v22, v18, s[4:5]
	v_cndmask_b32_e64 v23, v23, v19, s[4:5]
	v_mov_b32_e32 v26, 0x7ff80000
	v_cmp_ngt_f64_e64 s[4:5], -1.0, v[18:19]
	v_cndmask_b32_e64 v23, v26, v23, s[4:5]
	v_cmp_nge_f64_e64 s[4:5], -1.0, v[18:19]
	v_cndmask_b32_e64 v22, 0, v22, s[4:5]
	v_mov_b32_e32 v26, 0xfff00000
	v_cmp_neq_f64_e64 s[4:5], -1.0, v[18:19]
	v_cndmask_b32_e64 v23, v26, v23, s[4:5]
	v_add_f64 v[18:19], v[0:1], v[22:23]
.LBB20_82:
	s_or_b64 exec, exec, s[20:21]
	v_max_f64 v[0:1], v[18:19], v[18:19]
	v_min_f64 v[22:23], v[0:1], v[24:25]
	v_cmp_u_f64_e64 s[4:5], v[18:19], v[18:19]
	v_max_f64 v[0:1], v[0:1], v[24:25]
	v_cndmask_b32_e64 v22, v22, v18, s[4:5]
	v_cndmask_b32_e64 v23, v23, v19, s[4:5]
	;; [unrolled: 1-line block ×8, first 2 shown]
	v_cmp_neq_f64_e64 s[4:5], v[22:23], v[0:1]
	v_cmp_class_f64_e64 s[18:19], v[22:23], s33
	s_or_b64 s[4:5], s[4:5], s[18:19]
	v_pk_mov_b32 v[20:21], v[18:19], v[18:19] op_sel:[0,1]
	s_and_saveexec_b64 s[20:21], s[4:5]
	s_cbranch_execz .LBB20_84
; %bb.83:
	s_mov_b32 s4, 0x652b82fe
	v_add_f64 v[20:21], v[22:23], -v[0:1]
	s_mov_b32 s5, 0x3ff71547
	v_mul_f64 v[22:23], v[20:21], s[4:5]
	v_rndne_f64_e32 v[22:23], v[22:23]
	s_mov_b32 s23, 0xbfe62e42
	s_mov_b32 s22, 0xfefa39ef
	v_fma_f64 v[24:25], s[22:23], v[22:23], v[20:21]
	s_mov_b32 s39, 0xbc7abc9e
	s_mov_b32 s38, 0x3b39803f
	;; [unrolled: 1-line block ×3, first 2 shown]
	v_fmac_f64_e32 v[24:25], s[38:39], v[22:23]
	v_mov_b32_e32 v26, 0xfca7ab0c
	v_mov_b32_e32 v27, 0x3e928af3
	s_mov_b32 s5, 0x3e5ade15
	v_fmac_f64_e32 v[26:27], s[4:5], v[24:25]
	v_mov_b32_e32 v40, 0x623fde64
	v_mov_b32_e32 v41, 0x3ec71dee
	v_fmac_f64_e32 v[40:41], v[24:25], v[26:27]
	v_mov_b32_e32 v26, 0x7c89e6b0
	v_mov_b32_e32 v27, 0x3efa0199
	;; [unrolled: 3-line block ×8, first 2 shown]
	v_fmac_f64_e32 v[26:27], v[24:25], v[40:41]
	v_fma_f64 v[26:27], v[24:25], v[26:27], 1.0
	s_mov_b32 s4, 0
	s_mov_b32 s18, 0
	v_fma_f64 v[24:25], v[24:25], v[26:27], 1.0
	v_cvt_i32_f64_e32 v22, v[22:23]
	s_mov_b32 s5, 0x40900000
	s_mov_b32 s19, 0xc090cc00
	v_ldexp_f64 v[22:23], v[24:25], v22
	v_mov_b32_e32 v24, 0x7ff00000
	v_cmp_nlt_f64_e64 s[4:5], s[4:5], v[20:21]
	v_cmp_ngt_f64_e64 s[18:19], s[18:19], v[20:21]
	v_cndmask_b32_e64 v23, v24, v23, s[4:5]
	s_and_b64 s[4:5], s[18:19], s[4:5]
	v_cndmask_b32_e64 v21, 0, v23, s[18:19]
	v_cndmask_b32_e64 v20, 0, v22, s[4:5]
	v_add_f64 v[22:23], v[20:21], 1.0
	v_add_f64 v[24:25], v[22:23], -1.0
	v_add_f64 v[26:27], v[24:25], -v[22:23]
	v_add_f64 v[26:27], v[26:27], 1.0
	v_add_f64 v[24:25], v[20:21], -v[24:25]
	s_mov_b32 s4, 0x55555555
	v_add_f64 v[24:25], v[24:25], v[26:27]
	v_frexp_mant_f64_e32 v[26:27], v[22:23]
	s_mov_b32 s5, 0x3fe55555
	v_frexp_exp_i32_f64_e32 v40, v[22:23]
	v_cmp_gt_f64_e64 s[4:5], s[4:5], v[26:27]
	v_subbrev_co_u32_e64 v56, s[4:5], 0, v40, s[4:5]
	v_sub_u32_e32 v26, 0, v56
	v_ldexp_f64 v[22:23], v[22:23], v26
	v_ldexp_f64 v[24:25], v[24:25], v26
	v_add_f64 v[26:27], v[22:23], -1.0
	v_add_f64 v[44:45], v[22:23], 1.0
	v_add_f64 v[40:41], v[26:27], 1.0
	s_waitcnt lgkmcnt(0)
	v_add_f64 v[46:47], v[44:45], -1.0
	v_add_f64 v[40:41], v[22:23], -v[40:41]
	v_add_f64 v[22:23], v[22:23], -v[46:47]
	v_add_f64 v[22:23], v[24:25], v[22:23]
	v_add_f64 v[40:41], v[24:25], v[40:41]
	;; [unrolled: 1-line block ×3, first 2 shown]
	v_rcp_f64_e32 v[46:47], v[24:25]
	v_add_f64 v[42:43], v[26:27], v[40:41]
	v_add_f64 v[26:27], v[42:43], -v[26:27]
	v_add_f64 v[26:27], v[40:41], -v[26:27]
	;; [unrolled: 1-line block ×4, first 2 shown]
	v_fma_f64 v[40:41], -v[24:25], v[46:47], 1.0
	v_fmac_f64_e32 v[46:47], v[40:41], v[46:47]
	v_fma_f64 v[40:41], -v[24:25], v[46:47], 1.0
	v_fmac_f64_e32 v[46:47], v[40:41], v[46:47]
	v_mul_f64 v[40:41], v[42:43], v[46:47]
	v_mul_f64 v[44:45], v[24:25], v[40:41]
	v_fma_f64 v[48:49], v[40:41], v[24:25], -v[44:45]
	v_fmac_f64_e32 v[48:49], v[40:41], v[22:23]
	v_add_f64 v[50:51], v[44:45], v[48:49]
	v_add_f64 v[52:53], v[42:43], -v[50:51]
	v_add_f64 v[42:43], v[42:43], -v[52:53]
	;; [unrolled: 1-line block ×4, first 2 shown]
	v_add_f64 v[26:27], v[26:27], v[42:43]
	v_add_f64 v[42:43], v[44:45], -v[48:49]
	v_add_f64 v[26:27], v[42:43], v[26:27]
	v_add_f64 v[42:43], v[52:53], v[26:27]
	v_add_f64 v[44:45], v[52:53], -v[42:43]
	v_add_f64 v[26:27], v[26:27], v[44:45]
	v_mul_f64 v[44:45], v[46:47], v[42:43]
	v_mul_f64 v[48:49], v[24:25], v[44:45]
	v_fma_f64 v[24:25], v[44:45], v[24:25], -v[48:49]
	v_fmac_f64_e32 v[24:25], v[44:45], v[22:23]
	v_add_f64 v[22:23], v[48:49], v[24:25]
	v_add_f64 v[50:51], v[42:43], -v[22:23]
	v_add_f64 v[42:43], v[42:43], -v[50:51]
	;; [unrolled: 1-line block ×4, first 2 shown]
	v_add_f64 v[22:23], v[26:27], v[22:23]
	v_add_f64 v[24:25], v[48:49], -v[24:25]
	v_add_f64 v[22:23], v[24:25], v[22:23]
	v_add_f64 v[24:25], v[40:41], v[44:45]
	;; [unrolled: 1-line block ×3, first 2 shown]
	v_add_f64 v[26:27], v[24:25], -v[40:41]
	v_mul_f64 v[22:23], v[46:47], v[22:23]
	v_add_f64 v[26:27], v[44:45], -v[26:27]
	v_add_f64 v[22:23], v[26:27], v[22:23]
	v_add_f64 v[26:27], v[24:25], v[22:23]
	v_add_f64 v[24:25], v[26:27], -v[24:25]
	s_mov_b32 s4, 0xbf559e2b
	v_add_f64 v[22:23], v[22:23], -v[24:25]
	v_mul_f64 v[24:25], v[26:27], v[26:27]
	v_mov_b32_e32 v40, 0x6b47b09a
	v_mov_b32_e32 v41, 0x3fc38538
	s_mov_b32 s5, 0x3fc3ab76
	v_fmac_f64_e32 v[40:41], s[4:5], v[24:25]
	v_mov_b32_e32 v42, 0xd7f4df2e
	v_mov_b32_e32 v43, 0x3fc7474d
	v_fmac_f64_e32 v[42:43], v[24:25], v[40:41]
	v_mov_b32_e32 v40, 0x16291751
	v_mov_b32_e32 v41, 0x3fcc71c0
	;; [unrolled: 3-line block ×5, first 2 shown]
	v_fmac_f64_e32 v[42:43], v[24:25], v[40:41]
	v_cvt_f64_i32_e32 v[40:41], v56
	s_mov_b32 s23, 0x3fe62e42
	v_mul_f64 v[44:45], v[40:41], s[22:23]
	v_fma_f64 v[46:47], v[40:41], s[22:23], -v[44:45]
	s_mov_b32 s39, 0x3c7abc9e
	v_fmac_f64_e32 v[46:47], s[38:39], v[40:41]
	v_add_f64 v[40:41], v[44:45], v[46:47]
	v_add_f64 v[44:45], v[40:41], -v[44:45]
	v_mul_f64 v[24:25], v[26:27], v[24:25]
	v_add_f64 v[44:45], v[46:47], -v[44:45]
	v_ldexp_f64 v[46:47], v[26:27], 1
	v_mul_f64 v[24:25], v[24:25], v[42:43]
	v_add_f64 v[26:27], v[46:47], v[24:25]
	v_add_f64 v[42:43], v[26:27], -v[46:47]
	v_ldexp_f64 v[22:23], v[22:23], 1
	v_add_f64 v[24:25], v[24:25], -v[42:43]
	v_add_f64 v[22:23], v[22:23], v[24:25]
	v_add_f64 v[24:25], v[26:27], v[22:23]
	v_add_f64 v[26:27], v[24:25], -v[26:27]
	v_add_f64 v[22:23], v[22:23], -v[26:27]
	v_add_f64 v[26:27], v[40:41], v[24:25]
	v_add_f64 v[42:43], v[26:27], -v[40:41]
	v_add_f64 v[46:47], v[26:27], -v[42:43]
	;; [unrolled: 1-line block ×4, first 2 shown]
	v_add_f64 v[24:25], v[24:25], v[40:41]
	v_add_f64 v[40:41], v[44:45], v[22:23]
	v_add_f64 v[42:43], v[40:41], -v[44:45]
	v_add_f64 v[24:25], v[40:41], v[24:25]
	v_add_f64 v[46:47], v[40:41], -v[42:43]
	;; [unrolled: 2-line block ×3, first 2 shown]
	v_add_f64 v[22:23], v[22:23], -v[42:43]
	v_add_f64 v[26:27], v[40:41], -v[26:27]
	v_add_f64 v[22:23], v[22:23], v[44:45]
	v_add_f64 v[24:25], v[24:25], -v[26:27]
	s_mov_b32 s4, 0
	v_add_f64 v[22:23], v[22:23], v[24:25]
	s_mov_b32 s5, 0x7ff00000
	v_add_f64 v[22:23], v[40:41], v[22:23]
	v_cmp_eq_f64_e64 s[4:5], s[4:5], v[20:21]
	v_cndmask_b32_e64 v22, v22, v20, s[4:5]
	v_cndmask_b32_e64 v23, v23, v21, s[4:5]
	v_mov_b32_e32 v24, 0x7ff80000
	v_cmp_ngt_f64_e64 s[4:5], -1.0, v[20:21]
	v_cndmask_b32_e64 v23, v24, v23, s[4:5]
	v_cmp_nge_f64_e64 s[4:5], -1.0, v[20:21]
	v_cndmask_b32_e64 v22, 0, v22, s[4:5]
	v_mov_b32_e32 v24, 0xfff00000
	v_cmp_neq_f64_e64 s[4:5], -1.0, v[20:21]
	v_cndmask_b32_e64 v23, v24, v23, s[4:5]
	v_add_f64 v[20:21], v[0:1], v[22:23]
.LBB20_84:
	s_or_b64 exec, exec, s[20:21]
	v_max_f64 v[0:1], v[20:21], v[20:21]
	v_min_f64 v[22:23], v[0:1], v[28:29]
	v_cmp_u_f64_e64 s[4:5], v[20:21], v[20:21]
	v_max_f64 v[0:1], v[0:1], v[28:29]
	v_cndmask_b32_e64 v22, v22, v20, s[4:5]
	v_cndmask_b32_e64 v23, v23, v21, s[4:5]
	;; [unrolled: 1-line block ×8, first 2 shown]
	v_cmp_neq_f64_e64 s[4:5], v[22:23], v[0:1]
	v_cmp_class_f64_e64 s[18:19], v[22:23], s33
	s_or_b64 s[4:5], s[4:5], s[18:19]
	v_pk_mov_b32 v[14:15], v[20:21], v[20:21] op_sel:[0,1]
	s_and_saveexec_b64 s[20:21], s[4:5]
	s_cbranch_execz .LBB20_86
; %bb.85:
	s_mov_b32 s4, 0x652b82fe
	v_add_f64 v[14:15], v[22:23], -v[0:1]
	s_mov_b32 s5, 0x3ff71547
	v_mul_f64 v[22:23], v[14:15], s[4:5]
	v_rndne_f64_e32 v[22:23], v[22:23]
	s_mov_b32 s23, 0xbfe62e42
	s_mov_b32 s22, 0xfefa39ef
	v_fma_f64 v[24:25], s[22:23], v[22:23], v[14:15]
	s_mov_b32 s25, 0xbc7abc9e
	s_mov_b32 s24, 0x3b39803f
	;; [unrolled: 1-line block ×3, first 2 shown]
	v_fmac_f64_e32 v[24:25], s[24:25], v[22:23]
	v_mov_b32_e32 v26, 0xfca7ab0c
	v_mov_b32_e32 v27, 0x3e928af3
	s_mov_b32 s5, 0x3e5ade15
	v_fmac_f64_e32 v[26:27], s[4:5], v[24:25]
	v_mov_b32_e32 v28, 0x623fde64
	v_mov_b32_e32 v29, 0x3ec71dee
	v_fmac_f64_e32 v[28:29], v[24:25], v[26:27]
	v_mov_b32_e32 v26, 0x7c89e6b0
	v_mov_b32_e32 v27, 0x3efa0199
	;; [unrolled: 3-line block ×8, first 2 shown]
	v_fmac_f64_e32 v[26:27], v[24:25], v[28:29]
	v_fma_f64 v[26:27], v[24:25], v[26:27], 1.0
	s_mov_b32 s4, 0
	s_mov_b32 s18, 0
	v_fma_f64 v[24:25], v[24:25], v[26:27], 1.0
	v_cvt_i32_f64_e32 v22, v[22:23]
	s_mov_b32 s5, 0x40900000
	s_mov_b32 s19, 0xc090cc00
	v_ldexp_f64 v[22:23], v[24:25], v22
	v_mov_b32_e32 v24, 0x7ff00000
	v_cmp_nlt_f64_e64 s[4:5], s[4:5], v[14:15]
	v_cmp_ngt_f64_e64 s[18:19], s[18:19], v[14:15]
	v_cndmask_b32_e64 v23, v24, v23, s[4:5]
	s_and_b64 s[4:5], s[18:19], s[4:5]
	v_cndmask_b32_e64 v15, 0, v23, s[18:19]
	v_cndmask_b32_e64 v14, 0, v22, s[4:5]
	v_add_f64 v[22:23], v[14:15], 1.0
	v_add_f64 v[24:25], v[22:23], -1.0
	v_add_f64 v[26:27], v[24:25], -v[22:23]
	v_add_f64 v[26:27], v[26:27], 1.0
	v_add_f64 v[24:25], v[14:15], -v[24:25]
	s_mov_b32 s4, 0x55555555
	v_add_f64 v[24:25], v[24:25], v[26:27]
	v_frexp_mant_f64_e32 v[26:27], v[22:23]
	s_mov_b32 s5, 0x3fe55555
	v_frexp_exp_i32_f64_e32 v28, v[22:23]
	v_cmp_gt_f64_e64 s[4:5], s[4:5], v[26:27]
	v_subbrev_co_u32_e64 v52, s[4:5], 0, v28, s[4:5]
	v_sub_u32_e32 v26, 0, v52
	v_ldexp_f64 v[22:23], v[22:23], v26
	v_ldexp_f64 v[24:25], v[24:25], v26
	v_add_f64 v[26:27], v[22:23], -1.0
	v_add_f64 v[42:43], v[22:23], 1.0
	v_add_f64 v[28:29], v[26:27], 1.0
	v_add_f64 v[44:45], v[42:43], -1.0
	v_add_f64 v[28:29], v[22:23], -v[28:29]
	v_add_f64 v[22:23], v[22:23], -v[44:45]
	v_add_f64 v[22:23], v[24:25], v[22:23]
	v_add_f64 v[28:29], v[24:25], v[28:29]
	;; [unrolled: 1-line block ×3, first 2 shown]
	v_rcp_f64_e32 v[44:45], v[24:25]
	v_add_f64 v[40:41], v[26:27], v[28:29]
	v_add_f64 v[26:27], v[40:41], -v[26:27]
	v_add_f64 v[26:27], v[28:29], -v[26:27]
	;; [unrolled: 1-line block ×4, first 2 shown]
	v_fma_f64 v[28:29], -v[24:25], v[44:45], 1.0
	v_fmac_f64_e32 v[44:45], v[28:29], v[44:45]
	v_fma_f64 v[28:29], -v[24:25], v[44:45], 1.0
	v_fmac_f64_e32 v[44:45], v[28:29], v[44:45]
	v_mul_f64 v[28:29], v[40:41], v[44:45]
	v_mul_f64 v[42:43], v[24:25], v[28:29]
	s_waitcnt lgkmcnt(0)
	v_fma_f64 v[46:47], v[28:29], v[24:25], -v[42:43]
	v_fmac_f64_e32 v[46:47], v[28:29], v[22:23]
	v_add_f64 v[48:49], v[42:43], v[46:47]
	v_add_f64 v[50:51], v[40:41], -v[48:49]
	v_add_f64 v[40:41], v[40:41], -v[50:51]
	;; [unrolled: 1-line block ×4, first 2 shown]
	v_add_f64 v[26:27], v[26:27], v[40:41]
	v_add_f64 v[40:41], v[42:43], -v[46:47]
	v_add_f64 v[26:27], v[40:41], v[26:27]
	v_add_f64 v[40:41], v[50:51], v[26:27]
	v_add_f64 v[42:43], v[50:51], -v[40:41]
	v_add_f64 v[26:27], v[26:27], v[42:43]
	v_mul_f64 v[42:43], v[44:45], v[40:41]
	v_mul_f64 v[46:47], v[24:25], v[42:43]
	v_fma_f64 v[24:25], v[42:43], v[24:25], -v[46:47]
	v_fmac_f64_e32 v[24:25], v[42:43], v[22:23]
	v_add_f64 v[22:23], v[46:47], v[24:25]
	v_add_f64 v[48:49], v[40:41], -v[22:23]
	v_add_f64 v[40:41], v[40:41], -v[48:49]
	;; [unrolled: 1-line block ×4, first 2 shown]
	v_add_f64 v[22:23], v[26:27], v[22:23]
	v_add_f64 v[24:25], v[46:47], -v[24:25]
	v_add_f64 v[22:23], v[24:25], v[22:23]
	v_add_f64 v[24:25], v[28:29], v[42:43]
	;; [unrolled: 1-line block ×3, first 2 shown]
	v_add_f64 v[26:27], v[24:25], -v[28:29]
	v_mul_f64 v[22:23], v[44:45], v[22:23]
	v_add_f64 v[26:27], v[42:43], -v[26:27]
	v_add_f64 v[22:23], v[26:27], v[22:23]
	v_add_f64 v[26:27], v[24:25], v[22:23]
	v_add_f64 v[24:25], v[26:27], -v[24:25]
	s_mov_b32 s4, 0xbf559e2b
	v_add_f64 v[22:23], v[22:23], -v[24:25]
	v_mul_f64 v[24:25], v[26:27], v[26:27]
	v_mov_b32_e32 v28, 0x6b47b09a
	v_mov_b32_e32 v29, 0x3fc38538
	s_mov_b32 s5, 0x3fc3ab76
	v_fmac_f64_e32 v[28:29], s[4:5], v[24:25]
	v_mov_b32_e32 v40, 0xd7f4df2e
	v_mov_b32_e32 v41, 0x3fc7474d
	v_fmac_f64_e32 v[40:41], v[24:25], v[28:29]
	v_mov_b32_e32 v28, 0x16291751
	v_mov_b32_e32 v29, 0x3fcc71c0
	;; [unrolled: 3-line block ×5, first 2 shown]
	v_fmac_f64_e32 v[40:41], v[24:25], v[28:29]
	v_cvt_f64_i32_e32 v[28:29], v52
	s_mov_b32 s23, 0x3fe62e42
	v_mul_f64 v[42:43], v[28:29], s[22:23]
	v_fma_f64 v[44:45], v[28:29], s[22:23], -v[42:43]
	s_mov_b32 s25, 0x3c7abc9e
	v_fmac_f64_e32 v[44:45], s[24:25], v[28:29]
	v_add_f64 v[28:29], v[42:43], v[44:45]
	v_add_f64 v[42:43], v[28:29], -v[42:43]
	v_mul_f64 v[24:25], v[26:27], v[24:25]
	v_add_f64 v[42:43], v[44:45], -v[42:43]
	v_ldexp_f64 v[44:45], v[26:27], 1
	v_mul_f64 v[24:25], v[24:25], v[40:41]
	v_add_f64 v[26:27], v[44:45], v[24:25]
	v_add_f64 v[40:41], v[26:27], -v[44:45]
	v_ldexp_f64 v[22:23], v[22:23], 1
	v_add_f64 v[24:25], v[24:25], -v[40:41]
	v_add_f64 v[22:23], v[22:23], v[24:25]
	v_add_f64 v[24:25], v[26:27], v[22:23]
	v_add_f64 v[26:27], v[24:25], -v[26:27]
	v_add_f64 v[22:23], v[22:23], -v[26:27]
	v_add_f64 v[26:27], v[28:29], v[24:25]
	v_add_f64 v[40:41], v[26:27], -v[28:29]
	v_add_f64 v[44:45], v[26:27], -v[40:41]
	;; [unrolled: 1-line block ×4, first 2 shown]
	v_add_f64 v[24:25], v[24:25], v[28:29]
	v_add_f64 v[28:29], v[42:43], v[22:23]
	v_add_f64 v[40:41], v[28:29], -v[42:43]
	v_add_f64 v[24:25], v[28:29], v[24:25]
	v_add_f64 v[44:45], v[28:29], -v[40:41]
	;; [unrolled: 2-line block ×3, first 2 shown]
	v_add_f64 v[22:23], v[22:23], -v[40:41]
	v_add_f64 v[26:27], v[28:29], -v[26:27]
	v_add_f64 v[22:23], v[22:23], v[42:43]
	v_add_f64 v[24:25], v[24:25], -v[26:27]
	s_mov_b32 s4, 0
	v_add_f64 v[22:23], v[22:23], v[24:25]
	s_mov_b32 s5, 0x7ff00000
	v_add_f64 v[22:23], v[28:29], v[22:23]
	v_cmp_eq_f64_e64 s[4:5], s[4:5], v[14:15]
	v_cndmask_b32_e64 v22, v22, v14, s[4:5]
	v_cndmask_b32_e64 v23, v23, v15, s[4:5]
	v_mov_b32_e32 v24, 0x7ff80000
	v_cmp_ngt_f64_e64 s[4:5], -1.0, v[14:15]
	v_cndmask_b32_e64 v23, v24, v23, s[4:5]
	v_cmp_nge_f64_e64 s[4:5], -1.0, v[14:15]
	v_cndmask_b32_e64 v22, 0, v22, s[4:5]
	v_mov_b32_e32 v24, 0xfff00000
	v_cmp_neq_f64_e64 s[4:5], -1.0, v[14:15]
	v_cndmask_b32_e64 v23, v24, v23, s[4:5]
	v_add_f64 v[14:15], v[0:1], v[22:23]
.LBB20_86:
	s_or_b64 exec, exec, s[20:21]
	v_max_f64 v[0:1], v[14:15], v[14:15]
	v_min_f64 v[22:23], v[0:1], v[30:31]
	v_cmp_u_f64_e64 s[4:5], v[14:15], v[14:15]
	v_max_f64 v[0:1], v[0:1], v[30:31]
	v_cndmask_b32_e64 v22, v22, v14, s[4:5]
	v_cndmask_b32_e64 v23, v23, v15, s[4:5]
	v_cndmask_b32_e64 v0, v0, v14, s[4:5]
	v_cndmask_b32_e64 v1, v1, v15, s[4:5]
	v_cndmask_b32_e64 v23, v23, v17, s[26:27]
	v_cndmask_b32_e64 v22, v22, v16, s[26:27]
	v_cndmask_b32_e64 v1, v1, v17, s[26:27]
	v_cndmask_b32_e64 v0, v0, v16, s[26:27]
	s_movk_i32 s26, 0x1f8
	v_cmp_neq_f64_e64 s[4:5], v[22:23], v[0:1]
	v_cmp_class_f64_e64 s[18:19], v[22:23], s26
	s_or_b64 s[4:5], s[4:5], s[18:19]
	v_pk_mov_b32 v[16:17], v[14:15], v[14:15] op_sel:[0,1]
	s_and_saveexec_b64 s[20:21], s[4:5]
	s_cbranch_execz .LBB20_88
; %bb.87:
	s_mov_b32 s4, 0x652b82fe
	v_add_f64 v[16:17], v[22:23], -v[0:1]
	s_mov_b32 s5, 0x3ff71547
	v_mul_f64 v[22:23], v[16:17], s[4:5]
	v_rndne_f64_e32 v[22:23], v[22:23]
	s_mov_b32 s23, 0xbfe62e42
	s_mov_b32 s22, 0xfefa39ef
	v_fma_f64 v[24:25], s[22:23], v[22:23], v[16:17]
	s_mov_b32 s25, 0xbc7abc9e
	s_mov_b32 s24, 0x3b39803f
	s_mov_b32 s4, 0x6a5dcb37
	v_fmac_f64_e32 v[24:25], s[24:25], v[22:23]
	v_mov_b32_e32 v26, 0xfca7ab0c
	v_mov_b32_e32 v27, 0x3e928af3
	s_mov_b32 s5, 0x3e5ade15
	v_fmac_f64_e32 v[26:27], s[4:5], v[24:25]
	v_mov_b32_e32 v28, 0x623fde64
	v_mov_b32_e32 v29, 0x3ec71dee
	v_fmac_f64_e32 v[28:29], v[24:25], v[26:27]
	v_mov_b32_e32 v26, 0x7c89e6b0
	v_mov_b32_e32 v27, 0x3efa0199
	;; [unrolled: 3-line block ×8, first 2 shown]
	v_fmac_f64_e32 v[26:27], v[24:25], v[28:29]
	v_fma_f64 v[26:27], v[24:25], v[26:27], 1.0
	s_mov_b32 s4, 0
	s_mov_b32 s18, 0
	v_fma_f64 v[24:25], v[24:25], v[26:27], 1.0
	v_cvt_i32_f64_e32 v22, v[22:23]
	s_mov_b32 s5, 0x40900000
	s_mov_b32 s19, 0xc090cc00
	v_ldexp_f64 v[22:23], v[24:25], v22
	v_mov_b32_e32 v24, 0x7ff00000
	v_cmp_nlt_f64_e64 s[4:5], s[4:5], v[16:17]
	v_cmp_ngt_f64_e64 s[18:19], s[18:19], v[16:17]
	v_cndmask_b32_e64 v23, v24, v23, s[4:5]
	s_and_b64 s[4:5], s[18:19], s[4:5]
	v_cndmask_b32_e64 v17, 0, v23, s[18:19]
	v_cndmask_b32_e64 v16, 0, v22, s[4:5]
	v_add_f64 v[22:23], v[16:17], 1.0
	v_add_f64 v[24:25], v[22:23], -1.0
	v_add_f64 v[26:27], v[24:25], -v[22:23]
	v_add_f64 v[26:27], v[26:27], 1.0
	v_add_f64 v[24:25], v[16:17], -v[24:25]
	s_mov_b32 s4, 0x55555555
	v_add_f64 v[24:25], v[24:25], v[26:27]
	v_frexp_mant_f64_e32 v[26:27], v[22:23]
	s_mov_b32 s5, 0x3fe55555
	v_frexp_exp_i32_f64_e32 v28, v[22:23]
	v_cmp_gt_f64_e64 s[4:5], s[4:5], v[26:27]
	v_subbrev_co_u32_e64 v50, s[4:5], 0, v28, s[4:5]
	v_sub_u32_e32 v26, 0, v50
	v_ldexp_f64 v[22:23], v[22:23], v26
	v_ldexp_f64 v[24:25], v[24:25], v26
	v_add_f64 v[26:27], v[22:23], -1.0
	v_add_f64 v[40:41], v[22:23], 1.0
	v_add_f64 v[28:29], v[26:27], 1.0
	v_add_f64 v[42:43], v[40:41], -1.0
	v_add_f64 v[28:29], v[22:23], -v[28:29]
	v_add_f64 v[22:23], v[22:23], -v[42:43]
	v_add_f64 v[22:23], v[24:25], v[22:23]
	v_add_f64 v[28:29], v[24:25], v[28:29]
	;; [unrolled: 1-line block ×3, first 2 shown]
	v_rcp_f64_e32 v[42:43], v[24:25]
	v_add_f64 v[30:31], v[26:27], v[28:29]
	v_add_f64 v[26:27], v[30:31], -v[26:27]
	v_add_f64 v[26:27], v[28:29], -v[26:27]
	;; [unrolled: 1-line block ×4, first 2 shown]
	v_fma_f64 v[28:29], -v[24:25], v[42:43], 1.0
	v_fmac_f64_e32 v[42:43], v[28:29], v[42:43]
	v_fma_f64 v[28:29], -v[24:25], v[42:43], 1.0
	v_fmac_f64_e32 v[42:43], v[28:29], v[42:43]
	v_mul_f64 v[28:29], v[30:31], v[42:43]
	v_mul_f64 v[40:41], v[24:25], v[28:29]
	v_fma_f64 v[44:45], v[28:29], v[24:25], -v[40:41]
	v_fmac_f64_e32 v[44:45], v[28:29], v[22:23]
	s_waitcnt lgkmcnt(0)
	v_add_f64 v[46:47], v[40:41], v[44:45]
	v_add_f64 v[48:49], v[30:31], -v[46:47]
	v_add_f64 v[30:31], v[30:31], -v[48:49]
	;; [unrolled: 1-line block ×4, first 2 shown]
	v_add_f64 v[26:27], v[26:27], v[30:31]
	v_add_f64 v[30:31], v[40:41], -v[44:45]
	v_add_f64 v[26:27], v[30:31], v[26:27]
	v_add_f64 v[30:31], v[48:49], v[26:27]
	v_add_f64 v[40:41], v[48:49], -v[30:31]
	v_add_f64 v[26:27], v[26:27], v[40:41]
	v_mul_f64 v[40:41], v[42:43], v[30:31]
	v_mul_f64 v[44:45], v[24:25], v[40:41]
	v_fma_f64 v[24:25], v[40:41], v[24:25], -v[44:45]
	v_fmac_f64_e32 v[24:25], v[40:41], v[22:23]
	v_add_f64 v[22:23], v[44:45], v[24:25]
	v_add_f64 v[46:47], v[30:31], -v[22:23]
	v_add_f64 v[30:31], v[30:31], -v[46:47]
	;; [unrolled: 1-line block ×4, first 2 shown]
	v_add_f64 v[22:23], v[26:27], v[22:23]
	v_add_f64 v[24:25], v[44:45], -v[24:25]
	v_add_f64 v[22:23], v[24:25], v[22:23]
	v_add_f64 v[24:25], v[28:29], v[40:41]
	;; [unrolled: 1-line block ×3, first 2 shown]
	v_add_f64 v[26:27], v[24:25], -v[28:29]
	v_mul_f64 v[22:23], v[42:43], v[22:23]
	v_add_f64 v[26:27], v[40:41], -v[26:27]
	v_add_f64 v[22:23], v[26:27], v[22:23]
	v_add_f64 v[26:27], v[24:25], v[22:23]
	v_add_f64 v[24:25], v[26:27], -v[24:25]
	s_mov_b32 s4, 0xbf559e2b
	v_add_f64 v[22:23], v[22:23], -v[24:25]
	v_mul_f64 v[24:25], v[26:27], v[26:27]
	v_mov_b32_e32 v28, 0x6b47b09a
	v_mov_b32_e32 v29, 0x3fc38538
	s_mov_b32 s5, 0x3fc3ab76
	v_fmac_f64_e32 v[28:29], s[4:5], v[24:25]
	v_mov_b32_e32 v30, 0xd7f4df2e
	v_mov_b32_e32 v31, 0x3fc7474d
	v_fmac_f64_e32 v[30:31], v[24:25], v[28:29]
	v_mov_b32_e32 v28, 0x16291751
	v_mov_b32_e32 v29, 0x3fcc71c0
	;; [unrolled: 3-line block ×5, first 2 shown]
	v_fmac_f64_e32 v[30:31], v[24:25], v[28:29]
	v_cvt_f64_i32_e32 v[28:29], v50
	s_mov_b32 s23, 0x3fe62e42
	v_mul_f64 v[40:41], v[28:29], s[22:23]
	v_fma_f64 v[42:43], v[28:29], s[22:23], -v[40:41]
	s_mov_b32 s25, 0x3c7abc9e
	v_fmac_f64_e32 v[42:43], s[24:25], v[28:29]
	v_add_f64 v[28:29], v[40:41], v[42:43]
	v_add_f64 v[40:41], v[28:29], -v[40:41]
	v_mul_f64 v[24:25], v[26:27], v[24:25]
	v_add_f64 v[40:41], v[42:43], -v[40:41]
	v_ldexp_f64 v[42:43], v[26:27], 1
	v_mul_f64 v[24:25], v[24:25], v[30:31]
	v_add_f64 v[26:27], v[42:43], v[24:25]
	v_add_f64 v[30:31], v[26:27], -v[42:43]
	v_ldexp_f64 v[22:23], v[22:23], 1
	v_add_f64 v[24:25], v[24:25], -v[30:31]
	v_add_f64 v[22:23], v[22:23], v[24:25]
	v_add_f64 v[24:25], v[26:27], v[22:23]
	v_add_f64 v[26:27], v[24:25], -v[26:27]
	v_add_f64 v[22:23], v[22:23], -v[26:27]
	v_add_f64 v[26:27], v[28:29], v[24:25]
	v_add_f64 v[30:31], v[26:27], -v[28:29]
	v_add_f64 v[42:43], v[26:27], -v[30:31]
	;; [unrolled: 1-line block ×4, first 2 shown]
	v_add_f64 v[24:25], v[24:25], v[28:29]
	v_add_f64 v[28:29], v[40:41], v[22:23]
	v_add_f64 v[30:31], v[28:29], -v[40:41]
	v_add_f64 v[24:25], v[28:29], v[24:25]
	v_add_f64 v[42:43], v[28:29], -v[30:31]
	v_add_f64 v[28:29], v[26:27], v[24:25]
	v_add_f64 v[40:41], v[40:41], -v[42:43]
	v_add_f64 v[22:23], v[22:23], -v[30:31]
	v_add_f64 v[26:27], v[28:29], -v[26:27]
	v_add_f64 v[22:23], v[22:23], v[40:41]
	v_add_f64 v[24:25], v[24:25], -v[26:27]
	s_mov_b32 s4, 0
	v_add_f64 v[22:23], v[22:23], v[24:25]
	s_mov_b32 s5, 0x7ff00000
	v_add_f64 v[22:23], v[28:29], v[22:23]
	v_cmp_eq_f64_e64 s[4:5], s[4:5], v[16:17]
	v_cndmask_b32_e64 v22, v22, v16, s[4:5]
	v_cndmask_b32_e64 v23, v23, v17, s[4:5]
	v_mov_b32_e32 v24, 0x7ff80000
	v_cmp_ngt_f64_e64 s[4:5], -1.0, v[16:17]
	v_cndmask_b32_e64 v23, v24, v23, s[4:5]
	v_cmp_nge_f64_e64 s[4:5], -1.0, v[16:17]
	v_cndmask_b32_e64 v22, 0, v22, s[4:5]
	v_mov_b32_e32 v24, 0xfff00000
	v_cmp_neq_f64_e64 s[4:5], -1.0, v[16:17]
	v_cndmask_b32_e64 v23, v24, v23, s[4:5]
	v_add_f64 v[16:17], v[0:1], v[22:23]
.LBB20_88:
	s_or_b64 exec, exec, s[20:21]
	v_max_f64 v[0:1], v[16:17], v[16:17]
	v_min_f64 v[22:23], v[0:1], v[32:33]
	v_cmp_u_f64_e64 s[4:5], v[16:17], v[16:17]
	v_max_f64 v[0:1], v[0:1], v[32:33]
	v_cndmask_b32_e64 v22, v22, v16, s[4:5]
	v_cndmask_b32_e64 v23, v23, v17, s[4:5]
	;; [unrolled: 1-line block ×8, first 2 shown]
	v_cmp_neq_f64_e64 s[4:5], v[22:23], v[0:1]
	v_cmp_class_f64_e64 s[18:19], v[22:23], s26
	s_or_b64 s[4:5], s[4:5], s[18:19]
	v_pk_mov_b32 v[10:11], v[16:17], v[16:17] op_sel:[0,1]
	s_and_saveexec_b64 s[20:21], s[4:5]
	s_cbranch_execz .LBB20_90
; %bb.89:
	s_mov_b32 s4, 0x652b82fe
	v_add_f64 v[10:11], v[22:23], -v[0:1]
	s_mov_b32 s5, 0x3ff71547
	v_mul_f64 v[22:23], v[10:11], s[4:5]
	v_rndne_f64_e32 v[22:23], v[22:23]
	s_mov_b32 s23, 0xbfe62e42
	s_mov_b32 s22, 0xfefa39ef
	v_fma_f64 v[24:25], s[22:23], v[22:23], v[10:11]
	s_mov_b32 s25, 0xbc7abc9e
	s_mov_b32 s24, 0x3b39803f
	;; [unrolled: 1-line block ×3, first 2 shown]
	v_fmac_f64_e32 v[24:25], s[24:25], v[22:23]
	v_mov_b32_e32 v26, 0xfca7ab0c
	v_mov_b32_e32 v27, 0x3e928af3
	s_mov_b32 s5, 0x3e5ade15
	v_fmac_f64_e32 v[26:27], s[4:5], v[24:25]
	v_mov_b32_e32 v28, 0x623fde64
	v_mov_b32_e32 v29, 0x3ec71dee
	v_fmac_f64_e32 v[28:29], v[24:25], v[26:27]
	v_mov_b32_e32 v26, 0x7c89e6b0
	v_mov_b32_e32 v27, 0x3efa0199
	;; [unrolled: 3-line block ×8, first 2 shown]
	v_fmac_f64_e32 v[26:27], v[24:25], v[28:29]
	v_fma_f64 v[26:27], v[24:25], v[26:27], 1.0
	s_mov_b32 s4, 0
	s_mov_b32 s18, 0
	v_fma_f64 v[24:25], v[24:25], v[26:27], 1.0
	v_cvt_i32_f64_e32 v22, v[22:23]
	s_mov_b32 s5, 0x40900000
	s_mov_b32 s19, 0xc090cc00
	v_ldexp_f64 v[22:23], v[24:25], v22
	v_mov_b32_e32 v24, 0x7ff00000
	v_cmp_nlt_f64_e64 s[4:5], s[4:5], v[10:11]
	v_cmp_ngt_f64_e64 s[18:19], s[18:19], v[10:11]
	v_cndmask_b32_e64 v23, v24, v23, s[4:5]
	s_and_b64 s[4:5], s[18:19], s[4:5]
	v_cndmask_b32_e64 v11, 0, v23, s[18:19]
	v_cndmask_b32_e64 v10, 0, v22, s[4:5]
	v_add_f64 v[22:23], v[10:11], 1.0
	v_add_f64 v[24:25], v[22:23], -1.0
	v_add_f64 v[26:27], v[24:25], -v[22:23]
	v_add_f64 v[26:27], v[26:27], 1.0
	v_add_f64 v[24:25], v[10:11], -v[24:25]
	s_mov_b32 s4, 0x55555555
	v_add_f64 v[24:25], v[24:25], v[26:27]
	v_frexp_mant_f64_e32 v[26:27], v[22:23]
	s_mov_b32 s5, 0x3fe55555
	v_frexp_exp_i32_f64_e32 v28, v[22:23]
	v_cmp_gt_f64_e64 s[4:5], s[4:5], v[26:27]
	v_subbrev_co_u32_e64 v48, s[4:5], 0, v28, s[4:5]
	v_sub_u32_e32 v26, 0, v48
	v_ldexp_f64 v[22:23], v[22:23], v26
	v_ldexp_f64 v[24:25], v[24:25], v26
	v_add_f64 v[26:27], v[22:23], -1.0
	v_add_f64 v[32:33], v[22:23], 1.0
	v_add_f64 v[28:29], v[26:27], 1.0
	v_add_f64 v[40:41], v[32:33], -1.0
	v_add_f64 v[28:29], v[22:23], -v[28:29]
	v_add_f64 v[22:23], v[22:23], -v[40:41]
	v_add_f64 v[22:23], v[24:25], v[22:23]
	v_add_f64 v[28:29], v[24:25], v[28:29]
	;; [unrolled: 1-line block ×3, first 2 shown]
	v_rcp_f64_e32 v[40:41], v[24:25]
	v_add_f64 v[30:31], v[26:27], v[28:29]
	v_add_f64 v[26:27], v[30:31], -v[26:27]
	v_add_f64 v[26:27], v[28:29], -v[26:27]
	;; [unrolled: 1-line block ×4, first 2 shown]
	v_fma_f64 v[28:29], -v[24:25], v[40:41], 1.0
	v_fmac_f64_e32 v[40:41], v[28:29], v[40:41]
	v_fma_f64 v[28:29], -v[24:25], v[40:41], 1.0
	v_fmac_f64_e32 v[40:41], v[28:29], v[40:41]
	v_mul_f64 v[28:29], v[30:31], v[40:41]
	v_mul_f64 v[32:33], v[24:25], v[28:29]
	v_fma_f64 v[42:43], v[28:29], v[24:25], -v[32:33]
	v_fmac_f64_e32 v[42:43], v[28:29], v[22:23]
	v_add_f64 v[44:45], v[32:33], v[42:43]
	s_waitcnt lgkmcnt(0)
	v_add_f64 v[46:47], v[30:31], -v[44:45]
	v_add_f64 v[30:31], v[30:31], -v[46:47]
	;; [unrolled: 1-line block ×4, first 2 shown]
	v_add_f64 v[26:27], v[26:27], v[30:31]
	v_add_f64 v[30:31], v[32:33], -v[42:43]
	v_add_f64 v[26:27], v[30:31], v[26:27]
	v_add_f64 v[30:31], v[46:47], v[26:27]
	v_add_f64 v[32:33], v[46:47], -v[30:31]
	v_add_f64 v[26:27], v[26:27], v[32:33]
	v_mul_f64 v[32:33], v[40:41], v[30:31]
	v_mul_f64 v[42:43], v[24:25], v[32:33]
	v_fma_f64 v[24:25], v[32:33], v[24:25], -v[42:43]
	v_fmac_f64_e32 v[24:25], v[32:33], v[22:23]
	v_add_f64 v[22:23], v[42:43], v[24:25]
	v_add_f64 v[44:45], v[30:31], -v[22:23]
	v_add_f64 v[30:31], v[30:31], -v[44:45]
	;; [unrolled: 1-line block ×4, first 2 shown]
	v_add_f64 v[22:23], v[26:27], v[22:23]
	v_add_f64 v[24:25], v[42:43], -v[24:25]
	v_add_f64 v[22:23], v[24:25], v[22:23]
	v_add_f64 v[24:25], v[28:29], v[32:33]
	;; [unrolled: 1-line block ×3, first 2 shown]
	v_add_f64 v[26:27], v[24:25], -v[28:29]
	v_mul_f64 v[22:23], v[40:41], v[22:23]
	v_add_f64 v[26:27], v[32:33], -v[26:27]
	v_add_f64 v[22:23], v[26:27], v[22:23]
	v_add_f64 v[26:27], v[24:25], v[22:23]
	v_add_f64 v[24:25], v[26:27], -v[24:25]
	s_mov_b32 s4, 0xbf559e2b
	v_add_f64 v[22:23], v[22:23], -v[24:25]
	v_mul_f64 v[24:25], v[26:27], v[26:27]
	v_mov_b32_e32 v28, 0x6b47b09a
	v_mov_b32_e32 v29, 0x3fc38538
	s_mov_b32 s5, 0x3fc3ab76
	v_fmac_f64_e32 v[28:29], s[4:5], v[24:25]
	v_mov_b32_e32 v30, 0xd7f4df2e
	v_mov_b32_e32 v31, 0x3fc7474d
	v_fmac_f64_e32 v[30:31], v[24:25], v[28:29]
	v_mov_b32_e32 v28, 0x16291751
	v_mov_b32_e32 v29, 0x3fcc71c0
	;; [unrolled: 3-line block ×5, first 2 shown]
	v_fmac_f64_e32 v[30:31], v[24:25], v[28:29]
	v_cvt_f64_i32_e32 v[28:29], v48
	s_mov_b32 s23, 0x3fe62e42
	v_mul_f64 v[32:33], v[28:29], s[22:23]
	v_fma_f64 v[40:41], v[28:29], s[22:23], -v[32:33]
	s_mov_b32 s25, 0x3c7abc9e
	v_fmac_f64_e32 v[40:41], s[24:25], v[28:29]
	v_add_f64 v[28:29], v[32:33], v[40:41]
	v_add_f64 v[32:33], v[28:29], -v[32:33]
	v_mul_f64 v[24:25], v[26:27], v[24:25]
	v_add_f64 v[32:33], v[40:41], -v[32:33]
	v_ldexp_f64 v[40:41], v[26:27], 1
	v_mul_f64 v[24:25], v[24:25], v[30:31]
	v_add_f64 v[26:27], v[40:41], v[24:25]
	v_add_f64 v[30:31], v[26:27], -v[40:41]
	v_ldexp_f64 v[22:23], v[22:23], 1
	v_add_f64 v[24:25], v[24:25], -v[30:31]
	v_add_f64 v[22:23], v[22:23], v[24:25]
	v_add_f64 v[24:25], v[26:27], v[22:23]
	v_add_f64 v[26:27], v[24:25], -v[26:27]
	v_add_f64 v[22:23], v[22:23], -v[26:27]
	v_add_f64 v[26:27], v[28:29], v[24:25]
	v_add_f64 v[30:31], v[26:27], -v[28:29]
	v_add_f64 v[40:41], v[26:27], -v[30:31]
	;; [unrolled: 1-line block ×4, first 2 shown]
	v_add_f64 v[24:25], v[24:25], v[28:29]
	v_add_f64 v[28:29], v[32:33], v[22:23]
	v_add_f64 v[30:31], v[28:29], -v[32:33]
	v_add_f64 v[24:25], v[28:29], v[24:25]
	v_add_f64 v[40:41], v[28:29], -v[30:31]
	;; [unrolled: 2-line block ×3, first 2 shown]
	v_add_f64 v[22:23], v[22:23], -v[30:31]
	v_add_f64 v[26:27], v[28:29], -v[26:27]
	v_add_f64 v[22:23], v[22:23], v[32:33]
	v_add_f64 v[24:25], v[24:25], -v[26:27]
	s_mov_b32 s4, 0
	v_add_f64 v[22:23], v[22:23], v[24:25]
	s_mov_b32 s5, 0x7ff00000
	v_add_f64 v[22:23], v[28:29], v[22:23]
	v_cmp_eq_f64_e64 s[4:5], s[4:5], v[10:11]
	v_cndmask_b32_e64 v22, v22, v10, s[4:5]
	v_cndmask_b32_e64 v23, v23, v11, s[4:5]
	v_mov_b32_e32 v24, 0x7ff80000
	v_cmp_ngt_f64_e64 s[4:5], -1.0, v[10:11]
	v_cndmask_b32_e64 v23, v24, v23, s[4:5]
	v_cmp_nge_f64_e64 s[4:5], -1.0, v[10:11]
	v_cndmask_b32_e64 v22, 0, v22, s[4:5]
	v_mov_b32_e32 v24, 0xfff00000
	v_cmp_neq_f64_e64 s[4:5], -1.0, v[10:11]
	v_cndmask_b32_e64 v23, v24, v23, s[4:5]
	v_add_f64 v[10:11], v[0:1], v[22:23]
.LBB20_90:
	s_or_b64 exec, exec, s[20:21]
	v_max_f64 v[0:1], v[10:11], v[10:11]
	v_min_f64 v[22:23], v[0:1], v[34:35]
	v_cmp_u_f64_e64 s[4:5], v[10:11], v[10:11]
	v_max_f64 v[0:1], v[0:1], v[34:35]
	v_cndmask_b32_e64 v22, v22, v10, s[4:5]
	v_cndmask_b32_e64 v23, v23, v11, s[4:5]
	;; [unrolled: 1-line block ×8, first 2 shown]
	v_cmp_neq_f64_e64 s[4:5], v[22:23], v[0:1]
	v_cmp_class_f64_e64 s[18:19], v[22:23], s26
	s_or_b64 s[4:5], s[4:5], s[18:19]
	v_pk_mov_b32 v[12:13], v[10:11], v[10:11] op_sel:[0,1]
	s_and_saveexec_b64 s[20:21], s[4:5]
	s_cbranch_execz .LBB20_92
; %bb.91:
	s_mov_b32 s4, 0x652b82fe
	v_add_f64 v[12:13], v[22:23], -v[0:1]
	s_mov_b32 s5, 0x3ff71547
	v_mul_f64 v[22:23], v[12:13], s[4:5]
	v_rndne_f64_e32 v[22:23], v[22:23]
	s_mov_b32 s23, 0xbfe62e42
	s_mov_b32 s22, 0xfefa39ef
	v_fma_f64 v[24:25], s[22:23], v[22:23], v[12:13]
	s_mov_b32 s25, 0xbc7abc9e
	s_mov_b32 s24, 0x3b39803f
	;; [unrolled: 1-line block ×3, first 2 shown]
	v_fmac_f64_e32 v[24:25], s[24:25], v[22:23]
	v_mov_b32_e32 v26, 0xfca7ab0c
	v_mov_b32_e32 v27, 0x3e928af3
	s_mov_b32 s5, 0x3e5ade15
	v_fmac_f64_e32 v[26:27], s[4:5], v[24:25]
	v_mov_b32_e32 v28, 0x623fde64
	v_mov_b32_e32 v29, 0x3ec71dee
	v_fmac_f64_e32 v[28:29], v[24:25], v[26:27]
	v_mov_b32_e32 v26, 0x7c89e6b0
	v_mov_b32_e32 v27, 0x3efa0199
	;; [unrolled: 3-line block ×8, first 2 shown]
	v_fmac_f64_e32 v[26:27], v[24:25], v[28:29]
	v_fma_f64 v[26:27], v[24:25], v[26:27], 1.0
	s_mov_b32 s4, 0
	s_mov_b32 s18, 0
	v_fma_f64 v[24:25], v[24:25], v[26:27], 1.0
	v_cvt_i32_f64_e32 v22, v[22:23]
	s_mov_b32 s5, 0x40900000
	s_mov_b32 s19, 0xc090cc00
	v_ldexp_f64 v[22:23], v[24:25], v22
	v_mov_b32_e32 v24, 0x7ff00000
	v_cmp_nlt_f64_e64 s[4:5], s[4:5], v[12:13]
	v_cmp_ngt_f64_e64 s[18:19], s[18:19], v[12:13]
	v_cndmask_b32_e64 v23, v24, v23, s[4:5]
	s_and_b64 s[4:5], s[18:19], s[4:5]
	v_cndmask_b32_e64 v13, 0, v23, s[18:19]
	v_cndmask_b32_e64 v12, 0, v22, s[4:5]
	v_add_f64 v[22:23], v[12:13], 1.0
	v_add_f64 v[24:25], v[22:23], -1.0
	v_add_f64 v[26:27], v[24:25], -v[22:23]
	v_add_f64 v[26:27], v[26:27], 1.0
	v_add_f64 v[24:25], v[12:13], -v[24:25]
	s_mov_b32 s4, 0x55555555
	v_add_f64 v[24:25], v[24:25], v[26:27]
	v_frexp_mant_f64_e32 v[26:27], v[22:23]
	s_mov_b32 s5, 0x3fe55555
	v_frexp_exp_i32_f64_e32 v28, v[22:23]
	v_cmp_gt_f64_e64 s[4:5], s[4:5], v[26:27]
	s_waitcnt lgkmcnt(1)
	v_subbrev_co_u32_e64 v46, s[4:5], 0, v28, s[4:5]
	v_sub_u32_e32 v26, 0, v46
	v_ldexp_f64 v[22:23], v[22:23], v26
	v_ldexp_f64 v[24:25], v[24:25], v26
	v_add_f64 v[26:27], v[22:23], -1.0
	v_add_f64 v[32:33], v[22:23], 1.0
	v_add_f64 v[28:29], v[26:27], 1.0
	v_add_f64 v[34:35], v[32:33], -1.0
	v_add_f64 v[28:29], v[22:23], -v[28:29]
	v_add_f64 v[22:23], v[22:23], -v[34:35]
	v_add_f64 v[22:23], v[24:25], v[22:23]
	v_add_f64 v[28:29], v[24:25], v[28:29]
	;; [unrolled: 1-line block ×3, first 2 shown]
	v_rcp_f64_e32 v[34:35], v[24:25]
	v_add_f64 v[30:31], v[26:27], v[28:29]
	v_add_f64 v[26:27], v[30:31], -v[26:27]
	v_add_f64 v[26:27], v[28:29], -v[26:27]
	;; [unrolled: 1-line block ×4, first 2 shown]
	v_fma_f64 v[28:29], -v[24:25], v[34:35], 1.0
	v_fmac_f64_e32 v[34:35], v[28:29], v[34:35]
	v_fma_f64 v[28:29], -v[24:25], v[34:35], 1.0
	v_fmac_f64_e32 v[34:35], v[28:29], v[34:35]
	v_mul_f64 v[28:29], v[30:31], v[34:35]
	v_mul_f64 v[32:33], v[24:25], v[28:29]
	v_fma_f64 v[40:41], v[28:29], v[24:25], -v[32:33]
	v_fmac_f64_e32 v[40:41], v[28:29], v[22:23]
	v_add_f64 v[42:43], v[32:33], v[40:41]
	v_add_f64 v[44:45], v[30:31], -v[42:43]
	v_add_f64 v[30:31], v[30:31], -v[44:45]
	;; [unrolled: 1-line block ×4, first 2 shown]
	v_add_f64 v[26:27], v[26:27], v[30:31]
	v_add_f64 v[30:31], v[32:33], -v[40:41]
	v_add_f64 v[26:27], v[30:31], v[26:27]
	v_add_f64 v[30:31], v[44:45], v[26:27]
	v_add_f64 v[32:33], v[44:45], -v[30:31]
	v_add_f64 v[26:27], v[26:27], v[32:33]
	v_mul_f64 v[32:33], v[34:35], v[30:31]
	v_mul_f64 v[40:41], v[24:25], v[32:33]
	v_fma_f64 v[24:25], v[32:33], v[24:25], -v[40:41]
	v_fmac_f64_e32 v[24:25], v[32:33], v[22:23]
	v_add_f64 v[22:23], v[40:41], v[24:25]
	v_add_f64 v[42:43], v[30:31], -v[22:23]
	v_add_f64 v[30:31], v[30:31], -v[42:43]
	;; [unrolled: 1-line block ×4, first 2 shown]
	v_add_f64 v[22:23], v[26:27], v[22:23]
	v_add_f64 v[24:25], v[40:41], -v[24:25]
	v_add_f64 v[22:23], v[24:25], v[22:23]
	v_add_f64 v[24:25], v[28:29], v[32:33]
	;; [unrolled: 1-line block ×3, first 2 shown]
	v_add_f64 v[26:27], v[24:25], -v[28:29]
	v_mul_f64 v[22:23], v[34:35], v[22:23]
	v_add_f64 v[26:27], v[32:33], -v[26:27]
	v_add_f64 v[22:23], v[26:27], v[22:23]
	v_add_f64 v[26:27], v[24:25], v[22:23]
	v_add_f64 v[24:25], v[26:27], -v[24:25]
	s_mov_b32 s4, 0xbf559e2b
	v_add_f64 v[22:23], v[22:23], -v[24:25]
	v_mul_f64 v[24:25], v[26:27], v[26:27]
	v_mov_b32_e32 v28, 0x6b47b09a
	v_mov_b32_e32 v29, 0x3fc38538
	s_mov_b32 s5, 0x3fc3ab76
	v_fmac_f64_e32 v[28:29], s[4:5], v[24:25]
	v_mov_b32_e32 v30, 0xd7f4df2e
	v_mov_b32_e32 v31, 0x3fc7474d
	v_fmac_f64_e32 v[30:31], v[24:25], v[28:29]
	v_mov_b32_e32 v28, 0x16291751
	v_mov_b32_e32 v29, 0x3fcc71c0
	;; [unrolled: 3-line block ×5, first 2 shown]
	v_fmac_f64_e32 v[30:31], v[24:25], v[28:29]
	v_cvt_f64_i32_e32 v[28:29], v46
	s_mov_b32 s23, 0x3fe62e42
	v_mul_f64 v[32:33], v[28:29], s[22:23]
	v_fma_f64 v[34:35], v[28:29], s[22:23], -v[32:33]
	s_mov_b32 s25, 0x3c7abc9e
	v_fmac_f64_e32 v[34:35], s[24:25], v[28:29]
	v_add_f64 v[28:29], v[32:33], v[34:35]
	v_add_f64 v[32:33], v[28:29], -v[32:33]
	v_mul_f64 v[24:25], v[26:27], v[24:25]
	v_add_f64 v[32:33], v[34:35], -v[32:33]
	v_ldexp_f64 v[34:35], v[26:27], 1
	v_mul_f64 v[24:25], v[24:25], v[30:31]
	v_add_f64 v[26:27], v[34:35], v[24:25]
	v_add_f64 v[30:31], v[26:27], -v[34:35]
	v_ldexp_f64 v[22:23], v[22:23], 1
	v_add_f64 v[24:25], v[24:25], -v[30:31]
	v_add_f64 v[22:23], v[22:23], v[24:25]
	v_add_f64 v[24:25], v[26:27], v[22:23]
	v_add_f64 v[26:27], v[24:25], -v[26:27]
	v_add_f64 v[22:23], v[22:23], -v[26:27]
	v_add_f64 v[26:27], v[28:29], v[24:25]
	v_add_f64 v[30:31], v[26:27], -v[28:29]
	v_add_f64 v[34:35], v[26:27], -v[30:31]
	;; [unrolled: 1-line block ×4, first 2 shown]
	v_add_f64 v[24:25], v[24:25], v[28:29]
	v_add_f64 v[28:29], v[32:33], v[22:23]
	v_add_f64 v[30:31], v[28:29], -v[32:33]
	v_add_f64 v[24:25], v[28:29], v[24:25]
	v_add_f64 v[34:35], v[28:29], -v[30:31]
	;; [unrolled: 2-line block ×3, first 2 shown]
	v_add_f64 v[22:23], v[22:23], -v[30:31]
	v_add_f64 v[26:27], v[28:29], -v[26:27]
	v_add_f64 v[22:23], v[22:23], v[32:33]
	v_add_f64 v[24:25], v[24:25], -v[26:27]
	s_mov_b32 s4, 0
	v_add_f64 v[22:23], v[22:23], v[24:25]
	s_mov_b32 s5, 0x7ff00000
	v_add_f64 v[22:23], v[28:29], v[22:23]
	v_cmp_eq_f64_e64 s[4:5], s[4:5], v[12:13]
	v_cndmask_b32_e64 v22, v22, v12, s[4:5]
	v_cndmask_b32_e64 v23, v23, v13, s[4:5]
	v_mov_b32_e32 v24, 0x7ff80000
	v_cmp_ngt_f64_e64 s[4:5], -1.0, v[12:13]
	v_cndmask_b32_e64 v23, v24, v23, s[4:5]
	v_cmp_nge_f64_e64 s[4:5], -1.0, v[12:13]
	v_cndmask_b32_e64 v22, 0, v22, s[4:5]
	v_mov_b32_e32 v24, 0xfff00000
	v_cmp_neq_f64_e64 s[4:5], -1.0, v[12:13]
	v_cndmask_b32_e64 v23, v24, v23, s[4:5]
	v_add_f64 v[12:13], v[0:1], v[22:23]
.LBB20_92:
	s_or_b64 exec, exec, s[20:21]
	v_max_f64 v[0:1], v[12:13], v[12:13]
	v_min_f64 v[22:23], v[0:1], v[36:37]
	v_cmp_u_f64_e64 s[4:5], v[12:13], v[12:13]
	v_max_f64 v[0:1], v[0:1], v[36:37]
	v_cndmask_b32_e64 v22, v22, v12, s[4:5]
	v_cndmask_b32_e64 v23, v23, v13, s[4:5]
	v_cndmask_b32_e64 v0, v0, v12, s[4:5]
	v_cndmask_b32_e64 v1, v1, v13, s[4:5]
	v_cndmask_b32_e64 v23, v23, v7, s[34:35]
	v_cndmask_b32_e64 v22, v22, v6, s[34:35]
	v_cndmask_b32_e64 v1, v1, v7, s[34:35]
	v_cndmask_b32_e64 v0, v0, v6, s[34:35]
	v_cmp_neq_f64_e64 s[4:5], v[22:23], v[0:1]
	v_cmp_class_f64_e64 s[18:19], v[22:23], s26
	s_or_b64 s[4:5], s[4:5], s[18:19]
	v_pk_mov_b32 v[6:7], v[12:13], v[12:13] op_sel:[0,1]
	s_and_saveexec_b64 s[20:21], s[4:5]
	s_cbranch_execz .LBB20_94
; %bb.93:
	s_mov_b32 s4, 0x652b82fe
	v_add_f64 v[6:7], v[22:23], -v[0:1]
	s_mov_b32 s5, 0x3ff71547
	v_mul_f64 v[22:23], v[6:7], s[4:5]
	v_rndne_f64_e32 v[22:23], v[22:23]
	s_mov_b32 s23, 0xbfe62e42
	s_mov_b32 s22, 0xfefa39ef
	v_fma_f64 v[24:25], s[22:23], v[22:23], v[6:7]
	s_mov_b32 s25, 0xbc7abc9e
	s_mov_b32 s24, 0x3b39803f
	;; [unrolled: 1-line block ×3, first 2 shown]
	v_fmac_f64_e32 v[24:25], s[24:25], v[22:23]
	v_mov_b32_e32 v26, 0xfca7ab0c
	v_mov_b32_e32 v27, 0x3e928af3
	s_mov_b32 s5, 0x3e5ade15
	v_fmac_f64_e32 v[26:27], s[4:5], v[24:25]
	v_mov_b32_e32 v28, 0x623fde64
	v_mov_b32_e32 v29, 0x3ec71dee
	v_fmac_f64_e32 v[28:29], v[24:25], v[26:27]
	v_mov_b32_e32 v26, 0x7c89e6b0
	v_mov_b32_e32 v27, 0x3efa0199
	v_fmac_f64_e32 v[26:27], v[24:25], v[28:29]
	v_mov_b32_e32 v28, 0x14761f6e
	v_mov_b32_e32 v29, 0x3f2a01a0
	v_fmac_f64_e32 v[28:29], v[24:25], v[26:27]
	v_mov_b32_e32 v26, 0x1852b7b0
	v_mov_b32_e32 v27, 0x3f56c16c
	v_fmac_f64_e32 v[26:27], v[24:25], v[28:29]
	v_mov_b32_e32 v28, 0x11122322
	v_mov_b32_e32 v29, 0x3f811111
	v_fmac_f64_e32 v[28:29], v[24:25], v[26:27]
	v_mov_b32_e32 v26, 0x555502a1
	v_mov_b32_e32 v27, 0x3fa55555
	v_fmac_f64_e32 v[26:27], v[24:25], v[28:29]
	v_mov_b32_e32 v28, 0x55555511
	v_mov_b32_e32 v29, 0x3fc55555
	v_fmac_f64_e32 v[28:29], v[24:25], v[26:27]
	v_mov_b32_e32 v26, 11
	v_mov_b32_e32 v27, 0x3fe00000
	v_fmac_f64_e32 v[26:27], v[24:25], v[28:29]
	v_fma_f64 v[26:27], v[24:25], v[26:27], 1.0
	s_mov_b32 s4, 0
	s_mov_b32 s18, 0
	v_fma_f64 v[24:25], v[24:25], v[26:27], 1.0
	v_cvt_i32_f64_e32 v22, v[22:23]
	s_mov_b32 s5, 0x40900000
	s_mov_b32 s19, 0xc090cc00
	v_ldexp_f64 v[22:23], v[24:25], v22
	v_mov_b32_e32 v24, 0x7ff00000
	v_cmp_nlt_f64_e64 s[4:5], s[4:5], v[6:7]
	v_cmp_ngt_f64_e64 s[18:19], s[18:19], v[6:7]
	v_cndmask_b32_e64 v23, v24, v23, s[4:5]
	s_and_b64 s[4:5], s[18:19], s[4:5]
	v_cndmask_b32_e64 v7, 0, v23, s[18:19]
	v_cndmask_b32_e64 v6, 0, v22, s[4:5]
	v_add_f64 v[22:23], v[6:7], 1.0
	v_add_f64 v[24:25], v[22:23], -1.0
	v_add_f64 v[26:27], v[24:25], -v[22:23]
	v_add_f64 v[26:27], v[26:27], 1.0
	v_add_f64 v[24:25], v[6:7], -v[24:25]
	s_mov_b32 s4, 0x55555555
	v_add_f64 v[24:25], v[24:25], v[26:27]
	v_frexp_mant_f64_e32 v[26:27], v[22:23]
	s_mov_b32 s5, 0x3fe55555
	v_frexp_exp_i32_f64_e32 v28, v[22:23]
	v_cmp_gt_f64_e64 s[4:5], s[4:5], v[26:27]
	v_subbrev_co_u32_e64 v44, s[4:5], 0, v28, s[4:5]
	v_sub_u32_e32 v26, 0, v44
	v_ldexp_f64 v[22:23], v[22:23], v26
	v_ldexp_f64 v[24:25], v[24:25], v26
	v_add_f64 v[26:27], v[22:23], -1.0
	v_add_f64 v[32:33], v[22:23], 1.0
	v_add_f64 v[28:29], v[26:27], 1.0
	v_add_f64 v[34:35], v[32:33], -1.0
	v_add_f64 v[28:29], v[22:23], -v[28:29]
	v_add_f64 v[22:23], v[22:23], -v[34:35]
	v_add_f64 v[22:23], v[24:25], v[22:23]
	v_add_f64 v[28:29], v[24:25], v[28:29]
	;; [unrolled: 1-line block ×3, first 2 shown]
	v_rcp_f64_e32 v[34:35], v[24:25]
	v_add_f64 v[30:31], v[26:27], v[28:29]
	v_add_f64 v[26:27], v[30:31], -v[26:27]
	v_add_f64 v[26:27], v[28:29], -v[26:27]
	;; [unrolled: 1-line block ×4, first 2 shown]
	v_fma_f64 v[28:29], -v[24:25], v[34:35], 1.0
	v_fmac_f64_e32 v[34:35], v[28:29], v[34:35]
	v_fma_f64 v[28:29], -v[24:25], v[34:35], 1.0
	v_fmac_f64_e32 v[34:35], v[28:29], v[34:35]
	v_mul_f64 v[28:29], v[30:31], v[34:35]
	v_mul_f64 v[32:33], v[24:25], v[28:29]
	v_fma_f64 v[36:37], v[28:29], v[24:25], -v[32:33]
	v_fmac_f64_e32 v[36:37], v[28:29], v[22:23]
	v_add_f64 v[40:41], v[32:33], v[36:37]
	v_add_f64 v[42:43], v[30:31], -v[40:41]
	v_add_f64 v[30:31], v[30:31], -v[42:43]
	;; [unrolled: 1-line block ×4, first 2 shown]
	v_add_f64 v[26:27], v[26:27], v[30:31]
	v_add_f64 v[30:31], v[32:33], -v[36:37]
	v_add_f64 v[26:27], v[30:31], v[26:27]
	v_add_f64 v[30:31], v[42:43], v[26:27]
	v_add_f64 v[32:33], v[42:43], -v[30:31]
	v_add_f64 v[26:27], v[26:27], v[32:33]
	v_mul_f64 v[32:33], v[34:35], v[30:31]
	v_mul_f64 v[36:37], v[24:25], v[32:33]
	v_fma_f64 v[24:25], v[32:33], v[24:25], -v[36:37]
	v_fmac_f64_e32 v[24:25], v[32:33], v[22:23]
	v_add_f64 v[22:23], v[36:37], v[24:25]
	v_add_f64 v[40:41], v[30:31], -v[22:23]
	v_add_f64 v[30:31], v[30:31], -v[40:41]
	;; [unrolled: 1-line block ×4, first 2 shown]
	v_add_f64 v[22:23], v[26:27], v[22:23]
	v_add_f64 v[24:25], v[36:37], -v[24:25]
	v_add_f64 v[22:23], v[24:25], v[22:23]
	v_add_f64 v[24:25], v[28:29], v[32:33]
	;; [unrolled: 1-line block ×3, first 2 shown]
	v_add_f64 v[26:27], v[24:25], -v[28:29]
	v_mul_f64 v[22:23], v[34:35], v[22:23]
	v_add_f64 v[26:27], v[32:33], -v[26:27]
	v_add_f64 v[22:23], v[26:27], v[22:23]
	v_add_f64 v[26:27], v[24:25], v[22:23]
	v_add_f64 v[24:25], v[26:27], -v[24:25]
	s_mov_b32 s4, 0xbf559e2b
	v_add_f64 v[22:23], v[22:23], -v[24:25]
	v_mul_f64 v[24:25], v[26:27], v[26:27]
	v_mov_b32_e32 v28, 0x6b47b09a
	v_mov_b32_e32 v29, 0x3fc38538
	s_mov_b32 s5, 0x3fc3ab76
	v_fmac_f64_e32 v[28:29], s[4:5], v[24:25]
	v_mov_b32_e32 v30, 0xd7f4df2e
	v_mov_b32_e32 v31, 0x3fc7474d
	v_fmac_f64_e32 v[30:31], v[24:25], v[28:29]
	v_mov_b32_e32 v28, 0x16291751
	v_mov_b32_e32 v29, 0x3fcc71c0
	v_fmac_f64_e32 v[28:29], v[24:25], v[30:31]
	v_mov_b32_e32 v30, 0x9b27acf1
	v_mov_b32_e32 v31, 0x3fd24924
	v_fmac_f64_e32 v[30:31], v[24:25], v[28:29]
	v_mov_b32_e32 v28, 0x998ef7b6
	v_mov_b32_e32 v29, 0x3fd99999
	v_fmac_f64_e32 v[28:29], v[24:25], v[30:31]
	v_mov_b32_e32 v30, 0x55555780
	v_mov_b32_e32 v31, 0x3fe55555
	v_fmac_f64_e32 v[30:31], v[24:25], v[28:29]
	v_cvt_f64_i32_e32 v[28:29], v44
	s_mov_b32 s23, 0x3fe62e42
	v_mul_f64 v[32:33], v[28:29], s[22:23]
	v_fma_f64 v[34:35], v[28:29], s[22:23], -v[32:33]
	s_mov_b32 s25, 0x3c7abc9e
	v_fmac_f64_e32 v[34:35], s[24:25], v[28:29]
	v_add_f64 v[28:29], v[32:33], v[34:35]
	v_add_f64 v[32:33], v[28:29], -v[32:33]
	v_mul_f64 v[24:25], v[26:27], v[24:25]
	v_add_f64 v[32:33], v[34:35], -v[32:33]
	v_ldexp_f64 v[34:35], v[26:27], 1
	v_mul_f64 v[24:25], v[24:25], v[30:31]
	v_add_f64 v[26:27], v[34:35], v[24:25]
	v_add_f64 v[30:31], v[26:27], -v[34:35]
	v_ldexp_f64 v[22:23], v[22:23], 1
	v_add_f64 v[24:25], v[24:25], -v[30:31]
	v_add_f64 v[22:23], v[22:23], v[24:25]
	v_add_f64 v[24:25], v[26:27], v[22:23]
	v_add_f64 v[26:27], v[24:25], -v[26:27]
	v_add_f64 v[22:23], v[22:23], -v[26:27]
	v_add_f64 v[26:27], v[28:29], v[24:25]
	v_add_f64 v[30:31], v[26:27], -v[28:29]
	v_add_f64 v[34:35], v[26:27], -v[30:31]
	;; [unrolled: 1-line block ×4, first 2 shown]
	v_add_f64 v[24:25], v[24:25], v[28:29]
	v_add_f64 v[28:29], v[32:33], v[22:23]
	v_add_f64 v[30:31], v[28:29], -v[32:33]
	v_add_f64 v[24:25], v[28:29], v[24:25]
	v_add_f64 v[34:35], v[28:29], -v[30:31]
	;; [unrolled: 2-line block ×3, first 2 shown]
	v_add_f64 v[22:23], v[22:23], -v[30:31]
	v_add_f64 v[26:27], v[28:29], -v[26:27]
	v_add_f64 v[22:23], v[22:23], v[32:33]
	v_add_f64 v[24:25], v[24:25], -v[26:27]
	s_mov_b32 s4, 0
	v_add_f64 v[22:23], v[22:23], v[24:25]
	s_mov_b32 s5, 0x7ff00000
	v_add_f64 v[22:23], v[28:29], v[22:23]
	v_cmp_eq_f64_e64 s[4:5], s[4:5], v[6:7]
	v_cndmask_b32_e64 v22, v22, v6, s[4:5]
	v_cndmask_b32_e64 v23, v23, v7, s[4:5]
	v_mov_b32_e32 v24, 0x7ff80000
	v_cmp_ngt_f64_e64 s[4:5], -1.0, v[6:7]
	v_cndmask_b32_e64 v23, v24, v23, s[4:5]
	v_cmp_nge_f64_e64 s[4:5], -1.0, v[6:7]
	v_cndmask_b32_e64 v22, 0, v22, s[4:5]
	v_mov_b32_e32 v24, 0xfff00000
	v_cmp_neq_f64_e64 s[4:5], -1.0, v[6:7]
	v_cndmask_b32_e64 v23, v24, v23, s[4:5]
	v_add_f64 v[6:7], v[0:1], v[22:23]
.LBB20_94:
	s_or_b64 exec, exec, s[20:21]
	v_max_f64 v[0:1], v[6:7], v[6:7]
	v_min_f64 v[22:23], v[0:1], v[38:39]
	v_cmp_u_f64_e64 s[4:5], v[6:7], v[6:7]
	v_max_f64 v[0:1], v[0:1], v[38:39]
	v_cndmask_b32_e64 v22, v22, v6, s[4:5]
	v_cndmask_b32_e64 v23, v23, v7, s[4:5]
	v_cndmask_b32_e64 v0, v0, v6, s[4:5]
	v_cndmask_b32_e64 v1, v1, v7, s[4:5]
	v_cndmask_b32_e64 v23, v23, v9, s[36:37]
	v_cndmask_b32_e64 v22, v22, v8, s[36:37]
	v_cndmask_b32_e64 v1, v1, v9, s[36:37]
	v_cndmask_b32_e64 v0, v0, v8, s[36:37]
	s_movk_i32 s18, 0x1f8
	v_cmp_neq_f64_e64 s[4:5], v[22:23], v[0:1]
	v_cmp_class_f64_e64 s[18:19], v[22:23], s18
	s_or_b64 s[4:5], s[4:5], s[18:19]
	v_pk_mov_b32 v[8:9], v[6:7], v[6:7] op_sel:[0,1]
	s_and_saveexec_b64 s[20:21], s[4:5]
	s_cbranch_execz .LBB20_96
; %bb.95:
	s_mov_b32 s4, 0x652b82fe
	v_add_f64 v[8:9], v[22:23], -v[0:1]
	s_mov_b32 s5, 0x3ff71547
	v_mul_f64 v[22:23], v[8:9], s[4:5]
	v_rndne_f64_e32 v[22:23], v[22:23]
	s_mov_b32 s23, 0xbfe62e42
	s_mov_b32 s22, 0xfefa39ef
	v_fma_f64 v[24:25], s[22:23], v[22:23], v[8:9]
	s_mov_b32 s25, 0xbc7abc9e
	s_mov_b32 s24, 0x3b39803f
	;; [unrolled: 1-line block ×3, first 2 shown]
	v_fmac_f64_e32 v[24:25], s[24:25], v[22:23]
	v_mov_b32_e32 v26, 0xfca7ab0c
	v_mov_b32_e32 v27, 0x3e928af3
	s_mov_b32 s5, 0x3e5ade15
	v_fmac_f64_e32 v[26:27], s[4:5], v[24:25]
	v_mov_b32_e32 v28, 0x623fde64
	v_mov_b32_e32 v29, 0x3ec71dee
	v_fmac_f64_e32 v[28:29], v[24:25], v[26:27]
	v_mov_b32_e32 v26, 0x7c89e6b0
	v_mov_b32_e32 v27, 0x3efa0199
	;; [unrolled: 3-line block ×8, first 2 shown]
	v_fmac_f64_e32 v[26:27], v[24:25], v[28:29]
	v_fma_f64 v[26:27], v[24:25], v[26:27], 1.0
	s_mov_b32 s4, 0
	s_mov_b32 s18, 0
	v_fma_f64 v[24:25], v[24:25], v[26:27], 1.0
	v_cvt_i32_f64_e32 v22, v[22:23]
	s_mov_b32 s5, 0x40900000
	s_mov_b32 s19, 0xc090cc00
	v_ldexp_f64 v[22:23], v[24:25], v22
	v_mov_b32_e32 v24, 0x7ff00000
	v_cmp_nlt_f64_e64 s[4:5], s[4:5], v[8:9]
	v_cmp_ngt_f64_e64 s[18:19], s[18:19], v[8:9]
	v_cndmask_b32_e64 v23, v24, v23, s[4:5]
	s_and_b64 s[4:5], s[18:19], s[4:5]
	v_cndmask_b32_e64 v9, 0, v23, s[18:19]
	v_cndmask_b32_e64 v8, 0, v22, s[4:5]
	v_add_f64 v[22:23], v[8:9], 1.0
	v_add_f64 v[24:25], v[22:23], -1.0
	v_add_f64 v[26:27], v[24:25], -v[22:23]
	v_add_f64 v[26:27], v[26:27], 1.0
	v_add_f64 v[24:25], v[8:9], -v[24:25]
	s_mov_b32 s4, 0x55555555
	v_add_f64 v[24:25], v[24:25], v[26:27]
	v_frexp_mant_f64_e32 v[26:27], v[22:23]
	s_mov_b32 s5, 0x3fe55555
	v_frexp_exp_i32_f64_e32 v28, v[22:23]
	v_cmp_gt_f64_e64 s[4:5], s[4:5], v[26:27]
	v_subbrev_co_u32_e64 v42, s[4:5], 0, v28, s[4:5]
	v_sub_u32_e32 v26, 0, v42
	v_ldexp_f64 v[22:23], v[22:23], v26
	v_ldexp_f64 v[24:25], v[24:25], v26
	v_add_f64 v[26:27], v[22:23], -1.0
	v_add_f64 v[32:33], v[22:23], 1.0
	v_add_f64 v[28:29], v[26:27], 1.0
	v_add_f64 v[34:35], v[32:33], -1.0
	v_add_f64 v[28:29], v[22:23], -v[28:29]
	v_add_f64 v[22:23], v[22:23], -v[34:35]
	v_add_f64 v[22:23], v[24:25], v[22:23]
	v_add_f64 v[28:29], v[24:25], v[28:29]
	;; [unrolled: 1-line block ×3, first 2 shown]
	v_rcp_f64_e32 v[34:35], v[24:25]
	v_add_f64 v[30:31], v[26:27], v[28:29]
	v_add_f64 v[26:27], v[30:31], -v[26:27]
	v_add_f64 v[26:27], v[28:29], -v[26:27]
	;; [unrolled: 1-line block ×4, first 2 shown]
	v_fma_f64 v[28:29], -v[24:25], v[34:35], 1.0
	v_fmac_f64_e32 v[34:35], v[28:29], v[34:35]
	v_fma_f64 v[28:29], -v[24:25], v[34:35], 1.0
	v_fmac_f64_e32 v[34:35], v[28:29], v[34:35]
	v_mul_f64 v[28:29], v[30:31], v[34:35]
	v_mul_f64 v[32:33], v[24:25], v[28:29]
	v_fma_f64 v[36:37], v[28:29], v[24:25], -v[32:33]
	v_fmac_f64_e32 v[36:37], v[28:29], v[22:23]
	v_add_f64 v[38:39], v[32:33], v[36:37]
	v_add_f64 v[40:41], v[30:31], -v[38:39]
	v_add_f64 v[30:31], v[30:31], -v[40:41]
	;; [unrolled: 1-line block ×4, first 2 shown]
	v_add_f64 v[26:27], v[26:27], v[30:31]
	v_add_f64 v[30:31], v[32:33], -v[36:37]
	v_add_f64 v[26:27], v[30:31], v[26:27]
	v_add_f64 v[30:31], v[40:41], v[26:27]
	v_add_f64 v[32:33], v[40:41], -v[30:31]
	v_add_f64 v[26:27], v[26:27], v[32:33]
	v_mul_f64 v[32:33], v[34:35], v[30:31]
	v_mul_f64 v[36:37], v[24:25], v[32:33]
	v_fma_f64 v[24:25], v[32:33], v[24:25], -v[36:37]
	v_fmac_f64_e32 v[24:25], v[32:33], v[22:23]
	v_add_f64 v[22:23], v[36:37], v[24:25]
	v_add_f64 v[38:39], v[30:31], -v[22:23]
	v_add_f64 v[30:31], v[30:31], -v[38:39]
	;; [unrolled: 1-line block ×4, first 2 shown]
	v_add_f64 v[22:23], v[26:27], v[22:23]
	v_add_f64 v[24:25], v[36:37], -v[24:25]
	v_add_f64 v[22:23], v[24:25], v[22:23]
	v_add_f64 v[24:25], v[28:29], v[32:33]
	;; [unrolled: 1-line block ×3, first 2 shown]
	v_add_f64 v[26:27], v[24:25], -v[28:29]
	v_mul_f64 v[22:23], v[34:35], v[22:23]
	v_add_f64 v[26:27], v[32:33], -v[26:27]
	v_add_f64 v[22:23], v[26:27], v[22:23]
	v_add_f64 v[26:27], v[24:25], v[22:23]
	v_add_f64 v[24:25], v[26:27], -v[24:25]
	s_mov_b32 s4, 0xbf559e2b
	v_add_f64 v[22:23], v[22:23], -v[24:25]
	v_mul_f64 v[24:25], v[26:27], v[26:27]
	v_mov_b32_e32 v28, 0x6b47b09a
	v_mov_b32_e32 v29, 0x3fc38538
	s_mov_b32 s5, 0x3fc3ab76
	v_fmac_f64_e32 v[28:29], s[4:5], v[24:25]
	v_mov_b32_e32 v30, 0xd7f4df2e
	v_mov_b32_e32 v31, 0x3fc7474d
	v_fmac_f64_e32 v[30:31], v[24:25], v[28:29]
	v_mov_b32_e32 v28, 0x16291751
	v_mov_b32_e32 v29, 0x3fcc71c0
	;; [unrolled: 3-line block ×5, first 2 shown]
	v_fmac_f64_e32 v[30:31], v[24:25], v[28:29]
	v_cvt_f64_i32_e32 v[28:29], v42
	s_mov_b32 s23, 0x3fe62e42
	v_mul_f64 v[32:33], v[28:29], s[22:23]
	v_fma_f64 v[34:35], v[28:29], s[22:23], -v[32:33]
	s_mov_b32 s25, 0x3c7abc9e
	v_fmac_f64_e32 v[34:35], s[24:25], v[28:29]
	v_add_f64 v[28:29], v[32:33], v[34:35]
	v_add_f64 v[32:33], v[28:29], -v[32:33]
	v_mul_f64 v[24:25], v[26:27], v[24:25]
	v_add_f64 v[32:33], v[34:35], -v[32:33]
	v_ldexp_f64 v[34:35], v[26:27], 1
	v_mul_f64 v[24:25], v[24:25], v[30:31]
	v_add_f64 v[26:27], v[34:35], v[24:25]
	v_add_f64 v[30:31], v[26:27], -v[34:35]
	v_ldexp_f64 v[22:23], v[22:23], 1
	v_add_f64 v[24:25], v[24:25], -v[30:31]
	v_add_f64 v[22:23], v[22:23], v[24:25]
	v_add_f64 v[24:25], v[26:27], v[22:23]
	v_add_f64 v[26:27], v[24:25], -v[26:27]
	v_add_f64 v[22:23], v[22:23], -v[26:27]
	v_add_f64 v[26:27], v[28:29], v[24:25]
	v_add_f64 v[30:31], v[26:27], -v[28:29]
	v_add_f64 v[34:35], v[26:27], -v[30:31]
	;; [unrolled: 1-line block ×4, first 2 shown]
	v_add_f64 v[24:25], v[24:25], v[28:29]
	v_add_f64 v[28:29], v[32:33], v[22:23]
	v_add_f64 v[30:31], v[28:29], -v[32:33]
	v_add_f64 v[24:25], v[28:29], v[24:25]
	v_add_f64 v[34:35], v[28:29], -v[30:31]
	;; [unrolled: 2-line block ×3, first 2 shown]
	v_add_f64 v[22:23], v[22:23], -v[30:31]
	v_add_f64 v[26:27], v[28:29], -v[26:27]
	v_add_f64 v[22:23], v[22:23], v[32:33]
	v_add_f64 v[24:25], v[24:25], -v[26:27]
	s_mov_b32 s4, 0
	v_add_f64 v[22:23], v[22:23], v[24:25]
	s_mov_b32 s5, 0x7ff00000
	v_add_f64 v[22:23], v[28:29], v[22:23]
	v_cmp_eq_f64_e64 s[4:5], s[4:5], v[8:9]
	v_cndmask_b32_e64 v22, v22, v8, s[4:5]
	v_cndmask_b32_e64 v23, v23, v9, s[4:5]
	v_mov_b32_e32 v24, 0x7ff80000
	v_cmp_ngt_f64_e64 s[4:5], -1.0, v[8:9]
	v_cndmask_b32_e64 v23, v24, v23, s[4:5]
	v_cmp_nge_f64_e64 s[4:5], -1.0, v[8:9]
	v_cndmask_b32_e64 v22, 0, v22, s[4:5]
	v_mov_b32_e32 v24, 0xfff00000
	v_cmp_neq_f64_e64 s[4:5], -1.0, v[8:9]
	v_cndmask_b32_e64 v23, v24, v23, s[4:5]
	v_add_f64 v[8:9], v[0:1], v[22:23]
.LBB20_96:
	s_or_b64 exec, exec, s[20:21]
	v_add_u32_e32 v0, v54, v55
	s_waitcnt lgkmcnt(0)
	s_barrier
	ds_write_b128 v0, v[2:5]
	ds_write_b128 v0, v[18:21] offset:16
	ds_write_b128 v0, v[14:17] offset:32
	;; [unrolled: 1-line block ×4, first 2 shown]
	s_waitcnt lgkmcnt(0)
	s_barrier
	ds_read2st64_b64 v[12:15], v54 offset0:2 offset1:4
	ds_read2st64_b64 v[8:11], v54 offset0:6 offset1:8
	;; [unrolled: 1-line block ×4, first 2 shown]
	ds_read_b64 v[16:17], v54 offset:9216
	v_mov_b32_e32 v19, s45
	v_add_co_u32_e64 v18, s[4:5], s44, v54
	v_addc_co_u32_e64 v19, s[4:5], 0, v19, s[4:5]
	s_and_saveexec_b64 s[4:5], vcc
	s_cbranch_execnz .LBB20_107
; %bb.97:
	s_or_b64 exec, exec, s[4:5]
	s_and_saveexec_b64 s[4:5], s[0:1]
	s_cbranch_execnz .LBB20_108
.LBB20_98:
	s_or_b64 exec, exec, s[4:5]
	s_and_saveexec_b64 s[0:1], s[2:3]
	s_cbranch_execnz .LBB20_109
.LBB20_99:
	s_or_b64 exec, exec, s[0:1]
	s_and_saveexec_b64 s[0:1], s[40:41]
	s_cbranch_execnz .LBB20_110
.LBB20_100:
	s_or_b64 exec, exec, s[0:1]
	s_and_saveexec_b64 s[0:1], s[6:7]
	s_cbranch_execnz .LBB20_111
.LBB20_101:
	s_or_b64 exec, exec, s[0:1]
	s_and_saveexec_b64 s[0:1], s[8:9]
	s_cbranch_execnz .LBB20_112
.LBB20_102:
	s_or_b64 exec, exec, s[0:1]
	s_and_saveexec_b64 s[0:1], s[10:11]
	s_cbranch_execnz .LBB20_113
.LBB20_103:
	s_or_b64 exec, exec, s[0:1]
	s_and_saveexec_b64 s[0:1], s[12:13]
	s_cbranch_execnz .LBB20_114
.LBB20_104:
	s_or_b64 exec, exec, s[0:1]
	s_and_saveexec_b64 s[0:1], s[14:15]
	s_cbranch_execnz .LBB20_115
.LBB20_105:
	s_or_b64 exec, exec, s[0:1]
	s_and_saveexec_b64 s[0:1], s[16:17]
	s_cbranch_execnz .LBB20_116
.LBB20_106:
	s_endpgm
.LBB20_107:
	ds_read_b64 v[20:21], v54
	s_waitcnt lgkmcnt(0)
	global_store_dwordx2 v[18:19], v[20:21], off
	s_or_b64 exec, exec, s[4:5]
	s_and_saveexec_b64 s[4:5], s[0:1]
	s_cbranch_execz .LBB20_98
.LBB20_108:
	s_waitcnt lgkmcnt(4)
	global_store_dwordx2 v[18:19], v[12:13], off offset:1024
	s_or_b64 exec, exec, s[4:5]
	s_and_saveexec_b64 s[0:1], s[2:3]
	s_cbranch_execz .LBB20_99
.LBB20_109:
	s_waitcnt lgkmcnt(4)
	global_store_dwordx2 v[18:19], v[14:15], off offset:2048
	s_or_b64 exec, exec, s[0:1]
	s_and_saveexec_b64 s[0:1], s[40:41]
	s_cbranch_execz .LBB20_100
.LBB20_110:
	s_waitcnt lgkmcnt(3)
	global_store_dwordx2 v[18:19], v[8:9], off offset:3072
	s_or_b64 exec, exec, s[0:1]
	s_and_saveexec_b64 s[0:1], s[6:7]
	s_cbranch_execz .LBB20_101
.LBB20_111:
	s_waitcnt lgkmcnt(3)
	v_add_co_u32_e32 v8, vcc, 0x1000, v18
	v_addc_co_u32_e32 v9, vcc, 0, v19, vcc
	global_store_dwordx2 v[8:9], v[10:11], off
	s_or_b64 exec, exec, s[0:1]
	s_and_saveexec_b64 s[0:1], s[8:9]
	s_cbranch_execz .LBB20_102
.LBB20_112:
	s_waitcnt lgkmcnt(3)
	v_add_co_u32_e32 v8, vcc, 0x1000, v18
	v_addc_co_u32_e32 v9, vcc, 0, v19, vcc
	s_waitcnt lgkmcnt(2)
	global_store_dwordx2 v[8:9], v[4:5], off offset:1024
	s_or_b64 exec, exec, s[0:1]
	s_and_saveexec_b64 s[0:1], s[10:11]
	s_cbranch_execz .LBB20_103
.LBB20_113:
	s_waitcnt lgkmcnt(2)
	v_add_co_u32_e32 v4, vcc, 0x1000, v18
	v_addc_co_u32_e32 v5, vcc, 0, v19, vcc
	global_store_dwordx2 v[4:5], v[6:7], off offset:2048
	s_or_b64 exec, exec, s[0:1]
	s_and_saveexec_b64 s[0:1], s[12:13]
	s_cbranch_execz .LBB20_104
.LBB20_114:
	s_waitcnt lgkmcnt(2)
	v_add_co_u32_e32 v4, vcc, 0x1000, v18
	v_addc_co_u32_e32 v5, vcc, 0, v19, vcc
	s_waitcnt lgkmcnt(1)
	global_store_dwordx2 v[4:5], v[0:1], off offset:3072
	s_or_b64 exec, exec, s[0:1]
	s_and_saveexec_b64 s[0:1], s[14:15]
	s_cbranch_execz .LBB20_105
.LBB20_115:
	s_waitcnt lgkmcnt(1)
	v_add_co_u32_e32 v0, vcc, 0x2000, v18
	v_addc_co_u32_e32 v1, vcc, 0, v19, vcc
	global_store_dwordx2 v[0:1], v[2:3], off
	s_or_b64 exec, exec, s[0:1]
	s_and_saveexec_b64 s[0:1], s[16:17]
	s_cbranch_execz .LBB20_106
.LBB20_116:
	s_waitcnt lgkmcnt(1)
	v_add_co_u32_e32 v0, vcc, 0x2000, v18
	v_addc_co_u32_e32 v1, vcc, 0, v19, vcc
	s_waitcnt lgkmcnt(0)
	global_store_dwordx2 v[0:1], v[16:17], off offset:1024
	s_endpgm
	.section	.rodata,"a",@progbits
	.p2align	6, 0x0
	.amdhsa_kernel _ZN7rocprim17ROCPRIM_400000_NS6detail17trampoline_kernelINS0_14default_configENS1_20scan_config_selectorIdEEZZNS1_9scan_implILNS1_25lookback_scan_determinismE0ELb0ELb0ES3_PKdPddZZZN2at6native31launch_logcumsumexp_cuda_kernelERKNSB_10TensorBaseESF_lENKUlvE_clEvENKUlvE_clEvEUlddE_dEEDaPvRmT3_T4_T5_mT6_P12ihipStream_tbENKUlT_T0_E_clISt17integral_constantIbLb0EESW_EEDaSR_SS_EUlSR_E0_NS1_11comp_targetILNS1_3genE4ELNS1_11target_archE910ELNS1_3gpuE8ELNS1_3repE0EEENS1_30default_config_static_selectorELNS0_4arch9wavefront6targetE1EEEvT1_
		.amdhsa_group_segment_fixed_size 10240
		.amdhsa_private_segment_fixed_size 0
		.amdhsa_kernarg_size 40
		.amdhsa_user_sgpr_count 6
		.amdhsa_user_sgpr_private_segment_buffer 1
		.amdhsa_user_sgpr_dispatch_ptr 0
		.amdhsa_user_sgpr_queue_ptr 0
		.amdhsa_user_sgpr_kernarg_segment_ptr 1
		.amdhsa_user_sgpr_dispatch_id 0
		.amdhsa_user_sgpr_flat_scratch_init 0
		.amdhsa_user_sgpr_kernarg_preload_length 0
		.amdhsa_user_sgpr_kernarg_preload_offset 0
		.amdhsa_user_sgpr_private_segment_size 0
		.amdhsa_uses_dynamic_stack 0
		.amdhsa_system_sgpr_private_segment_wavefront_offset 0
		.amdhsa_system_sgpr_workgroup_id_x 1
		.amdhsa_system_sgpr_workgroup_id_y 0
		.amdhsa_system_sgpr_workgroup_id_z 0
		.amdhsa_system_sgpr_workgroup_info 0
		.amdhsa_system_vgpr_workitem_id 0
		.amdhsa_next_free_vgpr 76
		.amdhsa_next_free_sgpr 56
		.amdhsa_accum_offset 76
		.amdhsa_reserve_vcc 1
		.amdhsa_reserve_flat_scratch 0
		.amdhsa_float_round_mode_32 0
		.amdhsa_float_round_mode_16_64 0
		.amdhsa_float_denorm_mode_32 3
		.amdhsa_float_denorm_mode_16_64 3
		.amdhsa_dx10_clamp 1
		.amdhsa_ieee_mode 1
		.amdhsa_fp16_overflow 0
		.amdhsa_tg_split 0
		.amdhsa_exception_fp_ieee_invalid_op 0
		.amdhsa_exception_fp_denorm_src 0
		.amdhsa_exception_fp_ieee_div_zero 0
		.amdhsa_exception_fp_ieee_overflow 0
		.amdhsa_exception_fp_ieee_underflow 0
		.amdhsa_exception_fp_ieee_inexact 0
		.amdhsa_exception_int_div_zero 0
	.end_amdhsa_kernel
	.section	.text._ZN7rocprim17ROCPRIM_400000_NS6detail17trampoline_kernelINS0_14default_configENS1_20scan_config_selectorIdEEZZNS1_9scan_implILNS1_25lookback_scan_determinismE0ELb0ELb0ES3_PKdPddZZZN2at6native31launch_logcumsumexp_cuda_kernelERKNSB_10TensorBaseESF_lENKUlvE_clEvENKUlvE_clEvEUlddE_dEEDaPvRmT3_T4_T5_mT6_P12ihipStream_tbENKUlT_T0_E_clISt17integral_constantIbLb0EESW_EEDaSR_SS_EUlSR_E0_NS1_11comp_targetILNS1_3genE4ELNS1_11target_archE910ELNS1_3gpuE8ELNS1_3repE0EEENS1_30default_config_static_selectorELNS0_4arch9wavefront6targetE1EEEvT1_,"axG",@progbits,_ZN7rocprim17ROCPRIM_400000_NS6detail17trampoline_kernelINS0_14default_configENS1_20scan_config_selectorIdEEZZNS1_9scan_implILNS1_25lookback_scan_determinismE0ELb0ELb0ES3_PKdPddZZZN2at6native31launch_logcumsumexp_cuda_kernelERKNSB_10TensorBaseESF_lENKUlvE_clEvENKUlvE_clEvEUlddE_dEEDaPvRmT3_T4_T5_mT6_P12ihipStream_tbENKUlT_T0_E_clISt17integral_constantIbLb0EESW_EEDaSR_SS_EUlSR_E0_NS1_11comp_targetILNS1_3genE4ELNS1_11target_archE910ELNS1_3gpuE8ELNS1_3repE0EEENS1_30default_config_static_selectorELNS0_4arch9wavefront6targetE1EEEvT1_,comdat
.Lfunc_end20:
	.size	_ZN7rocprim17ROCPRIM_400000_NS6detail17trampoline_kernelINS0_14default_configENS1_20scan_config_selectorIdEEZZNS1_9scan_implILNS1_25lookback_scan_determinismE0ELb0ELb0ES3_PKdPddZZZN2at6native31launch_logcumsumexp_cuda_kernelERKNSB_10TensorBaseESF_lENKUlvE_clEvENKUlvE_clEvEUlddE_dEEDaPvRmT3_T4_T5_mT6_P12ihipStream_tbENKUlT_T0_E_clISt17integral_constantIbLb0EESW_EEDaSR_SS_EUlSR_E0_NS1_11comp_targetILNS1_3genE4ELNS1_11target_archE910ELNS1_3gpuE8ELNS1_3repE0EEENS1_30default_config_static_selectorELNS0_4arch9wavefront6targetE1EEEvT1_, .Lfunc_end20-_ZN7rocprim17ROCPRIM_400000_NS6detail17trampoline_kernelINS0_14default_configENS1_20scan_config_selectorIdEEZZNS1_9scan_implILNS1_25lookback_scan_determinismE0ELb0ELb0ES3_PKdPddZZZN2at6native31launch_logcumsumexp_cuda_kernelERKNSB_10TensorBaseESF_lENKUlvE_clEvENKUlvE_clEvEUlddE_dEEDaPvRmT3_T4_T5_mT6_P12ihipStream_tbENKUlT_T0_E_clISt17integral_constantIbLb0EESW_EEDaSR_SS_EUlSR_E0_NS1_11comp_targetILNS1_3genE4ELNS1_11target_archE910ELNS1_3gpuE8ELNS1_3repE0EEENS1_30default_config_static_selectorELNS0_4arch9wavefront6targetE1EEEvT1_
                                        ; -- End function
	.section	.AMDGPU.csdata,"",@progbits
; Kernel info:
; codeLenInByte = 44864
; NumSgprs: 60
; NumVgprs: 76
; NumAgprs: 0
; TotalNumVgprs: 76
; ScratchSize: 0
; MemoryBound: 0
; FloatMode: 240
; IeeeMode: 1
; LDSByteSize: 10240 bytes/workgroup (compile time only)
; SGPRBlocks: 7
; VGPRBlocks: 9
; NumSGPRsForWavesPerEU: 60
; NumVGPRsForWavesPerEU: 76
; AccumOffset: 76
; Occupancy: 3
; WaveLimiterHint : 0
; COMPUTE_PGM_RSRC2:SCRATCH_EN: 0
; COMPUTE_PGM_RSRC2:USER_SGPR: 6
; COMPUTE_PGM_RSRC2:TRAP_HANDLER: 0
; COMPUTE_PGM_RSRC2:TGID_X_EN: 1
; COMPUTE_PGM_RSRC2:TGID_Y_EN: 0
; COMPUTE_PGM_RSRC2:TGID_Z_EN: 0
; COMPUTE_PGM_RSRC2:TIDIG_COMP_CNT: 0
; COMPUTE_PGM_RSRC3_GFX90A:ACCUM_OFFSET: 18
; COMPUTE_PGM_RSRC3_GFX90A:TG_SPLIT: 0
	.section	.text._ZN7rocprim17ROCPRIM_400000_NS6detail17trampoline_kernelINS0_14default_configENS1_20scan_config_selectorIdEEZZNS1_9scan_implILNS1_25lookback_scan_determinismE0ELb0ELb0ES3_PKdPddZZZN2at6native31launch_logcumsumexp_cuda_kernelERKNSB_10TensorBaseESF_lENKUlvE_clEvENKUlvE_clEvEUlddE_dEEDaPvRmT3_T4_T5_mT6_P12ihipStream_tbENKUlT_T0_E_clISt17integral_constantIbLb0EESW_EEDaSR_SS_EUlSR_E0_NS1_11comp_targetILNS1_3genE3ELNS1_11target_archE908ELNS1_3gpuE7ELNS1_3repE0EEENS1_30default_config_static_selectorELNS0_4arch9wavefront6targetE1EEEvT1_,"axG",@progbits,_ZN7rocprim17ROCPRIM_400000_NS6detail17trampoline_kernelINS0_14default_configENS1_20scan_config_selectorIdEEZZNS1_9scan_implILNS1_25lookback_scan_determinismE0ELb0ELb0ES3_PKdPddZZZN2at6native31launch_logcumsumexp_cuda_kernelERKNSB_10TensorBaseESF_lENKUlvE_clEvENKUlvE_clEvEUlddE_dEEDaPvRmT3_T4_T5_mT6_P12ihipStream_tbENKUlT_T0_E_clISt17integral_constantIbLb0EESW_EEDaSR_SS_EUlSR_E0_NS1_11comp_targetILNS1_3genE3ELNS1_11target_archE908ELNS1_3gpuE7ELNS1_3repE0EEENS1_30default_config_static_selectorELNS0_4arch9wavefront6targetE1EEEvT1_,comdat
	.globl	_ZN7rocprim17ROCPRIM_400000_NS6detail17trampoline_kernelINS0_14default_configENS1_20scan_config_selectorIdEEZZNS1_9scan_implILNS1_25lookback_scan_determinismE0ELb0ELb0ES3_PKdPddZZZN2at6native31launch_logcumsumexp_cuda_kernelERKNSB_10TensorBaseESF_lENKUlvE_clEvENKUlvE_clEvEUlddE_dEEDaPvRmT3_T4_T5_mT6_P12ihipStream_tbENKUlT_T0_E_clISt17integral_constantIbLb0EESW_EEDaSR_SS_EUlSR_E0_NS1_11comp_targetILNS1_3genE3ELNS1_11target_archE908ELNS1_3gpuE7ELNS1_3repE0EEENS1_30default_config_static_selectorELNS0_4arch9wavefront6targetE1EEEvT1_ ; -- Begin function _ZN7rocprim17ROCPRIM_400000_NS6detail17trampoline_kernelINS0_14default_configENS1_20scan_config_selectorIdEEZZNS1_9scan_implILNS1_25lookback_scan_determinismE0ELb0ELb0ES3_PKdPddZZZN2at6native31launch_logcumsumexp_cuda_kernelERKNSB_10TensorBaseESF_lENKUlvE_clEvENKUlvE_clEvEUlddE_dEEDaPvRmT3_T4_T5_mT6_P12ihipStream_tbENKUlT_T0_E_clISt17integral_constantIbLb0EESW_EEDaSR_SS_EUlSR_E0_NS1_11comp_targetILNS1_3genE3ELNS1_11target_archE908ELNS1_3gpuE7ELNS1_3repE0EEENS1_30default_config_static_selectorELNS0_4arch9wavefront6targetE1EEEvT1_
	.p2align	8
	.type	_ZN7rocprim17ROCPRIM_400000_NS6detail17trampoline_kernelINS0_14default_configENS1_20scan_config_selectorIdEEZZNS1_9scan_implILNS1_25lookback_scan_determinismE0ELb0ELb0ES3_PKdPddZZZN2at6native31launch_logcumsumexp_cuda_kernelERKNSB_10TensorBaseESF_lENKUlvE_clEvENKUlvE_clEvEUlddE_dEEDaPvRmT3_T4_T5_mT6_P12ihipStream_tbENKUlT_T0_E_clISt17integral_constantIbLb0EESW_EEDaSR_SS_EUlSR_E0_NS1_11comp_targetILNS1_3genE3ELNS1_11target_archE908ELNS1_3gpuE7ELNS1_3repE0EEENS1_30default_config_static_selectorELNS0_4arch9wavefront6targetE1EEEvT1_,@function
_ZN7rocprim17ROCPRIM_400000_NS6detail17trampoline_kernelINS0_14default_configENS1_20scan_config_selectorIdEEZZNS1_9scan_implILNS1_25lookback_scan_determinismE0ELb0ELb0ES3_PKdPddZZZN2at6native31launch_logcumsumexp_cuda_kernelERKNSB_10TensorBaseESF_lENKUlvE_clEvENKUlvE_clEvEUlddE_dEEDaPvRmT3_T4_T5_mT6_P12ihipStream_tbENKUlT_T0_E_clISt17integral_constantIbLb0EESW_EEDaSR_SS_EUlSR_E0_NS1_11comp_targetILNS1_3genE3ELNS1_11target_archE908ELNS1_3gpuE7ELNS1_3repE0EEENS1_30default_config_static_selectorELNS0_4arch9wavefront6targetE1EEEvT1_: ; @_ZN7rocprim17ROCPRIM_400000_NS6detail17trampoline_kernelINS0_14default_configENS1_20scan_config_selectorIdEEZZNS1_9scan_implILNS1_25lookback_scan_determinismE0ELb0ELb0ES3_PKdPddZZZN2at6native31launch_logcumsumexp_cuda_kernelERKNSB_10TensorBaseESF_lENKUlvE_clEvENKUlvE_clEvEUlddE_dEEDaPvRmT3_T4_T5_mT6_P12ihipStream_tbENKUlT_T0_E_clISt17integral_constantIbLb0EESW_EEDaSR_SS_EUlSR_E0_NS1_11comp_targetILNS1_3genE3ELNS1_11target_archE908ELNS1_3gpuE7ELNS1_3repE0EEENS1_30default_config_static_selectorELNS0_4arch9wavefront6targetE1EEEvT1_
; %bb.0:
	.section	.rodata,"a",@progbits
	.p2align	6, 0x0
	.amdhsa_kernel _ZN7rocprim17ROCPRIM_400000_NS6detail17trampoline_kernelINS0_14default_configENS1_20scan_config_selectorIdEEZZNS1_9scan_implILNS1_25lookback_scan_determinismE0ELb0ELb0ES3_PKdPddZZZN2at6native31launch_logcumsumexp_cuda_kernelERKNSB_10TensorBaseESF_lENKUlvE_clEvENKUlvE_clEvEUlddE_dEEDaPvRmT3_T4_T5_mT6_P12ihipStream_tbENKUlT_T0_E_clISt17integral_constantIbLb0EESW_EEDaSR_SS_EUlSR_E0_NS1_11comp_targetILNS1_3genE3ELNS1_11target_archE908ELNS1_3gpuE7ELNS1_3repE0EEENS1_30default_config_static_selectorELNS0_4arch9wavefront6targetE1EEEvT1_
		.amdhsa_group_segment_fixed_size 0
		.amdhsa_private_segment_fixed_size 0
		.amdhsa_kernarg_size 40
		.amdhsa_user_sgpr_count 6
		.amdhsa_user_sgpr_private_segment_buffer 1
		.amdhsa_user_sgpr_dispatch_ptr 0
		.amdhsa_user_sgpr_queue_ptr 0
		.amdhsa_user_sgpr_kernarg_segment_ptr 1
		.amdhsa_user_sgpr_dispatch_id 0
		.amdhsa_user_sgpr_flat_scratch_init 0
		.amdhsa_user_sgpr_kernarg_preload_length 0
		.amdhsa_user_sgpr_kernarg_preload_offset 0
		.amdhsa_user_sgpr_private_segment_size 0
		.amdhsa_uses_dynamic_stack 0
		.amdhsa_system_sgpr_private_segment_wavefront_offset 0
		.amdhsa_system_sgpr_workgroup_id_x 1
		.amdhsa_system_sgpr_workgroup_id_y 0
		.amdhsa_system_sgpr_workgroup_id_z 0
		.amdhsa_system_sgpr_workgroup_info 0
		.amdhsa_system_vgpr_workitem_id 0
		.amdhsa_next_free_vgpr 1
		.amdhsa_next_free_sgpr 0
		.amdhsa_accum_offset 4
		.amdhsa_reserve_vcc 0
		.amdhsa_reserve_flat_scratch 0
		.amdhsa_float_round_mode_32 0
		.amdhsa_float_round_mode_16_64 0
		.amdhsa_float_denorm_mode_32 3
		.amdhsa_float_denorm_mode_16_64 3
		.amdhsa_dx10_clamp 1
		.amdhsa_ieee_mode 1
		.amdhsa_fp16_overflow 0
		.amdhsa_tg_split 0
		.amdhsa_exception_fp_ieee_invalid_op 0
		.amdhsa_exception_fp_denorm_src 0
		.amdhsa_exception_fp_ieee_div_zero 0
		.amdhsa_exception_fp_ieee_overflow 0
		.amdhsa_exception_fp_ieee_underflow 0
		.amdhsa_exception_fp_ieee_inexact 0
		.amdhsa_exception_int_div_zero 0
	.end_amdhsa_kernel
	.section	.text._ZN7rocprim17ROCPRIM_400000_NS6detail17trampoline_kernelINS0_14default_configENS1_20scan_config_selectorIdEEZZNS1_9scan_implILNS1_25lookback_scan_determinismE0ELb0ELb0ES3_PKdPddZZZN2at6native31launch_logcumsumexp_cuda_kernelERKNSB_10TensorBaseESF_lENKUlvE_clEvENKUlvE_clEvEUlddE_dEEDaPvRmT3_T4_T5_mT6_P12ihipStream_tbENKUlT_T0_E_clISt17integral_constantIbLb0EESW_EEDaSR_SS_EUlSR_E0_NS1_11comp_targetILNS1_3genE3ELNS1_11target_archE908ELNS1_3gpuE7ELNS1_3repE0EEENS1_30default_config_static_selectorELNS0_4arch9wavefront6targetE1EEEvT1_,"axG",@progbits,_ZN7rocprim17ROCPRIM_400000_NS6detail17trampoline_kernelINS0_14default_configENS1_20scan_config_selectorIdEEZZNS1_9scan_implILNS1_25lookback_scan_determinismE0ELb0ELb0ES3_PKdPddZZZN2at6native31launch_logcumsumexp_cuda_kernelERKNSB_10TensorBaseESF_lENKUlvE_clEvENKUlvE_clEvEUlddE_dEEDaPvRmT3_T4_T5_mT6_P12ihipStream_tbENKUlT_T0_E_clISt17integral_constantIbLb0EESW_EEDaSR_SS_EUlSR_E0_NS1_11comp_targetILNS1_3genE3ELNS1_11target_archE908ELNS1_3gpuE7ELNS1_3repE0EEENS1_30default_config_static_selectorELNS0_4arch9wavefront6targetE1EEEvT1_,comdat
.Lfunc_end21:
	.size	_ZN7rocprim17ROCPRIM_400000_NS6detail17trampoline_kernelINS0_14default_configENS1_20scan_config_selectorIdEEZZNS1_9scan_implILNS1_25lookback_scan_determinismE0ELb0ELb0ES3_PKdPddZZZN2at6native31launch_logcumsumexp_cuda_kernelERKNSB_10TensorBaseESF_lENKUlvE_clEvENKUlvE_clEvEUlddE_dEEDaPvRmT3_T4_T5_mT6_P12ihipStream_tbENKUlT_T0_E_clISt17integral_constantIbLb0EESW_EEDaSR_SS_EUlSR_E0_NS1_11comp_targetILNS1_3genE3ELNS1_11target_archE908ELNS1_3gpuE7ELNS1_3repE0EEENS1_30default_config_static_selectorELNS0_4arch9wavefront6targetE1EEEvT1_, .Lfunc_end21-_ZN7rocprim17ROCPRIM_400000_NS6detail17trampoline_kernelINS0_14default_configENS1_20scan_config_selectorIdEEZZNS1_9scan_implILNS1_25lookback_scan_determinismE0ELb0ELb0ES3_PKdPddZZZN2at6native31launch_logcumsumexp_cuda_kernelERKNSB_10TensorBaseESF_lENKUlvE_clEvENKUlvE_clEvEUlddE_dEEDaPvRmT3_T4_T5_mT6_P12ihipStream_tbENKUlT_T0_E_clISt17integral_constantIbLb0EESW_EEDaSR_SS_EUlSR_E0_NS1_11comp_targetILNS1_3genE3ELNS1_11target_archE908ELNS1_3gpuE7ELNS1_3repE0EEENS1_30default_config_static_selectorELNS0_4arch9wavefront6targetE1EEEvT1_
                                        ; -- End function
	.section	.AMDGPU.csdata,"",@progbits
; Kernel info:
; codeLenInByte = 0
; NumSgprs: 4
; NumVgprs: 0
; NumAgprs: 0
; TotalNumVgprs: 0
; ScratchSize: 0
; MemoryBound: 0
; FloatMode: 240
; IeeeMode: 1
; LDSByteSize: 0 bytes/workgroup (compile time only)
; SGPRBlocks: 0
; VGPRBlocks: 0
; NumSGPRsForWavesPerEU: 4
; NumVGPRsForWavesPerEU: 1
; AccumOffset: 4
; Occupancy: 8
; WaveLimiterHint : 0
; COMPUTE_PGM_RSRC2:SCRATCH_EN: 0
; COMPUTE_PGM_RSRC2:USER_SGPR: 6
; COMPUTE_PGM_RSRC2:TRAP_HANDLER: 0
; COMPUTE_PGM_RSRC2:TGID_X_EN: 1
; COMPUTE_PGM_RSRC2:TGID_Y_EN: 0
; COMPUTE_PGM_RSRC2:TGID_Z_EN: 0
; COMPUTE_PGM_RSRC2:TIDIG_COMP_CNT: 0
; COMPUTE_PGM_RSRC3_GFX90A:ACCUM_OFFSET: 0
; COMPUTE_PGM_RSRC3_GFX90A:TG_SPLIT: 0
	.section	.text._ZN7rocprim17ROCPRIM_400000_NS6detail17trampoline_kernelINS0_14default_configENS1_20scan_config_selectorIdEEZZNS1_9scan_implILNS1_25lookback_scan_determinismE0ELb0ELb0ES3_PKdPddZZZN2at6native31launch_logcumsumexp_cuda_kernelERKNSB_10TensorBaseESF_lENKUlvE_clEvENKUlvE_clEvEUlddE_dEEDaPvRmT3_T4_T5_mT6_P12ihipStream_tbENKUlT_T0_E_clISt17integral_constantIbLb0EESW_EEDaSR_SS_EUlSR_E0_NS1_11comp_targetILNS1_3genE2ELNS1_11target_archE906ELNS1_3gpuE6ELNS1_3repE0EEENS1_30default_config_static_selectorELNS0_4arch9wavefront6targetE1EEEvT1_,"axG",@progbits,_ZN7rocprim17ROCPRIM_400000_NS6detail17trampoline_kernelINS0_14default_configENS1_20scan_config_selectorIdEEZZNS1_9scan_implILNS1_25lookback_scan_determinismE0ELb0ELb0ES3_PKdPddZZZN2at6native31launch_logcumsumexp_cuda_kernelERKNSB_10TensorBaseESF_lENKUlvE_clEvENKUlvE_clEvEUlddE_dEEDaPvRmT3_T4_T5_mT6_P12ihipStream_tbENKUlT_T0_E_clISt17integral_constantIbLb0EESW_EEDaSR_SS_EUlSR_E0_NS1_11comp_targetILNS1_3genE2ELNS1_11target_archE906ELNS1_3gpuE6ELNS1_3repE0EEENS1_30default_config_static_selectorELNS0_4arch9wavefront6targetE1EEEvT1_,comdat
	.globl	_ZN7rocprim17ROCPRIM_400000_NS6detail17trampoline_kernelINS0_14default_configENS1_20scan_config_selectorIdEEZZNS1_9scan_implILNS1_25lookback_scan_determinismE0ELb0ELb0ES3_PKdPddZZZN2at6native31launch_logcumsumexp_cuda_kernelERKNSB_10TensorBaseESF_lENKUlvE_clEvENKUlvE_clEvEUlddE_dEEDaPvRmT3_T4_T5_mT6_P12ihipStream_tbENKUlT_T0_E_clISt17integral_constantIbLb0EESW_EEDaSR_SS_EUlSR_E0_NS1_11comp_targetILNS1_3genE2ELNS1_11target_archE906ELNS1_3gpuE6ELNS1_3repE0EEENS1_30default_config_static_selectorELNS0_4arch9wavefront6targetE1EEEvT1_ ; -- Begin function _ZN7rocprim17ROCPRIM_400000_NS6detail17trampoline_kernelINS0_14default_configENS1_20scan_config_selectorIdEEZZNS1_9scan_implILNS1_25lookback_scan_determinismE0ELb0ELb0ES3_PKdPddZZZN2at6native31launch_logcumsumexp_cuda_kernelERKNSB_10TensorBaseESF_lENKUlvE_clEvENKUlvE_clEvEUlddE_dEEDaPvRmT3_T4_T5_mT6_P12ihipStream_tbENKUlT_T0_E_clISt17integral_constantIbLb0EESW_EEDaSR_SS_EUlSR_E0_NS1_11comp_targetILNS1_3genE2ELNS1_11target_archE906ELNS1_3gpuE6ELNS1_3repE0EEENS1_30default_config_static_selectorELNS0_4arch9wavefront6targetE1EEEvT1_
	.p2align	8
	.type	_ZN7rocprim17ROCPRIM_400000_NS6detail17trampoline_kernelINS0_14default_configENS1_20scan_config_selectorIdEEZZNS1_9scan_implILNS1_25lookback_scan_determinismE0ELb0ELb0ES3_PKdPddZZZN2at6native31launch_logcumsumexp_cuda_kernelERKNSB_10TensorBaseESF_lENKUlvE_clEvENKUlvE_clEvEUlddE_dEEDaPvRmT3_T4_T5_mT6_P12ihipStream_tbENKUlT_T0_E_clISt17integral_constantIbLb0EESW_EEDaSR_SS_EUlSR_E0_NS1_11comp_targetILNS1_3genE2ELNS1_11target_archE906ELNS1_3gpuE6ELNS1_3repE0EEENS1_30default_config_static_selectorELNS0_4arch9wavefront6targetE1EEEvT1_,@function
_ZN7rocprim17ROCPRIM_400000_NS6detail17trampoline_kernelINS0_14default_configENS1_20scan_config_selectorIdEEZZNS1_9scan_implILNS1_25lookback_scan_determinismE0ELb0ELb0ES3_PKdPddZZZN2at6native31launch_logcumsumexp_cuda_kernelERKNSB_10TensorBaseESF_lENKUlvE_clEvENKUlvE_clEvEUlddE_dEEDaPvRmT3_T4_T5_mT6_P12ihipStream_tbENKUlT_T0_E_clISt17integral_constantIbLb0EESW_EEDaSR_SS_EUlSR_E0_NS1_11comp_targetILNS1_3genE2ELNS1_11target_archE906ELNS1_3gpuE6ELNS1_3repE0EEENS1_30default_config_static_selectorELNS0_4arch9wavefront6targetE1EEEvT1_: ; @_ZN7rocprim17ROCPRIM_400000_NS6detail17trampoline_kernelINS0_14default_configENS1_20scan_config_selectorIdEEZZNS1_9scan_implILNS1_25lookback_scan_determinismE0ELb0ELb0ES3_PKdPddZZZN2at6native31launch_logcumsumexp_cuda_kernelERKNSB_10TensorBaseESF_lENKUlvE_clEvENKUlvE_clEvEUlddE_dEEDaPvRmT3_T4_T5_mT6_P12ihipStream_tbENKUlT_T0_E_clISt17integral_constantIbLb0EESW_EEDaSR_SS_EUlSR_E0_NS1_11comp_targetILNS1_3genE2ELNS1_11target_archE906ELNS1_3gpuE6ELNS1_3repE0EEENS1_30default_config_static_selectorELNS0_4arch9wavefront6targetE1EEEvT1_
; %bb.0:
	.section	.rodata,"a",@progbits
	.p2align	6, 0x0
	.amdhsa_kernel _ZN7rocprim17ROCPRIM_400000_NS6detail17trampoline_kernelINS0_14default_configENS1_20scan_config_selectorIdEEZZNS1_9scan_implILNS1_25lookback_scan_determinismE0ELb0ELb0ES3_PKdPddZZZN2at6native31launch_logcumsumexp_cuda_kernelERKNSB_10TensorBaseESF_lENKUlvE_clEvENKUlvE_clEvEUlddE_dEEDaPvRmT3_T4_T5_mT6_P12ihipStream_tbENKUlT_T0_E_clISt17integral_constantIbLb0EESW_EEDaSR_SS_EUlSR_E0_NS1_11comp_targetILNS1_3genE2ELNS1_11target_archE906ELNS1_3gpuE6ELNS1_3repE0EEENS1_30default_config_static_selectorELNS0_4arch9wavefront6targetE1EEEvT1_
		.amdhsa_group_segment_fixed_size 0
		.amdhsa_private_segment_fixed_size 0
		.amdhsa_kernarg_size 40
		.amdhsa_user_sgpr_count 6
		.amdhsa_user_sgpr_private_segment_buffer 1
		.amdhsa_user_sgpr_dispatch_ptr 0
		.amdhsa_user_sgpr_queue_ptr 0
		.amdhsa_user_sgpr_kernarg_segment_ptr 1
		.amdhsa_user_sgpr_dispatch_id 0
		.amdhsa_user_sgpr_flat_scratch_init 0
		.amdhsa_user_sgpr_kernarg_preload_length 0
		.amdhsa_user_sgpr_kernarg_preload_offset 0
		.amdhsa_user_sgpr_private_segment_size 0
		.amdhsa_uses_dynamic_stack 0
		.amdhsa_system_sgpr_private_segment_wavefront_offset 0
		.amdhsa_system_sgpr_workgroup_id_x 1
		.amdhsa_system_sgpr_workgroup_id_y 0
		.amdhsa_system_sgpr_workgroup_id_z 0
		.amdhsa_system_sgpr_workgroup_info 0
		.amdhsa_system_vgpr_workitem_id 0
		.amdhsa_next_free_vgpr 1
		.amdhsa_next_free_sgpr 0
		.amdhsa_accum_offset 4
		.amdhsa_reserve_vcc 0
		.amdhsa_reserve_flat_scratch 0
		.amdhsa_float_round_mode_32 0
		.amdhsa_float_round_mode_16_64 0
		.amdhsa_float_denorm_mode_32 3
		.amdhsa_float_denorm_mode_16_64 3
		.amdhsa_dx10_clamp 1
		.amdhsa_ieee_mode 1
		.amdhsa_fp16_overflow 0
		.amdhsa_tg_split 0
		.amdhsa_exception_fp_ieee_invalid_op 0
		.amdhsa_exception_fp_denorm_src 0
		.amdhsa_exception_fp_ieee_div_zero 0
		.amdhsa_exception_fp_ieee_overflow 0
		.amdhsa_exception_fp_ieee_underflow 0
		.amdhsa_exception_fp_ieee_inexact 0
		.amdhsa_exception_int_div_zero 0
	.end_amdhsa_kernel
	.section	.text._ZN7rocprim17ROCPRIM_400000_NS6detail17trampoline_kernelINS0_14default_configENS1_20scan_config_selectorIdEEZZNS1_9scan_implILNS1_25lookback_scan_determinismE0ELb0ELb0ES3_PKdPddZZZN2at6native31launch_logcumsumexp_cuda_kernelERKNSB_10TensorBaseESF_lENKUlvE_clEvENKUlvE_clEvEUlddE_dEEDaPvRmT3_T4_T5_mT6_P12ihipStream_tbENKUlT_T0_E_clISt17integral_constantIbLb0EESW_EEDaSR_SS_EUlSR_E0_NS1_11comp_targetILNS1_3genE2ELNS1_11target_archE906ELNS1_3gpuE6ELNS1_3repE0EEENS1_30default_config_static_selectorELNS0_4arch9wavefront6targetE1EEEvT1_,"axG",@progbits,_ZN7rocprim17ROCPRIM_400000_NS6detail17trampoline_kernelINS0_14default_configENS1_20scan_config_selectorIdEEZZNS1_9scan_implILNS1_25lookback_scan_determinismE0ELb0ELb0ES3_PKdPddZZZN2at6native31launch_logcumsumexp_cuda_kernelERKNSB_10TensorBaseESF_lENKUlvE_clEvENKUlvE_clEvEUlddE_dEEDaPvRmT3_T4_T5_mT6_P12ihipStream_tbENKUlT_T0_E_clISt17integral_constantIbLb0EESW_EEDaSR_SS_EUlSR_E0_NS1_11comp_targetILNS1_3genE2ELNS1_11target_archE906ELNS1_3gpuE6ELNS1_3repE0EEENS1_30default_config_static_selectorELNS0_4arch9wavefront6targetE1EEEvT1_,comdat
.Lfunc_end22:
	.size	_ZN7rocprim17ROCPRIM_400000_NS6detail17trampoline_kernelINS0_14default_configENS1_20scan_config_selectorIdEEZZNS1_9scan_implILNS1_25lookback_scan_determinismE0ELb0ELb0ES3_PKdPddZZZN2at6native31launch_logcumsumexp_cuda_kernelERKNSB_10TensorBaseESF_lENKUlvE_clEvENKUlvE_clEvEUlddE_dEEDaPvRmT3_T4_T5_mT6_P12ihipStream_tbENKUlT_T0_E_clISt17integral_constantIbLb0EESW_EEDaSR_SS_EUlSR_E0_NS1_11comp_targetILNS1_3genE2ELNS1_11target_archE906ELNS1_3gpuE6ELNS1_3repE0EEENS1_30default_config_static_selectorELNS0_4arch9wavefront6targetE1EEEvT1_, .Lfunc_end22-_ZN7rocprim17ROCPRIM_400000_NS6detail17trampoline_kernelINS0_14default_configENS1_20scan_config_selectorIdEEZZNS1_9scan_implILNS1_25lookback_scan_determinismE0ELb0ELb0ES3_PKdPddZZZN2at6native31launch_logcumsumexp_cuda_kernelERKNSB_10TensorBaseESF_lENKUlvE_clEvENKUlvE_clEvEUlddE_dEEDaPvRmT3_T4_T5_mT6_P12ihipStream_tbENKUlT_T0_E_clISt17integral_constantIbLb0EESW_EEDaSR_SS_EUlSR_E0_NS1_11comp_targetILNS1_3genE2ELNS1_11target_archE906ELNS1_3gpuE6ELNS1_3repE0EEENS1_30default_config_static_selectorELNS0_4arch9wavefront6targetE1EEEvT1_
                                        ; -- End function
	.section	.AMDGPU.csdata,"",@progbits
; Kernel info:
; codeLenInByte = 0
; NumSgprs: 4
; NumVgprs: 0
; NumAgprs: 0
; TotalNumVgprs: 0
; ScratchSize: 0
; MemoryBound: 0
; FloatMode: 240
; IeeeMode: 1
; LDSByteSize: 0 bytes/workgroup (compile time only)
; SGPRBlocks: 0
; VGPRBlocks: 0
; NumSGPRsForWavesPerEU: 4
; NumVGPRsForWavesPerEU: 1
; AccumOffset: 4
; Occupancy: 8
; WaveLimiterHint : 0
; COMPUTE_PGM_RSRC2:SCRATCH_EN: 0
; COMPUTE_PGM_RSRC2:USER_SGPR: 6
; COMPUTE_PGM_RSRC2:TRAP_HANDLER: 0
; COMPUTE_PGM_RSRC2:TGID_X_EN: 1
; COMPUTE_PGM_RSRC2:TGID_Y_EN: 0
; COMPUTE_PGM_RSRC2:TGID_Z_EN: 0
; COMPUTE_PGM_RSRC2:TIDIG_COMP_CNT: 0
; COMPUTE_PGM_RSRC3_GFX90A:ACCUM_OFFSET: 0
; COMPUTE_PGM_RSRC3_GFX90A:TG_SPLIT: 0
	.section	.text._ZN7rocprim17ROCPRIM_400000_NS6detail17trampoline_kernelINS0_14default_configENS1_20scan_config_selectorIdEEZZNS1_9scan_implILNS1_25lookback_scan_determinismE0ELb0ELb0ES3_PKdPddZZZN2at6native31launch_logcumsumexp_cuda_kernelERKNSB_10TensorBaseESF_lENKUlvE_clEvENKUlvE_clEvEUlddE_dEEDaPvRmT3_T4_T5_mT6_P12ihipStream_tbENKUlT_T0_E_clISt17integral_constantIbLb0EESW_EEDaSR_SS_EUlSR_E0_NS1_11comp_targetILNS1_3genE10ELNS1_11target_archE1201ELNS1_3gpuE5ELNS1_3repE0EEENS1_30default_config_static_selectorELNS0_4arch9wavefront6targetE1EEEvT1_,"axG",@progbits,_ZN7rocprim17ROCPRIM_400000_NS6detail17trampoline_kernelINS0_14default_configENS1_20scan_config_selectorIdEEZZNS1_9scan_implILNS1_25lookback_scan_determinismE0ELb0ELb0ES3_PKdPddZZZN2at6native31launch_logcumsumexp_cuda_kernelERKNSB_10TensorBaseESF_lENKUlvE_clEvENKUlvE_clEvEUlddE_dEEDaPvRmT3_T4_T5_mT6_P12ihipStream_tbENKUlT_T0_E_clISt17integral_constantIbLb0EESW_EEDaSR_SS_EUlSR_E0_NS1_11comp_targetILNS1_3genE10ELNS1_11target_archE1201ELNS1_3gpuE5ELNS1_3repE0EEENS1_30default_config_static_selectorELNS0_4arch9wavefront6targetE1EEEvT1_,comdat
	.globl	_ZN7rocprim17ROCPRIM_400000_NS6detail17trampoline_kernelINS0_14default_configENS1_20scan_config_selectorIdEEZZNS1_9scan_implILNS1_25lookback_scan_determinismE0ELb0ELb0ES3_PKdPddZZZN2at6native31launch_logcumsumexp_cuda_kernelERKNSB_10TensorBaseESF_lENKUlvE_clEvENKUlvE_clEvEUlddE_dEEDaPvRmT3_T4_T5_mT6_P12ihipStream_tbENKUlT_T0_E_clISt17integral_constantIbLb0EESW_EEDaSR_SS_EUlSR_E0_NS1_11comp_targetILNS1_3genE10ELNS1_11target_archE1201ELNS1_3gpuE5ELNS1_3repE0EEENS1_30default_config_static_selectorELNS0_4arch9wavefront6targetE1EEEvT1_ ; -- Begin function _ZN7rocprim17ROCPRIM_400000_NS6detail17trampoline_kernelINS0_14default_configENS1_20scan_config_selectorIdEEZZNS1_9scan_implILNS1_25lookback_scan_determinismE0ELb0ELb0ES3_PKdPddZZZN2at6native31launch_logcumsumexp_cuda_kernelERKNSB_10TensorBaseESF_lENKUlvE_clEvENKUlvE_clEvEUlddE_dEEDaPvRmT3_T4_T5_mT6_P12ihipStream_tbENKUlT_T0_E_clISt17integral_constantIbLb0EESW_EEDaSR_SS_EUlSR_E0_NS1_11comp_targetILNS1_3genE10ELNS1_11target_archE1201ELNS1_3gpuE5ELNS1_3repE0EEENS1_30default_config_static_selectorELNS0_4arch9wavefront6targetE1EEEvT1_
	.p2align	8
	.type	_ZN7rocprim17ROCPRIM_400000_NS6detail17trampoline_kernelINS0_14default_configENS1_20scan_config_selectorIdEEZZNS1_9scan_implILNS1_25lookback_scan_determinismE0ELb0ELb0ES3_PKdPddZZZN2at6native31launch_logcumsumexp_cuda_kernelERKNSB_10TensorBaseESF_lENKUlvE_clEvENKUlvE_clEvEUlddE_dEEDaPvRmT3_T4_T5_mT6_P12ihipStream_tbENKUlT_T0_E_clISt17integral_constantIbLb0EESW_EEDaSR_SS_EUlSR_E0_NS1_11comp_targetILNS1_3genE10ELNS1_11target_archE1201ELNS1_3gpuE5ELNS1_3repE0EEENS1_30default_config_static_selectorELNS0_4arch9wavefront6targetE1EEEvT1_,@function
_ZN7rocprim17ROCPRIM_400000_NS6detail17trampoline_kernelINS0_14default_configENS1_20scan_config_selectorIdEEZZNS1_9scan_implILNS1_25lookback_scan_determinismE0ELb0ELb0ES3_PKdPddZZZN2at6native31launch_logcumsumexp_cuda_kernelERKNSB_10TensorBaseESF_lENKUlvE_clEvENKUlvE_clEvEUlddE_dEEDaPvRmT3_T4_T5_mT6_P12ihipStream_tbENKUlT_T0_E_clISt17integral_constantIbLb0EESW_EEDaSR_SS_EUlSR_E0_NS1_11comp_targetILNS1_3genE10ELNS1_11target_archE1201ELNS1_3gpuE5ELNS1_3repE0EEENS1_30default_config_static_selectorELNS0_4arch9wavefront6targetE1EEEvT1_: ; @_ZN7rocprim17ROCPRIM_400000_NS6detail17trampoline_kernelINS0_14default_configENS1_20scan_config_selectorIdEEZZNS1_9scan_implILNS1_25lookback_scan_determinismE0ELb0ELb0ES3_PKdPddZZZN2at6native31launch_logcumsumexp_cuda_kernelERKNSB_10TensorBaseESF_lENKUlvE_clEvENKUlvE_clEvEUlddE_dEEDaPvRmT3_T4_T5_mT6_P12ihipStream_tbENKUlT_T0_E_clISt17integral_constantIbLb0EESW_EEDaSR_SS_EUlSR_E0_NS1_11comp_targetILNS1_3genE10ELNS1_11target_archE1201ELNS1_3gpuE5ELNS1_3repE0EEENS1_30default_config_static_selectorELNS0_4arch9wavefront6targetE1EEEvT1_
; %bb.0:
	.section	.rodata,"a",@progbits
	.p2align	6, 0x0
	.amdhsa_kernel _ZN7rocprim17ROCPRIM_400000_NS6detail17trampoline_kernelINS0_14default_configENS1_20scan_config_selectorIdEEZZNS1_9scan_implILNS1_25lookback_scan_determinismE0ELb0ELb0ES3_PKdPddZZZN2at6native31launch_logcumsumexp_cuda_kernelERKNSB_10TensorBaseESF_lENKUlvE_clEvENKUlvE_clEvEUlddE_dEEDaPvRmT3_T4_T5_mT6_P12ihipStream_tbENKUlT_T0_E_clISt17integral_constantIbLb0EESW_EEDaSR_SS_EUlSR_E0_NS1_11comp_targetILNS1_3genE10ELNS1_11target_archE1201ELNS1_3gpuE5ELNS1_3repE0EEENS1_30default_config_static_selectorELNS0_4arch9wavefront6targetE1EEEvT1_
		.amdhsa_group_segment_fixed_size 0
		.amdhsa_private_segment_fixed_size 0
		.amdhsa_kernarg_size 40
		.amdhsa_user_sgpr_count 6
		.amdhsa_user_sgpr_private_segment_buffer 1
		.amdhsa_user_sgpr_dispatch_ptr 0
		.amdhsa_user_sgpr_queue_ptr 0
		.amdhsa_user_sgpr_kernarg_segment_ptr 1
		.amdhsa_user_sgpr_dispatch_id 0
		.amdhsa_user_sgpr_flat_scratch_init 0
		.amdhsa_user_sgpr_kernarg_preload_length 0
		.amdhsa_user_sgpr_kernarg_preload_offset 0
		.amdhsa_user_sgpr_private_segment_size 0
		.amdhsa_uses_dynamic_stack 0
		.amdhsa_system_sgpr_private_segment_wavefront_offset 0
		.amdhsa_system_sgpr_workgroup_id_x 1
		.amdhsa_system_sgpr_workgroup_id_y 0
		.amdhsa_system_sgpr_workgroup_id_z 0
		.amdhsa_system_sgpr_workgroup_info 0
		.amdhsa_system_vgpr_workitem_id 0
		.amdhsa_next_free_vgpr 1
		.amdhsa_next_free_sgpr 0
		.amdhsa_accum_offset 4
		.amdhsa_reserve_vcc 0
		.amdhsa_reserve_flat_scratch 0
		.amdhsa_float_round_mode_32 0
		.amdhsa_float_round_mode_16_64 0
		.amdhsa_float_denorm_mode_32 3
		.amdhsa_float_denorm_mode_16_64 3
		.amdhsa_dx10_clamp 1
		.amdhsa_ieee_mode 1
		.amdhsa_fp16_overflow 0
		.amdhsa_tg_split 0
		.amdhsa_exception_fp_ieee_invalid_op 0
		.amdhsa_exception_fp_denorm_src 0
		.amdhsa_exception_fp_ieee_div_zero 0
		.amdhsa_exception_fp_ieee_overflow 0
		.amdhsa_exception_fp_ieee_underflow 0
		.amdhsa_exception_fp_ieee_inexact 0
		.amdhsa_exception_int_div_zero 0
	.end_amdhsa_kernel
	.section	.text._ZN7rocprim17ROCPRIM_400000_NS6detail17trampoline_kernelINS0_14default_configENS1_20scan_config_selectorIdEEZZNS1_9scan_implILNS1_25lookback_scan_determinismE0ELb0ELb0ES3_PKdPddZZZN2at6native31launch_logcumsumexp_cuda_kernelERKNSB_10TensorBaseESF_lENKUlvE_clEvENKUlvE_clEvEUlddE_dEEDaPvRmT3_T4_T5_mT6_P12ihipStream_tbENKUlT_T0_E_clISt17integral_constantIbLb0EESW_EEDaSR_SS_EUlSR_E0_NS1_11comp_targetILNS1_3genE10ELNS1_11target_archE1201ELNS1_3gpuE5ELNS1_3repE0EEENS1_30default_config_static_selectorELNS0_4arch9wavefront6targetE1EEEvT1_,"axG",@progbits,_ZN7rocprim17ROCPRIM_400000_NS6detail17trampoline_kernelINS0_14default_configENS1_20scan_config_selectorIdEEZZNS1_9scan_implILNS1_25lookback_scan_determinismE0ELb0ELb0ES3_PKdPddZZZN2at6native31launch_logcumsumexp_cuda_kernelERKNSB_10TensorBaseESF_lENKUlvE_clEvENKUlvE_clEvEUlddE_dEEDaPvRmT3_T4_T5_mT6_P12ihipStream_tbENKUlT_T0_E_clISt17integral_constantIbLb0EESW_EEDaSR_SS_EUlSR_E0_NS1_11comp_targetILNS1_3genE10ELNS1_11target_archE1201ELNS1_3gpuE5ELNS1_3repE0EEENS1_30default_config_static_selectorELNS0_4arch9wavefront6targetE1EEEvT1_,comdat
.Lfunc_end23:
	.size	_ZN7rocprim17ROCPRIM_400000_NS6detail17trampoline_kernelINS0_14default_configENS1_20scan_config_selectorIdEEZZNS1_9scan_implILNS1_25lookback_scan_determinismE0ELb0ELb0ES3_PKdPddZZZN2at6native31launch_logcumsumexp_cuda_kernelERKNSB_10TensorBaseESF_lENKUlvE_clEvENKUlvE_clEvEUlddE_dEEDaPvRmT3_T4_T5_mT6_P12ihipStream_tbENKUlT_T0_E_clISt17integral_constantIbLb0EESW_EEDaSR_SS_EUlSR_E0_NS1_11comp_targetILNS1_3genE10ELNS1_11target_archE1201ELNS1_3gpuE5ELNS1_3repE0EEENS1_30default_config_static_selectorELNS0_4arch9wavefront6targetE1EEEvT1_, .Lfunc_end23-_ZN7rocprim17ROCPRIM_400000_NS6detail17trampoline_kernelINS0_14default_configENS1_20scan_config_selectorIdEEZZNS1_9scan_implILNS1_25lookback_scan_determinismE0ELb0ELb0ES3_PKdPddZZZN2at6native31launch_logcumsumexp_cuda_kernelERKNSB_10TensorBaseESF_lENKUlvE_clEvENKUlvE_clEvEUlddE_dEEDaPvRmT3_T4_T5_mT6_P12ihipStream_tbENKUlT_T0_E_clISt17integral_constantIbLb0EESW_EEDaSR_SS_EUlSR_E0_NS1_11comp_targetILNS1_3genE10ELNS1_11target_archE1201ELNS1_3gpuE5ELNS1_3repE0EEENS1_30default_config_static_selectorELNS0_4arch9wavefront6targetE1EEEvT1_
                                        ; -- End function
	.section	.AMDGPU.csdata,"",@progbits
; Kernel info:
; codeLenInByte = 0
; NumSgprs: 4
; NumVgprs: 0
; NumAgprs: 0
; TotalNumVgprs: 0
; ScratchSize: 0
; MemoryBound: 0
; FloatMode: 240
; IeeeMode: 1
; LDSByteSize: 0 bytes/workgroup (compile time only)
; SGPRBlocks: 0
; VGPRBlocks: 0
; NumSGPRsForWavesPerEU: 4
; NumVGPRsForWavesPerEU: 1
; AccumOffset: 4
; Occupancy: 8
; WaveLimiterHint : 0
; COMPUTE_PGM_RSRC2:SCRATCH_EN: 0
; COMPUTE_PGM_RSRC2:USER_SGPR: 6
; COMPUTE_PGM_RSRC2:TRAP_HANDLER: 0
; COMPUTE_PGM_RSRC2:TGID_X_EN: 1
; COMPUTE_PGM_RSRC2:TGID_Y_EN: 0
; COMPUTE_PGM_RSRC2:TGID_Z_EN: 0
; COMPUTE_PGM_RSRC2:TIDIG_COMP_CNT: 0
; COMPUTE_PGM_RSRC3_GFX90A:ACCUM_OFFSET: 0
; COMPUTE_PGM_RSRC3_GFX90A:TG_SPLIT: 0
	.section	.text._ZN7rocprim17ROCPRIM_400000_NS6detail17trampoline_kernelINS0_14default_configENS1_20scan_config_selectorIdEEZZNS1_9scan_implILNS1_25lookback_scan_determinismE0ELb0ELb0ES3_PKdPddZZZN2at6native31launch_logcumsumexp_cuda_kernelERKNSB_10TensorBaseESF_lENKUlvE_clEvENKUlvE_clEvEUlddE_dEEDaPvRmT3_T4_T5_mT6_P12ihipStream_tbENKUlT_T0_E_clISt17integral_constantIbLb0EESW_EEDaSR_SS_EUlSR_E0_NS1_11comp_targetILNS1_3genE10ELNS1_11target_archE1200ELNS1_3gpuE4ELNS1_3repE0EEENS1_30default_config_static_selectorELNS0_4arch9wavefront6targetE1EEEvT1_,"axG",@progbits,_ZN7rocprim17ROCPRIM_400000_NS6detail17trampoline_kernelINS0_14default_configENS1_20scan_config_selectorIdEEZZNS1_9scan_implILNS1_25lookback_scan_determinismE0ELb0ELb0ES3_PKdPddZZZN2at6native31launch_logcumsumexp_cuda_kernelERKNSB_10TensorBaseESF_lENKUlvE_clEvENKUlvE_clEvEUlddE_dEEDaPvRmT3_T4_T5_mT6_P12ihipStream_tbENKUlT_T0_E_clISt17integral_constantIbLb0EESW_EEDaSR_SS_EUlSR_E0_NS1_11comp_targetILNS1_3genE10ELNS1_11target_archE1200ELNS1_3gpuE4ELNS1_3repE0EEENS1_30default_config_static_selectorELNS0_4arch9wavefront6targetE1EEEvT1_,comdat
	.globl	_ZN7rocprim17ROCPRIM_400000_NS6detail17trampoline_kernelINS0_14default_configENS1_20scan_config_selectorIdEEZZNS1_9scan_implILNS1_25lookback_scan_determinismE0ELb0ELb0ES3_PKdPddZZZN2at6native31launch_logcumsumexp_cuda_kernelERKNSB_10TensorBaseESF_lENKUlvE_clEvENKUlvE_clEvEUlddE_dEEDaPvRmT3_T4_T5_mT6_P12ihipStream_tbENKUlT_T0_E_clISt17integral_constantIbLb0EESW_EEDaSR_SS_EUlSR_E0_NS1_11comp_targetILNS1_3genE10ELNS1_11target_archE1200ELNS1_3gpuE4ELNS1_3repE0EEENS1_30default_config_static_selectorELNS0_4arch9wavefront6targetE1EEEvT1_ ; -- Begin function _ZN7rocprim17ROCPRIM_400000_NS6detail17trampoline_kernelINS0_14default_configENS1_20scan_config_selectorIdEEZZNS1_9scan_implILNS1_25lookback_scan_determinismE0ELb0ELb0ES3_PKdPddZZZN2at6native31launch_logcumsumexp_cuda_kernelERKNSB_10TensorBaseESF_lENKUlvE_clEvENKUlvE_clEvEUlddE_dEEDaPvRmT3_T4_T5_mT6_P12ihipStream_tbENKUlT_T0_E_clISt17integral_constantIbLb0EESW_EEDaSR_SS_EUlSR_E0_NS1_11comp_targetILNS1_3genE10ELNS1_11target_archE1200ELNS1_3gpuE4ELNS1_3repE0EEENS1_30default_config_static_selectorELNS0_4arch9wavefront6targetE1EEEvT1_
	.p2align	8
	.type	_ZN7rocprim17ROCPRIM_400000_NS6detail17trampoline_kernelINS0_14default_configENS1_20scan_config_selectorIdEEZZNS1_9scan_implILNS1_25lookback_scan_determinismE0ELb0ELb0ES3_PKdPddZZZN2at6native31launch_logcumsumexp_cuda_kernelERKNSB_10TensorBaseESF_lENKUlvE_clEvENKUlvE_clEvEUlddE_dEEDaPvRmT3_T4_T5_mT6_P12ihipStream_tbENKUlT_T0_E_clISt17integral_constantIbLb0EESW_EEDaSR_SS_EUlSR_E0_NS1_11comp_targetILNS1_3genE10ELNS1_11target_archE1200ELNS1_3gpuE4ELNS1_3repE0EEENS1_30default_config_static_selectorELNS0_4arch9wavefront6targetE1EEEvT1_,@function
_ZN7rocprim17ROCPRIM_400000_NS6detail17trampoline_kernelINS0_14default_configENS1_20scan_config_selectorIdEEZZNS1_9scan_implILNS1_25lookback_scan_determinismE0ELb0ELb0ES3_PKdPddZZZN2at6native31launch_logcumsumexp_cuda_kernelERKNSB_10TensorBaseESF_lENKUlvE_clEvENKUlvE_clEvEUlddE_dEEDaPvRmT3_T4_T5_mT6_P12ihipStream_tbENKUlT_T0_E_clISt17integral_constantIbLb0EESW_EEDaSR_SS_EUlSR_E0_NS1_11comp_targetILNS1_3genE10ELNS1_11target_archE1200ELNS1_3gpuE4ELNS1_3repE0EEENS1_30default_config_static_selectorELNS0_4arch9wavefront6targetE1EEEvT1_: ; @_ZN7rocprim17ROCPRIM_400000_NS6detail17trampoline_kernelINS0_14default_configENS1_20scan_config_selectorIdEEZZNS1_9scan_implILNS1_25lookback_scan_determinismE0ELb0ELb0ES3_PKdPddZZZN2at6native31launch_logcumsumexp_cuda_kernelERKNSB_10TensorBaseESF_lENKUlvE_clEvENKUlvE_clEvEUlddE_dEEDaPvRmT3_T4_T5_mT6_P12ihipStream_tbENKUlT_T0_E_clISt17integral_constantIbLb0EESW_EEDaSR_SS_EUlSR_E0_NS1_11comp_targetILNS1_3genE10ELNS1_11target_archE1200ELNS1_3gpuE4ELNS1_3repE0EEENS1_30default_config_static_selectorELNS0_4arch9wavefront6targetE1EEEvT1_
; %bb.0:
	.section	.rodata,"a",@progbits
	.p2align	6, 0x0
	.amdhsa_kernel _ZN7rocprim17ROCPRIM_400000_NS6detail17trampoline_kernelINS0_14default_configENS1_20scan_config_selectorIdEEZZNS1_9scan_implILNS1_25lookback_scan_determinismE0ELb0ELb0ES3_PKdPddZZZN2at6native31launch_logcumsumexp_cuda_kernelERKNSB_10TensorBaseESF_lENKUlvE_clEvENKUlvE_clEvEUlddE_dEEDaPvRmT3_T4_T5_mT6_P12ihipStream_tbENKUlT_T0_E_clISt17integral_constantIbLb0EESW_EEDaSR_SS_EUlSR_E0_NS1_11comp_targetILNS1_3genE10ELNS1_11target_archE1200ELNS1_3gpuE4ELNS1_3repE0EEENS1_30default_config_static_selectorELNS0_4arch9wavefront6targetE1EEEvT1_
		.amdhsa_group_segment_fixed_size 0
		.amdhsa_private_segment_fixed_size 0
		.amdhsa_kernarg_size 40
		.amdhsa_user_sgpr_count 6
		.amdhsa_user_sgpr_private_segment_buffer 1
		.amdhsa_user_sgpr_dispatch_ptr 0
		.amdhsa_user_sgpr_queue_ptr 0
		.amdhsa_user_sgpr_kernarg_segment_ptr 1
		.amdhsa_user_sgpr_dispatch_id 0
		.amdhsa_user_sgpr_flat_scratch_init 0
		.amdhsa_user_sgpr_kernarg_preload_length 0
		.amdhsa_user_sgpr_kernarg_preload_offset 0
		.amdhsa_user_sgpr_private_segment_size 0
		.amdhsa_uses_dynamic_stack 0
		.amdhsa_system_sgpr_private_segment_wavefront_offset 0
		.amdhsa_system_sgpr_workgroup_id_x 1
		.amdhsa_system_sgpr_workgroup_id_y 0
		.amdhsa_system_sgpr_workgroup_id_z 0
		.amdhsa_system_sgpr_workgroup_info 0
		.amdhsa_system_vgpr_workitem_id 0
		.amdhsa_next_free_vgpr 1
		.amdhsa_next_free_sgpr 0
		.amdhsa_accum_offset 4
		.amdhsa_reserve_vcc 0
		.amdhsa_reserve_flat_scratch 0
		.amdhsa_float_round_mode_32 0
		.amdhsa_float_round_mode_16_64 0
		.amdhsa_float_denorm_mode_32 3
		.amdhsa_float_denorm_mode_16_64 3
		.amdhsa_dx10_clamp 1
		.amdhsa_ieee_mode 1
		.amdhsa_fp16_overflow 0
		.amdhsa_tg_split 0
		.amdhsa_exception_fp_ieee_invalid_op 0
		.amdhsa_exception_fp_denorm_src 0
		.amdhsa_exception_fp_ieee_div_zero 0
		.amdhsa_exception_fp_ieee_overflow 0
		.amdhsa_exception_fp_ieee_underflow 0
		.amdhsa_exception_fp_ieee_inexact 0
		.amdhsa_exception_int_div_zero 0
	.end_amdhsa_kernel
	.section	.text._ZN7rocprim17ROCPRIM_400000_NS6detail17trampoline_kernelINS0_14default_configENS1_20scan_config_selectorIdEEZZNS1_9scan_implILNS1_25lookback_scan_determinismE0ELb0ELb0ES3_PKdPddZZZN2at6native31launch_logcumsumexp_cuda_kernelERKNSB_10TensorBaseESF_lENKUlvE_clEvENKUlvE_clEvEUlddE_dEEDaPvRmT3_T4_T5_mT6_P12ihipStream_tbENKUlT_T0_E_clISt17integral_constantIbLb0EESW_EEDaSR_SS_EUlSR_E0_NS1_11comp_targetILNS1_3genE10ELNS1_11target_archE1200ELNS1_3gpuE4ELNS1_3repE0EEENS1_30default_config_static_selectorELNS0_4arch9wavefront6targetE1EEEvT1_,"axG",@progbits,_ZN7rocprim17ROCPRIM_400000_NS6detail17trampoline_kernelINS0_14default_configENS1_20scan_config_selectorIdEEZZNS1_9scan_implILNS1_25lookback_scan_determinismE0ELb0ELb0ES3_PKdPddZZZN2at6native31launch_logcumsumexp_cuda_kernelERKNSB_10TensorBaseESF_lENKUlvE_clEvENKUlvE_clEvEUlddE_dEEDaPvRmT3_T4_T5_mT6_P12ihipStream_tbENKUlT_T0_E_clISt17integral_constantIbLb0EESW_EEDaSR_SS_EUlSR_E0_NS1_11comp_targetILNS1_3genE10ELNS1_11target_archE1200ELNS1_3gpuE4ELNS1_3repE0EEENS1_30default_config_static_selectorELNS0_4arch9wavefront6targetE1EEEvT1_,comdat
.Lfunc_end24:
	.size	_ZN7rocprim17ROCPRIM_400000_NS6detail17trampoline_kernelINS0_14default_configENS1_20scan_config_selectorIdEEZZNS1_9scan_implILNS1_25lookback_scan_determinismE0ELb0ELb0ES3_PKdPddZZZN2at6native31launch_logcumsumexp_cuda_kernelERKNSB_10TensorBaseESF_lENKUlvE_clEvENKUlvE_clEvEUlddE_dEEDaPvRmT3_T4_T5_mT6_P12ihipStream_tbENKUlT_T0_E_clISt17integral_constantIbLb0EESW_EEDaSR_SS_EUlSR_E0_NS1_11comp_targetILNS1_3genE10ELNS1_11target_archE1200ELNS1_3gpuE4ELNS1_3repE0EEENS1_30default_config_static_selectorELNS0_4arch9wavefront6targetE1EEEvT1_, .Lfunc_end24-_ZN7rocprim17ROCPRIM_400000_NS6detail17trampoline_kernelINS0_14default_configENS1_20scan_config_selectorIdEEZZNS1_9scan_implILNS1_25lookback_scan_determinismE0ELb0ELb0ES3_PKdPddZZZN2at6native31launch_logcumsumexp_cuda_kernelERKNSB_10TensorBaseESF_lENKUlvE_clEvENKUlvE_clEvEUlddE_dEEDaPvRmT3_T4_T5_mT6_P12ihipStream_tbENKUlT_T0_E_clISt17integral_constantIbLb0EESW_EEDaSR_SS_EUlSR_E0_NS1_11comp_targetILNS1_3genE10ELNS1_11target_archE1200ELNS1_3gpuE4ELNS1_3repE0EEENS1_30default_config_static_selectorELNS0_4arch9wavefront6targetE1EEEvT1_
                                        ; -- End function
	.section	.AMDGPU.csdata,"",@progbits
; Kernel info:
; codeLenInByte = 0
; NumSgprs: 4
; NumVgprs: 0
; NumAgprs: 0
; TotalNumVgprs: 0
; ScratchSize: 0
; MemoryBound: 0
; FloatMode: 240
; IeeeMode: 1
; LDSByteSize: 0 bytes/workgroup (compile time only)
; SGPRBlocks: 0
; VGPRBlocks: 0
; NumSGPRsForWavesPerEU: 4
; NumVGPRsForWavesPerEU: 1
; AccumOffset: 4
; Occupancy: 8
; WaveLimiterHint : 0
; COMPUTE_PGM_RSRC2:SCRATCH_EN: 0
; COMPUTE_PGM_RSRC2:USER_SGPR: 6
; COMPUTE_PGM_RSRC2:TRAP_HANDLER: 0
; COMPUTE_PGM_RSRC2:TGID_X_EN: 1
; COMPUTE_PGM_RSRC2:TGID_Y_EN: 0
; COMPUTE_PGM_RSRC2:TGID_Z_EN: 0
; COMPUTE_PGM_RSRC2:TIDIG_COMP_CNT: 0
; COMPUTE_PGM_RSRC3_GFX90A:ACCUM_OFFSET: 0
; COMPUTE_PGM_RSRC3_GFX90A:TG_SPLIT: 0
	.section	.text._ZN7rocprim17ROCPRIM_400000_NS6detail17trampoline_kernelINS0_14default_configENS1_20scan_config_selectorIdEEZZNS1_9scan_implILNS1_25lookback_scan_determinismE0ELb0ELb0ES3_PKdPddZZZN2at6native31launch_logcumsumexp_cuda_kernelERKNSB_10TensorBaseESF_lENKUlvE_clEvENKUlvE_clEvEUlddE_dEEDaPvRmT3_T4_T5_mT6_P12ihipStream_tbENKUlT_T0_E_clISt17integral_constantIbLb0EESW_EEDaSR_SS_EUlSR_E0_NS1_11comp_targetILNS1_3genE9ELNS1_11target_archE1100ELNS1_3gpuE3ELNS1_3repE0EEENS1_30default_config_static_selectorELNS0_4arch9wavefront6targetE1EEEvT1_,"axG",@progbits,_ZN7rocprim17ROCPRIM_400000_NS6detail17trampoline_kernelINS0_14default_configENS1_20scan_config_selectorIdEEZZNS1_9scan_implILNS1_25lookback_scan_determinismE0ELb0ELb0ES3_PKdPddZZZN2at6native31launch_logcumsumexp_cuda_kernelERKNSB_10TensorBaseESF_lENKUlvE_clEvENKUlvE_clEvEUlddE_dEEDaPvRmT3_T4_T5_mT6_P12ihipStream_tbENKUlT_T0_E_clISt17integral_constantIbLb0EESW_EEDaSR_SS_EUlSR_E0_NS1_11comp_targetILNS1_3genE9ELNS1_11target_archE1100ELNS1_3gpuE3ELNS1_3repE0EEENS1_30default_config_static_selectorELNS0_4arch9wavefront6targetE1EEEvT1_,comdat
	.globl	_ZN7rocprim17ROCPRIM_400000_NS6detail17trampoline_kernelINS0_14default_configENS1_20scan_config_selectorIdEEZZNS1_9scan_implILNS1_25lookback_scan_determinismE0ELb0ELb0ES3_PKdPddZZZN2at6native31launch_logcumsumexp_cuda_kernelERKNSB_10TensorBaseESF_lENKUlvE_clEvENKUlvE_clEvEUlddE_dEEDaPvRmT3_T4_T5_mT6_P12ihipStream_tbENKUlT_T0_E_clISt17integral_constantIbLb0EESW_EEDaSR_SS_EUlSR_E0_NS1_11comp_targetILNS1_3genE9ELNS1_11target_archE1100ELNS1_3gpuE3ELNS1_3repE0EEENS1_30default_config_static_selectorELNS0_4arch9wavefront6targetE1EEEvT1_ ; -- Begin function _ZN7rocprim17ROCPRIM_400000_NS6detail17trampoline_kernelINS0_14default_configENS1_20scan_config_selectorIdEEZZNS1_9scan_implILNS1_25lookback_scan_determinismE0ELb0ELb0ES3_PKdPddZZZN2at6native31launch_logcumsumexp_cuda_kernelERKNSB_10TensorBaseESF_lENKUlvE_clEvENKUlvE_clEvEUlddE_dEEDaPvRmT3_T4_T5_mT6_P12ihipStream_tbENKUlT_T0_E_clISt17integral_constantIbLb0EESW_EEDaSR_SS_EUlSR_E0_NS1_11comp_targetILNS1_3genE9ELNS1_11target_archE1100ELNS1_3gpuE3ELNS1_3repE0EEENS1_30default_config_static_selectorELNS0_4arch9wavefront6targetE1EEEvT1_
	.p2align	8
	.type	_ZN7rocprim17ROCPRIM_400000_NS6detail17trampoline_kernelINS0_14default_configENS1_20scan_config_selectorIdEEZZNS1_9scan_implILNS1_25lookback_scan_determinismE0ELb0ELb0ES3_PKdPddZZZN2at6native31launch_logcumsumexp_cuda_kernelERKNSB_10TensorBaseESF_lENKUlvE_clEvENKUlvE_clEvEUlddE_dEEDaPvRmT3_T4_T5_mT6_P12ihipStream_tbENKUlT_T0_E_clISt17integral_constantIbLb0EESW_EEDaSR_SS_EUlSR_E0_NS1_11comp_targetILNS1_3genE9ELNS1_11target_archE1100ELNS1_3gpuE3ELNS1_3repE0EEENS1_30default_config_static_selectorELNS0_4arch9wavefront6targetE1EEEvT1_,@function
_ZN7rocprim17ROCPRIM_400000_NS6detail17trampoline_kernelINS0_14default_configENS1_20scan_config_selectorIdEEZZNS1_9scan_implILNS1_25lookback_scan_determinismE0ELb0ELb0ES3_PKdPddZZZN2at6native31launch_logcumsumexp_cuda_kernelERKNSB_10TensorBaseESF_lENKUlvE_clEvENKUlvE_clEvEUlddE_dEEDaPvRmT3_T4_T5_mT6_P12ihipStream_tbENKUlT_T0_E_clISt17integral_constantIbLb0EESW_EEDaSR_SS_EUlSR_E0_NS1_11comp_targetILNS1_3genE9ELNS1_11target_archE1100ELNS1_3gpuE3ELNS1_3repE0EEENS1_30default_config_static_selectorELNS0_4arch9wavefront6targetE1EEEvT1_: ; @_ZN7rocprim17ROCPRIM_400000_NS6detail17trampoline_kernelINS0_14default_configENS1_20scan_config_selectorIdEEZZNS1_9scan_implILNS1_25lookback_scan_determinismE0ELb0ELb0ES3_PKdPddZZZN2at6native31launch_logcumsumexp_cuda_kernelERKNSB_10TensorBaseESF_lENKUlvE_clEvENKUlvE_clEvEUlddE_dEEDaPvRmT3_T4_T5_mT6_P12ihipStream_tbENKUlT_T0_E_clISt17integral_constantIbLb0EESW_EEDaSR_SS_EUlSR_E0_NS1_11comp_targetILNS1_3genE9ELNS1_11target_archE1100ELNS1_3gpuE3ELNS1_3repE0EEENS1_30default_config_static_selectorELNS0_4arch9wavefront6targetE1EEEvT1_
; %bb.0:
	.section	.rodata,"a",@progbits
	.p2align	6, 0x0
	.amdhsa_kernel _ZN7rocprim17ROCPRIM_400000_NS6detail17trampoline_kernelINS0_14default_configENS1_20scan_config_selectorIdEEZZNS1_9scan_implILNS1_25lookback_scan_determinismE0ELb0ELb0ES3_PKdPddZZZN2at6native31launch_logcumsumexp_cuda_kernelERKNSB_10TensorBaseESF_lENKUlvE_clEvENKUlvE_clEvEUlddE_dEEDaPvRmT3_T4_T5_mT6_P12ihipStream_tbENKUlT_T0_E_clISt17integral_constantIbLb0EESW_EEDaSR_SS_EUlSR_E0_NS1_11comp_targetILNS1_3genE9ELNS1_11target_archE1100ELNS1_3gpuE3ELNS1_3repE0EEENS1_30default_config_static_selectorELNS0_4arch9wavefront6targetE1EEEvT1_
		.amdhsa_group_segment_fixed_size 0
		.amdhsa_private_segment_fixed_size 0
		.amdhsa_kernarg_size 40
		.amdhsa_user_sgpr_count 6
		.amdhsa_user_sgpr_private_segment_buffer 1
		.amdhsa_user_sgpr_dispatch_ptr 0
		.amdhsa_user_sgpr_queue_ptr 0
		.amdhsa_user_sgpr_kernarg_segment_ptr 1
		.amdhsa_user_sgpr_dispatch_id 0
		.amdhsa_user_sgpr_flat_scratch_init 0
		.amdhsa_user_sgpr_kernarg_preload_length 0
		.amdhsa_user_sgpr_kernarg_preload_offset 0
		.amdhsa_user_sgpr_private_segment_size 0
		.amdhsa_uses_dynamic_stack 0
		.amdhsa_system_sgpr_private_segment_wavefront_offset 0
		.amdhsa_system_sgpr_workgroup_id_x 1
		.amdhsa_system_sgpr_workgroup_id_y 0
		.amdhsa_system_sgpr_workgroup_id_z 0
		.amdhsa_system_sgpr_workgroup_info 0
		.amdhsa_system_vgpr_workitem_id 0
		.amdhsa_next_free_vgpr 1
		.amdhsa_next_free_sgpr 0
		.amdhsa_accum_offset 4
		.amdhsa_reserve_vcc 0
		.amdhsa_reserve_flat_scratch 0
		.amdhsa_float_round_mode_32 0
		.amdhsa_float_round_mode_16_64 0
		.amdhsa_float_denorm_mode_32 3
		.amdhsa_float_denorm_mode_16_64 3
		.amdhsa_dx10_clamp 1
		.amdhsa_ieee_mode 1
		.amdhsa_fp16_overflow 0
		.amdhsa_tg_split 0
		.amdhsa_exception_fp_ieee_invalid_op 0
		.amdhsa_exception_fp_denorm_src 0
		.amdhsa_exception_fp_ieee_div_zero 0
		.amdhsa_exception_fp_ieee_overflow 0
		.amdhsa_exception_fp_ieee_underflow 0
		.amdhsa_exception_fp_ieee_inexact 0
		.amdhsa_exception_int_div_zero 0
	.end_amdhsa_kernel
	.section	.text._ZN7rocprim17ROCPRIM_400000_NS6detail17trampoline_kernelINS0_14default_configENS1_20scan_config_selectorIdEEZZNS1_9scan_implILNS1_25lookback_scan_determinismE0ELb0ELb0ES3_PKdPddZZZN2at6native31launch_logcumsumexp_cuda_kernelERKNSB_10TensorBaseESF_lENKUlvE_clEvENKUlvE_clEvEUlddE_dEEDaPvRmT3_T4_T5_mT6_P12ihipStream_tbENKUlT_T0_E_clISt17integral_constantIbLb0EESW_EEDaSR_SS_EUlSR_E0_NS1_11comp_targetILNS1_3genE9ELNS1_11target_archE1100ELNS1_3gpuE3ELNS1_3repE0EEENS1_30default_config_static_selectorELNS0_4arch9wavefront6targetE1EEEvT1_,"axG",@progbits,_ZN7rocprim17ROCPRIM_400000_NS6detail17trampoline_kernelINS0_14default_configENS1_20scan_config_selectorIdEEZZNS1_9scan_implILNS1_25lookback_scan_determinismE0ELb0ELb0ES3_PKdPddZZZN2at6native31launch_logcumsumexp_cuda_kernelERKNSB_10TensorBaseESF_lENKUlvE_clEvENKUlvE_clEvEUlddE_dEEDaPvRmT3_T4_T5_mT6_P12ihipStream_tbENKUlT_T0_E_clISt17integral_constantIbLb0EESW_EEDaSR_SS_EUlSR_E0_NS1_11comp_targetILNS1_3genE9ELNS1_11target_archE1100ELNS1_3gpuE3ELNS1_3repE0EEENS1_30default_config_static_selectorELNS0_4arch9wavefront6targetE1EEEvT1_,comdat
.Lfunc_end25:
	.size	_ZN7rocprim17ROCPRIM_400000_NS6detail17trampoline_kernelINS0_14default_configENS1_20scan_config_selectorIdEEZZNS1_9scan_implILNS1_25lookback_scan_determinismE0ELb0ELb0ES3_PKdPddZZZN2at6native31launch_logcumsumexp_cuda_kernelERKNSB_10TensorBaseESF_lENKUlvE_clEvENKUlvE_clEvEUlddE_dEEDaPvRmT3_T4_T5_mT6_P12ihipStream_tbENKUlT_T0_E_clISt17integral_constantIbLb0EESW_EEDaSR_SS_EUlSR_E0_NS1_11comp_targetILNS1_3genE9ELNS1_11target_archE1100ELNS1_3gpuE3ELNS1_3repE0EEENS1_30default_config_static_selectorELNS0_4arch9wavefront6targetE1EEEvT1_, .Lfunc_end25-_ZN7rocprim17ROCPRIM_400000_NS6detail17trampoline_kernelINS0_14default_configENS1_20scan_config_selectorIdEEZZNS1_9scan_implILNS1_25lookback_scan_determinismE0ELb0ELb0ES3_PKdPddZZZN2at6native31launch_logcumsumexp_cuda_kernelERKNSB_10TensorBaseESF_lENKUlvE_clEvENKUlvE_clEvEUlddE_dEEDaPvRmT3_T4_T5_mT6_P12ihipStream_tbENKUlT_T0_E_clISt17integral_constantIbLb0EESW_EEDaSR_SS_EUlSR_E0_NS1_11comp_targetILNS1_3genE9ELNS1_11target_archE1100ELNS1_3gpuE3ELNS1_3repE0EEENS1_30default_config_static_selectorELNS0_4arch9wavefront6targetE1EEEvT1_
                                        ; -- End function
	.section	.AMDGPU.csdata,"",@progbits
; Kernel info:
; codeLenInByte = 0
; NumSgprs: 4
; NumVgprs: 0
; NumAgprs: 0
; TotalNumVgprs: 0
; ScratchSize: 0
; MemoryBound: 0
; FloatMode: 240
; IeeeMode: 1
; LDSByteSize: 0 bytes/workgroup (compile time only)
; SGPRBlocks: 0
; VGPRBlocks: 0
; NumSGPRsForWavesPerEU: 4
; NumVGPRsForWavesPerEU: 1
; AccumOffset: 4
; Occupancy: 8
; WaveLimiterHint : 0
; COMPUTE_PGM_RSRC2:SCRATCH_EN: 0
; COMPUTE_PGM_RSRC2:USER_SGPR: 6
; COMPUTE_PGM_RSRC2:TRAP_HANDLER: 0
; COMPUTE_PGM_RSRC2:TGID_X_EN: 1
; COMPUTE_PGM_RSRC2:TGID_Y_EN: 0
; COMPUTE_PGM_RSRC2:TGID_Z_EN: 0
; COMPUTE_PGM_RSRC2:TIDIG_COMP_CNT: 0
; COMPUTE_PGM_RSRC3_GFX90A:ACCUM_OFFSET: 0
; COMPUTE_PGM_RSRC3_GFX90A:TG_SPLIT: 0
	.section	.text._ZN7rocprim17ROCPRIM_400000_NS6detail17trampoline_kernelINS0_14default_configENS1_20scan_config_selectorIdEEZZNS1_9scan_implILNS1_25lookback_scan_determinismE0ELb0ELb0ES3_PKdPddZZZN2at6native31launch_logcumsumexp_cuda_kernelERKNSB_10TensorBaseESF_lENKUlvE_clEvENKUlvE_clEvEUlddE_dEEDaPvRmT3_T4_T5_mT6_P12ihipStream_tbENKUlT_T0_E_clISt17integral_constantIbLb0EESW_EEDaSR_SS_EUlSR_E0_NS1_11comp_targetILNS1_3genE8ELNS1_11target_archE1030ELNS1_3gpuE2ELNS1_3repE0EEENS1_30default_config_static_selectorELNS0_4arch9wavefront6targetE1EEEvT1_,"axG",@progbits,_ZN7rocprim17ROCPRIM_400000_NS6detail17trampoline_kernelINS0_14default_configENS1_20scan_config_selectorIdEEZZNS1_9scan_implILNS1_25lookback_scan_determinismE0ELb0ELb0ES3_PKdPddZZZN2at6native31launch_logcumsumexp_cuda_kernelERKNSB_10TensorBaseESF_lENKUlvE_clEvENKUlvE_clEvEUlddE_dEEDaPvRmT3_T4_T5_mT6_P12ihipStream_tbENKUlT_T0_E_clISt17integral_constantIbLb0EESW_EEDaSR_SS_EUlSR_E0_NS1_11comp_targetILNS1_3genE8ELNS1_11target_archE1030ELNS1_3gpuE2ELNS1_3repE0EEENS1_30default_config_static_selectorELNS0_4arch9wavefront6targetE1EEEvT1_,comdat
	.globl	_ZN7rocprim17ROCPRIM_400000_NS6detail17trampoline_kernelINS0_14default_configENS1_20scan_config_selectorIdEEZZNS1_9scan_implILNS1_25lookback_scan_determinismE0ELb0ELb0ES3_PKdPddZZZN2at6native31launch_logcumsumexp_cuda_kernelERKNSB_10TensorBaseESF_lENKUlvE_clEvENKUlvE_clEvEUlddE_dEEDaPvRmT3_T4_T5_mT6_P12ihipStream_tbENKUlT_T0_E_clISt17integral_constantIbLb0EESW_EEDaSR_SS_EUlSR_E0_NS1_11comp_targetILNS1_3genE8ELNS1_11target_archE1030ELNS1_3gpuE2ELNS1_3repE0EEENS1_30default_config_static_selectorELNS0_4arch9wavefront6targetE1EEEvT1_ ; -- Begin function _ZN7rocprim17ROCPRIM_400000_NS6detail17trampoline_kernelINS0_14default_configENS1_20scan_config_selectorIdEEZZNS1_9scan_implILNS1_25lookback_scan_determinismE0ELb0ELb0ES3_PKdPddZZZN2at6native31launch_logcumsumexp_cuda_kernelERKNSB_10TensorBaseESF_lENKUlvE_clEvENKUlvE_clEvEUlddE_dEEDaPvRmT3_T4_T5_mT6_P12ihipStream_tbENKUlT_T0_E_clISt17integral_constantIbLb0EESW_EEDaSR_SS_EUlSR_E0_NS1_11comp_targetILNS1_3genE8ELNS1_11target_archE1030ELNS1_3gpuE2ELNS1_3repE0EEENS1_30default_config_static_selectorELNS0_4arch9wavefront6targetE1EEEvT1_
	.p2align	8
	.type	_ZN7rocprim17ROCPRIM_400000_NS6detail17trampoline_kernelINS0_14default_configENS1_20scan_config_selectorIdEEZZNS1_9scan_implILNS1_25lookback_scan_determinismE0ELb0ELb0ES3_PKdPddZZZN2at6native31launch_logcumsumexp_cuda_kernelERKNSB_10TensorBaseESF_lENKUlvE_clEvENKUlvE_clEvEUlddE_dEEDaPvRmT3_T4_T5_mT6_P12ihipStream_tbENKUlT_T0_E_clISt17integral_constantIbLb0EESW_EEDaSR_SS_EUlSR_E0_NS1_11comp_targetILNS1_3genE8ELNS1_11target_archE1030ELNS1_3gpuE2ELNS1_3repE0EEENS1_30default_config_static_selectorELNS0_4arch9wavefront6targetE1EEEvT1_,@function
_ZN7rocprim17ROCPRIM_400000_NS6detail17trampoline_kernelINS0_14default_configENS1_20scan_config_selectorIdEEZZNS1_9scan_implILNS1_25lookback_scan_determinismE0ELb0ELb0ES3_PKdPddZZZN2at6native31launch_logcumsumexp_cuda_kernelERKNSB_10TensorBaseESF_lENKUlvE_clEvENKUlvE_clEvEUlddE_dEEDaPvRmT3_T4_T5_mT6_P12ihipStream_tbENKUlT_T0_E_clISt17integral_constantIbLb0EESW_EEDaSR_SS_EUlSR_E0_NS1_11comp_targetILNS1_3genE8ELNS1_11target_archE1030ELNS1_3gpuE2ELNS1_3repE0EEENS1_30default_config_static_selectorELNS0_4arch9wavefront6targetE1EEEvT1_: ; @_ZN7rocprim17ROCPRIM_400000_NS6detail17trampoline_kernelINS0_14default_configENS1_20scan_config_selectorIdEEZZNS1_9scan_implILNS1_25lookback_scan_determinismE0ELb0ELb0ES3_PKdPddZZZN2at6native31launch_logcumsumexp_cuda_kernelERKNSB_10TensorBaseESF_lENKUlvE_clEvENKUlvE_clEvEUlddE_dEEDaPvRmT3_T4_T5_mT6_P12ihipStream_tbENKUlT_T0_E_clISt17integral_constantIbLb0EESW_EEDaSR_SS_EUlSR_E0_NS1_11comp_targetILNS1_3genE8ELNS1_11target_archE1030ELNS1_3gpuE2ELNS1_3repE0EEENS1_30default_config_static_selectorELNS0_4arch9wavefront6targetE1EEEvT1_
; %bb.0:
	.section	.rodata,"a",@progbits
	.p2align	6, 0x0
	.amdhsa_kernel _ZN7rocprim17ROCPRIM_400000_NS6detail17trampoline_kernelINS0_14default_configENS1_20scan_config_selectorIdEEZZNS1_9scan_implILNS1_25lookback_scan_determinismE0ELb0ELb0ES3_PKdPddZZZN2at6native31launch_logcumsumexp_cuda_kernelERKNSB_10TensorBaseESF_lENKUlvE_clEvENKUlvE_clEvEUlddE_dEEDaPvRmT3_T4_T5_mT6_P12ihipStream_tbENKUlT_T0_E_clISt17integral_constantIbLb0EESW_EEDaSR_SS_EUlSR_E0_NS1_11comp_targetILNS1_3genE8ELNS1_11target_archE1030ELNS1_3gpuE2ELNS1_3repE0EEENS1_30default_config_static_selectorELNS0_4arch9wavefront6targetE1EEEvT1_
		.amdhsa_group_segment_fixed_size 0
		.amdhsa_private_segment_fixed_size 0
		.amdhsa_kernarg_size 40
		.amdhsa_user_sgpr_count 6
		.amdhsa_user_sgpr_private_segment_buffer 1
		.amdhsa_user_sgpr_dispatch_ptr 0
		.amdhsa_user_sgpr_queue_ptr 0
		.amdhsa_user_sgpr_kernarg_segment_ptr 1
		.amdhsa_user_sgpr_dispatch_id 0
		.amdhsa_user_sgpr_flat_scratch_init 0
		.amdhsa_user_sgpr_kernarg_preload_length 0
		.amdhsa_user_sgpr_kernarg_preload_offset 0
		.amdhsa_user_sgpr_private_segment_size 0
		.amdhsa_uses_dynamic_stack 0
		.amdhsa_system_sgpr_private_segment_wavefront_offset 0
		.amdhsa_system_sgpr_workgroup_id_x 1
		.amdhsa_system_sgpr_workgroup_id_y 0
		.amdhsa_system_sgpr_workgroup_id_z 0
		.amdhsa_system_sgpr_workgroup_info 0
		.amdhsa_system_vgpr_workitem_id 0
		.amdhsa_next_free_vgpr 1
		.amdhsa_next_free_sgpr 0
		.amdhsa_accum_offset 4
		.amdhsa_reserve_vcc 0
		.amdhsa_reserve_flat_scratch 0
		.amdhsa_float_round_mode_32 0
		.amdhsa_float_round_mode_16_64 0
		.amdhsa_float_denorm_mode_32 3
		.amdhsa_float_denorm_mode_16_64 3
		.amdhsa_dx10_clamp 1
		.amdhsa_ieee_mode 1
		.amdhsa_fp16_overflow 0
		.amdhsa_tg_split 0
		.amdhsa_exception_fp_ieee_invalid_op 0
		.amdhsa_exception_fp_denorm_src 0
		.amdhsa_exception_fp_ieee_div_zero 0
		.amdhsa_exception_fp_ieee_overflow 0
		.amdhsa_exception_fp_ieee_underflow 0
		.amdhsa_exception_fp_ieee_inexact 0
		.amdhsa_exception_int_div_zero 0
	.end_amdhsa_kernel
	.section	.text._ZN7rocprim17ROCPRIM_400000_NS6detail17trampoline_kernelINS0_14default_configENS1_20scan_config_selectorIdEEZZNS1_9scan_implILNS1_25lookback_scan_determinismE0ELb0ELb0ES3_PKdPddZZZN2at6native31launch_logcumsumexp_cuda_kernelERKNSB_10TensorBaseESF_lENKUlvE_clEvENKUlvE_clEvEUlddE_dEEDaPvRmT3_T4_T5_mT6_P12ihipStream_tbENKUlT_T0_E_clISt17integral_constantIbLb0EESW_EEDaSR_SS_EUlSR_E0_NS1_11comp_targetILNS1_3genE8ELNS1_11target_archE1030ELNS1_3gpuE2ELNS1_3repE0EEENS1_30default_config_static_selectorELNS0_4arch9wavefront6targetE1EEEvT1_,"axG",@progbits,_ZN7rocprim17ROCPRIM_400000_NS6detail17trampoline_kernelINS0_14default_configENS1_20scan_config_selectorIdEEZZNS1_9scan_implILNS1_25lookback_scan_determinismE0ELb0ELb0ES3_PKdPddZZZN2at6native31launch_logcumsumexp_cuda_kernelERKNSB_10TensorBaseESF_lENKUlvE_clEvENKUlvE_clEvEUlddE_dEEDaPvRmT3_T4_T5_mT6_P12ihipStream_tbENKUlT_T0_E_clISt17integral_constantIbLb0EESW_EEDaSR_SS_EUlSR_E0_NS1_11comp_targetILNS1_3genE8ELNS1_11target_archE1030ELNS1_3gpuE2ELNS1_3repE0EEENS1_30default_config_static_selectorELNS0_4arch9wavefront6targetE1EEEvT1_,comdat
.Lfunc_end26:
	.size	_ZN7rocprim17ROCPRIM_400000_NS6detail17trampoline_kernelINS0_14default_configENS1_20scan_config_selectorIdEEZZNS1_9scan_implILNS1_25lookback_scan_determinismE0ELb0ELb0ES3_PKdPddZZZN2at6native31launch_logcumsumexp_cuda_kernelERKNSB_10TensorBaseESF_lENKUlvE_clEvENKUlvE_clEvEUlddE_dEEDaPvRmT3_T4_T5_mT6_P12ihipStream_tbENKUlT_T0_E_clISt17integral_constantIbLb0EESW_EEDaSR_SS_EUlSR_E0_NS1_11comp_targetILNS1_3genE8ELNS1_11target_archE1030ELNS1_3gpuE2ELNS1_3repE0EEENS1_30default_config_static_selectorELNS0_4arch9wavefront6targetE1EEEvT1_, .Lfunc_end26-_ZN7rocprim17ROCPRIM_400000_NS6detail17trampoline_kernelINS0_14default_configENS1_20scan_config_selectorIdEEZZNS1_9scan_implILNS1_25lookback_scan_determinismE0ELb0ELb0ES3_PKdPddZZZN2at6native31launch_logcumsumexp_cuda_kernelERKNSB_10TensorBaseESF_lENKUlvE_clEvENKUlvE_clEvEUlddE_dEEDaPvRmT3_T4_T5_mT6_P12ihipStream_tbENKUlT_T0_E_clISt17integral_constantIbLb0EESW_EEDaSR_SS_EUlSR_E0_NS1_11comp_targetILNS1_3genE8ELNS1_11target_archE1030ELNS1_3gpuE2ELNS1_3repE0EEENS1_30default_config_static_selectorELNS0_4arch9wavefront6targetE1EEEvT1_
                                        ; -- End function
	.section	.AMDGPU.csdata,"",@progbits
; Kernel info:
; codeLenInByte = 0
; NumSgprs: 4
; NumVgprs: 0
; NumAgprs: 0
; TotalNumVgprs: 0
; ScratchSize: 0
; MemoryBound: 0
; FloatMode: 240
; IeeeMode: 1
; LDSByteSize: 0 bytes/workgroup (compile time only)
; SGPRBlocks: 0
; VGPRBlocks: 0
; NumSGPRsForWavesPerEU: 4
; NumVGPRsForWavesPerEU: 1
; AccumOffset: 4
; Occupancy: 8
; WaveLimiterHint : 0
; COMPUTE_PGM_RSRC2:SCRATCH_EN: 0
; COMPUTE_PGM_RSRC2:USER_SGPR: 6
; COMPUTE_PGM_RSRC2:TRAP_HANDLER: 0
; COMPUTE_PGM_RSRC2:TGID_X_EN: 1
; COMPUTE_PGM_RSRC2:TGID_Y_EN: 0
; COMPUTE_PGM_RSRC2:TGID_Z_EN: 0
; COMPUTE_PGM_RSRC2:TIDIG_COMP_CNT: 0
; COMPUTE_PGM_RSRC3_GFX90A:ACCUM_OFFSET: 0
; COMPUTE_PGM_RSRC3_GFX90A:TG_SPLIT: 0
	.section	.text._ZN7rocprim17ROCPRIM_400000_NS6detail31init_lookback_scan_state_kernelINS1_19lookback_scan_stateIdLb1ELb1EEENS1_16block_id_wrapperIjLb1EEEEEvT_jT0_jPNS7_10value_typeE,"axG",@progbits,_ZN7rocprim17ROCPRIM_400000_NS6detail31init_lookback_scan_state_kernelINS1_19lookback_scan_stateIdLb1ELb1EEENS1_16block_id_wrapperIjLb1EEEEEvT_jT0_jPNS7_10value_typeE,comdat
	.protected	_ZN7rocprim17ROCPRIM_400000_NS6detail31init_lookback_scan_state_kernelINS1_19lookback_scan_stateIdLb1ELb1EEENS1_16block_id_wrapperIjLb1EEEEEvT_jT0_jPNS7_10value_typeE ; -- Begin function _ZN7rocprim17ROCPRIM_400000_NS6detail31init_lookback_scan_state_kernelINS1_19lookback_scan_stateIdLb1ELb1EEENS1_16block_id_wrapperIjLb1EEEEEvT_jT0_jPNS7_10value_typeE
	.globl	_ZN7rocprim17ROCPRIM_400000_NS6detail31init_lookback_scan_state_kernelINS1_19lookback_scan_stateIdLb1ELb1EEENS1_16block_id_wrapperIjLb1EEEEEvT_jT0_jPNS7_10value_typeE
	.p2align	8
	.type	_ZN7rocprim17ROCPRIM_400000_NS6detail31init_lookback_scan_state_kernelINS1_19lookback_scan_stateIdLb1ELb1EEENS1_16block_id_wrapperIjLb1EEEEEvT_jT0_jPNS7_10value_typeE,@function
_ZN7rocprim17ROCPRIM_400000_NS6detail31init_lookback_scan_state_kernelINS1_19lookback_scan_stateIdLb1ELb1EEENS1_16block_id_wrapperIjLb1EEEEEvT_jT0_jPNS7_10value_typeE: ; @_ZN7rocprim17ROCPRIM_400000_NS6detail31init_lookback_scan_state_kernelINS1_19lookback_scan_stateIdLb1ELb1EEENS1_16block_id_wrapperIjLb1EEEEEvT_jT0_jPNS7_10value_typeE
; %bb.0:
	s_load_dword s7, s[4:5], 0x34
	s_load_dwordx2 s[2:3], s[4:5], 0x20
	s_load_dwordx2 s[0:1], s[4:5], 0x0
	s_load_dword s14, s[4:5], 0x8
	s_waitcnt lgkmcnt(0)
	s_and_b32 s7, s7, 0xffff
	s_mul_i32 s6, s6, s7
	s_cmp_eq_u64 s[2:3], 0
	v_add_u32_e32 v0, s6, v0
	s_cbranch_scc1 .LBB27_10
; %bb.1:
	s_load_dword s8, s[4:5], 0x18
	s_mov_b32 s9, 0
	s_waitcnt lgkmcnt(0)
	s_cmp_lt_u32 s8, s14
	s_cselect_b32 s6, s8, 0
	v_cmp_eq_u32_e32 vcc, s6, v0
	s_and_saveexec_b64 s[6:7], vcc
	s_cbranch_execz .LBB27_9
; %bb.2:
	s_add_i32 s8, s8, 64
	s_lshl_b64 s[8:9], s[8:9], 4
	s_add_u32 s12, s0, s8
	s_addc_u32 s13, s1, s9
	v_pk_mov_b32 v[2:3], s[12:13], s[12:13] op_sel:[0,1]
	;;#ASMSTART
	global_load_dwordx4 v[2:5], v[2:3] off glc	
s_waitcnt vmcnt(0)
	;;#ASMEND
	v_mov_b32_e32 v7, 0
	v_and_b32_e32 v6, 0xff, v4
	s_mov_b64 s[10:11], 0
	v_cmp_eq_u64_e32 vcc, 0, v[6:7]
	s_and_saveexec_b64 s[8:9], vcc
	s_cbranch_execz .LBB27_8
; %bb.3:
	s_mov_b32 s15, 1
	v_pk_mov_b32 v[8:9], s[12:13], s[12:13] op_sel:[0,1]
.LBB27_4:                               ; =>This Loop Header: Depth=1
                                        ;     Child Loop BB27_5 Depth 2
	s_max_u32 s12, s15, 1
.LBB27_5:                               ;   Parent Loop BB27_4 Depth=1
                                        ; =>  This Inner Loop Header: Depth=2
	s_add_i32 s12, s12, -1
	s_cmp_eq_u32 s12, 0
	s_sleep 1
	s_cbranch_scc0 .LBB27_5
; %bb.6:                                ;   in Loop: Header=BB27_4 Depth=1
	s_cmp_lt_u32 s15, 32
	s_cselect_b64 s[12:13], -1, 0
	s_cmp_lg_u64 s[12:13], 0
	;;#ASMSTART
	global_load_dwordx4 v[2:5], v[8:9] off glc	
s_waitcnt vmcnt(0)
	;;#ASMEND
	v_and_b32_e32 v6, 0xff, v4
	s_addc_u32 s15, s15, 0
	v_cmp_ne_u64_e32 vcc, 0, v[6:7]
	s_or_b64 s[10:11], vcc, s[10:11]
	s_andn2_b64 exec, exec, s[10:11]
	s_cbranch_execnz .LBB27_4
; %bb.7:
	s_or_b64 exec, exec, s[10:11]
.LBB27_8:
	s_or_b64 exec, exec, s[8:9]
	v_mov_b32_e32 v1, 0
	global_store_dwordx2 v1, v[2:3], s[2:3]
.LBB27_9:
	s_or_b64 exec, exec, s[6:7]
.LBB27_10:
	v_cmp_eq_u32_e32 vcc, 0, v0
	s_and_saveexec_b64 s[2:3], vcc
	s_cbranch_execnz .LBB27_14
; %bb.11:
	s_or_b64 exec, exec, s[2:3]
	v_cmp_gt_u32_e32 vcc, s14, v0
	s_and_saveexec_b64 s[2:3], vcc
	s_cbranch_execnz .LBB27_15
.LBB27_12:
	s_or_b64 exec, exec, s[2:3]
	v_cmp_gt_u32_e32 vcc, 64, v0
	s_and_saveexec_b64 s[2:3], vcc
	s_cbranch_execnz .LBB27_16
.LBB27_13:
	s_endpgm
.LBB27_14:
	s_load_dwordx2 s[4:5], s[4:5], 0x10
	v_mov_b32_e32 v1, 0
	s_waitcnt lgkmcnt(0)
	global_store_dword v1, v1, s[4:5]
	s_or_b64 exec, exec, s[2:3]
	v_cmp_gt_u32_e32 vcc, s14, v0
	s_and_saveexec_b64 s[2:3], vcc
	s_cbranch_execz .LBB27_12
.LBB27_15:
	v_add_u32_e32 v2, 64, v0
	v_mov_b32_e32 v3, 0
	v_lshlrev_b64 v[4:5], 4, v[2:3]
	v_mov_b32_e32 v1, s1
	v_add_co_u32_e32 v6, vcc, s0, v4
	v_addc_co_u32_e32 v7, vcc, v1, v5, vcc
	v_mov_b32_e32 v2, v3
	v_mov_b32_e32 v4, v3
	;; [unrolled: 1-line block ×3, first 2 shown]
	global_store_dwordx4 v[6:7], v[2:5], off
	s_or_b64 exec, exec, s[2:3]
	v_cmp_gt_u32_e32 vcc, 64, v0
	s_and_saveexec_b64 s[2:3], vcc
	s_cbranch_execz .LBB27_13
.LBB27_16:
	v_mov_b32_e32 v1, 0
	v_lshlrev_b64 v[2:3], 4, v[0:1]
	v_mov_b32_e32 v0, s1
	v_add_co_u32_e32 v4, vcc, s0, v2
	v_addc_co_u32_e32 v5, vcc, v0, v3, vcc
	v_mov_b32_e32 v2, 0xff
	v_mov_b32_e32 v0, v1
	;; [unrolled: 1-line block ×3, first 2 shown]
	global_store_dwordx4 v[4:5], v[0:3], off
	s_endpgm
	.section	.rodata,"a",@progbits
	.p2align	6, 0x0
	.amdhsa_kernel _ZN7rocprim17ROCPRIM_400000_NS6detail31init_lookback_scan_state_kernelINS1_19lookback_scan_stateIdLb1ELb1EEENS1_16block_id_wrapperIjLb1EEEEEvT_jT0_jPNS7_10value_typeE
		.amdhsa_group_segment_fixed_size 0
		.amdhsa_private_segment_fixed_size 0
		.amdhsa_kernarg_size 296
		.amdhsa_user_sgpr_count 6
		.amdhsa_user_sgpr_private_segment_buffer 1
		.amdhsa_user_sgpr_dispatch_ptr 0
		.amdhsa_user_sgpr_queue_ptr 0
		.amdhsa_user_sgpr_kernarg_segment_ptr 1
		.amdhsa_user_sgpr_dispatch_id 0
		.amdhsa_user_sgpr_flat_scratch_init 0
		.amdhsa_user_sgpr_kernarg_preload_length 0
		.amdhsa_user_sgpr_kernarg_preload_offset 0
		.amdhsa_user_sgpr_private_segment_size 0
		.amdhsa_uses_dynamic_stack 0
		.amdhsa_system_sgpr_private_segment_wavefront_offset 0
		.amdhsa_system_sgpr_workgroup_id_x 1
		.amdhsa_system_sgpr_workgroup_id_y 0
		.amdhsa_system_sgpr_workgroup_id_z 0
		.amdhsa_system_sgpr_workgroup_info 0
		.amdhsa_system_vgpr_workitem_id 0
		.amdhsa_next_free_vgpr 10
		.amdhsa_next_free_sgpr 16
		.amdhsa_accum_offset 12
		.amdhsa_reserve_vcc 1
		.amdhsa_reserve_flat_scratch 0
		.amdhsa_float_round_mode_32 0
		.amdhsa_float_round_mode_16_64 0
		.amdhsa_float_denorm_mode_32 3
		.amdhsa_float_denorm_mode_16_64 3
		.amdhsa_dx10_clamp 1
		.amdhsa_ieee_mode 1
		.amdhsa_fp16_overflow 0
		.amdhsa_tg_split 0
		.amdhsa_exception_fp_ieee_invalid_op 0
		.amdhsa_exception_fp_denorm_src 0
		.amdhsa_exception_fp_ieee_div_zero 0
		.amdhsa_exception_fp_ieee_overflow 0
		.amdhsa_exception_fp_ieee_underflow 0
		.amdhsa_exception_fp_ieee_inexact 0
		.amdhsa_exception_int_div_zero 0
	.end_amdhsa_kernel
	.section	.text._ZN7rocprim17ROCPRIM_400000_NS6detail31init_lookback_scan_state_kernelINS1_19lookback_scan_stateIdLb1ELb1EEENS1_16block_id_wrapperIjLb1EEEEEvT_jT0_jPNS7_10value_typeE,"axG",@progbits,_ZN7rocprim17ROCPRIM_400000_NS6detail31init_lookback_scan_state_kernelINS1_19lookback_scan_stateIdLb1ELb1EEENS1_16block_id_wrapperIjLb1EEEEEvT_jT0_jPNS7_10value_typeE,comdat
.Lfunc_end27:
	.size	_ZN7rocprim17ROCPRIM_400000_NS6detail31init_lookback_scan_state_kernelINS1_19lookback_scan_stateIdLb1ELb1EEENS1_16block_id_wrapperIjLb1EEEEEvT_jT0_jPNS7_10value_typeE, .Lfunc_end27-_ZN7rocprim17ROCPRIM_400000_NS6detail31init_lookback_scan_state_kernelINS1_19lookback_scan_stateIdLb1ELb1EEENS1_16block_id_wrapperIjLb1EEEEEvT_jT0_jPNS7_10value_typeE
                                        ; -- End function
	.section	.AMDGPU.csdata,"",@progbits
; Kernel info:
; codeLenInByte = 480
; NumSgprs: 20
; NumVgprs: 10
; NumAgprs: 0
; TotalNumVgprs: 10
; ScratchSize: 0
; MemoryBound: 0
; FloatMode: 240
; IeeeMode: 1
; LDSByteSize: 0 bytes/workgroup (compile time only)
; SGPRBlocks: 2
; VGPRBlocks: 1
; NumSGPRsForWavesPerEU: 20
; NumVGPRsForWavesPerEU: 10
; AccumOffset: 12
; Occupancy: 8
; WaveLimiterHint : 0
; COMPUTE_PGM_RSRC2:SCRATCH_EN: 0
; COMPUTE_PGM_RSRC2:USER_SGPR: 6
; COMPUTE_PGM_RSRC2:TRAP_HANDLER: 0
; COMPUTE_PGM_RSRC2:TGID_X_EN: 1
; COMPUTE_PGM_RSRC2:TGID_Y_EN: 0
; COMPUTE_PGM_RSRC2:TGID_Z_EN: 0
; COMPUTE_PGM_RSRC2:TIDIG_COMP_CNT: 0
; COMPUTE_PGM_RSRC3_GFX90A:ACCUM_OFFSET: 2
; COMPUTE_PGM_RSRC3_GFX90A:TG_SPLIT: 0
	.section	.text._ZN7rocprim17ROCPRIM_400000_NS6detail17trampoline_kernelINS0_14default_configENS1_20scan_config_selectorIdEEZZNS1_9scan_implILNS1_25lookback_scan_determinismE0ELb0ELb0ES3_PKdPddZZZN2at6native31launch_logcumsumexp_cuda_kernelERKNSB_10TensorBaseESF_lENKUlvE_clEvENKUlvE_clEvEUlddE_dEEDaPvRmT3_T4_T5_mT6_P12ihipStream_tbENKUlT_T0_E_clISt17integral_constantIbLb1EESW_EEDaSR_SS_EUlSR_E_NS1_11comp_targetILNS1_3genE0ELNS1_11target_archE4294967295ELNS1_3gpuE0ELNS1_3repE0EEENS1_30default_config_static_selectorELNS0_4arch9wavefront6targetE1EEEvT1_,"axG",@progbits,_ZN7rocprim17ROCPRIM_400000_NS6detail17trampoline_kernelINS0_14default_configENS1_20scan_config_selectorIdEEZZNS1_9scan_implILNS1_25lookback_scan_determinismE0ELb0ELb0ES3_PKdPddZZZN2at6native31launch_logcumsumexp_cuda_kernelERKNSB_10TensorBaseESF_lENKUlvE_clEvENKUlvE_clEvEUlddE_dEEDaPvRmT3_T4_T5_mT6_P12ihipStream_tbENKUlT_T0_E_clISt17integral_constantIbLb1EESW_EEDaSR_SS_EUlSR_E_NS1_11comp_targetILNS1_3genE0ELNS1_11target_archE4294967295ELNS1_3gpuE0ELNS1_3repE0EEENS1_30default_config_static_selectorELNS0_4arch9wavefront6targetE1EEEvT1_,comdat
	.globl	_ZN7rocprim17ROCPRIM_400000_NS6detail17trampoline_kernelINS0_14default_configENS1_20scan_config_selectorIdEEZZNS1_9scan_implILNS1_25lookback_scan_determinismE0ELb0ELb0ES3_PKdPddZZZN2at6native31launch_logcumsumexp_cuda_kernelERKNSB_10TensorBaseESF_lENKUlvE_clEvENKUlvE_clEvEUlddE_dEEDaPvRmT3_T4_T5_mT6_P12ihipStream_tbENKUlT_T0_E_clISt17integral_constantIbLb1EESW_EEDaSR_SS_EUlSR_E_NS1_11comp_targetILNS1_3genE0ELNS1_11target_archE4294967295ELNS1_3gpuE0ELNS1_3repE0EEENS1_30default_config_static_selectorELNS0_4arch9wavefront6targetE1EEEvT1_ ; -- Begin function _ZN7rocprim17ROCPRIM_400000_NS6detail17trampoline_kernelINS0_14default_configENS1_20scan_config_selectorIdEEZZNS1_9scan_implILNS1_25lookback_scan_determinismE0ELb0ELb0ES3_PKdPddZZZN2at6native31launch_logcumsumexp_cuda_kernelERKNSB_10TensorBaseESF_lENKUlvE_clEvENKUlvE_clEvEUlddE_dEEDaPvRmT3_T4_T5_mT6_P12ihipStream_tbENKUlT_T0_E_clISt17integral_constantIbLb1EESW_EEDaSR_SS_EUlSR_E_NS1_11comp_targetILNS1_3genE0ELNS1_11target_archE4294967295ELNS1_3gpuE0ELNS1_3repE0EEENS1_30default_config_static_selectorELNS0_4arch9wavefront6targetE1EEEvT1_
	.p2align	8
	.type	_ZN7rocprim17ROCPRIM_400000_NS6detail17trampoline_kernelINS0_14default_configENS1_20scan_config_selectorIdEEZZNS1_9scan_implILNS1_25lookback_scan_determinismE0ELb0ELb0ES3_PKdPddZZZN2at6native31launch_logcumsumexp_cuda_kernelERKNSB_10TensorBaseESF_lENKUlvE_clEvENKUlvE_clEvEUlddE_dEEDaPvRmT3_T4_T5_mT6_P12ihipStream_tbENKUlT_T0_E_clISt17integral_constantIbLb1EESW_EEDaSR_SS_EUlSR_E_NS1_11comp_targetILNS1_3genE0ELNS1_11target_archE4294967295ELNS1_3gpuE0ELNS1_3repE0EEENS1_30default_config_static_selectorELNS0_4arch9wavefront6targetE1EEEvT1_,@function
_ZN7rocprim17ROCPRIM_400000_NS6detail17trampoline_kernelINS0_14default_configENS1_20scan_config_selectorIdEEZZNS1_9scan_implILNS1_25lookback_scan_determinismE0ELb0ELb0ES3_PKdPddZZZN2at6native31launch_logcumsumexp_cuda_kernelERKNSB_10TensorBaseESF_lENKUlvE_clEvENKUlvE_clEvEUlddE_dEEDaPvRmT3_T4_T5_mT6_P12ihipStream_tbENKUlT_T0_E_clISt17integral_constantIbLb1EESW_EEDaSR_SS_EUlSR_E_NS1_11comp_targetILNS1_3genE0ELNS1_11target_archE4294967295ELNS1_3gpuE0ELNS1_3repE0EEENS1_30default_config_static_selectorELNS0_4arch9wavefront6targetE1EEEvT1_: ; @_ZN7rocprim17ROCPRIM_400000_NS6detail17trampoline_kernelINS0_14default_configENS1_20scan_config_selectorIdEEZZNS1_9scan_implILNS1_25lookback_scan_determinismE0ELb0ELb0ES3_PKdPddZZZN2at6native31launch_logcumsumexp_cuda_kernelERKNSB_10TensorBaseESF_lENKUlvE_clEvENKUlvE_clEvEUlddE_dEEDaPvRmT3_T4_T5_mT6_P12ihipStream_tbENKUlT_T0_E_clISt17integral_constantIbLb1EESW_EEDaSR_SS_EUlSR_E_NS1_11comp_targetILNS1_3genE0ELNS1_11target_archE4294967295ELNS1_3gpuE0ELNS1_3repE0EEENS1_30default_config_static_selectorELNS0_4arch9wavefront6targetE1EEEvT1_
; %bb.0:
	.section	.rodata,"a",@progbits
	.p2align	6, 0x0
	.amdhsa_kernel _ZN7rocprim17ROCPRIM_400000_NS6detail17trampoline_kernelINS0_14default_configENS1_20scan_config_selectorIdEEZZNS1_9scan_implILNS1_25lookback_scan_determinismE0ELb0ELb0ES3_PKdPddZZZN2at6native31launch_logcumsumexp_cuda_kernelERKNSB_10TensorBaseESF_lENKUlvE_clEvENKUlvE_clEvEUlddE_dEEDaPvRmT3_T4_T5_mT6_P12ihipStream_tbENKUlT_T0_E_clISt17integral_constantIbLb1EESW_EEDaSR_SS_EUlSR_E_NS1_11comp_targetILNS1_3genE0ELNS1_11target_archE4294967295ELNS1_3gpuE0ELNS1_3repE0EEENS1_30default_config_static_selectorELNS0_4arch9wavefront6targetE1EEEvT1_
		.amdhsa_group_segment_fixed_size 0
		.amdhsa_private_segment_fixed_size 0
		.amdhsa_kernarg_size 104
		.amdhsa_user_sgpr_count 6
		.amdhsa_user_sgpr_private_segment_buffer 1
		.amdhsa_user_sgpr_dispatch_ptr 0
		.amdhsa_user_sgpr_queue_ptr 0
		.amdhsa_user_sgpr_kernarg_segment_ptr 1
		.amdhsa_user_sgpr_dispatch_id 0
		.amdhsa_user_sgpr_flat_scratch_init 0
		.amdhsa_user_sgpr_kernarg_preload_length 0
		.amdhsa_user_sgpr_kernarg_preload_offset 0
		.amdhsa_user_sgpr_private_segment_size 0
		.amdhsa_uses_dynamic_stack 0
		.amdhsa_system_sgpr_private_segment_wavefront_offset 0
		.amdhsa_system_sgpr_workgroup_id_x 1
		.amdhsa_system_sgpr_workgroup_id_y 0
		.amdhsa_system_sgpr_workgroup_id_z 0
		.amdhsa_system_sgpr_workgroup_info 0
		.amdhsa_system_vgpr_workitem_id 0
		.amdhsa_next_free_vgpr 1
		.amdhsa_next_free_sgpr 0
		.amdhsa_accum_offset 4
		.amdhsa_reserve_vcc 0
		.amdhsa_reserve_flat_scratch 0
		.amdhsa_float_round_mode_32 0
		.amdhsa_float_round_mode_16_64 0
		.amdhsa_float_denorm_mode_32 3
		.amdhsa_float_denorm_mode_16_64 3
		.amdhsa_dx10_clamp 1
		.amdhsa_ieee_mode 1
		.amdhsa_fp16_overflow 0
		.amdhsa_tg_split 0
		.amdhsa_exception_fp_ieee_invalid_op 0
		.amdhsa_exception_fp_denorm_src 0
		.amdhsa_exception_fp_ieee_div_zero 0
		.amdhsa_exception_fp_ieee_overflow 0
		.amdhsa_exception_fp_ieee_underflow 0
		.amdhsa_exception_fp_ieee_inexact 0
		.amdhsa_exception_int_div_zero 0
	.end_amdhsa_kernel
	.section	.text._ZN7rocprim17ROCPRIM_400000_NS6detail17trampoline_kernelINS0_14default_configENS1_20scan_config_selectorIdEEZZNS1_9scan_implILNS1_25lookback_scan_determinismE0ELb0ELb0ES3_PKdPddZZZN2at6native31launch_logcumsumexp_cuda_kernelERKNSB_10TensorBaseESF_lENKUlvE_clEvENKUlvE_clEvEUlddE_dEEDaPvRmT3_T4_T5_mT6_P12ihipStream_tbENKUlT_T0_E_clISt17integral_constantIbLb1EESW_EEDaSR_SS_EUlSR_E_NS1_11comp_targetILNS1_3genE0ELNS1_11target_archE4294967295ELNS1_3gpuE0ELNS1_3repE0EEENS1_30default_config_static_selectorELNS0_4arch9wavefront6targetE1EEEvT1_,"axG",@progbits,_ZN7rocprim17ROCPRIM_400000_NS6detail17trampoline_kernelINS0_14default_configENS1_20scan_config_selectorIdEEZZNS1_9scan_implILNS1_25lookback_scan_determinismE0ELb0ELb0ES3_PKdPddZZZN2at6native31launch_logcumsumexp_cuda_kernelERKNSB_10TensorBaseESF_lENKUlvE_clEvENKUlvE_clEvEUlddE_dEEDaPvRmT3_T4_T5_mT6_P12ihipStream_tbENKUlT_T0_E_clISt17integral_constantIbLb1EESW_EEDaSR_SS_EUlSR_E_NS1_11comp_targetILNS1_3genE0ELNS1_11target_archE4294967295ELNS1_3gpuE0ELNS1_3repE0EEENS1_30default_config_static_selectorELNS0_4arch9wavefront6targetE1EEEvT1_,comdat
.Lfunc_end28:
	.size	_ZN7rocprim17ROCPRIM_400000_NS6detail17trampoline_kernelINS0_14default_configENS1_20scan_config_selectorIdEEZZNS1_9scan_implILNS1_25lookback_scan_determinismE0ELb0ELb0ES3_PKdPddZZZN2at6native31launch_logcumsumexp_cuda_kernelERKNSB_10TensorBaseESF_lENKUlvE_clEvENKUlvE_clEvEUlddE_dEEDaPvRmT3_T4_T5_mT6_P12ihipStream_tbENKUlT_T0_E_clISt17integral_constantIbLb1EESW_EEDaSR_SS_EUlSR_E_NS1_11comp_targetILNS1_3genE0ELNS1_11target_archE4294967295ELNS1_3gpuE0ELNS1_3repE0EEENS1_30default_config_static_selectorELNS0_4arch9wavefront6targetE1EEEvT1_, .Lfunc_end28-_ZN7rocprim17ROCPRIM_400000_NS6detail17trampoline_kernelINS0_14default_configENS1_20scan_config_selectorIdEEZZNS1_9scan_implILNS1_25lookback_scan_determinismE0ELb0ELb0ES3_PKdPddZZZN2at6native31launch_logcumsumexp_cuda_kernelERKNSB_10TensorBaseESF_lENKUlvE_clEvENKUlvE_clEvEUlddE_dEEDaPvRmT3_T4_T5_mT6_P12ihipStream_tbENKUlT_T0_E_clISt17integral_constantIbLb1EESW_EEDaSR_SS_EUlSR_E_NS1_11comp_targetILNS1_3genE0ELNS1_11target_archE4294967295ELNS1_3gpuE0ELNS1_3repE0EEENS1_30default_config_static_selectorELNS0_4arch9wavefront6targetE1EEEvT1_
                                        ; -- End function
	.section	.AMDGPU.csdata,"",@progbits
; Kernel info:
; codeLenInByte = 0
; NumSgprs: 4
; NumVgprs: 0
; NumAgprs: 0
; TotalNumVgprs: 0
; ScratchSize: 0
; MemoryBound: 0
; FloatMode: 240
; IeeeMode: 1
; LDSByteSize: 0 bytes/workgroup (compile time only)
; SGPRBlocks: 0
; VGPRBlocks: 0
; NumSGPRsForWavesPerEU: 4
; NumVGPRsForWavesPerEU: 1
; AccumOffset: 4
; Occupancy: 8
; WaveLimiterHint : 0
; COMPUTE_PGM_RSRC2:SCRATCH_EN: 0
; COMPUTE_PGM_RSRC2:USER_SGPR: 6
; COMPUTE_PGM_RSRC2:TRAP_HANDLER: 0
; COMPUTE_PGM_RSRC2:TGID_X_EN: 1
; COMPUTE_PGM_RSRC2:TGID_Y_EN: 0
; COMPUTE_PGM_RSRC2:TGID_Z_EN: 0
; COMPUTE_PGM_RSRC2:TIDIG_COMP_CNT: 0
; COMPUTE_PGM_RSRC3_GFX90A:ACCUM_OFFSET: 0
; COMPUTE_PGM_RSRC3_GFX90A:TG_SPLIT: 0
	.section	.text._ZN7rocprim17ROCPRIM_400000_NS6detail17trampoline_kernelINS0_14default_configENS1_20scan_config_selectorIdEEZZNS1_9scan_implILNS1_25lookback_scan_determinismE0ELb0ELb0ES3_PKdPddZZZN2at6native31launch_logcumsumexp_cuda_kernelERKNSB_10TensorBaseESF_lENKUlvE_clEvENKUlvE_clEvEUlddE_dEEDaPvRmT3_T4_T5_mT6_P12ihipStream_tbENKUlT_T0_E_clISt17integral_constantIbLb1EESW_EEDaSR_SS_EUlSR_E_NS1_11comp_targetILNS1_3genE5ELNS1_11target_archE942ELNS1_3gpuE9ELNS1_3repE0EEENS1_30default_config_static_selectorELNS0_4arch9wavefront6targetE1EEEvT1_,"axG",@progbits,_ZN7rocprim17ROCPRIM_400000_NS6detail17trampoline_kernelINS0_14default_configENS1_20scan_config_selectorIdEEZZNS1_9scan_implILNS1_25lookback_scan_determinismE0ELb0ELb0ES3_PKdPddZZZN2at6native31launch_logcumsumexp_cuda_kernelERKNSB_10TensorBaseESF_lENKUlvE_clEvENKUlvE_clEvEUlddE_dEEDaPvRmT3_T4_T5_mT6_P12ihipStream_tbENKUlT_T0_E_clISt17integral_constantIbLb1EESW_EEDaSR_SS_EUlSR_E_NS1_11comp_targetILNS1_3genE5ELNS1_11target_archE942ELNS1_3gpuE9ELNS1_3repE0EEENS1_30default_config_static_selectorELNS0_4arch9wavefront6targetE1EEEvT1_,comdat
	.globl	_ZN7rocprim17ROCPRIM_400000_NS6detail17trampoline_kernelINS0_14default_configENS1_20scan_config_selectorIdEEZZNS1_9scan_implILNS1_25lookback_scan_determinismE0ELb0ELb0ES3_PKdPddZZZN2at6native31launch_logcumsumexp_cuda_kernelERKNSB_10TensorBaseESF_lENKUlvE_clEvENKUlvE_clEvEUlddE_dEEDaPvRmT3_T4_T5_mT6_P12ihipStream_tbENKUlT_T0_E_clISt17integral_constantIbLb1EESW_EEDaSR_SS_EUlSR_E_NS1_11comp_targetILNS1_3genE5ELNS1_11target_archE942ELNS1_3gpuE9ELNS1_3repE0EEENS1_30default_config_static_selectorELNS0_4arch9wavefront6targetE1EEEvT1_ ; -- Begin function _ZN7rocprim17ROCPRIM_400000_NS6detail17trampoline_kernelINS0_14default_configENS1_20scan_config_selectorIdEEZZNS1_9scan_implILNS1_25lookback_scan_determinismE0ELb0ELb0ES3_PKdPddZZZN2at6native31launch_logcumsumexp_cuda_kernelERKNSB_10TensorBaseESF_lENKUlvE_clEvENKUlvE_clEvEUlddE_dEEDaPvRmT3_T4_T5_mT6_P12ihipStream_tbENKUlT_T0_E_clISt17integral_constantIbLb1EESW_EEDaSR_SS_EUlSR_E_NS1_11comp_targetILNS1_3genE5ELNS1_11target_archE942ELNS1_3gpuE9ELNS1_3repE0EEENS1_30default_config_static_selectorELNS0_4arch9wavefront6targetE1EEEvT1_
	.p2align	8
	.type	_ZN7rocprim17ROCPRIM_400000_NS6detail17trampoline_kernelINS0_14default_configENS1_20scan_config_selectorIdEEZZNS1_9scan_implILNS1_25lookback_scan_determinismE0ELb0ELb0ES3_PKdPddZZZN2at6native31launch_logcumsumexp_cuda_kernelERKNSB_10TensorBaseESF_lENKUlvE_clEvENKUlvE_clEvEUlddE_dEEDaPvRmT3_T4_T5_mT6_P12ihipStream_tbENKUlT_T0_E_clISt17integral_constantIbLb1EESW_EEDaSR_SS_EUlSR_E_NS1_11comp_targetILNS1_3genE5ELNS1_11target_archE942ELNS1_3gpuE9ELNS1_3repE0EEENS1_30default_config_static_selectorELNS0_4arch9wavefront6targetE1EEEvT1_,@function
_ZN7rocprim17ROCPRIM_400000_NS6detail17trampoline_kernelINS0_14default_configENS1_20scan_config_selectorIdEEZZNS1_9scan_implILNS1_25lookback_scan_determinismE0ELb0ELb0ES3_PKdPddZZZN2at6native31launch_logcumsumexp_cuda_kernelERKNSB_10TensorBaseESF_lENKUlvE_clEvENKUlvE_clEvEUlddE_dEEDaPvRmT3_T4_T5_mT6_P12ihipStream_tbENKUlT_T0_E_clISt17integral_constantIbLb1EESW_EEDaSR_SS_EUlSR_E_NS1_11comp_targetILNS1_3genE5ELNS1_11target_archE942ELNS1_3gpuE9ELNS1_3repE0EEENS1_30default_config_static_selectorELNS0_4arch9wavefront6targetE1EEEvT1_: ; @_ZN7rocprim17ROCPRIM_400000_NS6detail17trampoline_kernelINS0_14default_configENS1_20scan_config_selectorIdEEZZNS1_9scan_implILNS1_25lookback_scan_determinismE0ELb0ELb0ES3_PKdPddZZZN2at6native31launch_logcumsumexp_cuda_kernelERKNSB_10TensorBaseESF_lENKUlvE_clEvENKUlvE_clEvEUlddE_dEEDaPvRmT3_T4_T5_mT6_P12ihipStream_tbENKUlT_T0_E_clISt17integral_constantIbLb1EESW_EEDaSR_SS_EUlSR_E_NS1_11comp_targetILNS1_3genE5ELNS1_11target_archE942ELNS1_3gpuE9ELNS1_3repE0EEENS1_30default_config_static_selectorELNS0_4arch9wavefront6targetE1EEEvT1_
; %bb.0:
	.section	.rodata,"a",@progbits
	.p2align	6, 0x0
	.amdhsa_kernel _ZN7rocprim17ROCPRIM_400000_NS6detail17trampoline_kernelINS0_14default_configENS1_20scan_config_selectorIdEEZZNS1_9scan_implILNS1_25lookback_scan_determinismE0ELb0ELb0ES3_PKdPddZZZN2at6native31launch_logcumsumexp_cuda_kernelERKNSB_10TensorBaseESF_lENKUlvE_clEvENKUlvE_clEvEUlddE_dEEDaPvRmT3_T4_T5_mT6_P12ihipStream_tbENKUlT_T0_E_clISt17integral_constantIbLb1EESW_EEDaSR_SS_EUlSR_E_NS1_11comp_targetILNS1_3genE5ELNS1_11target_archE942ELNS1_3gpuE9ELNS1_3repE0EEENS1_30default_config_static_selectorELNS0_4arch9wavefront6targetE1EEEvT1_
		.amdhsa_group_segment_fixed_size 0
		.amdhsa_private_segment_fixed_size 0
		.amdhsa_kernarg_size 104
		.amdhsa_user_sgpr_count 6
		.amdhsa_user_sgpr_private_segment_buffer 1
		.amdhsa_user_sgpr_dispatch_ptr 0
		.amdhsa_user_sgpr_queue_ptr 0
		.amdhsa_user_sgpr_kernarg_segment_ptr 1
		.amdhsa_user_sgpr_dispatch_id 0
		.amdhsa_user_sgpr_flat_scratch_init 0
		.amdhsa_user_sgpr_kernarg_preload_length 0
		.amdhsa_user_sgpr_kernarg_preload_offset 0
		.amdhsa_user_sgpr_private_segment_size 0
		.amdhsa_uses_dynamic_stack 0
		.amdhsa_system_sgpr_private_segment_wavefront_offset 0
		.amdhsa_system_sgpr_workgroup_id_x 1
		.amdhsa_system_sgpr_workgroup_id_y 0
		.amdhsa_system_sgpr_workgroup_id_z 0
		.amdhsa_system_sgpr_workgroup_info 0
		.amdhsa_system_vgpr_workitem_id 0
		.amdhsa_next_free_vgpr 1
		.amdhsa_next_free_sgpr 0
		.amdhsa_accum_offset 4
		.amdhsa_reserve_vcc 0
		.amdhsa_reserve_flat_scratch 0
		.amdhsa_float_round_mode_32 0
		.amdhsa_float_round_mode_16_64 0
		.amdhsa_float_denorm_mode_32 3
		.amdhsa_float_denorm_mode_16_64 3
		.amdhsa_dx10_clamp 1
		.amdhsa_ieee_mode 1
		.amdhsa_fp16_overflow 0
		.amdhsa_tg_split 0
		.amdhsa_exception_fp_ieee_invalid_op 0
		.amdhsa_exception_fp_denorm_src 0
		.amdhsa_exception_fp_ieee_div_zero 0
		.amdhsa_exception_fp_ieee_overflow 0
		.amdhsa_exception_fp_ieee_underflow 0
		.amdhsa_exception_fp_ieee_inexact 0
		.amdhsa_exception_int_div_zero 0
	.end_amdhsa_kernel
	.section	.text._ZN7rocprim17ROCPRIM_400000_NS6detail17trampoline_kernelINS0_14default_configENS1_20scan_config_selectorIdEEZZNS1_9scan_implILNS1_25lookback_scan_determinismE0ELb0ELb0ES3_PKdPddZZZN2at6native31launch_logcumsumexp_cuda_kernelERKNSB_10TensorBaseESF_lENKUlvE_clEvENKUlvE_clEvEUlddE_dEEDaPvRmT3_T4_T5_mT6_P12ihipStream_tbENKUlT_T0_E_clISt17integral_constantIbLb1EESW_EEDaSR_SS_EUlSR_E_NS1_11comp_targetILNS1_3genE5ELNS1_11target_archE942ELNS1_3gpuE9ELNS1_3repE0EEENS1_30default_config_static_selectorELNS0_4arch9wavefront6targetE1EEEvT1_,"axG",@progbits,_ZN7rocprim17ROCPRIM_400000_NS6detail17trampoline_kernelINS0_14default_configENS1_20scan_config_selectorIdEEZZNS1_9scan_implILNS1_25lookback_scan_determinismE0ELb0ELb0ES3_PKdPddZZZN2at6native31launch_logcumsumexp_cuda_kernelERKNSB_10TensorBaseESF_lENKUlvE_clEvENKUlvE_clEvEUlddE_dEEDaPvRmT3_T4_T5_mT6_P12ihipStream_tbENKUlT_T0_E_clISt17integral_constantIbLb1EESW_EEDaSR_SS_EUlSR_E_NS1_11comp_targetILNS1_3genE5ELNS1_11target_archE942ELNS1_3gpuE9ELNS1_3repE0EEENS1_30default_config_static_selectorELNS0_4arch9wavefront6targetE1EEEvT1_,comdat
.Lfunc_end29:
	.size	_ZN7rocprim17ROCPRIM_400000_NS6detail17trampoline_kernelINS0_14default_configENS1_20scan_config_selectorIdEEZZNS1_9scan_implILNS1_25lookback_scan_determinismE0ELb0ELb0ES3_PKdPddZZZN2at6native31launch_logcumsumexp_cuda_kernelERKNSB_10TensorBaseESF_lENKUlvE_clEvENKUlvE_clEvEUlddE_dEEDaPvRmT3_T4_T5_mT6_P12ihipStream_tbENKUlT_T0_E_clISt17integral_constantIbLb1EESW_EEDaSR_SS_EUlSR_E_NS1_11comp_targetILNS1_3genE5ELNS1_11target_archE942ELNS1_3gpuE9ELNS1_3repE0EEENS1_30default_config_static_selectorELNS0_4arch9wavefront6targetE1EEEvT1_, .Lfunc_end29-_ZN7rocprim17ROCPRIM_400000_NS6detail17trampoline_kernelINS0_14default_configENS1_20scan_config_selectorIdEEZZNS1_9scan_implILNS1_25lookback_scan_determinismE0ELb0ELb0ES3_PKdPddZZZN2at6native31launch_logcumsumexp_cuda_kernelERKNSB_10TensorBaseESF_lENKUlvE_clEvENKUlvE_clEvEUlddE_dEEDaPvRmT3_T4_T5_mT6_P12ihipStream_tbENKUlT_T0_E_clISt17integral_constantIbLb1EESW_EEDaSR_SS_EUlSR_E_NS1_11comp_targetILNS1_3genE5ELNS1_11target_archE942ELNS1_3gpuE9ELNS1_3repE0EEENS1_30default_config_static_selectorELNS0_4arch9wavefront6targetE1EEEvT1_
                                        ; -- End function
	.section	.AMDGPU.csdata,"",@progbits
; Kernel info:
; codeLenInByte = 0
; NumSgprs: 4
; NumVgprs: 0
; NumAgprs: 0
; TotalNumVgprs: 0
; ScratchSize: 0
; MemoryBound: 0
; FloatMode: 240
; IeeeMode: 1
; LDSByteSize: 0 bytes/workgroup (compile time only)
; SGPRBlocks: 0
; VGPRBlocks: 0
; NumSGPRsForWavesPerEU: 4
; NumVGPRsForWavesPerEU: 1
; AccumOffset: 4
; Occupancy: 8
; WaveLimiterHint : 0
; COMPUTE_PGM_RSRC2:SCRATCH_EN: 0
; COMPUTE_PGM_RSRC2:USER_SGPR: 6
; COMPUTE_PGM_RSRC2:TRAP_HANDLER: 0
; COMPUTE_PGM_RSRC2:TGID_X_EN: 1
; COMPUTE_PGM_RSRC2:TGID_Y_EN: 0
; COMPUTE_PGM_RSRC2:TGID_Z_EN: 0
; COMPUTE_PGM_RSRC2:TIDIG_COMP_CNT: 0
; COMPUTE_PGM_RSRC3_GFX90A:ACCUM_OFFSET: 0
; COMPUTE_PGM_RSRC3_GFX90A:TG_SPLIT: 0
	.section	.text._ZN7rocprim17ROCPRIM_400000_NS6detail17trampoline_kernelINS0_14default_configENS1_20scan_config_selectorIdEEZZNS1_9scan_implILNS1_25lookback_scan_determinismE0ELb0ELb0ES3_PKdPddZZZN2at6native31launch_logcumsumexp_cuda_kernelERKNSB_10TensorBaseESF_lENKUlvE_clEvENKUlvE_clEvEUlddE_dEEDaPvRmT3_T4_T5_mT6_P12ihipStream_tbENKUlT_T0_E_clISt17integral_constantIbLb1EESW_EEDaSR_SS_EUlSR_E_NS1_11comp_targetILNS1_3genE4ELNS1_11target_archE910ELNS1_3gpuE8ELNS1_3repE0EEENS1_30default_config_static_selectorELNS0_4arch9wavefront6targetE1EEEvT1_,"axG",@progbits,_ZN7rocprim17ROCPRIM_400000_NS6detail17trampoline_kernelINS0_14default_configENS1_20scan_config_selectorIdEEZZNS1_9scan_implILNS1_25lookback_scan_determinismE0ELb0ELb0ES3_PKdPddZZZN2at6native31launch_logcumsumexp_cuda_kernelERKNSB_10TensorBaseESF_lENKUlvE_clEvENKUlvE_clEvEUlddE_dEEDaPvRmT3_T4_T5_mT6_P12ihipStream_tbENKUlT_T0_E_clISt17integral_constantIbLb1EESW_EEDaSR_SS_EUlSR_E_NS1_11comp_targetILNS1_3genE4ELNS1_11target_archE910ELNS1_3gpuE8ELNS1_3repE0EEENS1_30default_config_static_selectorELNS0_4arch9wavefront6targetE1EEEvT1_,comdat
	.globl	_ZN7rocprim17ROCPRIM_400000_NS6detail17trampoline_kernelINS0_14default_configENS1_20scan_config_selectorIdEEZZNS1_9scan_implILNS1_25lookback_scan_determinismE0ELb0ELb0ES3_PKdPddZZZN2at6native31launch_logcumsumexp_cuda_kernelERKNSB_10TensorBaseESF_lENKUlvE_clEvENKUlvE_clEvEUlddE_dEEDaPvRmT3_T4_T5_mT6_P12ihipStream_tbENKUlT_T0_E_clISt17integral_constantIbLb1EESW_EEDaSR_SS_EUlSR_E_NS1_11comp_targetILNS1_3genE4ELNS1_11target_archE910ELNS1_3gpuE8ELNS1_3repE0EEENS1_30default_config_static_selectorELNS0_4arch9wavefront6targetE1EEEvT1_ ; -- Begin function _ZN7rocprim17ROCPRIM_400000_NS6detail17trampoline_kernelINS0_14default_configENS1_20scan_config_selectorIdEEZZNS1_9scan_implILNS1_25lookback_scan_determinismE0ELb0ELb0ES3_PKdPddZZZN2at6native31launch_logcumsumexp_cuda_kernelERKNSB_10TensorBaseESF_lENKUlvE_clEvENKUlvE_clEvEUlddE_dEEDaPvRmT3_T4_T5_mT6_P12ihipStream_tbENKUlT_T0_E_clISt17integral_constantIbLb1EESW_EEDaSR_SS_EUlSR_E_NS1_11comp_targetILNS1_3genE4ELNS1_11target_archE910ELNS1_3gpuE8ELNS1_3repE0EEENS1_30default_config_static_selectorELNS0_4arch9wavefront6targetE1EEEvT1_
	.p2align	8
	.type	_ZN7rocprim17ROCPRIM_400000_NS6detail17trampoline_kernelINS0_14default_configENS1_20scan_config_selectorIdEEZZNS1_9scan_implILNS1_25lookback_scan_determinismE0ELb0ELb0ES3_PKdPddZZZN2at6native31launch_logcumsumexp_cuda_kernelERKNSB_10TensorBaseESF_lENKUlvE_clEvENKUlvE_clEvEUlddE_dEEDaPvRmT3_T4_T5_mT6_P12ihipStream_tbENKUlT_T0_E_clISt17integral_constantIbLb1EESW_EEDaSR_SS_EUlSR_E_NS1_11comp_targetILNS1_3genE4ELNS1_11target_archE910ELNS1_3gpuE8ELNS1_3repE0EEENS1_30default_config_static_selectorELNS0_4arch9wavefront6targetE1EEEvT1_,@function
_ZN7rocprim17ROCPRIM_400000_NS6detail17trampoline_kernelINS0_14default_configENS1_20scan_config_selectorIdEEZZNS1_9scan_implILNS1_25lookback_scan_determinismE0ELb0ELb0ES3_PKdPddZZZN2at6native31launch_logcumsumexp_cuda_kernelERKNSB_10TensorBaseESF_lENKUlvE_clEvENKUlvE_clEvEUlddE_dEEDaPvRmT3_T4_T5_mT6_P12ihipStream_tbENKUlT_T0_E_clISt17integral_constantIbLb1EESW_EEDaSR_SS_EUlSR_E_NS1_11comp_targetILNS1_3genE4ELNS1_11target_archE910ELNS1_3gpuE8ELNS1_3repE0EEENS1_30default_config_static_selectorELNS0_4arch9wavefront6targetE1EEEvT1_: ; @_ZN7rocprim17ROCPRIM_400000_NS6detail17trampoline_kernelINS0_14default_configENS1_20scan_config_selectorIdEEZZNS1_9scan_implILNS1_25lookback_scan_determinismE0ELb0ELb0ES3_PKdPddZZZN2at6native31launch_logcumsumexp_cuda_kernelERKNSB_10TensorBaseESF_lENKUlvE_clEvENKUlvE_clEvEUlddE_dEEDaPvRmT3_T4_T5_mT6_P12ihipStream_tbENKUlT_T0_E_clISt17integral_constantIbLb1EESW_EEDaSR_SS_EUlSR_E_NS1_11comp_targetILNS1_3genE4ELNS1_11target_archE910ELNS1_3gpuE8ELNS1_3repE0EEENS1_30default_config_static_selectorELNS0_4arch9wavefront6targetE1EEEvT1_
; %bb.0:
	s_load_dwordx2 s[34:35], s[4:5], 0x30
	v_cmp_ne_u32_e64 s[0:1], 0, v0
	v_cmp_eq_u32_e64 s[2:3], 0, v0
	s_and_saveexec_b64 s[6:7], s[2:3]
	s_cbranch_execz .LBB30_4
; %bb.1:
	s_mov_b64 s[10:11], exec
	v_mbcnt_lo_u32_b32 v1, s10, 0
	v_mbcnt_hi_u32_b32 v1, s11, v1
	v_cmp_eq_u32_e32 vcc, 0, v1
                                        ; implicit-def: $vgpr2
	s_and_saveexec_b64 s[8:9], vcc
	s_cbranch_execz .LBB30_3
; %bb.2:
	s_load_dwordx2 s[12:13], s[4:5], 0x60
	s_bcnt1_i32_b64 s10, s[10:11]
	v_mov_b32_e32 v2, 0
	v_mov_b32_e32 v3, s10
	s_waitcnt lgkmcnt(0)
	global_atomic_add v2, v2, v3, s[12:13] glc
.LBB30_3:
	s_or_b64 exec, exec, s[8:9]
	s_waitcnt vmcnt(0)
	v_readfirstlane_b32 s8, v2
	v_add_u32_e32 v1, s8, v1
	v_mov_b32_e32 v2, 0
	ds_write_b32 v2, v1
.LBB30_4:
	s_or_b64 exec, exec, s[6:7]
	s_load_dwordx8 s[24:31], s[4:5], 0x0
	s_load_dword s6, s[4:5], 0x38
	s_load_dwordx8 s[36:43], s[4:5], 0x40
	v_mov_b32_e32 v1, 0
	s_waitcnt lgkmcnt(0)
	s_barrier
	ds_read_b32 v1, v1
	s_lshl_b64 s[44:45], s[26:27], 3
	s_add_u32 s7, s24, s44
	s_addc_u32 s8, s25, s45
	s_add_i32 s6, s6, -1
	s_mul_i32 s9, s6, 0x500
	s_sub_u32 s33, s30, s9
	s_waitcnt lgkmcnt(0)
	v_readfirstlane_b32 s77, v1
	s_subb_u32 s76, s31, 0
	s_mul_i32 s4, s77, 0x500
	s_mov_b32 s5, 0
	s_cmp_lg_u32 s77, s6
	s_cselect_b64 s[30:31], -1, 0
	s_lshl_b64 s[46:47], s[4:5], 3
	s_add_u32 s6, s7, s46
	s_addc_u32 s7, s8, s47
	s_mov_b64 s[4:5], -1
	s_and_b64 vcc, exec, s[30:31]
	v_lshlrev_b32_e32 v92, 3, v0
	s_barrier
	s_cbranch_vccz .LBB30_6
; %bb.5:
	v_mov_b32_e32 v1, s7
	v_add_co_u32_e32 v20, vcc, s6, v92
	v_addc_co_u32_e32 v1, vcc, 0, v1, vcc
	v_add_co_u32_e32 v10, vcc, 0x1000, v20
	v_addc_co_u32_e32 v11, vcc, 0, v1, vcc
	global_load_dwordx2 v[2:3], v92, s[6:7]
	global_load_dwordx2 v[4:5], v92, s[6:7] offset:1024
	global_load_dwordx2 v[6:7], v92, s[6:7] offset:2048
	;; [unrolled: 1-line block ×3, first 2 shown]
	global_load_dwordx2 v[12:13], v[10:11], off
	global_load_dwordx2 v[14:15], v[10:11], off offset:1024
	global_load_dwordx2 v[16:17], v[10:11], off offset:2048
	;; [unrolled: 1-line block ×3, first 2 shown]
	v_add_co_u32_e32 v10, vcc, 0x2000, v20
	v_addc_co_u32_e32 v11, vcc, 0, v1, vcc
	global_load_dwordx2 v[20:21], v[10:11], off
	global_load_dwordx2 v[22:23], v[10:11], off offset:1024
	s_mov_b64 s[4:5], 0
	s_waitcnt vmcnt(8)
	ds_write2st64_b64 v92, v[2:3], v[4:5] offset1:2
	s_waitcnt vmcnt(6)
	ds_write2st64_b64 v92, v[6:7], v[8:9] offset0:4 offset1:6
	s_waitcnt vmcnt(4)
	ds_write2st64_b64 v92, v[12:13], v[14:15] offset0:8 offset1:10
	;; [unrolled: 2-line block ×4, first 2 shown]
	s_waitcnt lgkmcnt(0)
	s_barrier
.LBB30_6:
	s_andn2_b64 vcc, exec, s[4:5]
	v_cmp_gt_u32_e64 s[4:5], s33, v0
	s_cbranch_vccnz .LBB30_28
; %bb.7:
	v_mov_b32_e32 v1, 0
	global_load_dwordx2 v[2:3], v1, s[6:7]
	s_waitcnt vmcnt(0)
	v_mov_b32_e32 v4, v2
	v_mov_b32_e32 v5, v3
	;; [unrolled: 1-line block ×16, first 2 shown]
	v_pk_mov_b32 v[34:35], v[30:31], v[30:31] op_sel:[0,1]
	v_pk_mov_b32 v[32:33], v[28:29], v[28:29] op_sel:[0,1]
	;; [unrolled: 1-line block ×16, first 2 shown]
	s_and_saveexec_b64 s[8:9], s[4:5]
	s_cbranch_execz .LBB30_9
; %bb.8:
	global_load_dwordx2 v[36:37], v92, s[6:7]
	v_mov_b32_e32 v4, v2
	v_mov_b32_e32 v5, v3
	;; [unrolled: 1-line block ×16, first 2 shown]
	v_pk_mov_b32 v[34:35], v[30:31], v[30:31] op_sel:[0,1]
	v_pk_mov_b32 v[32:33], v[28:29], v[28:29] op_sel:[0,1]
	;; [unrolled: 1-line block ×16, first 2 shown]
	s_waitcnt vmcnt(0)
	v_pk_mov_b32 v[2:3], v[36:37], v[36:37] op_sel:[0,1]
.LBB30_9:
	s_or_b64 exec, exec, s[8:9]
	v_or_b32_e32 v1, 0x80, v0
	v_cmp_gt_u32_e32 vcc, s33, v1
	s_and_saveexec_b64 s[4:5], vcc
	s_cbranch_execz .LBB30_11
; %bb.10:
	global_load_dwordx2 v[6:7], v92, s[6:7] offset:1024
.LBB30_11:
	s_or_b64 exec, exec, s[4:5]
	v_or_b32_e32 v1, 0x100, v0
	v_cmp_gt_u32_e32 vcc, s33, v1
	s_and_saveexec_b64 s[4:5], vcc
	s_cbranch_execz .LBB30_13
; %bb.12:
	global_load_dwordx2 v[8:9], v92, s[6:7] offset:2048
.LBB30_13:
	;; [unrolled: 8-line block ×3, first 2 shown]
	s_or_b64 exec, exec, s[4:5]
	v_or_b32_e32 v1, 0x200, v0
	v_cmp_gt_u32_e32 vcc, s33, v1
	s_and_saveexec_b64 s[4:5], vcc
	s_cbranch_execz .LBB30_17
; %bb.16:
	v_lshlrev_b32_e32 v1, 3, v1
	global_load_dwordx2 v[12:13], v1, s[6:7]
.LBB30_17:
	s_or_b64 exec, exec, s[4:5]
	v_or_b32_e32 v1, 0x280, v0
	v_cmp_gt_u32_e32 vcc, s33, v1
	s_and_saveexec_b64 s[4:5], vcc
	s_cbranch_execz .LBB30_19
; %bb.18:
	v_lshlrev_b32_e32 v1, 3, v1
	global_load_dwordx2 v[14:15], v1, s[6:7]
.LBB30_19:
	;; [unrolled: 9-line block ×6, first 2 shown]
	s_or_b64 exec, exec, s[4:5]
	s_waitcnt vmcnt(0)
	ds_write2st64_b64 v92, v[2:3], v[6:7] offset1:2
	ds_write2st64_b64 v92, v[8:9], v[10:11] offset0:4 offset1:6
	ds_write2st64_b64 v92, v[12:13], v[14:15] offset0:8 offset1:10
	;; [unrolled: 1-line block ×4, first 2 shown]
	s_waitcnt lgkmcnt(0)
	s_barrier
.LBB30_28:
	v_mul_u32_u24_e32 v93, 10, v0
	v_lshlrev_b32_e32 v1, 3, v93
	ds_read_b128 v[2:5], v1
	ds_read_b128 v[18:21], v1 offset:16
	ds_read_b128 v[14:17], v1 offset:32
	;; [unrolled: 1-line block ×4, first 2 shown]
	s_cmp_lg_u32 s77, 0
	s_waitcnt lgkmcnt(4)
	v_cmp_u_f64_e64 s[4:5], v[4:5], v[4:5]
	v_max_f64 v[42:43], v[4:5], v[4:5]
	s_waitcnt lgkmcnt(0)
	s_barrier
	s_cbranch_scc0 .LBB30_183
; %bb.29:
	v_max_f64 v[48:49], v[2:3], v[2:3]
	v_min_f64 v[22:23], v[48:49], v[42:43]
	v_cmp_u_f64_e64 s[22:23], v[2:3], v[2:3]
	v_cndmask_b32_e64 v22, v22, v2, s[22:23]
	v_cndmask_b32_e64 v23, v23, v3, s[22:23]
	;; [unrolled: 1-line block ×4, first 2 shown]
	v_max_f64 v[22:23], v[48:49], v[42:43]
	v_cndmask_b32_e64 v22, v22, v2, s[22:23]
	v_cndmask_b32_e64 v23, v23, v3, s[22:23]
	;; [unrolled: 1-line block ×4, first 2 shown]
	s_movk_i32 s14, 0x1f8
	v_cmp_neq_f64_e32 vcc, v[26:27], v[24:25]
	v_cmp_class_f64_e64 s[6:7], v[26:27], s14
	s_or_b64 s[6:7], vcc, s[6:7]
	v_pk_mov_b32 v[22:23], v[2:3], v[2:3] op_sel:[0,1]
	s_and_saveexec_b64 s[8:9], s[6:7]
	s_cbranch_execz .LBB30_31
; %bb.30:
	s_mov_b32 s6, 0x652b82fe
	v_add_f64 v[22:23], v[26:27], -v[24:25]
	s_mov_b32 s7, 0x3ff71547
	v_mul_f64 v[26:27], v[22:23], s[6:7]
	v_rndne_f64_e32 v[26:27], v[26:27]
	s_mov_b32 s11, 0xbfe62e42
	s_mov_b32 s10, 0xfefa39ef
	v_fma_f64 v[28:29], s[10:11], v[26:27], v[22:23]
	s_mov_b32 s13, 0xbc7abc9e
	s_mov_b32 s12, 0x3b39803f
	;; [unrolled: 1-line block ×3, first 2 shown]
	v_fmac_f64_e32 v[28:29], s[12:13], v[26:27]
	v_mov_b32_e32 v30, 0xfca7ab0c
	v_mov_b32_e32 v31, 0x3e928af3
	s_mov_b32 s7, 0x3e5ade15
	v_fmac_f64_e32 v[30:31], s[6:7], v[28:29]
	v_mov_b32_e32 v32, 0x623fde64
	v_mov_b32_e32 v33, 0x3ec71dee
	v_fmac_f64_e32 v[32:33], v[28:29], v[30:31]
	v_mov_b32_e32 v30, 0x7c89e6b0
	v_mov_b32_e32 v31, 0x3efa0199
	;; [unrolled: 3-line block ×8, first 2 shown]
	s_mov_b32 s6, 0
	v_fmac_f64_e32 v[30:31], v[28:29], v[32:33]
	s_mov_b32 s7, 0x40900000
	v_fma_f64 v[30:31], v[28:29], v[30:31], 1.0
	v_cmp_nlt_f64_e32 vcc, s[6:7], v[22:23]
	s_mov_b32 s6, 0
	v_fma_f64 v[28:29], v[28:29], v[30:31], 1.0
	v_cvt_i32_f64_e32 v26, v[26:27]
	s_mov_b32 s7, 0xc090cc00
	v_ldexp_f64 v[26:27], v[28:29], v26
	v_mov_b32_e32 v28, 0x7ff00000
	v_cmp_ngt_f64_e64 s[6:7], s[6:7], v[22:23]
	v_cndmask_b32_e32 v27, v28, v27, vcc
	s_and_b64 vcc, s[6:7], vcc
	v_cndmask_b32_e64 v23, 0, v27, s[6:7]
	v_cndmask_b32_e32 v22, 0, v26, vcc
	v_add_f64 v[26:27], v[22:23], 1.0
	v_add_f64 v[28:29], v[26:27], -1.0
	v_add_f64 v[30:31], v[28:29], -v[26:27]
	v_add_f64 v[30:31], v[30:31], 1.0
	v_add_f64 v[28:29], v[22:23], -v[28:29]
	s_mov_b32 s6, 0x55555555
	v_add_f64 v[28:29], v[28:29], v[30:31]
	v_frexp_mant_f64_e32 v[30:31], v[26:27]
	s_mov_b32 s7, 0x3fe55555
	v_frexp_exp_i32_f64_e32 v32, v[26:27]
	v_cmp_gt_f64_e32 vcc, s[6:7], v[30:31]
	v_subbrev_co_u32_e32 v50, vcc, 0, v32, vcc
	v_sub_u32_e32 v30, 0, v50
	v_ldexp_f64 v[26:27], v[26:27], v30
	v_ldexp_f64 v[28:29], v[28:29], v30
	v_add_f64 v[30:31], v[26:27], -1.0
	v_add_f64 v[36:37], v[26:27], 1.0
	v_add_f64 v[32:33], v[30:31], 1.0
	v_add_f64 v[38:39], v[36:37], -1.0
	v_add_f64 v[32:33], v[26:27], -v[32:33]
	v_add_f64 v[26:27], v[26:27], -v[38:39]
	v_add_f64 v[26:27], v[28:29], v[26:27]
	v_add_f64 v[32:33], v[28:29], v[32:33]
	;; [unrolled: 1-line block ×3, first 2 shown]
	v_rcp_f64_e32 v[38:39], v[28:29]
	v_add_f64 v[34:35], v[30:31], v[32:33]
	v_add_f64 v[30:31], v[34:35], -v[30:31]
	v_add_f64 v[30:31], v[32:33], -v[30:31]
	;; [unrolled: 1-line block ×4, first 2 shown]
	v_fma_f64 v[32:33], -v[28:29], v[38:39], 1.0
	v_fmac_f64_e32 v[38:39], v[32:33], v[38:39]
	v_fma_f64 v[32:33], -v[28:29], v[38:39], 1.0
	v_fmac_f64_e32 v[38:39], v[32:33], v[38:39]
	v_mul_f64 v[32:33], v[34:35], v[38:39]
	v_mul_f64 v[36:37], v[28:29], v[32:33]
	v_fma_f64 v[40:41], v[32:33], v[28:29], -v[36:37]
	v_fmac_f64_e32 v[40:41], v[32:33], v[26:27]
	v_add_f64 v[44:45], v[36:37], v[40:41]
	v_add_f64 v[46:47], v[34:35], -v[44:45]
	v_add_f64 v[34:35], v[34:35], -v[46:47]
	;; [unrolled: 1-line block ×4, first 2 shown]
	v_add_f64 v[30:31], v[30:31], v[34:35]
	v_add_f64 v[34:35], v[36:37], -v[40:41]
	v_add_f64 v[30:31], v[34:35], v[30:31]
	v_add_f64 v[34:35], v[46:47], v[30:31]
	v_add_f64 v[36:37], v[46:47], -v[34:35]
	v_add_f64 v[30:31], v[30:31], v[36:37]
	v_mul_f64 v[36:37], v[38:39], v[34:35]
	v_mul_f64 v[40:41], v[28:29], v[36:37]
	v_fma_f64 v[28:29], v[36:37], v[28:29], -v[40:41]
	v_fmac_f64_e32 v[28:29], v[36:37], v[26:27]
	v_add_f64 v[26:27], v[40:41], v[28:29]
	v_add_f64 v[44:45], v[34:35], -v[26:27]
	v_add_f64 v[34:35], v[34:35], -v[44:45]
	;; [unrolled: 1-line block ×4, first 2 shown]
	v_add_f64 v[26:27], v[30:31], v[26:27]
	v_add_f64 v[28:29], v[40:41], -v[28:29]
	v_add_f64 v[26:27], v[28:29], v[26:27]
	v_add_f64 v[28:29], v[32:33], v[36:37]
	;; [unrolled: 1-line block ×3, first 2 shown]
	v_add_f64 v[30:31], v[28:29], -v[32:33]
	v_mul_f64 v[26:27], v[38:39], v[26:27]
	v_add_f64 v[30:31], v[36:37], -v[30:31]
	v_add_f64 v[26:27], v[30:31], v[26:27]
	v_add_f64 v[30:31], v[28:29], v[26:27]
	v_add_f64 v[28:29], v[30:31], -v[28:29]
	s_mov_b32 s6, 0xbf559e2b
	v_add_f64 v[26:27], v[26:27], -v[28:29]
	v_mul_f64 v[28:29], v[30:31], v[30:31]
	v_mov_b32_e32 v32, 0x6b47b09a
	v_mov_b32_e32 v33, 0x3fc38538
	s_mov_b32 s7, 0x3fc3ab76
	v_fmac_f64_e32 v[32:33], s[6:7], v[28:29]
	v_mov_b32_e32 v34, 0xd7f4df2e
	v_mov_b32_e32 v35, 0x3fc7474d
	v_fmac_f64_e32 v[34:35], v[28:29], v[32:33]
	v_mov_b32_e32 v32, 0x16291751
	v_mov_b32_e32 v33, 0x3fcc71c0
	;; [unrolled: 3-line block ×5, first 2 shown]
	v_fmac_f64_e32 v[34:35], v[28:29], v[32:33]
	v_cvt_f64_i32_e32 v[32:33], v50
	s_mov_b32 s11, 0x3fe62e42
	v_mul_f64 v[36:37], v[32:33], s[10:11]
	v_fma_f64 v[38:39], v[32:33], s[10:11], -v[36:37]
	s_mov_b32 s13, 0x3c7abc9e
	v_fmac_f64_e32 v[38:39], s[12:13], v[32:33]
	v_add_f64 v[32:33], v[36:37], v[38:39]
	v_add_f64 v[36:37], v[32:33], -v[36:37]
	v_mul_f64 v[28:29], v[30:31], v[28:29]
	v_add_f64 v[36:37], v[38:39], -v[36:37]
	v_ldexp_f64 v[38:39], v[30:31], 1
	v_mul_f64 v[28:29], v[28:29], v[34:35]
	v_add_f64 v[30:31], v[38:39], v[28:29]
	v_add_f64 v[34:35], v[30:31], -v[38:39]
	v_ldexp_f64 v[26:27], v[26:27], 1
	v_add_f64 v[28:29], v[28:29], -v[34:35]
	v_add_f64 v[26:27], v[26:27], v[28:29]
	v_add_f64 v[28:29], v[30:31], v[26:27]
	v_add_f64 v[30:31], v[28:29], -v[30:31]
	v_add_f64 v[26:27], v[26:27], -v[30:31]
	v_add_f64 v[30:31], v[32:33], v[28:29]
	v_add_f64 v[34:35], v[30:31], -v[32:33]
	v_add_f64 v[38:39], v[30:31], -v[34:35]
	;; [unrolled: 1-line block ×4, first 2 shown]
	v_add_f64 v[28:29], v[28:29], v[32:33]
	v_add_f64 v[32:33], v[36:37], v[26:27]
	v_add_f64 v[34:35], v[32:33], -v[36:37]
	v_add_f64 v[28:29], v[32:33], v[28:29]
	v_add_f64 v[38:39], v[32:33], -v[34:35]
	;; [unrolled: 2-line block ×3, first 2 shown]
	v_add_f64 v[26:27], v[26:27], -v[34:35]
	v_add_f64 v[30:31], v[32:33], -v[30:31]
	v_add_f64 v[26:27], v[26:27], v[36:37]
	v_add_f64 v[28:29], v[28:29], -v[30:31]
	s_mov_b32 s6, 0
	v_add_f64 v[26:27], v[26:27], v[28:29]
	s_mov_b32 s7, 0x7ff00000
	v_add_f64 v[26:27], v[32:33], v[26:27]
	v_cmp_eq_f64_e32 vcc, s[6:7], v[22:23]
	v_cndmask_b32_e32 v26, v26, v22, vcc
	v_cndmask_b32_e32 v27, v27, v23, vcc
	v_mov_b32_e32 v28, 0x7ff80000
	v_cmp_ngt_f64_e32 vcc, -1.0, v[22:23]
	v_cndmask_b32_e32 v27, v28, v27, vcc
	v_cmp_nge_f64_e32 vcc, -1.0, v[22:23]
	v_cndmask_b32_e32 v26, 0, v26, vcc
	v_mov_b32_e32 v28, 0xfff00000
	v_cmp_neq_f64_e32 vcc, -1.0, v[22:23]
	v_cndmask_b32_e32 v27, v28, v27, vcc
	v_add_f64 v[22:23], v[24:25], v[26:27]
.LBB30_31:
	s_or_b64 exec, exec, s[8:9]
	v_max_f64 v[30:31], v[18:19], v[18:19]
	v_max_f64 v[24:25], v[22:23], v[22:23]
	v_min_f64 v[26:27], v[24:25], v[30:31]
	v_cmp_u_f64_e32 vcc, v[22:23], v[22:23]
	v_max_f64 v[24:25], v[24:25], v[30:31]
	v_cndmask_b32_e32 v26, v26, v22, vcc
	v_cndmask_b32_e32 v27, v27, v23, vcc
	v_cmp_u_f64_e64 s[6:7], v[18:19], v[18:19]
	v_cndmask_b32_e32 v24, v24, v22, vcc
	v_cndmask_b32_e32 v25, v25, v23, vcc
	v_cndmask_b32_e64 v27, v27, v19, s[6:7]
	v_cndmask_b32_e64 v26, v26, v18, s[6:7]
	;; [unrolled: 1-line block ×4, first 2 shown]
	v_cmp_neq_f64_e32 vcc, v[26:27], v[24:25]
	v_cmp_class_f64_e64 s[8:9], v[26:27], s14
	s_or_b64 s[8:9], vcc, s[8:9]
	s_and_saveexec_b64 s[10:11], s[8:9]
	s_cbranch_execz .LBB30_33
; %bb.32:
	s_mov_b32 s8, 0x652b82fe
	v_add_f64 v[22:23], v[26:27], -v[24:25]
	s_mov_b32 s9, 0x3ff71547
	v_mul_f64 v[26:27], v[22:23], s[8:9]
	v_rndne_f64_e32 v[26:27], v[26:27]
	s_mov_b32 s13, 0xbfe62e42
	s_mov_b32 s12, 0xfefa39ef
	v_fma_f64 v[28:29], s[12:13], v[26:27], v[22:23]
	s_mov_b32 s15, 0xbc7abc9e
	s_mov_b32 s14, 0x3b39803f
	;; [unrolled: 1-line block ×3, first 2 shown]
	v_fmac_f64_e32 v[28:29], s[14:15], v[26:27]
	v_mov_b32_e32 v32, 0xfca7ab0c
	v_mov_b32_e32 v33, 0x3e928af3
	s_mov_b32 s9, 0x3e5ade15
	v_fmac_f64_e32 v[32:33], s[8:9], v[28:29]
	v_mov_b32_e32 v34, 0x623fde64
	v_mov_b32_e32 v35, 0x3ec71dee
	v_fmac_f64_e32 v[34:35], v[28:29], v[32:33]
	v_mov_b32_e32 v32, 0x7c89e6b0
	v_mov_b32_e32 v33, 0x3efa0199
	;; [unrolled: 3-line block ×8, first 2 shown]
	s_mov_b32 s8, 0
	v_fmac_f64_e32 v[32:33], v[28:29], v[34:35]
	s_mov_b32 s9, 0x40900000
	v_fma_f64 v[32:33], v[28:29], v[32:33], 1.0
	v_cmp_nlt_f64_e32 vcc, s[8:9], v[22:23]
	s_mov_b32 s8, 0
	v_fma_f64 v[28:29], v[28:29], v[32:33], 1.0
	v_cvt_i32_f64_e32 v26, v[26:27]
	s_mov_b32 s9, 0xc090cc00
	v_ldexp_f64 v[26:27], v[28:29], v26
	v_mov_b32_e32 v28, 0x7ff00000
	v_cmp_ngt_f64_e64 s[8:9], s[8:9], v[22:23]
	v_cndmask_b32_e32 v27, v28, v27, vcc
	s_and_b64 vcc, s[8:9], vcc
	v_cndmask_b32_e64 v23, 0, v27, s[8:9]
	v_cndmask_b32_e32 v22, 0, v26, vcc
	v_add_f64 v[26:27], v[22:23], 1.0
	v_add_f64 v[28:29], v[26:27], -1.0
	v_add_f64 v[32:33], v[28:29], -v[26:27]
	v_add_f64 v[32:33], v[32:33], 1.0
	v_add_f64 v[28:29], v[22:23], -v[28:29]
	s_mov_b32 s8, 0x55555555
	v_add_f64 v[28:29], v[28:29], v[32:33]
	v_frexp_mant_f64_e32 v[32:33], v[26:27]
	s_mov_b32 s9, 0x3fe55555
	v_frexp_exp_i32_f64_e32 v34, v[26:27]
	v_cmp_gt_f64_e32 vcc, s[8:9], v[32:33]
	v_subbrev_co_u32_e32 v52, vcc, 0, v34, vcc
	v_sub_u32_e32 v32, 0, v52
	v_ldexp_f64 v[26:27], v[26:27], v32
	v_ldexp_f64 v[28:29], v[28:29], v32
	v_add_f64 v[32:33], v[26:27], -1.0
	v_add_f64 v[38:39], v[26:27], 1.0
	v_add_f64 v[34:35], v[32:33], 1.0
	v_add_f64 v[40:41], v[38:39], -1.0
	v_add_f64 v[34:35], v[26:27], -v[34:35]
	v_add_f64 v[26:27], v[26:27], -v[40:41]
	v_add_f64 v[26:27], v[28:29], v[26:27]
	v_add_f64 v[34:35], v[28:29], v[34:35]
	;; [unrolled: 1-line block ×3, first 2 shown]
	v_rcp_f64_e32 v[40:41], v[28:29]
	v_add_f64 v[36:37], v[32:33], v[34:35]
	v_add_f64 v[32:33], v[36:37], -v[32:33]
	v_add_f64 v[32:33], v[34:35], -v[32:33]
	;; [unrolled: 1-line block ×4, first 2 shown]
	v_fma_f64 v[34:35], -v[28:29], v[40:41], 1.0
	v_fmac_f64_e32 v[40:41], v[34:35], v[40:41]
	v_fma_f64 v[34:35], -v[28:29], v[40:41], 1.0
	v_fmac_f64_e32 v[40:41], v[34:35], v[40:41]
	v_mul_f64 v[34:35], v[36:37], v[40:41]
	v_mul_f64 v[38:39], v[28:29], v[34:35]
	v_fma_f64 v[44:45], v[34:35], v[28:29], -v[38:39]
	v_fmac_f64_e32 v[44:45], v[34:35], v[26:27]
	v_add_f64 v[46:47], v[38:39], v[44:45]
	v_add_f64 v[50:51], v[36:37], -v[46:47]
	v_add_f64 v[36:37], v[36:37], -v[50:51]
	;; [unrolled: 1-line block ×4, first 2 shown]
	v_add_f64 v[32:33], v[32:33], v[36:37]
	v_add_f64 v[36:37], v[38:39], -v[44:45]
	v_add_f64 v[32:33], v[36:37], v[32:33]
	v_add_f64 v[36:37], v[50:51], v[32:33]
	v_add_f64 v[38:39], v[50:51], -v[36:37]
	v_add_f64 v[32:33], v[32:33], v[38:39]
	v_mul_f64 v[38:39], v[40:41], v[36:37]
	v_mul_f64 v[44:45], v[28:29], v[38:39]
	v_fma_f64 v[28:29], v[38:39], v[28:29], -v[44:45]
	v_fmac_f64_e32 v[28:29], v[38:39], v[26:27]
	v_add_f64 v[26:27], v[44:45], v[28:29]
	v_add_f64 v[46:47], v[36:37], -v[26:27]
	v_add_f64 v[36:37], v[36:37], -v[46:47]
	;; [unrolled: 1-line block ×4, first 2 shown]
	v_add_f64 v[26:27], v[32:33], v[26:27]
	v_add_f64 v[28:29], v[44:45], -v[28:29]
	v_add_f64 v[26:27], v[28:29], v[26:27]
	v_add_f64 v[28:29], v[34:35], v[38:39]
	;; [unrolled: 1-line block ×3, first 2 shown]
	v_add_f64 v[32:33], v[28:29], -v[34:35]
	v_mul_f64 v[26:27], v[40:41], v[26:27]
	v_add_f64 v[32:33], v[38:39], -v[32:33]
	v_add_f64 v[26:27], v[32:33], v[26:27]
	v_add_f64 v[32:33], v[28:29], v[26:27]
	v_add_f64 v[28:29], v[32:33], -v[28:29]
	s_mov_b32 s8, 0xbf559e2b
	v_add_f64 v[26:27], v[26:27], -v[28:29]
	v_mul_f64 v[28:29], v[32:33], v[32:33]
	v_mov_b32_e32 v34, 0x6b47b09a
	v_mov_b32_e32 v35, 0x3fc38538
	s_mov_b32 s9, 0x3fc3ab76
	v_fmac_f64_e32 v[34:35], s[8:9], v[28:29]
	v_mov_b32_e32 v36, 0xd7f4df2e
	v_mov_b32_e32 v37, 0x3fc7474d
	v_fmac_f64_e32 v[36:37], v[28:29], v[34:35]
	v_mov_b32_e32 v34, 0x16291751
	v_mov_b32_e32 v35, 0x3fcc71c0
	v_fmac_f64_e32 v[34:35], v[28:29], v[36:37]
	v_mov_b32_e32 v36, 0x9b27acf1
	v_mov_b32_e32 v37, 0x3fd24924
	v_fmac_f64_e32 v[36:37], v[28:29], v[34:35]
	v_mov_b32_e32 v34, 0x998ef7b6
	v_mov_b32_e32 v35, 0x3fd99999
	v_fmac_f64_e32 v[34:35], v[28:29], v[36:37]
	v_mov_b32_e32 v36, 0x55555780
	v_mov_b32_e32 v37, 0x3fe55555
	v_fmac_f64_e32 v[36:37], v[28:29], v[34:35]
	v_cvt_f64_i32_e32 v[34:35], v52
	s_mov_b32 s13, 0x3fe62e42
	v_mul_f64 v[38:39], v[34:35], s[12:13]
	v_fma_f64 v[40:41], v[34:35], s[12:13], -v[38:39]
	s_mov_b32 s15, 0x3c7abc9e
	v_fmac_f64_e32 v[40:41], s[14:15], v[34:35]
	v_add_f64 v[34:35], v[38:39], v[40:41]
	v_add_f64 v[38:39], v[34:35], -v[38:39]
	v_mul_f64 v[28:29], v[32:33], v[28:29]
	v_add_f64 v[38:39], v[40:41], -v[38:39]
	v_ldexp_f64 v[40:41], v[32:33], 1
	v_mul_f64 v[28:29], v[28:29], v[36:37]
	v_add_f64 v[32:33], v[40:41], v[28:29]
	v_add_f64 v[36:37], v[32:33], -v[40:41]
	v_ldexp_f64 v[26:27], v[26:27], 1
	v_add_f64 v[28:29], v[28:29], -v[36:37]
	v_add_f64 v[26:27], v[26:27], v[28:29]
	v_add_f64 v[28:29], v[32:33], v[26:27]
	v_add_f64 v[32:33], v[28:29], -v[32:33]
	v_add_f64 v[26:27], v[26:27], -v[32:33]
	v_add_f64 v[32:33], v[34:35], v[28:29]
	v_add_f64 v[36:37], v[32:33], -v[34:35]
	v_add_f64 v[40:41], v[32:33], -v[36:37]
	;; [unrolled: 1-line block ×4, first 2 shown]
	v_add_f64 v[28:29], v[28:29], v[34:35]
	v_add_f64 v[34:35], v[38:39], v[26:27]
	v_add_f64 v[36:37], v[34:35], -v[38:39]
	v_add_f64 v[28:29], v[34:35], v[28:29]
	v_add_f64 v[40:41], v[34:35], -v[36:37]
	;; [unrolled: 2-line block ×3, first 2 shown]
	v_add_f64 v[26:27], v[26:27], -v[36:37]
	v_add_f64 v[32:33], v[34:35], -v[32:33]
	v_add_f64 v[26:27], v[26:27], v[38:39]
	v_add_f64 v[28:29], v[28:29], -v[32:33]
	s_mov_b32 s8, 0
	v_add_f64 v[26:27], v[26:27], v[28:29]
	s_mov_b32 s9, 0x7ff00000
	v_add_f64 v[26:27], v[34:35], v[26:27]
	v_cmp_eq_f64_e32 vcc, s[8:9], v[22:23]
	v_cndmask_b32_e32 v26, v26, v22, vcc
	v_cndmask_b32_e32 v27, v27, v23, vcc
	v_mov_b32_e32 v28, 0x7ff80000
	v_cmp_ngt_f64_e32 vcc, -1.0, v[22:23]
	v_cndmask_b32_e32 v27, v28, v27, vcc
	v_cmp_nge_f64_e32 vcc, -1.0, v[22:23]
	v_cndmask_b32_e32 v26, 0, v26, vcc
	v_mov_b32_e32 v28, 0xfff00000
	v_cmp_neq_f64_e32 vcc, -1.0, v[22:23]
	v_cndmask_b32_e32 v27, v28, v27, vcc
	v_add_f64 v[22:23], v[24:25], v[26:27]
.LBB30_33:
	s_or_b64 exec, exec, s[10:11]
	v_max_f64 v[32:33], v[20:21], v[20:21]
	v_max_f64 v[24:25], v[22:23], v[22:23]
	v_min_f64 v[26:27], v[24:25], v[32:33]
	v_cmp_u_f64_e32 vcc, v[22:23], v[22:23]
	v_max_f64 v[24:25], v[24:25], v[32:33]
	v_cndmask_b32_e32 v26, v26, v22, vcc
	v_cndmask_b32_e32 v27, v27, v23, vcc
	v_cmp_u_f64_e64 s[8:9], v[20:21], v[20:21]
	v_cndmask_b32_e32 v24, v24, v22, vcc
	v_cndmask_b32_e32 v25, v25, v23, vcc
	v_cndmask_b32_e64 v27, v27, v21, s[8:9]
	v_cndmask_b32_e64 v26, v26, v20, s[8:9]
	;; [unrolled: 1-line block ×4, first 2 shown]
	s_movk_i32 s18, 0x1f8
	v_cmp_neq_f64_e32 vcc, v[26:27], v[24:25]
	v_cmp_class_f64_e64 s[10:11], v[26:27], s18
	s_or_b64 s[10:11], vcc, s[10:11]
	s_and_saveexec_b64 s[12:13], s[10:11]
	s_cbranch_execz .LBB30_35
; %bb.34:
	s_mov_b32 s10, 0x652b82fe
	v_add_f64 v[22:23], v[26:27], -v[24:25]
	s_mov_b32 s11, 0x3ff71547
	v_mul_f64 v[26:27], v[22:23], s[10:11]
	v_rndne_f64_e32 v[26:27], v[26:27]
	s_mov_b32 s15, 0xbfe62e42
	s_mov_b32 s14, 0xfefa39ef
	v_fma_f64 v[28:29], s[14:15], v[26:27], v[22:23]
	s_mov_b32 s17, 0xbc7abc9e
	s_mov_b32 s16, 0x3b39803f
	;; [unrolled: 1-line block ×3, first 2 shown]
	v_fmac_f64_e32 v[28:29], s[16:17], v[26:27]
	v_mov_b32_e32 v34, 0xfca7ab0c
	v_mov_b32_e32 v35, 0x3e928af3
	s_mov_b32 s11, 0x3e5ade15
	v_fmac_f64_e32 v[34:35], s[10:11], v[28:29]
	v_mov_b32_e32 v36, 0x623fde64
	v_mov_b32_e32 v37, 0x3ec71dee
	v_fmac_f64_e32 v[36:37], v[28:29], v[34:35]
	v_mov_b32_e32 v34, 0x7c89e6b0
	v_mov_b32_e32 v35, 0x3efa0199
	;; [unrolled: 3-line block ×8, first 2 shown]
	s_mov_b32 s10, 0
	v_fmac_f64_e32 v[34:35], v[28:29], v[36:37]
	s_mov_b32 s11, 0x40900000
	v_fma_f64 v[34:35], v[28:29], v[34:35], 1.0
	v_cmp_nlt_f64_e32 vcc, s[10:11], v[22:23]
	s_mov_b32 s10, 0
	v_fma_f64 v[28:29], v[28:29], v[34:35], 1.0
	v_cvt_i32_f64_e32 v26, v[26:27]
	s_mov_b32 s11, 0xc090cc00
	v_ldexp_f64 v[26:27], v[28:29], v26
	v_mov_b32_e32 v28, 0x7ff00000
	v_cmp_ngt_f64_e64 s[10:11], s[10:11], v[22:23]
	v_cndmask_b32_e32 v27, v28, v27, vcc
	s_and_b64 vcc, s[10:11], vcc
	v_cndmask_b32_e64 v23, 0, v27, s[10:11]
	v_cndmask_b32_e32 v22, 0, v26, vcc
	v_add_f64 v[26:27], v[22:23], 1.0
	v_add_f64 v[28:29], v[26:27], -1.0
	v_add_f64 v[34:35], v[28:29], -v[26:27]
	v_add_f64 v[34:35], v[34:35], 1.0
	v_add_f64 v[28:29], v[22:23], -v[28:29]
	s_mov_b32 s10, 0x55555555
	v_add_f64 v[28:29], v[28:29], v[34:35]
	v_frexp_mant_f64_e32 v[34:35], v[26:27]
	s_mov_b32 s11, 0x3fe55555
	v_frexp_exp_i32_f64_e32 v36, v[26:27]
	v_cmp_gt_f64_e32 vcc, s[10:11], v[34:35]
	v_subbrev_co_u32_e32 v54, vcc, 0, v36, vcc
	v_sub_u32_e32 v34, 0, v54
	v_ldexp_f64 v[26:27], v[26:27], v34
	v_ldexp_f64 v[28:29], v[28:29], v34
	v_add_f64 v[34:35], v[26:27], -1.0
	v_add_f64 v[40:41], v[26:27], 1.0
	v_add_f64 v[36:37], v[34:35], 1.0
	v_add_f64 v[44:45], v[40:41], -1.0
	v_add_f64 v[36:37], v[26:27], -v[36:37]
	v_add_f64 v[26:27], v[26:27], -v[44:45]
	v_add_f64 v[26:27], v[28:29], v[26:27]
	v_add_f64 v[36:37], v[28:29], v[36:37]
	v_add_f64 v[28:29], v[40:41], v[26:27]
	v_rcp_f64_e32 v[44:45], v[28:29]
	v_add_f64 v[38:39], v[34:35], v[36:37]
	v_add_f64 v[34:35], v[38:39], -v[34:35]
	v_add_f64 v[34:35], v[36:37], -v[34:35]
	;; [unrolled: 1-line block ×4, first 2 shown]
	v_fma_f64 v[36:37], -v[28:29], v[44:45], 1.0
	v_fmac_f64_e32 v[44:45], v[36:37], v[44:45]
	v_fma_f64 v[36:37], -v[28:29], v[44:45], 1.0
	v_fmac_f64_e32 v[44:45], v[36:37], v[44:45]
	v_mul_f64 v[36:37], v[38:39], v[44:45]
	v_mul_f64 v[40:41], v[28:29], v[36:37]
	v_fma_f64 v[46:47], v[36:37], v[28:29], -v[40:41]
	v_fmac_f64_e32 v[46:47], v[36:37], v[26:27]
	v_add_f64 v[50:51], v[40:41], v[46:47]
	v_add_f64 v[52:53], v[38:39], -v[50:51]
	v_add_f64 v[38:39], v[38:39], -v[52:53]
	;; [unrolled: 1-line block ×4, first 2 shown]
	v_add_f64 v[34:35], v[34:35], v[38:39]
	v_add_f64 v[38:39], v[40:41], -v[46:47]
	v_add_f64 v[34:35], v[38:39], v[34:35]
	v_add_f64 v[38:39], v[52:53], v[34:35]
	v_add_f64 v[40:41], v[52:53], -v[38:39]
	v_add_f64 v[34:35], v[34:35], v[40:41]
	v_mul_f64 v[40:41], v[44:45], v[38:39]
	v_mul_f64 v[46:47], v[28:29], v[40:41]
	v_fma_f64 v[28:29], v[40:41], v[28:29], -v[46:47]
	v_fmac_f64_e32 v[28:29], v[40:41], v[26:27]
	v_add_f64 v[26:27], v[46:47], v[28:29]
	v_add_f64 v[50:51], v[38:39], -v[26:27]
	v_add_f64 v[38:39], v[38:39], -v[50:51]
	;; [unrolled: 1-line block ×4, first 2 shown]
	v_add_f64 v[26:27], v[34:35], v[26:27]
	v_add_f64 v[28:29], v[46:47], -v[28:29]
	v_add_f64 v[26:27], v[28:29], v[26:27]
	v_add_f64 v[28:29], v[36:37], v[40:41]
	;; [unrolled: 1-line block ×3, first 2 shown]
	v_add_f64 v[34:35], v[28:29], -v[36:37]
	v_mul_f64 v[26:27], v[44:45], v[26:27]
	v_add_f64 v[34:35], v[40:41], -v[34:35]
	v_add_f64 v[26:27], v[34:35], v[26:27]
	v_add_f64 v[34:35], v[28:29], v[26:27]
	v_add_f64 v[28:29], v[34:35], -v[28:29]
	s_mov_b32 s10, 0xbf559e2b
	v_add_f64 v[26:27], v[26:27], -v[28:29]
	v_mul_f64 v[28:29], v[34:35], v[34:35]
	v_mov_b32_e32 v36, 0x6b47b09a
	v_mov_b32_e32 v37, 0x3fc38538
	s_mov_b32 s11, 0x3fc3ab76
	v_fmac_f64_e32 v[36:37], s[10:11], v[28:29]
	v_mov_b32_e32 v38, 0xd7f4df2e
	v_mov_b32_e32 v39, 0x3fc7474d
	v_fmac_f64_e32 v[38:39], v[28:29], v[36:37]
	v_mov_b32_e32 v36, 0x16291751
	v_mov_b32_e32 v37, 0x3fcc71c0
	;; [unrolled: 3-line block ×5, first 2 shown]
	v_fmac_f64_e32 v[38:39], v[28:29], v[36:37]
	v_cvt_f64_i32_e32 v[36:37], v54
	s_mov_b32 s15, 0x3fe62e42
	v_mul_f64 v[40:41], v[36:37], s[14:15]
	v_fma_f64 v[44:45], v[36:37], s[14:15], -v[40:41]
	s_mov_b32 s17, 0x3c7abc9e
	v_fmac_f64_e32 v[44:45], s[16:17], v[36:37]
	v_add_f64 v[36:37], v[40:41], v[44:45]
	v_add_f64 v[40:41], v[36:37], -v[40:41]
	v_mul_f64 v[28:29], v[34:35], v[28:29]
	v_add_f64 v[40:41], v[44:45], -v[40:41]
	v_ldexp_f64 v[44:45], v[34:35], 1
	v_mul_f64 v[28:29], v[28:29], v[38:39]
	v_add_f64 v[34:35], v[44:45], v[28:29]
	v_add_f64 v[38:39], v[34:35], -v[44:45]
	v_ldexp_f64 v[26:27], v[26:27], 1
	v_add_f64 v[28:29], v[28:29], -v[38:39]
	v_add_f64 v[26:27], v[26:27], v[28:29]
	v_add_f64 v[28:29], v[34:35], v[26:27]
	v_add_f64 v[34:35], v[28:29], -v[34:35]
	v_add_f64 v[26:27], v[26:27], -v[34:35]
	v_add_f64 v[34:35], v[36:37], v[28:29]
	v_add_f64 v[38:39], v[34:35], -v[36:37]
	v_add_f64 v[44:45], v[34:35], -v[38:39]
	;; [unrolled: 1-line block ×4, first 2 shown]
	v_add_f64 v[28:29], v[28:29], v[36:37]
	v_add_f64 v[36:37], v[40:41], v[26:27]
	v_add_f64 v[38:39], v[36:37], -v[40:41]
	v_add_f64 v[28:29], v[36:37], v[28:29]
	v_add_f64 v[44:45], v[36:37], -v[38:39]
	;; [unrolled: 2-line block ×3, first 2 shown]
	v_add_f64 v[26:27], v[26:27], -v[38:39]
	v_add_f64 v[34:35], v[36:37], -v[34:35]
	v_add_f64 v[26:27], v[26:27], v[40:41]
	v_add_f64 v[28:29], v[28:29], -v[34:35]
	s_mov_b32 s10, 0
	v_add_f64 v[26:27], v[26:27], v[28:29]
	s_mov_b32 s11, 0x7ff00000
	v_add_f64 v[26:27], v[36:37], v[26:27]
	v_cmp_eq_f64_e32 vcc, s[10:11], v[22:23]
	v_cndmask_b32_e32 v26, v26, v22, vcc
	v_cndmask_b32_e32 v27, v27, v23, vcc
	v_mov_b32_e32 v28, 0x7ff80000
	v_cmp_ngt_f64_e32 vcc, -1.0, v[22:23]
	v_cndmask_b32_e32 v27, v28, v27, vcc
	v_cmp_nge_f64_e32 vcc, -1.0, v[22:23]
	v_cndmask_b32_e32 v26, 0, v26, vcc
	v_mov_b32_e32 v28, 0xfff00000
	v_cmp_neq_f64_e32 vcc, -1.0, v[22:23]
	v_cndmask_b32_e32 v27, v28, v27, vcc
	v_add_f64 v[22:23], v[24:25], v[26:27]
.LBB30_35:
	s_or_b64 exec, exec, s[12:13]
	v_max_f64 v[34:35], v[14:15], v[14:15]
	v_max_f64 v[24:25], v[22:23], v[22:23]
	v_min_f64 v[26:27], v[24:25], v[34:35]
	v_cmp_u_f64_e32 vcc, v[22:23], v[22:23]
	v_max_f64 v[24:25], v[24:25], v[34:35]
	v_cndmask_b32_e32 v26, v26, v22, vcc
	v_cndmask_b32_e32 v27, v27, v23, vcc
	v_cmp_u_f64_e64 s[10:11], v[14:15], v[14:15]
	v_cndmask_b32_e32 v24, v24, v22, vcc
	v_cndmask_b32_e32 v25, v25, v23, vcc
	v_cndmask_b32_e64 v27, v27, v15, s[10:11]
	v_cndmask_b32_e64 v26, v26, v14, s[10:11]
	;; [unrolled: 1-line block ×4, first 2 shown]
	v_cmp_neq_f64_e32 vcc, v[26:27], v[24:25]
	v_cmp_class_f64_e64 s[12:13], v[26:27], s18
	s_or_b64 s[12:13], vcc, s[12:13]
	s_and_saveexec_b64 s[14:15], s[12:13]
	s_cbranch_execz .LBB30_37
; %bb.36:
	s_mov_b32 s12, 0x652b82fe
	v_add_f64 v[22:23], v[26:27], -v[24:25]
	s_mov_b32 s13, 0x3ff71547
	v_mul_f64 v[26:27], v[22:23], s[12:13]
	v_rndne_f64_e32 v[26:27], v[26:27]
	s_mov_b32 s17, 0xbfe62e42
	s_mov_b32 s16, 0xfefa39ef
	v_fma_f64 v[28:29], s[16:17], v[26:27], v[22:23]
	s_mov_b32 s19, 0xbc7abc9e
	s_mov_b32 s18, 0x3b39803f
	;; [unrolled: 1-line block ×3, first 2 shown]
	v_fmac_f64_e32 v[28:29], s[18:19], v[26:27]
	v_mov_b32_e32 v36, 0xfca7ab0c
	v_mov_b32_e32 v37, 0x3e928af3
	s_mov_b32 s13, 0x3e5ade15
	v_fmac_f64_e32 v[36:37], s[12:13], v[28:29]
	v_mov_b32_e32 v38, 0x623fde64
	v_mov_b32_e32 v39, 0x3ec71dee
	v_fmac_f64_e32 v[38:39], v[28:29], v[36:37]
	v_mov_b32_e32 v36, 0x7c89e6b0
	v_mov_b32_e32 v37, 0x3efa0199
	;; [unrolled: 3-line block ×8, first 2 shown]
	s_mov_b32 s12, 0
	v_fmac_f64_e32 v[36:37], v[28:29], v[38:39]
	s_mov_b32 s13, 0x40900000
	v_fma_f64 v[36:37], v[28:29], v[36:37], 1.0
	v_cmp_nlt_f64_e32 vcc, s[12:13], v[22:23]
	s_mov_b32 s12, 0
	v_fma_f64 v[28:29], v[28:29], v[36:37], 1.0
	v_cvt_i32_f64_e32 v26, v[26:27]
	s_mov_b32 s13, 0xc090cc00
	v_ldexp_f64 v[26:27], v[28:29], v26
	v_mov_b32_e32 v28, 0x7ff00000
	v_cmp_ngt_f64_e64 s[12:13], s[12:13], v[22:23]
	v_cndmask_b32_e32 v27, v28, v27, vcc
	s_and_b64 vcc, s[12:13], vcc
	v_cndmask_b32_e64 v23, 0, v27, s[12:13]
	v_cndmask_b32_e32 v22, 0, v26, vcc
	v_add_f64 v[26:27], v[22:23], 1.0
	v_add_f64 v[28:29], v[26:27], -1.0
	v_add_f64 v[36:37], v[28:29], -v[26:27]
	v_add_f64 v[36:37], v[36:37], 1.0
	v_add_f64 v[28:29], v[22:23], -v[28:29]
	s_mov_b32 s12, 0x55555555
	v_add_f64 v[28:29], v[28:29], v[36:37]
	v_frexp_mant_f64_e32 v[36:37], v[26:27]
	s_mov_b32 s13, 0x3fe55555
	v_frexp_exp_i32_f64_e32 v38, v[26:27]
	v_cmp_gt_f64_e32 vcc, s[12:13], v[36:37]
	v_subbrev_co_u32_e32 v56, vcc, 0, v38, vcc
	v_sub_u32_e32 v36, 0, v56
	v_ldexp_f64 v[26:27], v[26:27], v36
	v_ldexp_f64 v[28:29], v[28:29], v36
	v_add_f64 v[36:37], v[26:27], -1.0
	v_add_f64 v[44:45], v[26:27], 1.0
	v_add_f64 v[38:39], v[36:37], 1.0
	v_add_f64 v[46:47], v[44:45], -1.0
	v_add_f64 v[38:39], v[26:27], -v[38:39]
	v_add_f64 v[26:27], v[26:27], -v[46:47]
	v_add_f64 v[26:27], v[28:29], v[26:27]
	v_add_f64 v[38:39], v[28:29], v[38:39]
	;; [unrolled: 1-line block ×3, first 2 shown]
	v_rcp_f64_e32 v[46:47], v[28:29]
	v_add_f64 v[40:41], v[36:37], v[38:39]
	v_add_f64 v[36:37], v[40:41], -v[36:37]
	v_add_f64 v[36:37], v[38:39], -v[36:37]
	;; [unrolled: 1-line block ×4, first 2 shown]
	v_fma_f64 v[38:39], -v[28:29], v[46:47], 1.0
	v_fmac_f64_e32 v[46:47], v[38:39], v[46:47]
	v_fma_f64 v[38:39], -v[28:29], v[46:47], 1.0
	v_fmac_f64_e32 v[46:47], v[38:39], v[46:47]
	v_mul_f64 v[38:39], v[40:41], v[46:47]
	v_mul_f64 v[44:45], v[28:29], v[38:39]
	v_fma_f64 v[50:51], v[38:39], v[28:29], -v[44:45]
	v_fmac_f64_e32 v[50:51], v[38:39], v[26:27]
	v_add_f64 v[52:53], v[44:45], v[50:51]
	v_add_f64 v[54:55], v[40:41], -v[52:53]
	v_add_f64 v[40:41], v[40:41], -v[54:55]
	;; [unrolled: 1-line block ×4, first 2 shown]
	v_add_f64 v[36:37], v[36:37], v[40:41]
	v_add_f64 v[40:41], v[44:45], -v[50:51]
	v_add_f64 v[36:37], v[40:41], v[36:37]
	v_add_f64 v[40:41], v[54:55], v[36:37]
	v_add_f64 v[44:45], v[54:55], -v[40:41]
	v_add_f64 v[36:37], v[36:37], v[44:45]
	v_mul_f64 v[44:45], v[46:47], v[40:41]
	v_mul_f64 v[50:51], v[28:29], v[44:45]
	v_fma_f64 v[28:29], v[44:45], v[28:29], -v[50:51]
	v_fmac_f64_e32 v[28:29], v[44:45], v[26:27]
	v_add_f64 v[26:27], v[50:51], v[28:29]
	v_add_f64 v[52:53], v[40:41], -v[26:27]
	v_add_f64 v[40:41], v[40:41], -v[52:53]
	;; [unrolled: 1-line block ×4, first 2 shown]
	v_add_f64 v[26:27], v[36:37], v[26:27]
	v_add_f64 v[28:29], v[50:51], -v[28:29]
	v_add_f64 v[26:27], v[28:29], v[26:27]
	v_add_f64 v[28:29], v[38:39], v[44:45]
	;; [unrolled: 1-line block ×3, first 2 shown]
	v_add_f64 v[36:37], v[28:29], -v[38:39]
	v_mul_f64 v[26:27], v[46:47], v[26:27]
	v_add_f64 v[36:37], v[44:45], -v[36:37]
	v_add_f64 v[26:27], v[36:37], v[26:27]
	v_add_f64 v[36:37], v[28:29], v[26:27]
	v_add_f64 v[28:29], v[36:37], -v[28:29]
	s_mov_b32 s12, 0xbf559e2b
	v_add_f64 v[26:27], v[26:27], -v[28:29]
	v_mul_f64 v[28:29], v[36:37], v[36:37]
	v_mov_b32_e32 v38, 0x6b47b09a
	v_mov_b32_e32 v39, 0x3fc38538
	s_mov_b32 s13, 0x3fc3ab76
	v_fmac_f64_e32 v[38:39], s[12:13], v[28:29]
	v_mov_b32_e32 v40, 0xd7f4df2e
	v_mov_b32_e32 v41, 0x3fc7474d
	v_fmac_f64_e32 v[40:41], v[28:29], v[38:39]
	v_mov_b32_e32 v38, 0x16291751
	v_mov_b32_e32 v39, 0x3fcc71c0
	v_fmac_f64_e32 v[38:39], v[28:29], v[40:41]
	v_mov_b32_e32 v40, 0x9b27acf1
	v_mov_b32_e32 v41, 0x3fd24924
	v_fmac_f64_e32 v[40:41], v[28:29], v[38:39]
	v_mov_b32_e32 v38, 0x998ef7b6
	v_mov_b32_e32 v39, 0x3fd99999
	v_fmac_f64_e32 v[38:39], v[28:29], v[40:41]
	v_mov_b32_e32 v40, 0x55555780
	v_mov_b32_e32 v41, 0x3fe55555
	v_fmac_f64_e32 v[40:41], v[28:29], v[38:39]
	v_cvt_f64_i32_e32 v[38:39], v56
	s_mov_b32 s17, 0x3fe62e42
	v_mul_f64 v[44:45], v[38:39], s[16:17]
	v_fma_f64 v[46:47], v[38:39], s[16:17], -v[44:45]
	s_mov_b32 s19, 0x3c7abc9e
	v_fmac_f64_e32 v[46:47], s[18:19], v[38:39]
	v_add_f64 v[38:39], v[44:45], v[46:47]
	v_add_f64 v[44:45], v[38:39], -v[44:45]
	v_mul_f64 v[28:29], v[36:37], v[28:29]
	v_add_f64 v[44:45], v[46:47], -v[44:45]
	v_ldexp_f64 v[46:47], v[36:37], 1
	v_mul_f64 v[28:29], v[28:29], v[40:41]
	v_add_f64 v[36:37], v[46:47], v[28:29]
	v_add_f64 v[40:41], v[36:37], -v[46:47]
	v_ldexp_f64 v[26:27], v[26:27], 1
	v_add_f64 v[28:29], v[28:29], -v[40:41]
	v_add_f64 v[26:27], v[26:27], v[28:29]
	v_add_f64 v[28:29], v[36:37], v[26:27]
	v_add_f64 v[36:37], v[28:29], -v[36:37]
	v_add_f64 v[26:27], v[26:27], -v[36:37]
	v_add_f64 v[36:37], v[38:39], v[28:29]
	v_add_f64 v[40:41], v[36:37], -v[38:39]
	v_add_f64 v[46:47], v[36:37], -v[40:41]
	;; [unrolled: 1-line block ×4, first 2 shown]
	v_add_f64 v[28:29], v[28:29], v[38:39]
	v_add_f64 v[38:39], v[44:45], v[26:27]
	v_add_f64 v[40:41], v[38:39], -v[44:45]
	v_add_f64 v[28:29], v[38:39], v[28:29]
	v_add_f64 v[46:47], v[38:39], -v[40:41]
	;; [unrolled: 2-line block ×3, first 2 shown]
	v_add_f64 v[26:27], v[26:27], -v[40:41]
	v_add_f64 v[36:37], v[38:39], -v[36:37]
	v_add_f64 v[26:27], v[26:27], v[44:45]
	v_add_f64 v[28:29], v[28:29], -v[36:37]
	s_mov_b32 s12, 0
	v_add_f64 v[26:27], v[26:27], v[28:29]
	s_mov_b32 s13, 0x7ff00000
	v_add_f64 v[26:27], v[38:39], v[26:27]
	v_cmp_eq_f64_e32 vcc, s[12:13], v[22:23]
	v_cndmask_b32_e32 v26, v26, v22, vcc
	v_cndmask_b32_e32 v27, v27, v23, vcc
	v_mov_b32_e32 v28, 0x7ff80000
	v_cmp_ngt_f64_e32 vcc, -1.0, v[22:23]
	v_cndmask_b32_e32 v27, v28, v27, vcc
	v_cmp_nge_f64_e32 vcc, -1.0, v[22:23]
	v_cndmask_b32_e32 v26, 0, v26, vcc
	v_mov_b32_e32 v28, 0xfff00000
	v_cmp_neq_f64_e32 vcc, -1.0, v[22:23]
	v_cndmask_b32_e32 v27, v28, v27, vcc
	v_add_f64 v[22:23], v[24:25], v[26:27]
.LBB30_37:
	s_or_b64 exec, exec, s[14:15]
	v_max_f64 v[36:37], v[16:17], v[16:17]
	v_max_f64 v[24:25], v[22:23], v[22:23]
	v_min_f64 v[26:27], v[24:25], v[36:37]
	v_cmp_u_f64_e32 vcc, v[22:23], v[22:23]
	v_max_f64 v[24:25], v[24:25], v[36:37]
	v_cndmask_b32_e32 v26, v26, v22, vcc
	v_cndmask_b32_e32 v27, v27, v23, vcc
	v_cmp_u_f64_e64 s[12:13], v[16:17], v[16:17]
	v_cndmask_b32_e32 v24, v24, v22, vcc
	v_cndmask_b32_e32 v25, v25, v23, vcc
	v_cndmask_b32_e64 v27, v27, v17, s[12:13]
	v_cndmask_b32_e64 v26, v26, v16, s[12:13]
	;; [unrolled: 1-line block ×4, first 2 shown]
	s_movk_i32 s24, 0x1f8
	v_cmp_neq_f64_e32 vcc, v[26:27], v[24:25]
	v_cmp_class_f64_e64 s[14:15], v[26:27], s24
	s_or_b64 s[14:15], vcc, s[14:15]
	s_and_saveexec_b64 s[16:17], s[14:15]
	s_cbranch_execz .LBB30_39
; %bb.38:
	s_mov_b32 s14, 0x652b82fe
	v_add_f64 v[22:23], v[26:27], -v[24:25]
	s_mov_b32 s15, 0x3ff71547
	v_mul_f64 v[26:27], v[22:23], s[14:15]
	v_rndne_f64_e32 v[26:27], v[26:27]
	s_mov_b32 s19, 0xbfe62e42
	s_mov_b32 s18, 0xfefa39ef
	v_fma_f64 v[28:29], s[18:19], v[26:27], v[22:23]
	s_mov_b32 s21, 0xbc7abc9e
	s_mov_b32 s20, 0x3b39803f
	;; [unrolled: 1-line block ×3, first 2 shown]
	v_fmac_f64_e32 v[28:29], s[20:21], v[26:27]
	v_mov_b32_e32 v38, 0xfca7ab0c
	v_mov_b32_e32 v39, 0x3e928af3
	s_mov_b32 s15, 0x3e5ade15
	v_fmac_f64_e32 v[38:39], s[14:15], v[28:29]
	v_mov_b32_e32 v40, 0x623fde64
	v_mov_b32_e32 v41, 0x3ec71dee
	v_fmac_f64_e32 v[40:41], v[28:29], v[38:39]
	v_mov_b32_e32 v38, 0x7c89e6b0
	v_mov_b32_e32 v39, 0x3efa0199
	;; [unrolled: 3-line block ×8, first 2 shown]
	s_mov_b32 s14, 0
	v_fmac_f64_e32 v[38:39], v[28:29], v[40:41]
	s_mov_b32 s15, 0x40900000
	v_fma_f64 v[38:39], v[28:29], v[38:39], 1.0
	v_cmp_nlt_f64_e32 vcc, s[14:15], v[22:23]
	s_mov_b32 s14, 0
	v_fma_f64 v[28:29], v[28:29], v[38:39], 1.0
	v_cvt_i32_f64_e32 v26, v[26:27]
	s_mov_b32 s15, 0xc090cc00
	v_ldexp_f64 v[26:27], v[28:29], v26
	v_mov_b32_e32 v28, 0x7ff00000
	v_cmp_ngt_f64_e64 s[14:15], s[14:15], v[22:23]
	v_cndmask_b32_e32 v27, v28, v27, vcc
	s_and_b64 vcc, s[14:15], vcc
	v_cndmask_b32_e64 v23, 0, v27, s[14:15]
	v_cndmask_b32_e32 v22, 0, v26, vcc
	v_add_f64 v[26:27], v[22:23], 1.0
	v_add_f64 v[28:29], v[26:27], -1.0
	v_add_f64 v[38:39], v[28:29], -v[26:27]
	v_add_f64 v[38:39], v[38:39], 1.0
	v_add_f64 v[28:29], v[22:23], -v[28:29]
	s_mov_b32 s14, 0x55555555
	v_add_f64 v[28:29], v[28:29], v[38:39]
	v_frexp_mant_f64_e32 v[38:39], v[26:27]
	s_mov_b32 s15, 0x3fe55555
	v_frexp_exp_i32_f64_e32 v40, v[26:27]
	v_cmp_gt_f64_e32 vcc, s[14:15], v[38:39]
	v_subbrev_co_u32_e32 v58, vcc, 0, v40, vcc
	v_sub_u32_e32 v38, 0, v58
	v_ldexp_f64 v[26:27], v[26:27], v38
	v_ldexp_f64 v[28:29], v[28:29], v38
	v_add_f64 v[38:39], v[26:27], -1.0
	v_add_f64 v[46:47], v[26:27], 1.0
	v_add_f64 v[40:41], v[38:39], 1.0
	v_add_f64 v[50:51], v[46:47], -1.0
	v_add_f64 v[40:41], v[26:27], -v[40:41]
	v_add_f64 v[26:27], v[26:27], -v[50:51]
	v_add_f64 v[26:27], v[28:29], v[26:27]
	v_add_f64 v[40:41], v[28:29], v[40:41]
	;; [unrolled: 1-line block ×3, first 2 shown]
	v_rcp_f64_e32 v[50:51], v[28:29]
	v_add_f64 v[44:45], v[38:39], v[40:41]
	v_add_f64 v[38:39], v[44:45], -v[38:39]
	v_add_f64 v[38:39], v[40:41], -v[38:39]
	;; [unrolled: 1-line block ×4, first 2 shown]
	v_fma_f64 v[40:41], -v[28:29], v[50:51], 1.0
	v_fmac_f64_e32 v[50:51], v[40:41], v[50:51]
	v_fma_f64 v[40:41], -v[28:29], v[50:51], 1.0
	v_fmac_f64_e32 v[50:51], v[40:41], v[50:51]
	v_mul_f64 v[40:41], v[44:45], v[50:51]
	v_mul_f64 v[46:47], v[28:29], v[40:41]
	v_fma_f64 v[52:53], v[40:41], v[28:29], -v[46:47]
	v_fmac_f64_e32 v[52:53], v[40:41], v[26:27]
	v_add_f64 v[54:55], v[46:47], v[52:53]
	v_add_f64 v[56:57], v[44:45], -v[54:55]
	v_add_f64 v[44:45], v[44:45], -v[56:57]
	;; [unrolled: 1-line block ×4, first 2 shown]
	v_add_f64 v[38:39], v[38:39], v[44:45]
	v_add_f64 v[44:45], v[46:47], -v[52:53]
	v_add_f64 v[38:39], v[44:45], v[38:39]
	v_add_f64 v[44:45], v[56:57], v[38:39]
	v_add_f64 v[46:47], v[56:57], -v[44:45]
	v_add_f64 v[38:39], v[38:39], v[46:47]
	v_mul_f64 v[46:47], v[50:51], v[44:45]
	v_mul_f64 v[52:53], v[28:29], v[46:47]
	v_fma_f64 v[28:29], v[46:47], v[28:29], -v[52:53]
	v_fmac_f64_e32 v[28:29], v[46:47], v[26:27]
	v_add_f64 v[26:27], v[52:53], v[28:29]
	v_add_f64 v[54:55], v[44:45], -v[26:27]
	v_add_f64 v[44:45], v[44:45], -v[54:55]
	;; [unrolled: 1-line block ×4, first 2 shown]
	v_add_f64 v[26:27], v[38:39], v[26:27]
	v_add_f64 v[28:29], v[52:53], -v[28:29]
	v_add_f64 v[26:27], v[28:29], v[26:27]
	v_add_f64 v[28:29], v[40:41], v[46:47]
	v_add_f64 v[26:27], v[54:55], v[26:27]
	v_add_f64 v[38:39], v[28:29], -v[40:41]
	v_mul_f64 v[26:27], v[50:51], v[26:27]
	v_add_f64 v[38:39], v[46:47], -v[38:39]
	v_add_f64 v[26:27], v[38:39], v[26:27]
	v_add_f64 v[38:39], v[28:29], v[26:27]
	v_add_f64 v[28:29], v[38:39], -v[28:29]
	s_mov_b32 s14, 0xbf559e2b
	v_add_f64 v[26:27], v[26:27], -v[28:29]
	v_mul_f64 v[28:29], v[38:39], v[38:39]
	v_mov_b32_e32 v40, 0x6b47b09a
	v_mov_b32_e32 v41, 0x3fc38538
	s_mov_b32 s15, 0x3fc3ab76
	v_fmac_f64_e32 v[40:41], s[14:15], v[28:29]
	v_mov_b32_e32 v44, 0xd7f4df2e
	v_mov_b32_e32 v45, 0x3fc7474d
	v_fmac_f64_e32 v[44:45], v[28:29], v[40:41]
	v_mov_b32_e32 v40, 0x16291751
	v_mov_b32_e32 v41, 0x3fcc71c0
	;; [unrolled: 3-line block ×5, first 2 shown]
	v_fmac_f64_e32 v[44:45], v[28:29], v[40:41]
	v_cvt_f64_i32_e32 v[40:41], v58
	s_mov_b32 s19, 0x3fe62e42
	v_mul_f64 v[46:47], v[40:41], s[18:19]
	v_fma_f64 v[50:51], v[40:41], s[18:19], -v[46:47]
	s_mov_b32 s21, 0x3c7abc9e
	v_fmac_f64_e32 v[50:51], s[20:21], v[40:41]
	v_add_f64 v[40:41], v[46:47], v[50:51]
	v_add_f64 v[46:47], v[40:41], -v[46:47]
	v_mul_f64 v[28:29], v[38:39], v[28:29]
	v_add_f64 v[46:47], v[50:51], -v[46:47]
	v_ldexp_f64 v[50:51], v[38:39], 1
	v_mul_f64 v[28:29], v[28:29], v[44:45]
	v_add_f64 v[38:39], v[50:51], v[28:29]
	v_add_f64 v[44:45], v[38:39], -v[50:51]
	v_ldexp_f64 v[26:27], v[26:27], 1
	v_add_f64 v[28:29], v[28:29], -v[44:45]
	v_add_f64 v[26:27], v[26:27], v[28:29]
	v_add_f64 v[28:29], v[38:39], v[26:27]
	v_add_f64 v[38:39], v[28:29], -v[38:39]
	v_add_f64 v[26:27], v[26:27], -v[38:39]
	v_add_f64 v[38:39], v[40:41], v[28:29]
	v_add_f64 v[44:45], v[38:39], -v[40:41]
	v_add_f64 v[50:51], v[38:39], -v[44:45]
	v_add_f64 v[40:41], v[40:41], -v[50:51]
	v_add_f64 v[28:29], v[28:29], -v[44:45]
	v_add_f64 v[28:29], v[28:29], v[40:41]
	v_add_f64 v[40:41], v[46:47], v[26:27]
	v_add_f64 v[44:45], v[40:41], -v[46:47]
	v_add_f64 v[28:29], v[40:41], v[28:29]
	v_add_f64 v[50:51], v[40:41], -v[44:45]
	;; [unrolled: 2-line block ×3, first 2 shown]
	v_add_f64 v[26:27], v[26:27], -v[44:45]
	v_add_f64 v[38:39], v[40:41], -v[38:39]
	v_add_f64 v[26:27], v[26:27], v[46:47]
	v_add_f64 v[28:29], v[28:29], -v[38:39]
	s_mov_b32 s14, 0
	v_add_f64 v[26:27], v[26:27], v[28:29]
	s_mov_b32 s15, 0x7ff00000
	v_add_f64 v[26:27], v[40:41], v[26:27]
	v_cmp_eq_f64_e32 vcc, s[14:15], v[22:23]
	v_cndmask_b32_e32 v26, v26, v22, vcc
	v_cndmask_b32_e32 v27, v27, v23, vcc
	v_mov_b32_e32 v28, 0x7ff80000
	v_cmp_ngt_f64_e32 vcc, -1.0, v[22:23]
	v_cndmask_b32_e32 v27, v28, v27, vcc
	v_cmp_nge_f64_e32 vcc, -1.0, v[22:23]
	v_cndmask_b32_e32 v26, 0, v26, vcc
	v_mov_b32_e32 v28, 0xfff00000
	v_cmp_neq_f64_e32 vcc, -1.0, v[22:23]
	v_cndmask_b32_e32 v27, v28, v27, vcc
	v_add_f64 v[22:23], v[24:25], v[26:27]
.LBB30_39:
	s_or_b64 exec, exec, s[16:17]
	v_max_f64 v[38:39], v[10:11], v[10:11]
	v_max_f64 v[24:25], v[22:23], v[22:23]
	v_min_f64 v[26:27], v[24:25], v[38:39]
	v_cmp_u_f64_e32 vcc, v[22:23], v[22:23]
	v_max_f64 v[24:25], v[24:25], v[38:39]
	v_cndmask_b32_e32 v26, v26, v22, vcc
	v_cndmask_b32_e32 v27, v27, v23, vcc
	v_cmp_u_f64_e64 s[14:15], v[10:11], v[10:11]
	v_cndmask_b32_e32 v24, v24, v22, vcc
	v_cndmask_b32_e32 v25, v25, v23, vcc
	v_cndmask_b32_e64 v27, v27, v11, s[14:15]
	v_cndmask_b32_e64 v26, v26, v10, s[14:15]
	;; [unrolled: 1-line block ×4, first 2 shown]
	v_cmp_neq_f64_e32 vcc, v[26:27], v[24:25]
	v_cmp_class_f64_e64 s[16:17], v[26:27], s24
	s_or_b64 s[16:17], vcc, s[16:17]
	s_and_saveexec_b64 s[18:19], s[16:17]
	s_cbranch_execz .LBB30_41
; %bb.40:
	s_mov_b32 s16, 0x652b82fe
	v_add_f64 v[22:23], v[26:27], -v[24:25]
	s_mov_b32 s17, 0x3ff71547
	v_mul_f64 v[26:27], v[22:23], s[16:17]
	v_rndne_f64_e32 v[26:27], v[26:27]
	s_mov_b32 s21, 0xbfe62e42
	s_mov_b32 s20, 0xfefa39ef
	v_fma_f64 v[28:29], s[20:21], v[26:27], v[22:23]
	s_mov_b32 s25, 0xbc7abc9e
	s_mov_b32 s24, 0x3b39803f
	;; [unrolled: 1-line block ×3, first 2 shown]
	v_fmac_f64_e32 v[28:29], s[24:25], v[26:27]
	v_mov_b32_e32 v40, 0xfca7ab0c
	v_mov_b32_e32 v41, 0x3e928af3
	s_mov_b32 s17, 0x3e5ade15
	v_fmac_f64_e32 v[40:41], s[16:17], v[28:29]
	v_mov_b32_e32 v44, 0x623fde64
	v_mov_b32_e32 v45, 0x3ec71dee
	v_fmac_f64_e32 v[44:45], v[28:29], v[40:41]
	v_mov_b32_e32 v40, 0x7c89e6b0
	v_mov_b32_e32 v41, 0x3efa0199
	;; [unrolled: 3-line block ×8, first 2 shown]
	s_mov_b32 s16, 0
	v_fmac_f64_e32 v[40:41], v[28:29], v[44:45]
	s_mov_b32 s17, 0x40900000
	v_fma_f64 v[40:41], v[28:29], v[40:41], 1.0
	v_cmp_nlt_f64_e32 vcc, s[16:17], v[22:23]
	s_mov_b32 s16, 0
	v_fma_f64 v[28:29], v[28:29], v[40:41], 1.0
	v_cvt_i32_f64_e32 v26, v[26:27]
	s_mov_b32 s17, 0xc090cc00
	v_ldexp_f64 v[26:27], v[28:29], v26
	v_mov_b32_e32 v28, 0x7ff00000
	v_cmp_ngt_f64_e64 s[16:17], s[16:17], v[22:23]
	v_cndmask_b32_e32 v27, v28, v27, vcc
	s_and_b64 vcc, s[16:17], vcc
	v_cndmask_b32_e64 v23, 0, v27, s[16:17]
	v_cndmask_b32_e32 v22, 0, v26, vcc
	v_add_f64 v[26:27], v[22:23], 1.0
	v_add_f64 v[28:29], v[26:27], -1.0
	v_add_f64 v[40:41], v[28:29], -v[26:27]
	v_add_f64 v[40:41], v[40:41], 1.0
	v_add_f64 v[28:29], v[22:23], -v[28:29]
	s_mov_b32 s16, 0x55555555
	v_add_f64 v[28:29], v[28:29], v[40:41]
	v_frexp_mant_f64_e32 v[40:41], v[26:27]
	s_mov_b32 s17, 0x3fe55555
	v_frexp_exp_i32_f64_e32 v44, v[26:27]
	v_cmp_gt_f64_e32 vcc, s[16:17], v[40:41]
	v_subbrev_co_u32_e32 v60, vcc, 0, v44, vcc
	v_sub_u32_e32 v40, 0, v60
	v_ldexp_f64 v[26:27], v[26:27], v40
	v_ldexp_f64 v[28:29], v[28:29], v40
	v_add_f64 v[40:41], v[26:27], -1.0
	v_add_f64 v[50:51], v[26:27], 1.0
	v_add_f64 v[44:45], v[40:41], 1.0
	v_add_f64 v[52:53], v[50:51], -1.0
	v_add_f64 v[44:45], v[26:27], -v[44:45]
	v_add_f64 v[26:27], v[26:27], -v[52:53]
	v_add_f64 v[26:27], v[28:29], v[26:27]
	v_add_f64 v[44:45], v[28:29], v[44:45]
	;; [unrolled: 1-line block ×3, first 2 shown]
	v_rcp_f64_e32 v[52:53], v[28:29]
	v_add_f64 v[46:47], v[40:41], v[44:45]
	v_add_f64 v[40:41], v[46:47], -v[40:41]
	v_add_f64 v[40:41], v[44:45], -v[40:41]
	;; [unrolled: 1-line block ×4, first 2 shown]
	v_fma_f64 v[44:45], -v[28:29], v[52:53], 1.0
	v_fmac_f64_e32 v[52:53], v[44:45], v[52:53]
	v_fma_f64 v[44:45], -v[28:29], v[52:53], 1.0
	v_fmac_f64_e32 v[52:53], v[44:45], v[52:53]
	v_mul_f64 v[44:45], v[46:47], v[52:53]
	v_mul_f64 v[50:51], v[28:29], v[44:45]
	v_fma_f64 v[54:55], v[44:45], v[28:29], -v[50:51]
	v_fmac_f64_e32 v[54:55], v[44:45], v[26:27]
	v_add_f64 v[56:57], v[50:51], v[54:55]
	v_add_f64 v[58:59], v[46:47], -v[56:57]
	v_add_f64 v[46:47], v[46:47], -v[58:59]
	v_add_f64 v[50:51], v[56:57], -v[50:51]
	v_add_f64 v[46:47], v[46:47], -v[56:57]
	v_add_f64 v[40:41], v[40:41], v[46:47]
	v_add_f64 v[46:47], v[50:51], -v[54:55]
	v_add_f64 v[40:41], v[46:47], v[40:41]
	v_add_f64 v[46:47], v[58:59], v[40:41]
	v_add_f64 v[50:51], v[58:59], -v[46:47]
	v_add_f64 v[40:41], v[40:41], v[50:51]
	v_mul_f64 v[50:51], v[52:53], v[46:47]
	v_mul_f64 v[54:55], v[28:29], v[50:51]
	v_fma_f64 v[28:29], v[50:51], v[28:29], -v[54:55]
	v_fmac_f64_e32 v[28:29], v[50:51], v[26:27]
	v_add_f64 v[26:27], v[54:55], v[28:29]
	v_add_f64 v[56:57], v[46:47], -v[26:27]
	v_add_f64 v[46:47], v[46:47], -v[56:57]
	;; [unrolled: 1-line block ×4, first 2 shown]
	v_add_f64 v[26:27], v[40:41], v[26:27]
	v_add_f64 v[28:29], v[54:55], -v[28:29]
	v_add_f64 v[26:27], v[28:29], v[26:27]
	v_add_f64 v[28:29], v[44:45], v[50:51]
	;; [unrolled: 1-line block ×3, first 2 shown]
	v_add_f64 v[40:41], v[28:29], -v[44:45]
	v_mul_f64 v[26:27], v[52:53], v[26:27]
	v_add_f64 v[40:41], v[50:51], -v[40:41]
	v_add_f64 v[26:27], v[40:41], v[26:27]
	v_add_f64 v[40:41], v[28:29], v[26:27]
	v_add_f64 v[28:29], v[40:41], -v[28:29]
	s_mov_b32 s16, 0xbf559e2b
	v_add_f64 v[26:27], v[26:27], -v[28:29]
	v_mul_f64 v[28:29], v[40:41], v[40:41]
	v_mov_b32_e32 v44, 0x6b47b09a
	v_mov_b32_e32 v45, 0x3fc38538
	s_mov_b32 s17, 0x3fc3ab76
	v_fmac_f64_e32 v[44:45], s[16:17], v[28:29]
	v_mov_b32_e32 v46, 0xd7f4df2e
	v_mov_b32_e32 v47, 0x3fc7474d
	v_fmac_f64_e32 v[46:47], v[28:29], v[44:45]
	v_mov_b32_e32 v44, 0x16291751
	v_mov_b32_e32 v45, 0x3fcc71c0
	;; [unrolled: 3-line block ×5, first 2 shown]
	v_fmac_f64_e32 v[46:47], v[28:29], v[44:45]
	v_cvt_f64_i32_e32 v[44:45], v60
	s_mov_b32 s21, 0x3fe62e42
	v_mul_f64 v[50:51], v[44:45], s[20:21]
	v_fma_f64 v[52:53], v[44:45], s[20:21], -v[50:51]
	s_mov_b32 s25, 0x3c7abc9e
	v_fmac_f64_e32 v[52:53], s[24:25], v[44:45]
	v_add_f64 v[44:45], v[50:51], v[52:53]
	v_add_f64 v[50:51], v[44:45], -v[50:51]
	v_mul_f64 v[28:29], v[40:41], v[28:29]
	v_add_f64 v[50:51], v[52:53], -v[50:51]
	v_ldexp_f64 v[52:53], v[40:41], 1
	v_mul_f64 v[28:29], v[28:29], v[46:47]
	v_add_f64 v[40:41], v[52:53], v[28:29]
	v_add_f64 v[46:47], v[40:41], -v[52:53]
	v_ldexp_f64 v[26:27], v[26:27], 1
	v_add_f64 v[28:29], v[28:29], -v[46:47]
	v_add_f64 v[26:27], v[26:27], v[28:29]
	v_add_f64 v[28:29], v[40:41], v[26:27]
	v_add_f64 v[40:41], v[28:29], -v[40:41]
	v_add_f64 v[26:27], v[26:27], -v[40:41]
	v_add_f64 v[40:41], v[44:45], v[28:29]
	v_add_f64 v[46:47], v[40:41], -v[44:45]
	v_add_f64 v[52:53], v[40:41], -v[46:47]
	;; [unrolled: 1-line block ×4, first 2 shown]
	v_add_f64 v[28:29], v[28:29], v[44:45]
	v_add_f64 v[44:45], v[50:51], v[26:27]
	v_add_f64 v[46:47], v[44:45], -v[50:51]
	v_add_f64 v[28:29], v[44:45], v[28:29]
	v_add_f64 v[52:53], v[44:45], -v[46:47]
	;; [unrolled: 2-line block ×3, first 2 shown]
	v_add_f64 v[26:27], v[26:27], -v[46:47]
	v_add_f64 v[40:41], v[44:45], -v[40:41]
	v_add_f64 v[26:27], v[26:27], v[50:51]
	v_add_f64 v[28:29], v[28:29], -v[40:41]
	s_mov_b32 s16, 0
	v_add_f64 v[26:27], v[26:27], v[28:29]
	s_mov_b32 s17, 0x7ff00000
	v_add_f64 v[26:27], v[44:45], v[26:27]
	v_cmp_eq_f64_e32 vcc, s[16:17], v[22:23]
	v_cndmask_b32_e32 v26, v26, v22, vcc
	v_cndmask_b32_e32 v27, v27, v23, vcc
	v_mov_b32_e32 v28, 0x7ff80000
	v_cmp_ngt_f64_e32 vcc, -1.0, v[22:23]
	v_cndmask_b32_e32 v27, v28, v27, vcc
	v_cmp_nge_f64_e32 vcc, -1.0, v[22:23]
	v_cndmask_b32_e32 v26, 0, v26, vcc
	v_mov_b32_e32 v28, 0xfff00000
	v_cmp_neq_f64_e32 vcc, -1.0, v[22:23]
	v_cndmask_b32_e32 v27, v28, v27, vcc
	v_add_f64 v[22:23], v[24:25], v[26:27]
.LBB30_41:
	s_or_b64 exec, exec, s[18:19]
	v_max_f64 v[40:41], v[12:13], v[12:13]
	v_max_f64 v[24:25], v[22:23], v[22:23]
	v_min_f64 v[26:27], v[24:25], v[40:41]
	v_cmp_u_f64_e32 vcc, v[22:23], v[22:23]
	v_max_f64 v[24:25], v[24:25], v[40:41]
	v_cndmask_b32_e32 v26, v26, v22, vcc
	v_cndmask_b32_e32 v27, v27, v23, vcc
	v_cmp_u_f64_e64 s[16:17], v[12:13], v[12:13]
	v_cndmask_b32_e32 v24, v24, v22, vcc
	v_cndmask_b32_e32 v25, v25, v23, vcc
	v_cndmask_b32_e64 v27, v27, v13, s[16:17]
	v_cndmask_b32_e64 v26, v26, v12, s[16:17]
	;; [unrolled: 1-line block ×4, first 2 shown]
	s_movk_i32 s48, 0x1f8
	v_cmp_neq_f64_e32 vcc, v[26:27], v[24:25]
	v_cmp_class_f64_e64 s[18:19], v[26:27], s48
	s_or_b64 s[18:19], vcc, s[18:19]
	s_and_saveexec_b64 s[20:21], s[18:19]
	s_cbranch_execz .LBB30_43
; %bb.42:
	s_mov_b32 s18, 0x652b82fe
	v_add_f64 v[22:23], v[26:27], -v[24:25]
	s_mov_b32 s19, 0x3ff71547
	v_mul_f64 v[26:27], v[22:23], s[18:19]
	v_rndne_f64_e32 v[26:27], v[26:27]
	s_mov_b32 s25, 0xbfe62e42
	s_mov_b32 s24, 0xfefa39ef
	v_fma_f64 v[28:29], s[24:25], v[26:27], v[22:23]
	s_mov_b32 s27, 0xbc7abc9e
	s_mov_b32 s26, 0x3b39803f
	s_mov_b32 s18, 0x6a5dcb37
	v_fmac_f64_e32 v[28:29], s[26:27], v[26:27]
	v_mov_b32_e32 v44, 0xfca7ab0c
	v_mov_b32_e32 v45, 0x3e928af3
	s_mov_b32 s19, 0x3e5ade15
	v_fmac_f64_e32 v[44:45], s[18:19], v[28:29]
	v_mov_b32_e32 v46, 0x623fde64
	v_mov_b32_e32 v47, 0x3ec71dee
	v_fmac_f64_e32 v[46:47], v[28:29], v[44:45]
	v_mov_b32_e32 v44, 0x7c89e6b0
	v_mov_b32_e32 v45, 0x3efa0199
	;; [unrolled: 3-line block ×8, first 2 shown]
	s_mov_b32 s18, 0
	v_fmac_f64_e32 v[44:45], v[28:29], v[46:47]
	s_mov_b32 s19, 0x40900000
	v_fma_f64 v[44:45], v[28:29], v[44:45], 1.0
	v_cmp_nlt_f64_e32 vcc, s[18:19], v[22:23]
	s_mov_b32 s18, 0
	v_fma_f64 v[28:29], v[28:29], v[44:45], 1.0
	v_cvt_i32_f64_e32 v26, v[26:27]
	s_mov_b32 s19, 0xc090cc00
	v_ldexp_f64 v[26:27], v[28:29], v26
	v_mov_b32_e32 v28, 0x7ff00000
	v_cmp_ngt_f64_e64 s[18:19], s[18:19], v[22:23]
	v_cndmask_b32_e32 v27, v28, v27, vcc
	s_and_b64 vcc, s[18:19], vcc
	v_cndmask_b32_e64 v23, 0, v27, s[18:19]
	v_cndmask_b32_e32 v22, 0, v26, vcc
	v_add_f64 v[26:27], v[22:23], 1.0
	v_add_f64 v[28:29], v[26:27], -1.0
	v_add_f64 v[44:45], v[28:29], -v[26:27]
	v_add_f64 v[44:45], v[44:45], 1.0
	v_add_f64 v[28:29], v[22:23], -v[28:29]
	s_mov_b32 s18, 0x55555555
	v_add_f64 v[28:29], v[28:29], v[44:45]
	v_frexp_mant_f64_e32 v[44:45], v[26:27]
	s_mov_b32 s19, 0x3fe55555
	v_frexp_exp_i32_f64_e32 v46, v[26:27]
	v_cmp_gt_f64_e32 vcc, s[18:19], v[44:45]
	v_subbrev_co_u32_e32 v62, vcc, 0, v46, vcc
	v_sub_u32_e32 v44, 0, v62
	v_ldexp_f64 v[26:27], v[26:27], v44
	v_ldexp_f64 v[28:29], v[28:29], v44
	v_add_f64 v[44:45], v[26:27], -1.0
	v_add_f64 v[52:53], v[26:27], 1.0
	v_add_f64 v[46:47], v[44:45], 1.0
	v_add_f64 v[54:55], v[52:53], -1.0
	v_add_f64 v[46:47], v[26:27], -v[46:47]
	v_add_f64 v[26:27], v[26:27], -v[54:55]
	v_add_f64 v[26:27], v[28:29], v[26:27]
	v_add_f64 v[46:47], v[28:29], v[46:47]
	;; [unrolled: 1-line block ×3, first 2 shown]
	v_rcp_f64_e32 v[54:55], v[28:29]
	v_add_f64 v[50:51], v[44:45], v[46:47]
	v_add_f64 v[44:45], v[50:51], -v[44:45]
	v_add_f64 v[44:45], v[46:47], -v[44:45]
	;; [unrolled: 1-line block ×4, first 2 shown]
	v_fma_f64 v[46:47], -v[28:29], v[54:55], 1.0
	v_fmac_f64_e32 v[54:55], v[46:47], v[54:55]
	v_fma_f64 v[46:47], -v[28:29], v[54:55], 1.0
	v_fmac_f64_e32 v[54:55], v[46:47], v[54:55]
	v_mul_f64 v[46:47], v[50:51], v[54:55]
	v_mul_f64 v[52:53], v[28:29], v[46:47]
	v_fma_f64 v[56:57], v[46:47], v[28:29], -v[52:53]
	v_fmac_f64_e32 v[56:57], v[46:47], v[26:27]
	v_add_f64 v[58:59], v[52:53], v[56:57]
	v_add_f64 v[60:61], v[50:51], -v[58:59]
	v_add_f64 v[50:51], v[50:51], -v[60:61]
	v_add_f64 v[52:53], v[58:59], -v[52:53]
	v_add_f64 v[50:51], v[50:51], -v[58:59]
	v_add_f64 v[44:45], v[44:45], v[50:51]
	v_add_f64 v[50:51], v[52:53], -v[56:57]
	v_add_f64 v[44:45], v[50:51], v[44:45]
	v_add_f64 v[50:51], v[60:61], v[44:45]
	v_add_f64 v[52:53], v[60:61], -v[50:51]
	v_add_f64 v[44:45], v[44:45], v[52:53]
	v_mul_f64 v[52:53], v[54:55], v[50:51]
	v_mul_f64 v[56:57], v[28:29], v[52:53]
	v_fma_f64 v[28:29], v[52:53], v[28:29], -v[56:57]
	v_fmac_f64_e32 v[28:29], v[52:53], v[26:27]
	v_add_f64 v[26:27], v[56:57], v[28:29]
	v_add_f64 v[58:59], v[50:51], -v[26:27]
	v_add_f64 v[50:51], v[50:51], -v[58:59]
	;; [unrolled: 1-line block ×4, first 2 shown]
	v_add_f64 v[26:27], v[44:45], v[26:27]
	v_add_f64 v[28:29], v[56:57], -v[28:29]
	v_add_f64 v[26:27], v[28:29], v[26:27]
	v_add_f64 v[28:29], v[46:47], v[52:53]
	v_add_f64 v[26:27], v[58:59], v[26:27]
	v_add_f64 v[44:45], v[28:29], -v[46:47]
	v_mul_f64 v[26:27], v[54:55], v[26:27]
	v_add_f64 v[44:45], v[52:53], -v[44:45]
	v_add_f64 v[26:27], v[44:45], v[26:27]
	v_add_f64 v[44:45], v[28:29], v[26:27]
	v_add_f64 v[28:29], v[44:45], -v[28:29]
	s_mov_b32 s18, 0xbf559e2b
	v_add_f64 v[26:27], v[26:27], -v[28:29]
	v_mul_f64 v[28:29], v[44:45], v[44:45]
	v_mov_b32_e32 v46, 0x6b47b09a
	v_mov_b32_e32 v47, 0x3fc38538
	s_mov_b32 s19, 0x3fc3ab76
	v_fmac_f64_e32 v[46:47], s[18:19], v[28:29]
	v_mov_b32_e32 v50, 0xd7f4df2e
	v_mov_b32_e32 v51, 0x3fc7474d
	v_fmac_f64_e32 v[50:51], v[28:29], v[46:47]
	v_mov_b32_e32 v46, 0x16291751
	v_mov_b32_e32 v47, 0x3fcc71c0
	;; [unrolled: 3-line block ×5, first 2 shown]
	v_fmac_f64_e32 v[50:51], v[28:29], v[46:47]
	v_cvt_f64_i32_e32 v[46:47], v62
	s_mov_b32 s25, 0x3fe62e42
	v_mul_f64 v[52:53], v[46:47], s[24:25]
	v_fma_f64 v[54:55], v[46:47], s[24:25], -v[52:53]
	s_mov_b32 s27, 0x3c7abc9e
	v_fmac_f64_e32 v[54:55], s[26:27], v[46:47]
	v_add_f64 v[46:47], v[52:53], v[54:55]
	v_add_f64 v[52:53], v[46:47], -v[52:53]
	v_mul_f64 v[28:29], v[44:45], v[28:29]
	v_add_f64 v[52:53], v[54:55], -v[52:53]
	v_ldexp_f64 v[54:55], v[44:45], 1
	v_mul_f64 v[28:29], v[28:29], v[50:51]
	v_add_f64 v[44:45], v[54:55], v[28:29]
	v_add_f64 v[50:51], v[44:45], -v[54:55]
	v_ldexp_f64 v[26:27], v[26:27], 1
	v_add_f64 v[28:29], v[28:29], -v[50:51]
	v_add_f64 v[26:27], v[26:27], v[28:29]
	v_add_f64 v[28:29], v[44:45], v[26:27]
	v_add_f64 v[44:45], v[28:29], -v[44:45]
	v_add_f64 v[26:27], v[26:27], -v[44:45]
	v_add_f64 v[44:45], v[46:47], v[28:29]
	v_add_f64 v[50:51], v[44:45], -v[46:47]
	v_add_f64 v[54:55], v[44:45], -v[50:51]
	;; [unrolled: 1-line block ×4, first 2 shown]
	v_add_f64 v[28:29], v[28:29], v[46:47]
	v_add_f64 v[46:47], v[52:53], v[26:27]
	v_add_f64 v[50:51], v[46:47], -v[52:53]
	v_add_f64 v[28:29], v[46:47], v[28:29]
	v_add_f64 v[54:55], v[46:47], -v[50:51]
	;; [unrolled: 2-line block ×3, first 2 shown]
	v_add_f64 v[26:27], v[26:27], -v[50:51]
	v_add_f64 v[44:45], v[46:47], -v[44:45]
	v_add_f64 v[26:27], v[26:27], v[52:53]
	v_add_f64 v[28:29], v[28:29], -v[44:45]
	s_mov_b32 s18, 0
	v_add_f64 v[26:27], v[26:27], v[28:29]
	s_mov_b32 s19, 0x7ff00000
	v_add_f64 v[26:27], v[46:47], v[26:27]
	v_cmp_eq_f64_e32 vcc, s[18:19], v[22:23]
	v_cndmask_b32_e32 v26, v26, v22, vcc
	v_cndmask_b32_e32 v27, v27, v23, vcc
	v_mov_b32_e32 v28, 0x7ff80000
	v_cmp_ngt_f64_e32 vcc, -1.0, v[22:23]
	v_cndmask_b32_e32 v27, v28, v27, vcc
	v_cmp_nge_f64_e32 vcc, -1.0, v[22:23]
	v_cndmask_b32_e32 v26, 0, v26, vcc
	v_mov_b32_e32 v28, 0xfff00000
	v_cmp_neq_f64_e32 vcc, -1.0, v[22:23]
	v_cndmask_b32_e32 v27, v28, v27, vcc
	v_add_f64 v[22:23], v[24:25], v[26:27]
.LBB30_43:
	s_or_b64 exec, exec, s[20:21]
	v_max_f64 v[44:45], v[6:7], v[6:7]
	v_max_f64 v[24:25], v[22:23], v[22:23]
	v_min_f64 v[26:27], v[24:25], v[44:45]
	v_cmp_u_f64_e32 vcc, v[22:23], v[22:23]
	v_max_f64 v[24:25], v[24:25], v[44:45]
	v_cndmask_b32_e32 v26, v26, v22, vcc
	v_cndmask_b32_e32 v27, v27, v23, vcc
	v_cmp_u_f64_e64 s[18:19], v[6:7], v[6:7]
	v_cndmask_b32_e32 v24, v24, v22, vcc
	v_cndmask_b32_e32 v25, v25, v23, vcc
	v_cndmask_b32_e64 v27, v27, v7, s[18:19]
	v_cndmask_b32_e64 v26, v26, v6, s[18:19]
	;; [unrolled: 1-line block ×4, first 2 shown]
	v_cmp_neq_f64_e32 vcc, v[26:27], v[24:25]
	v_cmp_class_f64_e64 s[20:21], v[26:27], s48
	s_or_b64 s[20:21], vcc, s[20:21]
	s_and_saveexec_b64 s[24:25], s[20:21]
	s_cbranch_execz .LBB30_45
; %bb.44:
	s_mov_b32 s20, 0x652b82fe
	v_add_f64 v[22:23], v[26:27], -v[24:25]
	s_mov_b32 s21, 0x3ff71547
	v_mul_f64 v[26:27], v[22:23], s[20:21]
	v_rndne_f64_e32 v[26:27], v[26:27]
	s_mov_b32 s27, 0xbfe62e42
	s_mov_b32 s26, 0xfefa39ef
	v_fma_f64 v[28:29], s[26:27], v[26:27], v[22:23]
	s_mov_b32 s49, 0xbc7abc9e
	s_mov_b32 s48, 0x3b39803f
	;; [unrolled: 1-line block ×3, first 2 shown]
	v_fmac_f64_e32 v[28:29], s[48:49], v[26:27]
	v_mov_b32_e32 v46, 0xfca7ab0c
	v_mov_b32_e32 v47, 0x3e928af3
	s_mov_b32 s21, 0x3e5ade15
	v_fmac_f64_e32 v[46:47], s[20:21], v[28:29]
	v_mov_b32_e32 v50, 0x623fde64
	v_mov_b32_e32 v51, 0x3ec71dee
	v_fmac_f64_e32 v[50:51], v[28:29], v[46:47]
	v_mov_b32_e32 v46, 0x7c89e6b0
	v_mov_b32_e32 v47, 0x3efa0199
	;; [unrolled: 3-line block ×8, first 2 shown]
	s_mov_b32 s20, 0
	v_fmac_f64_e32 v[46:47], v[28:29], v[50:51]
	s_mov_b32 s21, 0x40900000
	v_fma_f64 v[46:47], v[28:29], v[46:47], 1.0
	v_cmp_nlt_f64_e32 vcc, s[20:21], v[22:23]
	s_mov_b32 s20, 0
	v_fma_f64 v[28:29], v[28:29], v[46:47], 1.0
	v_cvt_i32_f64_e32 v26, v[26:27]
	s_mov_b32 s21, 0xc090cc00
	v_ldexp_f64 v[26:27], v[28:29], v26
	v_mov_b32_e32 v28, 0x7ff00000
	v_cmp_ngt_f64_e64 s[20:21], s[20:21], v[22:23]
	v_cndmask_b32_e32 v27, v28, v27, vcc
	s_and_b64 vcc, s[20:21], vcc
	v_cndmask_b32_e64 v23, 0, v27, s[20:21]
	v_cndmask_b32_e32 v22, 0, v26, vcc
	v_add_f64 v[26:27], v[22:23], 1.0
	v_add_f64 v[28:29], v[26:27], -1.0
	v_add_f64 v[46:47], v[28:29], -v[26:27]
	v_add_f64 v[46:47], v[46:47], 1.0
	v_add_f64 v[28:29], v[22:23], -v[28:29]
	s_mov_b32 s20, 0x55555555
	v_add_f64 v[28:29], v[28:29], v[46:47]
	v_frexp_mant_f64_e32 v[46:47], v[26:27]
	s_mov_b32 s21, 0x3fe55555
	v_frexp_exp_i32_f64_e32 v50, v[26:27]
	v_cmp_gt_f64_e32 vcc, s[20:21], v[46:47]
	v_subbrev_co_u32_e32 v64, vcc, 0, v50, vcc
	v_sub_u32_e32 v46, 0, v64
	v_ldexp_f64 v[26:27], v[26:27], v46
	v_ldexp_f64 v[28:29], v[28:29], v46
	v_add_f64 v[46:47], v[26:27], -1.0
	v_add_f64 v[54:55], v[26:27], 1.0
	v_add_f64 v[50:51], v[46:47], 1.0
	v_add_f64 v[56:57], v[54:55], -1.0
	v_add_f64 v[50:51], v[26:27], -v[50:51]
	v_add_f64 v[26:27], v[26:27], -v[56:57]
	v_add_f64 v[26:27], v[28:29], v[26:27]
	v_add_f64 v[50:51], v[28:29], v[50:51]
	v_add_f64 v[28:29], v[54:55], v[26:27]
	v_rcp_f64_e32 v[56:57], v[28:29]
	v_add_f64 v[52:53], v[46:47], v[50:51]
	v_add_f64 v[46:47], v[52:53], -v[46:47]
	v_add_f64 v[46:47], v[50:51], -v[46:47]
	;; [unrolled: 1-line block ×4, first 2 shown]
	v_fma_f64 v[50:51], -v[28:29], v[56:57], 1.0
	v_fmac_f64_e32 v[56:57], v[50:51], v[56:57]
	v_fma_f64 v[50:51], -v[28:29], v[56:57], 1.0
	v_fmac_f64_e32 v[56:57], v[50:51], v[56:57]
	v_mul_f64 v[50:51], v[52:53], v[56:57]
	v_mul_f64 v[54:55], v[28:29], v[50:51]
	v_fma_f64 v[58:59], v[50:51], v[28:29], -v[54:55]
	v_fmac_f64_e32 v[58:59], v[50:51], v[26:27]
	v_add_f64 v[60:61], v[54:55], v[58:59]
	v_add_f64 v[62:63], v[52:53], -v[60:61]
	v_add_f64 v[52:53], v[52:53], -v[62:63]
	;; [unrolled: 1-line block ×4, first 2 shown]
	v_add_f64 v[46:47], v[46:47], v[52:53]
	v_add_f64 v[52:53], v[54:55], -v[58:59]
	v_add_f64 v[46:47], v[52:53], v[46:47]
	v_add_f64 v[52:53], v[62:63], v[46:47]
	v_add_f64 v[54:55], v[62:63], -v[52:53]
	v_add_f64 v[46:47], v[46:47], v[54:55]
	v_mul_f64 v[54:55], v[56:57], v[52:53]
	v_mul_f64 v[58:59], v[28:29], v[54:55]
	v_fma_f64 v[28:29], v[54:55], v[28:29], -v[58:59]
	v_fmac_f64_e32 v[28:29], v[54:55], v[26:27]
	v_add_f64 v[26:27], v[58:59], v[28:29]
	v_add_f64 v[60:61], v[52:53], -v[26:27]
	v_add_f64 v[52:53], v[52:53], -v[60:61]
	v_add_f64 v[58:59], v[26:27], -v[58:59]
	v_add_f64 v[26:27], v[52:53], -v[26:27]
	v_add_f64 v[26:27], v[46:47], v[26:27]
	v_add_f64 v[28:29], v[58:59], -v[28:29]
	v_add_f64 v[26:27], v[28:29], v[26:27]
	v_add_f64 v[28:29], v[50:51], v[54:55]
	;; [unrolled: 1-line block ×3, first 2 shown]
	v_add_f64 v[46:47], v[28:29], -v[50:51]
	v_mul_f64 v[26:27], v[56:57], v[26:27]
	v_add_f64 v[46:47], v[54:55], -v[46:47]
	v_add_f64 v[26:27], v[46:47], v[26:27]
	v_add_f64 v[46:47], v[28:29], v[26:27]
	v_add_f64 v[28:29], v[46:47], -v[28:29]
	s_mov_b32 s20, 0xbf559e2b
	v_add_f64 v[26:27], v[26:27], -v[28:29]
	v_mul_f64 v[28:29], v[46:47], v[46:47]
	v_mov_b32_e32 v50, 0x6b47b09a
	v_mov_b32_e32 v51, 0x3fc38538
	s_mov_b32 s21, 0x3fc3ab76
	v_fmac_f64_e32 v[50:51], s[20:21], v[28:29]
	v_mov_b32_e32 v52, 0xd7f4df2e
	v_mov_b32_e32 v53, 0x3fc7474d
	v_fmac_f64_e32 v[52:53], v[28:29], v[50:51]
	v_mov_b32_e32 v50, 0x16291751
	v_mov_b32_e32 v51, 0x3fcc71c0
	;; [unrolled: 3-line block ×5, first 2 shown]
	v_fmac_f64_e32 v[52:53], v[28:29], v[50:51]
	v_cvt_f64_i32_e32 v[50:51], v64
	s_mov_b32 s27, 0x3fe62e42
	v_mul_f64 v[54:55], v[50:51], s[26:27]
	v_fma_f64 v[56:57], v[50:51], s[26:27], -v[54:55]
	s_mov_b32 s49, 0x3c7abc9e
	v_fmac_f64_e32 v[56:57], s[48:49], v[50:51]
	v_add_f64 v[50:51], v[54:55], v[56:57]
	v_add_f64 v[54:55], v[50:51], -v[54:55]
	v_mul_f64 v[28:29], v[46:47], v[28:29]
	v_add_f64 v[54:55], v[56:57], -v[54:55]
	v_ldexp_f64 v[56:57], v[46:47], 1
	v_mul_f64 v[28:29], v[28:29], v[52:53]
	v_add_f64 v[46:47], v[56:57], v[28:29]
	v_add_f64 v[52:53], v[46:47], -v[56:57]
	v_ldexp_f64 v[26:27], v[26:27], 1
	v_add_f64 v[28:29], v[28:29], -v[52:53]
	v_add_f64 v[26:27], v[26:27], v[28:29]
	v_add_f64 v[28:29], v[46:47], v[26:27]
	v_add_f64 v[46:47], v[28:29], -v[46:47]
	v_add_f64 v[26:27], v[26:27], -v[46:47]
	v_add_f64 v[46:47], v[50:51], v[28:29]
	v_add_f64 v[52:53], v[46:47], -v[50:51]
	v_add_f64 v[56:57], v[46:47], -v[52:53]
	;; [unrolled: 1-line block ×4, first 2 shown]
	v_add_f64 v[28:29], v[28:29], v[50:51]
	v_add_f64 v[50:51], v[54:55], v[26:27]
	v_add_f64 v[52:53], v[50:51], -v[54:55]
	v_add_f64 v[28:29], v[50:51], v[28:29]
	v_add_f64 v[56:57], v[50:51], -v[52:53]
	;; [unrolled: 2-line block ×3, first 2 shown]
	v_add_f64 v[26:27], v[26:27], -v[52:53]
	v_add_f64 v[46:47], v[50:51], -v[46:47]
	v_add_f64 v[26:27], v[26:27], v[54:55]
	v_add_f64 v[28:29], v[28:29], -v[46:47]
	s_mov_b32 s20, 0
	v_add_f64 v[26:27], v[26:27], v[28:29]
	s_mov_b32 s21, 0x7ff00000
	v_add_f64 v[26:27], v[50:51], v[26:27]
	v_cmp_eq_f64_e32 vcc, s[20:21], v[22:23]
	v_cndmask_b32_e32 v26, v26, v22, vcc
	v_cndmask_b32_e32 v27, v27, v23, vcc
	v_mov_b32_e32 v28, 0x7ff80000
	v_cmp_ngt_f64_e32 vcc, -1.0, v[22:23]
	v_cndmask_b32_e32 v27, v28, v27, vcc
	v_cmp_nge_f64_e32 vcc, -1.0, v[22:23]
	v_cndmask_b32_e32 v26, 0, v26, vcc
	v_mov_b32_e32 v28, 0xfff00000
	v_cmp_neq_f64_e32 vcc, -1.0, v[22:23]
	v_cndmask_b32_e32 v27, v28, v27, vcc
	v_add_f64 v[22:23], v[24:25], v[26:27]
.LBB30_45:
	s_or_b64 exec, exec, s[24:25]
	v_max_f64 v[46:47], v[8:9], v[8:9]
	v_max_f64 v[24:25], v[22:23], v[22:23]
	v_min_f64 v[26:27], v[24:25], v[46:47]
	v_cmp_u_f64_e32 vcc, v[22:23], v[22:23]
	v_max_f64 v[24:25], v[24:25], v[46:47]
	v_cndmask_b32_e32 v26, v26, v22, vcc
	v_cndmask_b32_e32 v27, v27, v23, vcc
	v_cmp_u_f64_e64 s[20:21], v[8:9], v[8:9]
	v_cndmask_b32_e32 v24, v24, v22, vcc
	v_cndmask_b32_e32 v25, v25, v23, vcc
	v_cndmask_b32_e64 v27, v27, v9, s[20:21]
	v_cndmask_b32_e64 v26, v26, v8, s[20:21]
	;; [unrolled: 1-line block ×4, first 2 shown]
	s_movk_i32 s24, 0x1f8
	v_cmp_neq_f64_e32 vcc, v[26:27], v[24:25]
	v_cmp_class_f64_e64 s[24:25], v[26:27], s24
	s_or_b64 s[24:25], vcc, s[24:25]
	s_and_saveexec_b64 s[26:27], s[24:25]
	s_cbranch_execz .LBB30_47
; %bb.46:
	s_mov_b32 s24, 0x652b82fe
	v_add_f64 v[22:23], v[26:27], -v[24:25]
	s_mov_b32 s25, 0x3ff71547
	v_mul_f64 v[26:27], v[22:23], s[24:25]
	v_rndne_f64_e32 v[26:27], v[26:27]
	s_mov_b32 s49, 0xbfe62e42
	s_mov_b32 s48, 0xfefa39ef
	v_fma_f64 v[28:29], s[48:49], v[26:27], v[22:23]
	s_mov_b32 s51, 0xbc7abc9e
	s_mov_b32 s50, 0x3b39803f
	;; [unrolled: 1-line block ×3, first 2 shown]
	v_fmac_f64_e32 v[28:29], s[50:51], v[26:27]
	v_mov_b32_e32 v50, 0xfca7ab0c
	v_mov_b32_e32 v51, 0x3e928af3
	s_mov_b32 s25, 0x3e5ade15
	v_fmac_f64_e32 v[50:51], s[24:25], v[28:29]
	v_mov_b32_e32 v52, 0x623fde64
	v_mov_b32_e32 v53, 0x3ec71dee
	v_fmac_f64_e32 v[52:53], v[28:29], v[50:51]
	v_mov_b32_e32 v50, 0x7c89e6b0
	v_mov_b32_e32 v51, 0x3efa0199
	;; [unrolled: 3-line block ×8, first 2 shown]
	s_mov_b32 s24, 0
	v_fmac_f64_e32 v[50:51], v[28:29], v[52:53]
	s_mov_b32 s25, 0x40900000
	v_fma_f64 v[50:51], v[28:29], v[50:51], 1.0
	v_cmp_nlt_f64_e32 vcc, s[24:25], v[22:23]
	s_mov_b32 s24, 0
	v_fma_f64 v[28:29], v[28:29], v[50:51], 1.0
	v_cvt_i32_f64_e32 v26, v[26:27]
	s_mov_b32 s25, 0xc090cc00
	v_ldexp_f64 v[26:27], v[28:29], v26
	v_mov_b32_e32 v28, 0x7ff00000
	v_cmp_ngt_f64_e64 s[24:25], s[24:25], v[22:23]
	v_cndmask_b32_e32 v27, v28, v27, vcc
	s_and_b64 vcc, s[24:25], vcc
	v_cndmask_b32_e64 v23, 0, v27, s[24:25]
	v_cndmask_b32_e32 v22, 0, v26, vcc
	v_add_f64 v[26:27], v[22:23], 1.0
	v_add_f64 v[28:29], v[26:27], -1.0
	v_add_f64 v[50:51], v[28:29], -v[26:27]
	v_add_f64 v[50:51], v[50:51], 1.0
	v_add_f64 v[28:29], v[22:23], -v[28:29]
	s_mov_b32 s24, 0x55555555
	v_add_f64 v[28:29], v[28:29], v[50:51]
	v_frexp_mant_f64_e32 v[50:51], v[26:27]
	s_mov_b32 s25, 0x3fe55555
	v_frexp_exp_i32_f64_e32 v52, v[26:27]
	v_cmp_gt_f64_e32 vcc, s[24:25], v[50:51]
	v_subbrev_co_u32_e32 v66, vcc, 0, v52, vcc
	v_sub_u32_e32 v50, 0, v66
	v_ldexp_f64 v[26:27], v[26:27], v50
	v_ldexp_f64 v[28:29], v[28:29], v50
	v_add_f64 v[50:51], v[26:27], -1.0
	v_add_f64 v[56:57], v[26:27], 1.0
	v_add_f64 v[52:53], v[50:51], 1.0
	v_add_f64 v[58:59], v[56:57], -1.0
	v_add_f64 v[52:53], v[26:27], -v[52:53]
	v_add_f64 v[26:27], v[26:27], -v[58:59]
	v_add_f64 v[26:27], v[28:29], v[26:27]
	v_add_f64 v[52:53], v[28:29], v[52:53]
	;; [unrolled: 1-line block ×3, first 2 shown]
	v_rcp_f64_e32 v[58:59], v[28:29]
	v_add_f64 v[54:55], v[50:51], v[52:53]
	v_add_f64 v[50:51], v[54:55], -v[50:51]
	v_add_f64 v[50:51], v[52:53], -v[50:51]
	;; [unrolled: 1-line block ×4, first 2 shown]
	v_fma_f64 v[52:53], -v[28:29], v[58:59], 1.0
	v_fmac_f64_e32 v[58:59], v[52:53], v[58:59]
	v_fma_f64 v[52:53], -v[28:29], v[58:59], 1.0
	v_fmac_f64_e32 v[58:59], v[52:53], v[58:59]
	v_mul_f64 v[52:53], v[54:55], v[58:59]
	v_mul_f64 v[56:57], v[28:29], v[52:53]
	v_fma_f64 v[60:61], v[52:53], v[28:29], -v[56:57]
	v_fmac_f64_e32 v[60:61], v[52:53], v[26:27]
	v_add_f64 v[62:63], v[56:57], v[60:61]
	v_add_f64 v[64:65], v[54:55], -v[62:63]
	v_add_f64 v[54:55], v[54:55], -v[64:65]
	;; [unrolled: 1-line block ×4, first 2 shown]
	v_add_f64 v[50:51], v[50:51], v[54:55]
	v_add_f64 v[54:55], v[56:57], -v[60:61]
	v_add_f64 v[50:51], v[54:55], v[50:51]
	v_add_f64 v[54:55], v[64:65], v[50:51]
	v_add_f64 v[56:57], v[64:65], -v[54:55]
	v_add_f64 v[50:51], v[50:51], v[56:57]
	v_mul_f64 v[56:57], v[58:59], v[54:55]
	v_mul_f64 v[60:61], v[28:29], v[56:57]
	v_fma_f64 v[28:29], v[56:57], v[28:29], -v[60:61]
	v_fmac_f64_e32 v[28:29], v[56:57], v[26:27]
	v_add_f64 v[26:27], v[60:61], v[28:29]
	v_add_f64 v[62:63], v[54:55], -v[26:27]
	v_add_f64 v[54:55], v[54:55], -v[62:63]
	;; [unrolled: 1-line block ×4, first 2 shown]
	v_add_f64 v[26:27], v[50:51], v[26:27]
	v_add_f64 v[28:29], v[60:61], -v[28:29]
	v_add_f64 v[26:27], v[28:29], v[26:27]
	v_add_f64 v[28:29], v[52:53], v[56:57]
	;; [unrolled: 1-line block ×3, first 2 shown]
	v_add_f64 v[50:51], v[28:29], -v[52:53]
	v_mul_f64 v[26:27], v[58:59], v[26:27]
	v_add_f64 v[50:51], v[56:57], -v[50:51]
	v_add_f64 v[26:27], v[50:51], v[26:27]
	v_add_f64 v[50:51], v[28:29], v[26:27]
	v_add_f64 v[28:29], v[50:51], -v[28:29]
	s_mov_b32 s24, 0xbf559e2b
	v_add_f64 v[26:27], v[26:27], -v[28:29]
	v_mul_f64 v[28:29], v[50:51], v[50:51]
	v_mov_b32_e32 v52, 0x6b47b09a
	v_mov_b32_e32 v53, 0x3fc38538
	s_mov_b32 s25, 0x3fc3ab76
	v_fmac_f64_e32 v[52:53], s[24:25], v[28:29]
	v_mov_b32_e32 v54, 0xd7f4df2e
	v_mov_b32_e32 v55, 0x3fc7474d
	v_fmac_f64_e32 v[54:55], v[28:29], v[52:53]
	v_mov_b32_e32 v52, 0x16291751
	v_mov_b32_e32 v53, 0x3fcc71c0
	v_fmac_f64_e32 v[52:53], v[28:29], v[54:55]
	v_mov_b32_e32 v54, 0x9b27acf1
	v_mov_b32_e32 v55, 0x3fd24924
	v_fmac_f64_e32 v[54:55], v[28:29], v[52:53]
	v_mov_b32_e32 v52, 0x998ef7b6
	v_mov_b32_e32 v53, 0x3fd99999
	v_fmac_f64_e32 v[52:53], v[28:29], v[54:55]
	v_mov_b32_e32 v54, 0x55555780
	v_mov_b32_e32 v55, 0x3fe55555
	v_fmac_f64_e32 v[54:55], v[28:29], v[52:53]
	v_cvt_f64_i32_e32 v[52:53], v66
	s_mov_b32 s49, 0x3fe62e42
	v_mul_f64 v[56:57], v[52:53], s[48:49]
	v_fma_f64 v[58:59], v[52:53], s[48:49], -v[56:57]
	s_mov_b32 s51, 0x3c7abc9e
	v_fmac_f64_e32 v[58:59], s[50:51], v[52:53]
	v_add_f64 v[52:53], v[56:57], v[58:59]
	v_add_f64 v[56:57], v[52:53], -v[56:57]
	v_mul_f64 v[28:29], v[50:51], v[28:29]
	v_add_f64 v[56:57], v[58:59], -v[56:57]
	v_ldexp_f64 v[58:59], v[50:51], 1
	v_mul_f64 v[28:29], v[28:29], v[54:55]
	v_add_f64 v[50:51], v[58:59], v[28:29]
	v_add_f64 v[54:55], v[50:51], -v[58:59]
	v_ldexp_f64 v[26:27], v[26:27], 1
	v_add_f64 v[28:29], v[28:29], -v[54:55]
	v_add_f64 v[26:27], v[26:27], v[28:29]
	v_add_f64 v[28:29], v[50:51], v[26:27]
	v_add_f64 v[50:51], v[28:29], -v[50:51]
	v_add_f64 v[26:27], v[26:27], -v[50:51]
	v_add_f64 v[50:51], v[52:53], v[28:29]
	v_add_f64 v[54:55], v[50:51], -v[52:53]
	v_add_f64 v[58:59], v[50:51], -v[54:55]
	;; [unrolled: 1-line block ×4, first 2 shown]
	v_add_f64 v[28:29], v[28:29], v[52:53]
	v_add_f64 v[52:53], v[56:57], v[26:27]
	v_add_f64 v[54:55], v[52:53], -v[56:57]
	v_add_f64 v[28:29], v[52:53], v[28:29]
	v_add_f64 v[58:59], v[52:53], -v[54:55]
	;; [unrolled: 2-line block ×3, first 2 shown]
	v_add_f64 v[26:27], v[26:27], -v[54:55]
	v_add_f64 v[50:51], v[52:53], -v[50:51]
	v_add_f64 v[26:27], v[26:27], v[56:57]
	v_add_f64 v[28:29], v[28:29], -v[50:51]
	s_mov_b32 s24, 0
	v_add_f64 v[26:27], v[26:27], v[28:29]
	s_mov_b32 s25, 0x7ff00000
	v_add_f64 v[26:27], v[52:53], v[26:27]
	v_cmp_eq_f64_e32 vcc, s[24:25], v[22:23]
	v_cndmask_b32_e32 v26, v26, v22, vcc
	v_cndmask_b32_e32 v27, v27, v23, vcc
	v_mov_b32_e32 v28, 0x7ff80000
	v_cmp_ngt_f64_e32 vcc, -1.0, v[22:23]
	v_cndmask_b32_e32 v27, v28, v27, vcc
	v_cmp_nge_f64_e32 vcc, -1.0, v[22:23]
	v_cndmask_b32_e32 v26, 0, v26, vcc
	v_mov_b32_e32 v28, 0xfff00000
	v_cmp_neq_f64_e32 vcc, -1.0, v[22:23]
	v_cndmask_b32_e32 v27, v28, v27, vcc
	v_add_f64 v[22:23], v[24:25], v[26:27]
.LBB30_47:
	s_or_b64 exec, exec, s[26:27]
	v_mbcnt_lo_u32_b32 v24, -1, 0
	v_mbcnt_hi_u32_b32 v53, -1, v24
	v_and_b32_e32 v28, 15, v53
	v_mov_b32_dpp v24, v22 row_shr:1 row_mask:0xf bank_mask:0xf
	v_mov_b32_dpp v25, v23 row_shr:1 row_mask:0xf bank_mask:0xf
	v_cmp_ne_u32_e32 vcc, 0, v28
	v_mov_b32_e32 v26, v22
	v_mov_b32_e32 v27, v23
	s_and_saveexec_b64 s[26:27], vcc
	s_cbranch_execz .LBB30_51
; %bb.48:
	v_max_f64 v[50:51], v[24:25], v[24:25]
	v_max_f64 v[54:55], v[22:23], v[22:23]
	v_min_f64 v[26:27], v[50:51], v[54:55]
	v_cmp_u_f64_e32 vcc, v[24:25], v[24:25]
	v_max_f64 v[50:51], v[50:51], v[54:55]
	v_cndmask_b32_e32 v26, v26, v24, vcc
	v_cndmask_b32_e32 v27, v27, v25, vcc
	v_cmp_u_f64_e64 s[24:25], v[22:23], v[22:23]
	v_cndmask_b32_e32 v29, v50, v24, vcc
	v_cndmask_b32_e32 v50, v51, v25, vcc
	v_cndmask_b32_e64 v27, v27, v23, s[24:25]
	v_cndmask_b32_e64 v26, v26, v22, s[24:25]
	;; [unrolled: 1-line block ×4, first 2 shown]
	s_movk_i32 s24, 0x1f8
	v_cmp_neq_f64_e32 vcc, v[26:27], v[22:23]
	v_cmp_class_f64_e64 s[24:25], v[26:27], s24
	s_or_b64 s[24:25], vcc, s[24:25]
	s_and_saveexec_b64 s[48:49], s[24:25]
	s_cbranch_execz .LBB30_50
; %bb.49:
	s_mov_b32 s24, 0x652b82fe
	v_add_f64 v[24:25], v[26:27], -v[22:23]
	s_mov_b32 s25, 0x3ff71547
	v_mul_f64 v[26:27], v[24:25], s[24:25]
	v_rndne_f64_e32 v[26:27], v[26:27]
	s_mov_b32 s51, 0xbfe62e42
	s_mov_b32 s50, 0xfefa39ef
	v_fma_f64 v[50:51], s[50:51], v[26:27], v[24:25]
	s_mov_b32 s53, 0xbc7abc9e
	s_mov_b32 s52, 0x3b39803f
	s_mov_b32 s24, 0x6a5dcb37
	v_fmac_f64_e32 v[50:51], s[52:53], v[26:27]
	v_mov_b32_e32 v54, 0xfca7ab0c
	v_mov_b32_e32 v55, 0x3e928af3
	s_mov_b32 s25, 0x3e5ade15
	v_fmac_f64_e32 v[54:55], s[24:25], v[50:51]
	v_mov_b32_e32 v56, 0x623fde64
	v_mov_b32_e32 v57, 0x3ec71dee
	v_fmac_f64_e32 v[56:57], v[50:51], v[54:55]
	v_mov_b32_e32 v54, 0x7c89e6b0
	v_mov_b32_e32 v55, 0x3efa0199
	;; [unrolled: 3-line block ×8, first 2 shown]
	s_mov_b32 s24, 0
	v_fmac_f64_e32 v[54:55], v[50:51], v[56:57]
	s_mov_b32 s25, 0x40900000
	v_fma_f64 v[54:55], v[50:51], v[54:55], 1.0
	v_cmp_nlt_f64_e32 vcc, s[24:25], v[24:25]
	s_mov_b32 s24, 0
	v_fma_f64 v[50:51], v[50:51], v[54:55], 1.0
	v_cvt_i32_f64_e32 v26, v[26:27]
	s_mov_b32 s25, 0xc090cc00
	v_ldexp_f64 v[26:27], v[50:51], v26
	v_mov_b32_e32 v29, 0x7ff00000
	v_cmp_ngt_f64_e64 s[24:25], s[24:25], v[24:25]
	v_cndmask_b32_e32 v27, v29, v27, vcc
	s_and_b64 vcc, s[24:25], vcc
	v_cndmask_b32_e64 v25, 0, v27, s[24:25]
	v_cndmask_b32_e32 v24, 0, v26, vcc
	v_add_f64 v[26:27], v[24:25], 1.0
	v_add_f64 v[50:51], v[26:27], -1.0
	v_add_f64 v[54:55], v[50:51], -v[26:27]
	v_add_f64 v[54:55], v[54:55], 1.0
	v_add_f64 v[50:51], v[24:25], -v[50:51]
	s_mov_b32 s24, 0x55555555
	v_add_f64 v[50:51], v[50:51], v[54:55]
	v_frexp_mant_f64_e32 v[54:55], v[26:27]
	s_mov_b32 s25, 0x3fe55555
	v_frexp_exp_i32_f64_e32 v29, v[26:27]
	v_cmp_gt_f64_e32 vcc, s[24:25], v[54:55]
	v_subbrev_co_u32_e32 v29, vcc, 0, v29, vcc
	v_sub_u32_e32 v52, 0, v29
	v_ldexp_f64 v[26:27], v[26:27], v52
	v_add_f64 v[54:55], v[26:27], -1.0
	v_add_f64 v[60:61], v[26:27], 1.0
	v_add_f64 v[56:57], v[54:55], 1.0
	v_add_f64 v[62:63], v[60:61], -1.0
	v_ldexp_f64 v[50:51], v[50:51], v52
	v_add_f64 v[56:57], v[26:27], -v[56:57]
	v_add_f64 v[26:27], v[26:27], -v[62:63]
	v_add_f64 v[26:27], v[50:51], v[26:27]
	v_add_f64 v[56:57], v[50:51], v[56:57]
	;; [unrolled: 1-line block ×3, first 2 shown]
	v_rcp_f64_e32 v[62:63], v[50:51]
	v_add_f64 v[58:59], v[54:55], v[56:57]
	v_add_f64 v[54:55], v[58:59], -v[54:55]
	v_add_f64 v[54:55], v[56:57], -v[54:55]
	;; [unrolled: 1-line block ×4, first 2 shown]
	v_fma_f64 v[56:57], -v[50:51], v[62:63], 1.0
	v_fmac_f64_e32 v[62:63], v[56:57], v[62:63]
	v_fma_f64 v[56:57], -v[50:51], v[62:63], 1.0
	v_fmac_f64_e32 v[62:63], v[56:57], v[62:63]
	v_mul_f64 v[56:57], v[58:59], v[62:63]
	v_mul_f64 v[60:61], v[50:51], v[56:57]
	v_fma_f64 v[64:65], v[56:57], v[50:51], -v[60:61]
	v_fmac_f64_e32 v[64:65], v[56:57], v[26:27]
	v_add_f64 v[66:67], v[60:61], v[64:65]
	v_add_f64 v[68:69], v[58:59], -v[66:67]
	v_add_f64 v[58:59], v[58:59], -v[68:69]
	;; [unrolled: 1-line block ×4, first 2 shown]
	v_add_f64 v[54:55], v[54:55], v[58:59]
	v_add_f64 v[58:59], v[60:61], -v[64:65]
	v_add_f64 v[54:55], v[58:59], v[54:55]
	v_add_f64 v[58:59], v[68:69], v[54:55]
	v_add_f64 v[60:61], v[68:69], -v[58:59]
	v_add_f64 v[54:55], v[54:55], v[60:61]
	v_mul_f64 v[60:61], v[62:63], v[58:59]
	v_mul_f64 v[64:65], v[50:51], v[60:61]
	v_fma_f64 v[50:51], v[60:61], v[50:51], -v[64:65]
	v_fmac_f64_e32 v[50:51], v[60:61], v[26:27]
	v_add_f64 v[26:27], v[64:65], v[50:51]
	v_add_f64 v[66:67], v[58:59], -v[26:27]
	v_add_f64 v[58:59], v[58:59], -v[66:67]
	;; [unrolled: 1-line block ×4, first 2 shown]
	v_add_f64 v[26:27], v[54:55], v[26:27]
	v_add_f64 v[50:51], v[64:65], -v[50:51]
	v_add_f64 v[26:27], v[50:51], v[26:27]
	v_add_f64 v[50:51], v[56:57], v[60:61]
	v_add_f64 v[26:27], v[66:67], v[26:27]
	v_add_f64 v[54:55], v[50:51], -v[56:57]
	v_mul_f64 v[26:27], v[62:63], v[26:27]
	v_add_f64 v[54:55], v[60:61], -v[54:55]
	v_add_f64 v[26:27], v[54:55], v[26:27]
	v_add_f64 v[54:55], v[50:51], v[26:27]
	v_add_f64 v[50:51], v[54:55], -v[50:51]
	s_mov_b32 s24, 0xbf559e2b
	v_add_f64 v[26:27], v[26:27], -v[50:51]
	v_mul_f64 v[50:51], v[54:55], v[54:55]
	v_mov_b32_e32 v56, 0x6b47b09a
	v_mov_b32_e32 v57, 0x3fc38538
	s_mov_b32 s25, 0x3fc3ab76
	v_fmac_f64_e32 v[56:57], s[24:25], v[50:51]
	v_mov_b32_e32 v58, 0xd7f4df2e
	v_mov_b32_e32 v59, 0x3fc7474d
	v_fmac_f64_e32 v[58:59], v[50:51], v[56:57]
	v_mov_b32_e32 v56, 0x16291751
	v_mov_b32_e32 v57, 0x3fcc71c0
	;; [unrolled: 3-line block ×5, first 2 shown]
	v_fmac_f64_e32 v[58:59], v[50:51], v[56:57]
	v_cvt_f64_i32_e32 v[56:57], v29
	s_mov_b32 s51, 0x3fe62e42
	v_mul_f64 v[60:61], v[56:57], s[50:51]
	v_fma_f64 v[62:63], v[56:57], s[50:51], -v[60:61]
	s_mov_b32 s53, 0x3c7abc9e
	v_fmac_f64_e32 v[62:63], s[52:53], v[56:57]
	v_add_f64 v[56:57], v[60:61], v[62:63]
	v_add_f64 v[60:61], v[56:57], -v[60:61]
	v_mul_f64 v[50:51], v[54:55], v[50:51]
	v_add_f64 v[60:61], v[62:63], -v[60:61]
	v_ldexp_f64 v[62:63], v[54:55], 1
	v_mul_f64 v[50:51], v[50:51], v[58:59]
	v_add_f64 v[54:55], v[62:63], v[50:51]
	v_add_f64 v[58:59], v[54:55], -v[62:63]
	v_ldexp_f64 v[26:27], v[26:27], 1
	v_add_f64 v[50:51], v[50:51], -v[58:59]
	v_add_f64 v[26:27], v[26:27], v[50:51]
	v_add_f64 v[50:51], v[54:55], v[26:27]
	v_add_f64 v[54:55], v[50:51], -v[54:55]
	v_add_f64 v[26:27], v[26:27], -v[54:55]
	v_add_f64 v[54:55], v[56:57], v[50:51]
	v_add_f64 v[58:59], v[54:55], -v[56:57]
	v_add_f64 v[62:63], v[54:55], -v[58:59]
	v_add_f64 v[56:57], v[56:57], -v[62:63]
	v_add_f64 v[50:51], v[50:51], -v[58:59]
	v_add_f64 v[50:51], v[50:51], v[56:57]
	v_add_f64 v[56:57], v[60:61], v[26:27]
	v_add_f64 v[58:59], v[56:57], -v[60:61]
	v_add_f64 v[50:51], v[56:57], v[50:51]
	v_add_f64 v[62:63], v[56:57], -v[58:59]
	;; [unrolled: 2-line block ×3, first 2 shown]
	v_add_f64 v[26:27], v[26:27], -v[58:59]
	v_add_f64 v[54:55], v[56:57], -v[54:55]
	v_add_f64 v[26:27], v[26:27], v[60:61]
	v_add_f64 v[50:51], v[50:51], -v[54:55]
	s_mov_b32 s24, 0
	v_add_f64 v[26:27], v[26:27], v[50:51]
	s_mov_b32 s25, 0x7ff00000
	v_add_f64 v[26:27], v[56:57], v[26:27]
	v_cmp_eq_f64_e32 vcc, s[24:25], v[24:25]
	v_cndmask_b32_e32 v26, v26, v24, vcc
	v_cndmask_b32_e32 v27, v27, v25, vcc
	v_mov_b32_e32 v29, 0x7ff80000
	v_cmp_ngt_f64_e32 vcc, -1.0, v[24:25]
	v_cndmask_b32_e32 v27, v29, v27, vcc
	v_cmp_nge_f64_e32 vcc, -1.0, v[24:25]
	v_cndmask_b32_e32 v26, 0, v26, vcc
	v_mov_b32_e32 v29, 0xfff00000
	v_cmp_neq_f64_e32 vcc, -1.0, v[24:25]
	v_cndmask_b32_e32 v27, v29, v27, vcc
	v_add_f64 v[24:25], v[22:23], v[26:27]
.LBB30_50:
	s_or_b64 exec, exec, s[48:49]
	v_mov_b32_e32 v26, v24
	v_mov_b32_e32 v27, v25
	v_pk_mov_b32 v[22:23], v[24:25], v[24:25] op_sel:[0,1]
.LBB30_51:
	s_or_b64 exec, exec, s[26:27]
	v_mov_b32_dpp v24, v26 row_shr:2 row_mask:0xf bank_mask:0xf
	v_mov_b32_dpp v25, v27 row_shr:2 row_mask:0xf bank_mask:0xf
	v_cmp_lt_u32_e32 vcc, 1, v28
	s_and_saveexec_b64 s[26:27], vcc
	s_cbranch_execz .LBB30_55
; %bb.52:
	v_max_f64 v[50:51], v[24:25], v[24:25]
	v_max_f64 v[54:55], v[22:23], v[22:23]
	v_min_f64 v[26:27], v[50:51], v[54:55]
	v_cmp_u_f64_e32 vcc, v[24:25], v[24:25]
	v_max_f64 v[50:51], v[50:51], v[54:55]
	v_cndmask_b32_e32 v26, v26, v24, vcc
	v_cndmask_b32_e32 v27, v27, v25, vcc
	v_cmp_u_f64_e64 s[24:25], v[22:23], v[22:23]
	v_cndmask_b32_e32 v29, v50, v24, vcc
	v_cndmask_b32_e32 v50, v51, v25, vcc
	v_cndmask_b32_e64 v27, v27, v23, s[24:25]
	v_cndmask_b32_e64 v26, v26, v22, s[24:25]
	v_cndmask_b32_e64 v23, v50, v23, s[24:25]
	v_cndmask_b32_e64 v22, v29, v22, s[24:25]
	s_movk_i32 s24, 0x1f8
	v_cmp_neq_f64_e32 vcc, v[26:27], v[22:23]
	v_cmp_class_f64_e64 s[24:25], v[26:27], s24
	s_or_b64 s[24:25], vcc, s[24:25]
	s_and_saveexec_b64 s[48:49], s[24:25]
	s_cbranch_execz .LBB30_54
; %bb.53:
	s_mov_b32 s24, 0x652b82fe
	v_add_f64 v[24:25], v[26:27], -v[22:23]
	s_mov_b32 s25, 0x3ff71547
	v_mul_f64 v[26:27], v[24:25], s[24:25]
	v_rndne_f64_e32 v[26:27], v[26:27]
	s_mov_b32 s51, 0xbfe62e42
	s_mov_b32 s50, 0xfefa39ef
	v_fma_f64 v[50:51], s[50:51], v[26:27], v[24:25]
	s_mov_b32 s53, 0xbc7abc9e
	s_mov_b32 s52, 0x3b39803f
	s_mov_b32 s24, 0x6a5dcb37
	v_fmac_f64_e32 v[50:51], s[52:53], v[26:27]
	v_mov_b32_e32 v54, 0xfca7ab0c
	v_mov_b32_e32 v55, 0x3e928af3
	s_mov_b32 s25, 0x3e5ade15
	v_fmac_f64_e32 v[54:55], s[24:25], v[50:51]
	v_mov_b32_e32 v56, 0x623fde64
	v_mov_b32_e32 v57, 0x3ec71dee
	v_fmac_f64_e32 v[56:57], v[50:51], v[54:55]
	v_mov_b32_e32 v54, 0x7c89e6b0
	v_mov_b32_e32 v55, 0x3efa0199
	;; [unrolled: 3-line block ×8, first 2 shown]
	s_mov_b32 s24, 0
	v_fmac_f64_e32 v[54:55], v[50:51], v[56:57]
	s_mov_b32 s25, 0x40900000
	v_fma_f64 v[54:55], v[50:51], v[54:55], 1.0
	v_cmp_nlt_f64_e32 vcc, s[24:25], v[24:25]
	s_mov_b32 s24, 0
	v_fma_f64 v[50:51], v[50:51], v[54:55], 1.0
	v_cvt_i32_f64_e32 v26, v[26:27]
	s_mov_b32 s25, 0xc090cc00
	v_ldexp_f64 v[26:27], v[50:51], v26
	v_mov_b32_e32 v29, 0x7ff00000
	v_cmp_ngt_f64_e64 s[24:25], s[24:25], v[24:25]
	v_cndmask_b32_e32 v27, v29, v27, vcc
	s_and_b64 vcc, s[24:25], vcc
	v_cndmask_b32_e64 v25, 0, v27, s[24:25]
	v_cndmask_b32_e32 v24, 0, v26, vcc
	v_add_f64 v[26:27], v[24:25], 1.0
	v_add_f64 v[50:51], v[26:27], -1.0
	v_add_f64 v[54:55], v[50:51], -v[26:27]
	v_add_f64 v[54:55], v[54:55], 1.0
	v_add_f64 v[50:51], v[24:25], -v[50:51]
	s_mov_b32 s24, 0x55555555
	v_add_f64 v[50:51], v[50:51], v[54:55]
	v_frexp_mant_f64_e32 v[54:55], v[26:27]
	s_mov_b32 s25, 0x3fe55555
	v_frexp_exp_i32_f64_e32 v29, v[26:27]
	v_cmp_gt_f64_e32 vcc, s[24:25], v[54:55]
	v_subbrev_co_u32_e32 v29, vcc, 0, v29, vcc
	v_sub_u32_e32 v52, 0, v29
	v_ldexp_f64 v[26:27], v[26:27], v52
	v_add_f64 v[54:55], v[26:27], -1.0
	v_add_f64 v[60:61], v[26:27], 1.0
	v_add_f64 v[56:57], v[54:55], 1.0
	v_add_f64 v[62:63], v[60:61], -1.0
	v_ldexp_f64 v[50:51], v[50:51], v52
	v_add_f64 v[56:57], v[26:27], -v[56:57]
	v_add_f64 v[26:27], v[26:27], -v[62:63]
	v_add_f64 v[26:27], v[50:51], v[26:27]
	v_add_f64 v[56:57], v[50:51], v[56:57]
	;; [unrolled: 1-line block ×3, first 2 shown]
	v_rcp_f64_e32 v[62:63], v[50:51]
	v_add_f64 v[58:59], v[54:55], v[56:57]
	v_add_f64 v[54:55], v[58:59], -v[54:55]
	v_add_f64 v[54:55], v[56:57], -v[54:55]
	;; [unrolled: 1-line block ×4, first 2 shown]
	v_fma_f64 v[56:57], -v[50:51], v[62:63], 1.0
	v_fmac_f64_e32 v[62:63], v[56:57], v[62:63]
	v_fma_f64 v[56:57], -v[50:51], v[62:63], 1.0
	v_fmac_f64_e32 v[62:63], v[56:57], v[62:63]
	v_mul_f64 v[56:57], v[58:59], v[62:63]
	v_mul_f64 v[60:61], v[50:51], v[56:57]
	v_fma_f64 v[64:65], v[56:57], v[50:51], -v[60:61]
	v_fmac_f64_e32 v[64:65], v[56:57], v[26:27]
	v_add_f64 v[66:67], v[60:61], v[64:65]
	v_add_f64 v[68:69], v[58:59], -v[66:67]
	v_add_f64 v[58:59], v[58:59], -v[68:69]
	;; [unrolled: 1-line block ×4, first 2 shown]
	v_add_f64 v[54:55], v[54:55], v[58:59]
	v_add_f64 v[58:59], v[60:61], -v[64:65]
	v_add_f64 v[54:55], v[58:59], v[54:55]
	v_add_f64 v[58:59], v[68:69], v[54:55]
	v_add_f64 v[60:61], v[68:69], -v[58:59]
	v_add_f64 v[54:55], v[54:55], v[60:61]
	v_mul_f64 v[60:61], v[62:63], v[58:59]
	v_mul_f64 v[64:65], v[50:51], v[60:61]
	v_fma_f64 v[50:51], v[60:61], v[50:51], -v[64:65]
	v_fmac_f64_e32 v[50:51], v[60:61], v[26:27]
	v_add_f64 v[26:27], v[64:65], v[50:51]
	v_add_f64 v[66:67], v[58:59], -v[26:27]
	v_add_f64 v[58:59], v[58:59], -v[66:67]
	;; [unrolled: 1-line block ×4, first 2 shown]
	v_add_f64 v[26:27], v[54:55], v[26:27]
	v_add_f64 v[50:51], v[64:65], -v[50:51]
	v_add_f64 v[26:27], v[50:51], v[26:27]
	v_add_f64 v[50:51], v[56:57], v[60:61]
	;; [unrolled: 1-line block ×3, first 2 shown]
	v_add_f64 v[54:55], v[50:51], -v[56:57]
	v_mul_f64 v[26:27], v[62:63], v[26:27]
	v_add_f64 v[54:55], v[60:61], -v[54:55]
	v_add_f64 v[26:27], v[54:55], v[26:27]
	v_add_f64 v[54:55], v[50:51], v[26:27]
	v_add_f64 v[50:51], v[54:55], -v[50:51]
	s_mov_b32 s24, 0xbf559e2b
	v_add_f64 v[26:27], v[26:27], -v[50:51]
	v_mul_f64 v[50:51], v[54:55], v[54:55]
	v_mov_b32_e32 v56, 0x6b47b09a
	v_mov_b32_e32 v57, 0x3fc38538
	s_mov_b32 s25, 0x3fc3ab76
	v_fmac_f64_e32 v[56:57], s[24:25], v[50:51]
	v_mov_b32_e32 v58, 0xd7f4df2e
	v_mov_b32_e32 v59, 0x3fc7474d
	v_fmac_f64_e32 v[58:59], v[50:51], v[56:57]
	v_mov_b32_e32 v56, 0x16291751
	v_mov_b32_e32 v57, 0x3fcc71c0
	;; [unrolled: 3-line block ×5, first 2 shown]
	v_fmac_f64_e32 v[58:59], v[50:51], v[56:57]
	v_cvt_f64_i32_e32 v[56:57], v29
	s_mov_b32 s51, 0x3fe62e42
	v_mul_f64 v[60:61], v[56:57], s[50:51]
	v_fma_f64 v[62:63], v[56:57], s[50:51], -v[60:61]
	s_mov_b32 s53, 0x3c7abc9e
	v_fmac_f64_e32 v[62:63], s[52:53], v[56:57]
	v_add_f64 v[56:57], v[60:61], v[62:63]
	v_add_f64 v[60:61], v[56:57], -v[60:61]
	v_mul_f64 v[50:51], v[54:55], v[50:51]
	v_add_f64 v[60:61], v[62:63], -v[60:61]
	v_ldexp_f64 v[62:63], v[54:55], 1
	v_mul_f64 v[50:51], v[50:51], v[58:59]
	v_add_f64 v[54:55], v[62:63], v[50:51]
	v_add_f64 v[58:59], v[54:55], -v[62:63]
	v_ldexp_f64 v[26:27], v[26:27], 1
	v_add_f64 v[50:51], v[50:51], -v[58:59]
	v_add_f64 v[26:27], v[26:27], v[50:51]
	v_add_f64 v[50:51], v[54:55], v[26:27]
	v_add_f64 v[54:55], v[50:51], -v[54:55]
	v_add_f64 v[26:27], v[26:27], -v[54:55]
	v_add_f64 v[54:55], v[56:57], v[50:51]
	v_add_f64 v[58:59], v[54:55], -v[56:57]
	v_add_f64 v[62:63], v[54:55], -v[58:59]
	v_add_f64 v[56:57], v[56:57], -v[62:63]
	v_add_f64 v[50:51], v[50:51], -v[58:59]
	v_add_f64 v[50:51], v[50:51], v[56:57]
	v_add_f64 v[56:57], v[60:61], v[26:27]
	v_add_f64 v[58:59], v[56:57], -v[60:61]
	v_add_f64 v[50:51], v[56:57], v[50:51]
	v_add_f64 v[62:63], v[56:57], -v[58:59]
	;; [unrolled: 2-line block ×3, first 2 shown]
	v_add_f64 v[26:27], v[26:27], -v[58:59]
	v_add_f64 v[54:55], v[56:57], -v[54:55]
	v_add_f64 v[26:27], v[26:27], v[60:61]
	v_add_f64 v[50:51], v[50:51], -v[54:55]
	s_mov_b32 s24, 0
	v_add_f64 v[26:27], v[26:27], v[50:51]
	s_mov_b32 s25, 0x7ff00000
	v_add_f64 v[26:27], v[56:57], v[26:27]
	v_cmp_eq_f64_e32 vcc, s[24:25], v[24:25]
	v_cndmask_b32_e32 v26, v26, v24, vcc
	v_cndmask_b32_e32 v27, v27, v25, vcc
	v_mov_b32_e32 v29, 0x7ff80000
	v_cmp_ngt_f64_e32 vcc, -1.0, v[24:25]
	v_cndmask_b32_e32 v27, v29, v27, vcc
	v_cmp_nge_f64_e32 vcc, -1.0, v[24:25]
	v_cndmask_b32_e32 v26, 0, v26, vcc
	v_mov_b32_e32 v29, 0xfff00000
	v_cmp_neq_f64_e32 vcc, -1.0, v[24:25]
	v_cndmask_b32_e32 v27, v29, v27, vcc
	v_add_f64 v[24:25], v[22:23], v[26:27]
.LBB30_54:
	s_or_b64 exec, exec, s[48:49]
	v_pk_mov_b32 v[22:23], v[24:25], v[24:25] op_sel:[0,1]
	v_mov_b32_e32 v26, v24
	v_mov_b32_e32 v27, v25
.LBB30_55:
	s_or_b64 exec, exec, s[26:27]
	v_mov_b32_dpp v24, v26 row_shr:4 row_mask:0xf bank_mask:0xf
	v_mov_b32_dpp v25, v27 row_shr:4 row_mask:0xf bank_mask:0xf
	v_cmp_lt_u32_e32 vcc, 3, v28
	s_and_saveexec_b64 s[26:27], vcc
	s_cbranch_execz .LBB30_59
; %bb.56:
	v_max_f64 v[50:51], v[24:25], v[24:25]
	v_max_f64 v[54:55], v[22:23], v[22:23]
	v_min_f64 v[26:27], v[50:51], v[54:55]
	v_cmp_u_f64_e32 vcc, v[24:25], v[24:25]
	v_max_f64 v[50:51], v[50:51], v[54:55]
	v_cndmask_b32_e32 v26, v26, v24, vcc
	v_cndmask_b32_e32 v27, v27, v25, vcc
	v_cmp_u_f64_e64 s[24:25], v[22:23], v[22:23]
	v_cndmask_b32_e32 v29, v50, v24, vcc
	v_cndmask_b32_e32 v50, v51, v25, vcc
	v_cndmask_b32_e64 v27, v27, v23, s[24:25]
	v_cndmask_b32_e64 v26, v26, v22, s[24:25]
	;; [unrolled: 1-line block ×4, first 2 shown]
	s_movk_i32 s24, 0x1f8
	v_cmp_neq_f64_e32 vcc, v[26:27], v[22:23]
	v_cmp_class_f64_e64 s[24:25], v[26:27], s24
	s_or_b64 s[24:25], vcc, s[24:25]
	s_and_saveexec_b64 s[48:49], s[24:25]
	s_cbranch_execz .LBB30_58
; %bb.57:
	s_mov_b32 s24, 0x652b82fe
	v_add_f64 v[24:25], v[26:27], -v[22:23]
	s_mov_b32 s25, 0x3ff71547
	v_mul_f64 v[26:27], v[24:25], s[24:25]
	v_rndne_f64_e32 v[26:27], v[26:27]
	s_mov_b32 s51, 0xbfe62e42
	s_mov_b32 s50, 0xfefa39ef
	v_fma_f64 v[50:51], s[50:51], v[26:27], v[24:25]
	s_mov_b32 s53, 0xbc7abc9e
	s_mov_b32 s52, 0x3b39803f
	s_mov_b32 s24, 0x6a5dcb37
	v_fmac_f64_e32 v[50:51], s[52:53], v[26:27]
	v_mov_b32_e32 v54, 0xfca7ab0c
	v_mov_b32_e32 v55, 0x3e928af3
	s_mov_b32 s25, 0x3e5ade15
	v_fmac_f64_e32 v[54:55], s[24:25], v[50:51]
	v_mov_b32_e32 v56, 0x623fde64
	v_mov_b32_e32 v57, 0x3ec71dee
	v_fmac_f64_e32 v[56:57], v[50:51], v[54:55]
	v_mov_b32_e32 v54, 0x7c89e6b0
	v_mov_b32_e32 v55, 0x3efa0199
	;; [unrolled: 3-line block ×8, first 2 shown]
	s_mov_b32 s24, 0
	v_fmac_f64_e32 v[54:55], v[50:51], v[56:57]
	s_mov_b32 s25, 0x40900000
	v_fma_f64 v[54:55], v[50:51], v[54:55], 1.0
	v_cmp_nlt_f64_e32 vcc, s[24:25], v[24:25]
	s_mov_b32 s24, 0
	v_fma_f64 v[50:51], v[50:51], v[54:55], 1.0
	v_cvt_i32_f64_e32 v26, v[26:27]
	s_mov_b32 s25, 0xc090cc00
	v_ldexp_f64 v[26:27], v[50:51], v26
	v_mov_b32_e32 v29, 0x7ff00000
	v_cmp_ngt_f64_e64 s[24:25], s[24:25], v[24:25]
	v_cndmask_b32_e32 v27, v29, v27, vcc
	s_and_b64 vcc, s[24:25], vcc
	v_cndmask_b32_e64 v25, 0, v27, s[24:25]
	v_cndmask_b32_e32 v24, 0, v26, vcc
	v_add_f64 v[26:27], v[24:25], 1.0
	v_add_f64 v[50:51], v[26:27], -1.0
	v_add_f64 v[54:55], v[50:51], -v[26:27]
	v_add_f64 v[54:55], v[54:55], 1.0
	v_add_f64 v[50:51], v[24:25], -v[50:51]
	s_mov_b32 s24, 0x55555555
	v_add_f64 v[50:51], v[50:51], v[54:55]
	v_frexp_mant_f64_e32 v[54:55], v[26:27]
	s_mov_b32 s25, 0x3fe55555
	v_frexp_exp_i32_f64_e32 v29, v[26:27]
	v_cmp_gt_f64_e32 vcc, s[24:25], v[54:55]
	v_subbrev_co_u32_e32 v29, vcc, 0, v29, vcc
	v_sub_u32_e32 v52, 0, v29
	v_ldexp_f64 v[26:27], v[26:27], v52
	v_add_f64 v[54:55], v[26:27], -1.0
	v_add_f64 v[60:61], v[26:27], 1.0
	v_add_f64 v[56:57], v[54:55], 1.0
	v_add_f64 v[62:63], v[60:61], -1.0
	v_ldexp_f64 v[50:51], v[50:51], v52
	v_add_f64 v[56:57], v[26:27], -v[56:57]
	v_add_f64 v[26:27], v[26:27], -v[62:63]
	v_add_f64 v[26:27], v[50:51], v[26:27]
	v_add_f64 v[56:57], v[50:51], v[56:57]
	;; [unrolled: 1-line block ×3, first 2 shown]
	v_rcp_f64_e32 v[62:63], v[50:51]
	v_add_f64 v[58:59], v[54:55], v[56:57]
	v_add_f64 v[54:55], v[58:59], -v[54:55]
	v_add_f64 v[54:55], v[56:57], -v[54:55]
	;; [unrolled: 1-line block ×4, first 2 shown]
	v_fma_f64 v[56:57], -v[50:51], v[62:63], 1.0
	v_fmac_f64_e32 v[62:63], v[56:57], v[62:63]
	v_fma_f64 v[56:57], -v[50:51], v[62:63], 1.0
	v_fmac_f64_e32 v[62:63], v[56:57], v[62:63]
	v_mul_f64 v[56:57], v[58:59], v[62:63]
	v_mul_f64 v[60:61], v[50:51], v[56:57]
	v_fma_f64 v[64:65], v[56:57], v[50:51], -v[60:61]
	v_fmac_f64_e32 v[64:65], v[56:57], v[26:27]
	v_add_f64 v[66:67], v[60:61], v[64:65]
	v_add_f64 v[68:69], v[58:59], -v[66:67]
	v_add_f64 v[58:59], v[58:59], -v[68:69]
	;; [unrolled: 1-line block ×4, first 2 shown]
	v_add_f64 v[54:55], v[54:55], v[58:59]
	v_add_f64 v[58:59], v[60:61], -v[64:65]
	v_add_f64 v[54:55], v[58:59], v[54:55]
	v_add_f64 v[58:59], v[68:69], v[54:55]
	v_add_f64 v[60:61], v[68:69], -v[58:59]
	v_add_f64 v[54:55], v[54:55], v[60:61]
	v_mul_f64 v[60:61], v[62:63], v[58:59]
	v_mul_f64 v[64:65], v[50:51], v[60:61]
	v_fma_f64 v[50:51], v[60:61], v[50:51], -v[64:65]
	v_fmac_f64_e32 v[50:51], v[60:61], v[26:27]
	v_add_f64 v[26:27], v[64:65], v[50:51]
	v_add_f64 v[66:67], v[58:59], -v[26:27]
	v_add_f64 v[58:59], v[58:59], -v[66:67]
	;; [unrolled: 1-line block ×4, first 2 shown]
	v_add_f64 v[26:27], v[54:55], v[26:27]
	v_add_f64 v[50:51], v[64:65], -v[50:51]
	v_add_f64 v[26:27], v[50:51], v[26:27]
	v_add_f64 v[50:51], v[56:57], v[60:61]
	;; [unrolled: 1-line block ×3, first 2 shown]
	v_add_f64 v[54:55], v[50:51], -v[56:57]
	v_mul_f64 v[26:27], v[62:63], v[26:27]
	v_add_f64 v[54:55], v[60:61], -v[54:55]
	v_add_f64 v[26:27], v[54:55], v[26:27]
	v_add_f64 v[54:55], v[50:51], v[26:27]
	v_add_f64 v[50:51], v[54:55], -v[50:51]
	s_mov_b32 s24, 0xbf559e2b
	v_add_f64 v[26:27], v[26:27], -v[50:51]
	v_mul_f64 v[50:51], v[54:55], v[54:55]
	v_mov_b32_e32 v56, 0x6b47b09a
	v_mov_b32_e32 v57, 0x3fc38538
	s_mov_b32 s25, 0x3fc3ab76
	v_fmac_f64_e32 v[56:57], s[24:25], v[50:51]
	v_mov_b32_e32 v58, 0xd7f4df2e
	v_mov_b32_e32 v59, 0x3fc7474d
	v_fmac_f64_e32 v[58:59], v[50:51], v[56:57]
	v_mov_b32_e32 v56, 0x16291751
	v_mov_b32_e32 v57, 0x3fcc71c0
	;; [unrolled: 3-line block ×5, first 2 shown]
	v_fmac_f64_e32 v[58:59], v[50:51], v[56:57]
	v_cvt_f64_i32_e32 v[56:57], v29
	s_mov_b32 s51, 0x3fe62e42
	v_mul_f64 v[60:61], v[56:57], s[50:51]
	v_fma_f64 v[62:63], v[56:57], s[50:51], -v[60:61]
	s_mov_b32 s53, 0x3c7abc9e
	v_fmac_f64_e32 v[62:63], s[52:53], v[56:57]
	v_add_f64 v[56:57], v[60:61], v[62:63]
	v_add_f64 v[60:61], v[56:57], -v[60:61]
	v_mul_f64 v[50:51], v[54:55], v[50:51]
	v_add_f64 v[60:61], v[62:63], -v[60:61]
	v_ldexp_f64 v[62:63], v[54:55], 1
	v_mul_f64 v[50:51], v[50:51], v[58:59]
	v_add_f64 v[54:55], v[62:63], v[50:51]
	v_add_f64 v[58:59], v[54:55], -v[62:63]
	v_ldexp_f64 v[26:27], v[26:27], 1
	v_add_f64 v[50:51], v[50:51], -v[58:59]
	v_add_f64 v[26:27], v[26:27], v[50:51]
	v_add_f64 v[50:51], v[54:55], v[26:27]
	v_add_f64 v[54:55], v[50:51], -v[54:55]
	v_add_f64 v[26:27], v[26:27], -v[54:55]
	v_add_f64 v[54:55], v[56:57], v[50:51]
	v_add_f64 v[58:59], v[54:55], -v[56:57]
	v_add_f64 v[62:63], v[54:55], -v[58:59]
	;; [unrolled: 1-line block ×4, first 2 shown]
	v_add_f64 v[50:51], v[50:51], v[56:57]
	v_add_f64 v[56:57], v[60:61], v[26:27]
	v_add_f64 v[58:59], v[56:57], -v[60:61]
	v_add_f64 v[50:51], v[56:57], v[50:51]
	v_add_f64 v[62:63], v[56:57], -v[58:59]
	;; [unrolled: 2-line block ×3, first 2 shown]
	v_add_f64 v[26:27], v[26:27], -v[58:59]
	v_add_f64 v[54:55], v[56:57], -v[54:55]
	v_add_f64 v[26:27], v[26:27], v[60:61]
	v_add_f64 v[50:51], v[50:51], -v[54:55]
	s_mov_b32 s24, 0
	v_add_f64 v[26:27], v[26:27], v[50:51]
	s_mov_b32 s25, 0x7ff00000
	v_add_f64 v[26:27], v[56:57], v[26:27]
	v_cmp_eq_f64_e32 vcc, s[24:25], v[24:25]
	v_cndmask_b32_e32 v26, v26, v24, vcc
	v_cndmask_b32_e32 v27, v27, v25, vcc
	v_mov_b32_e32 v29, 0x7ff80000
	v_cmp_ngt_f64_e32 vcc, -1.0, v[24:25]
	v_cndmask_b32_e32 v27, v29, v27, vcc
	v_cmp_nge_f64_e32 vcc, -1.0, v[24:25]
	v_cndmask_b32_e32 v26, 0, v26, vcc
	v_mov_b32_e32 v29, 0xfff00000
	v_cmp_neq_f64_e32 vcc, -1.0, v[24:25]
	v_cndmask_b32_e32 v27, v29, v27, vcc
	v_add_f64 v[24:25], v[22:23], v[26:27]
.LBB30_58:
	s_or_b64 exec, exec, s[48:49]
	v_pk_mov_b32 v[22:23], v[24:25], v[24:25] op_sel:[0,1]
	v_mov_b32_e32 v26, v24
	v_mov_b32_e32 v27, v25
.LBB30_59:
	s_or_b64 exec, exec, s[26:27]
	v_mov_b32_dpp v24, v26 row_shr:8 row_mask:0xf bank_mask:0xf
	v_mov_b32_dpp v25, v27 row_shr:8 row_mask:0xf bank_mask:0xf
	v_cmp_lt_u32_e32 vcc, 7, v28
	s_and_saveexec_b64 s[26:27], vcc
	s_cbranch_execz .LBB30_63
; %bb.60:
	v_max_f64 v[28:29], v[24:25], v[24:25]
	v_max_f64 v[50:51], v[22:23], v[22:23]
	v_min_f64 v[26:27], v[28:29], v[50:51]
	v_cmp_u_f64_e32 vcc, v[24:25], v[24:25]
	v_max_f64 v[28:29], v[28:29], v[50:51]
	v_cndmask_b32_e32 v26, v26, v24, vcc
	v_cndmask_b32_e32 v27, v27, v25, vcc
	v_cmp_u_f64_e64 s[24:25], v[22:23], v[22:23]
	v_cndmask_b32_e32 v28, v28, v24, vcc
	v_cndmask_b32_e32 v29, v29, v25, vcc
	v_cndmask_b32_e64 v27, v27, v23, s[24:25]
	v_cndmask_b32_e64 v26, v26, v22, s[24:25]
	;; [unrolled: 1-line block ×4, first 2 shown]
	s_movk_i32 s24, 0x1f8
	v_cmp_neq_f64_e32 vcc, v[26:27], v[22:23]
	v_cmp_class_f64_e64 s[24:25], v[26:27], s24
	s_or_b64 s[24:25], vcc, s[24:25]
	s_and_saveexec_b64 s[48:49], s[24:25]
	s_cbranch_execz .LBB30_62
; %bb.61:
	s_mov_b32 s24, 0x652b82fe
	v_add_f64 v[24:25], v[26:27], -v[22:23]
	s_mov_b32 s25, 0x3ff71547
	v_mul_f64 v[26:27], v[24:25], s[24:25]
	v_rndne_f64_e32 v[26:27], v[26:27]
	s_mov_b32 s51, 0xbfe62e42
	s_mov_b32 s50, 0xfefa39ef
	v_fma_f64 v[28:29], s[50:51], v[26:27], v[24:25]
	s_mov_b32 s53, 0xbc7abc9e
	s_mov_b32 s52, 0x3b39803f
	;; [unrolled: 1-line block ×3, first 2 shown]
	v_fmac_f64_e32 v[28:29], s[52:53], v[26:27]
	v_mov_b32_e32 v50, 0xfca7ab0c
	v_mov_b32_e32 v51, 0x3e928af3
	s_mov_b32 s25, 0x3e5ade15
	v_fmac_f64_e32 v[50:51], s[24:25], v[28:29]
	v_mov_b32_e32 v54, 0x623fde64
	v_mov_b32_e32 v55, 0x3ec71dee
	v_fmac_f64_e32 v[54:55], v[28:29], v[50:51]
	v_mov_b32_e32 v50, 0x7c89e6b0
	v_mov_b32_e32 v51, 0x3efa0199
	;; [unrolled: 3-line block ×8, first 2 shown]
	s_mov_b32 s24, 0
	v_fmac_f64_e32 v[50:51], v[28:29], v[54:55]
	s_mov_b32 s25, 0x40900000
	v_fma_f64 v[50:51], v[28:29], v[50:51], 1.0
	v_cmp_nlt_f64_e32 vcc, s[24:25], v[24:25]
	s_mov_b32 s24, 0
	v_fma_f64 v[28:29], v[28:29], v[50:51], 1.0
	v_cvt_i32_f64_e32 v26, v[26:27]
	s_mov_b32 s25, 0xc090cc00
	v_ldexp_f64 v[26:27], v[28:29], v26
	v_mov_b32_e32 v28, 0x7ff00000
	v_cmp_ngt_f64_e64 s[24:25], s[24:25], v[24:25]
	v_cndmask_b32_e32 v27, v28, v27, vcc
	s_and_b64 vcc, s[24:25], vcc
	v_cndmask_b32_e64 v25, 0, v27, s[24:25]
	v_cndmask_b32_e32 v24, 0, v26, vcc
	v_add_f64 v[26:27], v[24:25], 1.0
	v_add_f64 v[28:29], v[26:27], -1.0
	v_add_f64 v[50:51], v[28:29], -v[26:27]
	v_add_f64 v[50:51], v[50:51], 1.0
	v_add_f64 v[28:29], v[24:25], -v[28:29]
	s_mov_b32 s24, 0x55555555
	v_add_f64 v[28:29], v[28:29], v[50:51]
	v_frexp_mant_f64_e32 v[50:51], v[26:27]
	s_mov_b32 s25, 0x3fe55555
	v_frexp_exp_i32_f64_e32 v52, v[26:27]
	v_cmp_gt_f64_e32 vcc, s[24:25], v[50:51]
	v_subbrev_co_u32_e32 v52, vcc, 0, v52, vcc
	v_sub_u32_e32 v50, 0, v52
	v_ldexp_f64 v[26:27], v[26:27], v50
	v_ldexp_f64 v[28:29], v[28:29], v50
	v_add_f64 v[50:51], v[26:27], -1.0
	v_add_f64 v[58:59], v[26:27], 1.0
	v_add_f64 v[54:55], v[50:51], 1.0
	v_add_f64 v[60:61], v[58:59], -1.0
	v_add_f64 v[54:55], v[26:27], -v[54:55]
	v_add_f64 v[26:27], v[26:27], -v[60:61]
	v_add_f64 v[26:27], v[28:29], v[26:27]
	v_add_f64 v[54:55], v[28:29], v[54:55]
	;; [unrolled: 1-line block ×3, first 2 shown]
	v_rcp_f64_e32 v[60:61], v[28:29]
	v_add_f64 v[56:57], v[50:51], v[54:55]
	v_add_f64 v[50:51], v[56:57], -v[50:51]
	v_add_f64 v[50:51], v[54:55], -v[50:51]
	;; [unrolled: 1-line block ×4, first 2 shown]
	v_fma_f64 v[54:55], -v[28:29], v[60:61], 1.0
	v_fmac_f64_e32 v[60:61], v[54:55], v[60:61]
	v_fma_f64 v[54:55], -v[28:29], v[60:61], 1.0
	v_fmac_f64_e32 v[60:61], v[54:55], v[60:61]
	v_mul_f64 v[54:55], v[56:57], v[60:61]
	v_mul_f64 v[58:59], v[28:29], v[54:55]
	v_fma_f64 v[62:63], v[54:55], v[28:29], -v[58:59]
	v_fmac_f64_e32 v[62:63], v[54:55], v[26:27]
	v_add_f64 v[64:65], v[58:59], v[62:63]
	v_add_f64 v[66:67], v[56:57], -v[64:65]
	v_add_f64 v[56:57], v[56:57], -v[66:67]
	;; [unrolled: 1-line block ×4, first 2 shown]
	v_add_f64 v[50:51], v[50:51], v[56:57]
	v_add_f64 v[56:57], v[58:59], -v[62:63]
	v_add_f64 v[50:51], v[56:57], v[50:51]
	v_add_f64 v[56:57], v[66:67], v[50:51]
	v_add_f64 v[58:59], v[66:67], -v[56:57]
	v_add_f64 v[50:51], v[50:51], v[58:59]
	v_mul_f64 v[58:59], v[60:61], v[56:57]
	v_mul_f64 v[62:63], v[28:29], v[58:59]
	v_fma_f64 v[28:29], v[58:59], v[28:29], -v[62:63]
	v_fmac_f64_e32 v[28:29], v[58:59], v[26:27]
	v_add_f64 v[26:27], v[62:63], v[28:29]
	v_add_f64 v[64:65], v[56:57], -v[26:27]
	v_add_f64 v[56:57], v[56:57], -v[64:65]
	;; [unrolled: 1-line block ×4, first 2 shown]
	v_add_f64 v[26:27], v[50:51], v[26:27]
	v_add_f64 v[28:29], v[62:63], -v[28:29]
	v_add_f64 v[26:27], v[28:29], v[26:27]
	v_add_f64 v[28:29], v[54:55], v[58:59]
	;; [unrolled: 1-line block ×3, first 2 shown]
	v_add_f64 v[50:51], v[28:29], -v[54:55]
	v_mul_f64 v[26:27], v[60:61], v[26:27]
	v_add_f64 v[50:51], v[58:59], -v[50:51]
	v_add_f64 v[26:27], v[50:51], v[26:27]
	v_add_f64 v[50:51], v[28:29], v[26:27]
	v_add_f64 v[28:29], v[50:51], -v[28:29]
	s_mov_b32 s24, 0xbf559e2b
	v_add_f64 v[26:27], v[26:27], -v[28:29]
	v_mul_f64 v[28:29], v[50:51], v[50:51]
	v_mov_b32_e32 v54, 0x6b47b09a
	v_mov_b32_e32 v55, 0x3fc38538
	s_mov_b32 s25, 0x3fc3ab76
	v_fmac_f64_e32 v[54:55], s[24:25], v[28:29]
	v_mov_b32_e32 v56, 0xd7f4df2e
	v_mov_b32_e32 v57, 0x3fc7474d
	v_fmac_f64_e32 v[56:57], v[28:29], v[54:55]
	v_mov_b32_e32 v54, 0x16291751
	v_mov_b32_e32 v55, 0x3fcc71c0
	;; [unrolled: 3-line block ×5, first 2 shown]
	v_fmac_f64_e32 v[56:57], v[28:29], v[54:55]
	v_cvt_f64_i32_e32 v[54:55], v52
	s_mov_b32 s51, 0x3fe62e42
	v_mul_f64 v[58:59], v[54:55], s[50:51]
	v_fma_f64 v[60:61], v[54:55], s[50:51], -v[58:59]
	s_mov_b32 s53, 0x3c7abc9e
	v_fmac_f64_e32 v[60:61], s[52:53], v[54:55]
	v_add_f64 v[54:55], v[58:59], v[60:61]
	v_add_f64 v[58:59], v[54:55], -v[58:59]
	v_mul_f64 v[28:29], v[50:51], v[28:29]
	v_add_f64 v[58:59], v[60:61], -v[58:59]
	v_ldexp_f64 v[60:61], v[50:51], 1
	v_mul_f64 v[28:29], v[28:29], v[56:57]
	v_add_f64 v[50:51], v[60:61], v[28:29]
	v_add_f64 v[56:57], v[50:51], -v[60:61]
	v_ldexp_f64 v[26:27], v[26:27], 1
	v_add_f64 v[28:29], v[28:29], -v[56:57]
	v_add_f64 v[26:27], v[26:27], v[28:29]
	v_add_f64 v[28:29], v[50:51], v[26:27]
	v_add_f64 v[50:51], v[28:29], -v[50:51]
	v_add_f64 v[26:27], v[26:27], -v[50:51]
	v_add_f64 v[50:51], v[54:55], v[28:29]
	v_add_f64 v[56:57], v[50:51], -v[54:55]
	v_add_f64 v[60:61], v[50:51], -v[56:57]
	;; [unrolled: 1-line block ×4, first 2 shown]
	v_add_f64 v[28:29], v[28:29], v[54:55]
	v_add_f64 v[54:55], v[58:59], v[26:27]
	v_add_f64 v[56:57], v[54:55], -v[58:59]
	v_add_f64 v[28:29], v[54:55], v[28:29]
	v_add_f64 v[60:61], v[54:55], -v[56:57]
	;; [unrolled: 2-line block ×3, first 2 shown]
	v_add_f64 v[26:27], v[26:27], -v[56:57]
	v_add_f64 v[50:51], v[54:55], -v[50:51]
	v_add_f64 v[26:27], v[26:27], v[58:59]
	v_add_f64 v[28:29], v[28:29], -v[50:51]
	s_mov_b32 s24, 0
	v_add_f64 v[26:27], v[26:27], v[28:29]
	s_mov_b32 s25, 0x7ff00000
	v_add_f64 v[26:27], v[54:55], v[26:27]
	v_cmp_eq_f64_e32 vcc, s[24:25], v[24:25]
	v_cndmask_b32_e32 v26, v26, v24, vcc
	v_cndmask_b32_e32 v27, v27, v25, vcc
	v_mov_b32_e32 v28, 0x7ff80000
	v_cmp_ngt_f64_e32 vcc, -1.0, v[24:25]
	v_cndmask_b32_e32 v27, v28, v27, vcc
	v_cmp_nge_f64_e32 vcc, -1.0, v[24:25]
	v_cndmask_b32_e32 v26, 0, v26, vcc
	v_mov_b32_e32 v28, 0xfff00000
	v_cmp_neq_f64_e32 vcc, -1.0, v[24:25]
	v_cndmask_b32_e32 v27, v28, v27, vcc
	v_add_f64 v[24:25], v[22:23], v[26:27]
.LBB30_62:
	s_or_b64 exec, exec, s[48:49]
	v_pk_mov_b32 v[22:23], v[24:25], v[24:25] op_sel:[0,1]
	v_mov_b32_e32 v26, v24
	v_mov_b32_e32 v27, v25
.LBB30_63:
	s_or_b64 exec, exec, s[26:27]
	v_and_b32_e32 v28, 16, v53
	v_mov_b32_dpp v24, v26 row_bcast:15 row_mask:0xf bank_mask:0xf
	v_mov_b32_dpp v25, v27 row_bcast:15 row_mask:0xf bank_mask:0xf
	v_cmp_ne_u32_e32 vcc, 0, v28
	s_and_saveexec_b64 s[26:27], vcc
	s_cbranch_execz .LBB30_67
; %bb.64:
	v_max_f64 v[28:29], v[24:25], v[24:25]
	v_max_f64 v[50:51], v[22:23], v[22:23]
	v_min_f64 v[26:27], v[28:29], v[50:51]
	v_cmp_u_f64_e32 vcc, v[24:25], v[24:25]
	v_max_f64 v[28:29], v[28:29], v[50:51]
	v_cndmask_b32_e32 v26, v26, v24, vcc
	v_cndmask_b32_e32 v27, v27, v25, vcc
	v_cmp_u_f64_e64 s[24:25], v[22:23], v[22:23]
	v_cndmask_b32_e32 v28, v28, v24, vcc
	v_cndmask_b32_e32 v29, v29, v25, vcc
	v_cndmask_b32_e64 v27, v27, v23, s[24:25]
	v_cndmask_b32_e64 v26, v26, v22, s[24:25]
	;; [unrolled: 1-line block ×4, first 2 shown]
	s_movk_i32 s24, 0x1f8
	v_cmp_neq_f64_e32 vcc, v[26:27], v[22:23]
	v_cmp_class_f64_e64 s[24:25], v[26:27], s24
	s_or_b64 s[24:25], vcc, s[24:25]
	s_and_saveexec_b64 s[48:49], s[24:25]
	s_cbranch_execz .LBB30_66
; %bb.65:
	s_mov_b32 s24, 0x652b82fe
	v_add_f64 v[24:25], v[26:27], -v[22:23]
	s_mov_b32 s25, 0x3ff71547
	v_mul_f64 v[26:27], v[24:25], s[24:25]
	v_rndne_f64_e32 v[26:27], v[26:27]
	s_mov_b32 s51, 0xbfe62e42
	s_mov_b32 s50, 0xfefa39ef
	v_fma_f64 v[28:29], s[50:51], v[26:27], v[24:25]
	s_mov_b32 s53, 0xbc7abc9e
	s_mov_b32 s52, 0x3b39803f
	;; [unrolled: 1-line block ×3, first 2 shown]
	v_fmac_f64_e32 v[28:29], s[52:53], v[26:27]
	v_mov_b32_e32 v50, 0xfca7ab0c
	v_mov_b32_e32 v51, 0x3e928af3
	s_mov_b32 s25, 0x3e5ade15
	v_fmac_f64_e32 v[50:51], s[24:25], v[28:29]
	v_mov_b32_e32 v54, 0x623fde64
	v_mov_b32_e32 v55, 0x3ec71dee
	v_fmac_f64_e32 v[54:55], v[28:29], v[50:51]
	v_mov_b32_e32 v50, 0x7c89e6b0
	v_mov_b32_e32 v51, 0x3efa0199
	;; [unrolled: 3-line block ×8, first 2 shown]
	s_mov_b32 s24, 0
	v_fmac_f64_e32 v[50:51], v[28:29], v[54:55]
	s_mov_b32 s25, 0x40900000
	v_fma_f64 v[50:51], v[28:29], v[50:51], 1.0
	v_cmp_nlt_f64_e32 vcc, s[24:25], v[24:25]
	s_mov_b32 s24, 0
	v_fma_f64 v[28:29], v[28:29], v[50:51], 1.0
	v_cvt_i32_f64_e32 v26, v[26:27]
	s_mov_b32 s25, 0xc090cc00
	v_ldexp_f64 v[26:27], v[28:29], v26
	v_mov_b32_e32 v28, 0x7ff00000
	v_cmp_ngt_f64_e64 s[24:25], s[24:25], v[24:25]
	v_cndmask_b32_e32 v27, v28, v27, vcc
	s_and_b64 vcc, s[24:25], vcc
	v_cndmask_b32_e64 v25, 0, v27, s[24:25]
	v_cndmask_b32_e32 v24, 0, v26, vcc
	v_add_f64 v[26:27], v[24:25], 1.0
	v_add_f64 v[28:29], v[26:27], -1.0
	v_add_f64 v[50:51], v[28:29], -v[26:27]
	v_add_f64 v[50:51], v[50:51], 1.0
	v_add_f64 v[28:29], v[24:25], -v[28:29]
	s_mov_b32 s24, 0x55555555
	v_add_f64 v[28:29], v[28:29], v[50:51]
	v_frexp_mant_f64_e32 v[50:51], v[26:27]
	s_mov_b32 s25, 0x3fe55555
	v_frexp_exp_i32_f64_e32 v52, v[26:27]
	v_cmp_gt_f64_e32 vcc, s[24:25], v[50:51]
	v_subbrev_co_u32_e32 v52, vcc, 0, v52, vcc
	v_sub_u32_e32 v50, 0, v52
	v_ldexp_f64 v[26:27], v[26:27], v50
	v_ldexp_f64 v[28:29], v[28:29], v50
	v_add_f64 v[50:51], v[26:27], -1.0
	v_add_f64 v[58:59], v[26:27], 1.0
	v_add_f64 v[54:55], v[50:51], 1.0
	v_add_f64 v[60:61], v[58:59], -1.0
	v_add_f64 v[54:55], v[26:27], -v[54:55]
	v_add_f64 v[26:27], v[26:27], -v[60:61]
	v_add_f64 v[26:27], v[28:29], v[26:27]
	v_add_f64 v[54:55], v[28:29], v[54:55]
	;; [unrolled: 1-line block ×3, first 2 shown]
	v_rcp_f64_e32 v[60:61], v[28:29]
	v_add_f64 v[56:57], v[50:51], v[54:55]
	v_add_f64 v[50:51], v[56:57], -v[50:51]
	v_add_f64 v[50:51], v[54:55], -v[50:51]
	;; [unrolled: 1-line block ×4, first 2 shown]
	v_fma_f64 v[54:55], -v[28:29], v[60:61], 1.0
	v_fmac_f64_e32 v[60:61], v[54:55], v[60:61]
	v_fma_f64 v[54:55], -v[28:29], v[60:61], 1.0
	v_fmac_f64_e32 v[60:61], v[54:55], v[60:61]
	v_mul_f64 v[54:55], v[56:57], v[60:61]
	v_mul_f64 v[58:59], v[28:29], v[54:55]
	v_fma_f64 v[62:63], v[54:55], v[28:29], -v[58:59]
	v_fmac_f64_e32 v[62:63], v[54:55], v[26:27]
	v_add_f64 v[64:65], v[58:59], v[62:63]
	v_add_f64 v[66:67], v[56:57], -v[64:65]
	v_add_f64 v[56:57], v[56:57], -v[66:67]
	;; [unrolled: 1-line block ×4, first 2 shown]
	v_add_f64 v[50:51], v[50:51], v[56:57]
	v_add_f64 v[56:57], v[58:59], -v[62:63]
	v_add_f64 v[50:51], v[56:57], v[50:51]
	v_add_f64 v[56:57], v[66:67], v[50:51]
	v_add_f64 v[58:59], v[66:67], -v[56:57]
	v_add_f64 v[50:51], v[50:51], v[58:59]
	v_mul_f64 v[58:59], v[60:61], v[56:57]
	v_mul_f64 v[62:63], v[28:29], v[58:59]
	v_fma_f64 v[28:29], v[58:59], v[28:29], -v[62:63]
	v_fmac_f64_e32 v[28:29], v[58:59], v[26:27]
	v_add_f64 v[26:27], v[62:63], v[28:29]
	v_add_f64 v[64:65], v[56:57], -v[26:27]
	v_add_f64 v[56:57], v[56:57], -v[64:65]
	;; [unrolled: 1-line block ×4, first 2 shown]
	v_add_f64 v[26:27], v[50:51], v[26:27]
	v_add_f64 v[28:29], v[62:63], -v[28:29]
	v_add_f64 v[26:27], v[28:29], v[26:27]
	v_add_f64 v[28:29], v[54:55], v[58:59]
	;; [unrolled: 1-line block ×3, first 2 shown]
	v_add_f64 v[50:51], v[28:29], -v[54:55]
	v_mul_f64 v[26:27], v[60:61], v[26:27]
	v_add_f64 v[50:51], v[58:59], -v[50:51]
	v_add_f64 v[26:27], v[50:51], v[26:27]
	v_add_f64 v[50:51], v[28:29], v[26:27]
	v_add_f64 v[28:29], v[50:51], -v[28:29]
	s_mov_b32 s24, 0xbf559e2b
	v_add_f64 v[26:27], v[26:27], -v[28:29]
	v_mul_f64 v[28:29], v[50:51], v[50:51]
	v_mov_b32_e32 v54, 0x6b47b09a
	v_mov_b32_e32 v55, 0x3fc38538
	s_mov_b32 s25, 0x3fc3ab76
	v_fmac_f64_e32 v[54:55], s[24:25], v[28:29]
	v_mov_b32_e32 v56, 0xd7f4df2e
	v_mov_b32_e32 v57, 0x3fc7474d
	v_fmac_f64_e32 v[56:57], v[28:29], v[54:55]
	v_mov_b32_e32 v54, 0x16291751
	v_mov_b32_e32 v55, 0x3fcc71c0
	;; [unrolled: 3-line block ×5, first 2 shown]
	v_fmac_f64_e32 v[56:57], v[28:29], v[54:55]
	v_cvt_f64_i32_e32 v[54:55], v52
	s_mov_b32 s51, 0x3fe62e42
	v_mul_f64 v[58:59], v[54:55], s[50:51]
	v_fma_f64 v[60:61], v[54:55], s[50:51], -v[58:59]
	s_mov_b32 s53, 0x3c7abc9e
	v_fmac_f64_e32 v[60:61], s[52:53], v[54:55]
	v_add_f64 v[54:55], v[58:59], v[60:61]
	v_add_f64 v[58:59], v[54:55], -v[58:59]
	v_mul_f64 v[28:29], v[50:51], v[28:29]
	v_add_f64 v[58:59], v[60:61], -v[58:59]
	v_ldexp_f64 v[60:61], v[50:51], 1
	v_mul_f64 v[28:29], v[28:29], v[56:57]
	v_add_f64 v[50:51], v[60:61], v[28:29]
	v_add_f64 v[56:57], v[50:51], -v[60:61]
	v_ldexp_f64 v[26:27], v[26:27], 1
	v_add_f64 v[28:29], v[28:29], -v[56:57]
	v_add_f64 v[26:27], v[26:27], v[28:29]
	v_add_f64 v[28:29], v[50:51], v[26:27]
	v_add_f64 v[50:51], v[28:29], -v[50:51]
	v_add_f64 v[26:27], v[26:27], -v[50:51]
	v_add_f64 v[50:51], v[54:55], v[28:29]
	v_add_f64 v[56:57], v[50:51], -v[54:55]
	v_add_f64 v[60:61], v[50:51], -v[56:57]
	;; [unrolled: 1-line block ×4, first 2 shown]
	v_add_f64 v[28:29], v[28:29], v[54:55]
	v_add_f64 v[54:55], v[58:59], v[26:27]
	v_add_f64 v[56:57], v[54:55], -v[58:59]
	v_add_f64 v[28:29], v[54:55], v[28:29]
	v_add_f64 v[60:61], v[54:55], -v[56:57]
	v_add_f64 v[54:55], v[50:51], v[28:29]
	v_add_f64 v[58:59], v[58:59], -v[60:61]
	v_add_f64 v[26:27], v[26:27], -v[56:57]
	v_add_f64 v[50:51], v[54:55], -v[50:51]
	v_add_f64 v[26:27], v[26:27], v[58:59]
	v_add_f64 v[28:29], v[28:29], -v[50:51]
	s_mov_b32 s24, 0
	v_add_f64 v[26:27], v[26:27], v[28:29]
	s_mov_b32 s25, 0x7ff00000
	v_add_f64 v[26:27], v[54:55], v[26:27]
	v_cmp_eq_f64_e32 vcc, s[24:25], v[24:25]
	v_cndmask_b32_e32 v26, v26, v24, vcc
	v_cndmask_b32_e32 v27, v27, v25, vcc
	v_mov_b32_e32 v28, 0x7ff80000
	v_cmp_ngt_f64_e32 vcc, -1.0, v[24:25]
	v_cndmask_b32_e32 v27, v28, v27, vcc
	v_cmp_nge_f64_e32 vcc, -1.0, v[24:25]
	v_cndmask_b32_e32 v26, 0, v26, vcc
	v_mov_b32_e32 v28, 0xfff00000
	v_cmp_neq_f64_e32 vcc, -1.0, v[24:25]
	v_cndmask_b32_e32 v27, v28, v27, vcc
	v_add_f64 v[24:25], v[22:23], v[26:27]
.LBB30_66:
	s_or_b64 exec, exec, s[48:49]
	v_mov_b32_e32 v26, v24
	v_mov_b32_e32 v27, v25
	v_pk_mov_b32 v[22:23], v[24:25], v[24:25] op_sel:[0,1]
.LBB30_67:
	s_or_b64 exec, exec, s[26:27]
	v_mov_b32_dpp v24, v26 row_bcast:31 row_mask:0xf bank_mask:0xf
	v_mov_b32_dpp v25, v27 row_bcast:31 row_mask:0xf bank_mask:0xf
	v_cmp_lt_u32_e32 vcc, 31, v53
	s_and_saveexec_b64 s[26:27], vcc
	s_cbranch_execz .LBB30_71
; %bb.68:
	v_max_f64 v[28:29], v[24:25], v[24:25]
	v_max_f64 v[50:51], v[22:23], v[22:23]
	v_min_f64 v[26:27], v[28:29], v[50:51]
	v_cmp_u_f64_e32 vcc, v[24:25], v[24:25]
	v_max_f64 v[28:29], v[28:29], v[50:51]
	v_cndmask_b32_e32 v26, v26, v24, vcc
	v_cndmask_b32_e32 v27, v27, v25, vcc
	v_cmp_u_f64_e64 s[24:25], v[22:23], v[22:23]
	v_cndmask_b32_e32 v28, v28, v24, vcc
	v_cndmask_b32_e32 v29, v29, v25, vcc
	v_cndmask_b32_e64 v27, v27, v23, s[24:25]
	v_cndmask_b32_e64 v26, v26, v22, s[24:25]
	;; [unrolled: 1-line block ×4, first 2 shown]
	s_movk_i32 s24, 0x1f8
	v_cmp_neq_f64_e32 vcc, v[26:27], v[22:23]
	v_cmp_class_f64_e64 s[24:25], v[26:27], s24
	s_or_b64 s[24:25], vcc, s[24:25]
	s_and_saveexec_b64 s[48:49], s[24:25]
	s_cbranch_execz .LBB30_70
; %bb.69:
	s_mov_b32 s24, 0x652b82fe
	v_add_f64 v[24:25], v[26:27], -v[22:23]
	s_mov_b32 s25, 0x3ff71547
	v_mul_f64 v[26:27], v[24:25], s[24:25]
	v_rndne_f64_e32 v[26:27], v[26:27]
	s_mov_b32 s51, 0xbfe62e42
	s_mov_b32 s50, 0xfefa39ef
	v_fma_f64 v[28:29], s[50:51], v[26:27], v[24:25]
	s_mov_b32 s53, 0xbc7abc9e
	s_mov_b32 s52, 0x3b39803f
	s_mov_b32 s24, 0x6a5dcb37
	v_fmac_f64_e32 v[28:29], s[52:53], v[26:27]
	v_mov_b32_e32 v50, 0xfca7ab0c
	v_mov_b32_e32 v51, 0x3e928af3
	s_mov_b32 s25, 0x3e5ade15
	v_fmac_f64_e32 v[50:51], s[24:25], v[28:29]
	v_mov_b32_e32 v54, 0x623fde64
	v_mov_b32_e32 v55, 0x3ec71dee
	v_fmac_f64_e32 v[54:55], v[28:29], v[50:51]
	v_mov_b32_e32 v50, 0x7c89e6b0
	v_mov_b32_e32 v51, 0x3efa0199
	;; [unrolled: 3-line block ×8, first 2 shown]
	s_mov_b32 s24, 0
	v_fmac_f64_e32 v[50:51], v[28:29], v[54:55]
	s_mov_b32 s25, 0x40900000
	v_fma_f64 v[50:51], v[28:29], v[50:51], 1.0
	v_cmp_nlt_f64_e32 vcc, s[24:25], v[24:25]
	s_mov_b32 s24, 0
	v_fma_f64 v[28:29], v[28:29], v[50:51], 1.0
	v_cvt_i32_f64_e32 v26, v[26:27]
	s_mov_b32 s25, 0xc090cc00
	v_ldexp_f64 v[26:27], v[28:29], v26
	v_mov_b32_e32 v28, 0x7ff00000
	v_cmp_ngt_f64_e64 s[24:25], s[24:25], v[24:25]
	v_cndmask_b32_e32 v27, v28, v27, vcc
	s_and_b64 vcc, s[24:25], vcc
	v_cndmask_b32_e64 v25, 0, v27, s[24:25]
	v_cndmask_b32_e32 v24, 0, v26, vcc
	v_add_f64 v[26:27], v[24:25], 1.0
	v_add_f64 v[28:29], v[26:27], -1.0
	v_add_f64 v[50:51], v[28:29], -v[26:27]
	v_add_f64 v[50:51], v[50:51], 1.0
	v_add_f64 v[28:29], v[24:25], -v[28:29]
	s_mov_b32 s24, 0x55555555
	v_add_f64 v[28:29], v[28:29], v[50:51]
	v_frexp_mant_f64_e32 v[50:51], v[26:27]
	s_mov_b32 s25, 0x3fe55555
	v_frexp_exp_i32_f64_e32 v52, v[26:27]
	v_cmp_gt_f64_e32 vcc, s[24:25], v[50:51]
	v_subbrev_co_u32_e32 v52, vcc, 0, v52, vcc
	v_sub_u32_e32 v50, 0, v52
	v_ldexp_f64 v[26:27], v[26:27], v50
	v_ldexp_f64 v[28:29], v[28:29], v50
	v_add_f64 v[50:51], v[26:27], -1.0
	v_add_f64 v[58:59], v[26:27], 1.0
	v_add_f64 v[54:55], v[50:51], 1.0
	v_add_f64 v[60:61], v[58:59], -1.0
	v_add_f64 v[54:55], v[26:27], -v[54:55]
	v_add_f64 v[26:27], v[26:27], -v[60:61]
	v_add_f64 v[26:27], v[28:29], v[26:27]
	v_add_f64 v[54:55], v[28:29], v[54:55]
	;; [unrolled: 1-line block ×3, first 2 shown]
	v_rcp_f64_e32 v[60:61], v[28:29]
	v_add_f64 v[56:57], v[50:51], v[54:55]
	v_add_f64 v[50:51], v[56:57], -v[50:51]
	v_add_f64 v[50:51], v[54:55], -v[50:51]
	;; [unrolled: 1-line block ×4, first 2 shown]
	v_fma_f64 v[54:55], -v[28:29], v[60:61], 1.0
	v_fmac_f64_e32 v[60:61], v[54:55], v[60:61]
	v_fma_f64 v[54:55], -v[28:29], v[60:61], 1.0
	v_fmac_f64_e32 v[60:61], v[54:55], v[60:61]
	v_mul_f64 v[54:55], v[56:57], v[60:61]
	v_mul_f64 v[58:59], v[28:29], v[54:55]
	v_fma_f64 v[62:63], v[54:55], v[28:29], -v[58:59]
	v_fmac_f64_e32 v[62:63], v[54:55], v[26:27]
	v_add_f64 v[64:65], v[58:59], v[62:63]
	v_add_f64 v[66:67], v[56:57], -v[64:65]
	v_add_f64 v[56:57], v[56:57], -v[66:67]
	;; [unrolled: 1-line block ×4, first 2 shown]
	v_add_f64 v[50:51], v[50:51], v[56:57]
	v_add_f64 v[56:57], v[58:59], -v[62:63]
	v_add_f64 v[50:51], v[56:57], v[50:51]
	v_add_f64 v[56:57], v[66:67], v[50:51]
	v_add_f64 v[58:59], v[66:67], -v[56:57]
	v_add_f64 v[50:51], v[50:51], v[58:59]
	v_mul_f64 v[58:59], v[60:61], v[56:57]
	v_mul_f64 v[62:63], v[28:29], v[58:59]
	v_fma_f64 v[28:29], v[58:59], v[28:29], -v[62:63]
	v_fmac_f64_e32 v[28:29], v[58:59], v[26:27]
	v_add_f64 v[26:27], v[62:63], v[28:29]
	v_add_f64 v[64:65], v[56:57], -v[26:27]
	v_add_f64 v[56:57], v[56:57], -v[64:65]
	;; [unrolled: 1-line block ×4, first 2 shown]
	v_add_f64 v[26:27], v[50:51], v[26:27]
	v_add_f64 v[28:29], v[62:63], -v[28:29]
	v_add_f64 v[26:27], v[28:29], v[26:27]
	v_add_f64 v[28:29], v[54:55], v[58:59]
	;; [unrolled: 1-line block ×3, first 2 shown]
	v_add_f64 v[50:51], v[28:29], -v[54:55]
	v_mul_f64 v[26:27], v[60:61], v[26:27]
	v_add_f64 v[50:51], v[58:59], -v[50:51]
	v_add_f64 v[26:27], v[50:51], v[26:27]
	v_add_f64 v[50:51], v[28:29], v[26:27]
	v_add_f64 v[28:29], v[50:51], -v[28:29]
	s_mov_b32 s24, 0xbf559e2b
	v_add_f64 v[26:27], v[26:27], -v[28:29]
	v_mul_f64 v[28:29], v[50:51], v[50:51]
	v_mov_b32_e32 v54, 0x6b47b09a
	v_mov_b32_e32 v55, 0x3fc38538
	s_mov_b32 s25, 0x3fc3ab76
	v_fmac_f64_e32 v[54:55], s[24:25], v[28:29]
	v_mov_b32_e32 v56, 0xd7f4df2e
	v_mov_b32_e32 v57, 0x3fc7474d
	v_fmac_f64_e32 v[56:57], v[28:29], v[54:55]
	v_mov_b32_e32 v54, 0x16291751
	v_mov_b32_e32 v55, 0x3fcc71c0
	v_fmac_f64_e32 v[54:55], v[28:29], v[56:57]
	v_mov_b32_e32 v56, 0x9b27acf1
	v_mov_b32_e32 v57, 0x3fd24924
	v_fmac_f64_e32 v[56:57], v[28:29], v[54:55]
	v_mov_b32_e32 v54, 0x998ef7b6
	v_mov_b32_e32 v55, 0x3fd99999
	v_fmac_f64_e32 v[54:55], v[28:29], v[56:57]
	v_mov_b32_e32 v56, 0x55555780
	v_mov_b32_e32 v57, 0x3fe55555
	v_fmac_f64_e32 v[56:57], v[28:29], v[54:55]
	v_cvt_f64_i32_e32 v[54:55], v52
	s_mov_b32 s51, 0x3fe62e42
	v_mul_f64 v[58:59], v[54:55], s[50:51]
	v_fma_f64 v[60:61], v[54:55], s[50:51], -v[58:59]
	s_mov_b32 s53, 0x3c7abc9e
	v_fmac_f64_e32 v[60:61], s[52:53], v[54:55]
	v_add_f64 v[54:55], v[58:59], v[60:61]
	v_add_f64 v[58:59], v[54:55], -v[58:59]
	v_mul_f64 v[28:29], v[50:51], v[28:29]
	v_add_f64 v[58:59], v[60:61], -v[58:59]
	v_ldexp_f64 v[60:61], v[50:51], 1
	v_mul_f64 v[28:29], v[28:29], v[56:57]
	v_add_f64 v[50:51], v[60:61], v[28:29]
	v_add_f64 v[56:57], v[50:51], -v[60:61]
	v_ldexp_f64 v[26:27], v[26:27], 1
	v_add_f64 v[28:29], v[28:29], -v[56:57]
	v_add_f64 v[26:27], v[26:27], v[28:29]
	v_add_f64 v[28:29], v[50:51], v[26:27]
	v_add_f64 v[50:51], v[28:29], -v[50:51]
	v_add_f64 v[26:27], v[26:27], -v[50:51]
	v_add_f64 v[50:51], v[54:55], v[28:29]
	v_add_f64 v[56:57], v[50:51], -v[54:55]
	v_add_f64 v[60:61], v[50:51], -v[56:57]
	v_add_f64 v[54:55], v[54:55], -v[60:61]
	v_add_f64 v[28:29], v[28:29], -v[56:57]
	v_add_f64 v[28:29], v[28:29], v[54:55]
	v_add_f64 v[54:55], v[58:59], v[26:27]
	v_add_f64 v[56:57], v[54:55], -v[58:59]
	v_add_f64 v[28:29], v[54:55], v[28:29]
	v_add_f64 v[60:61], v[54:55], -v[56:57]
	;; [unrolled: 2-line block ×3, first 2 shown]
	v_add_f64 v[26:27], v[26:27], -v[56:57]
	v_add_f64 v[50:51], v[54:55], -v[50:51]
	v_add_f64 v[26:27], v[26:27], v[58:59]
	v_add_f64 v[28:29], v[28:29], -v[50:51]
	s_mov_b32 s24, 0
	v_add_f64 v[26:27], v[26:27], v[28:29]
	s_mov_b32 s25, 0x7ff00000
	v_add_f64 v[26:27], v[54:55], v[26:27]
	v_cmp_eq_f64_e32 vcc, s[24:25], v[24:25]
	v_cndmask_b32_e32 v26, v26, v24, vcc
	v_cndmask_b32_e32 v27, v27, v25, vcc
	v_mov_b32_e32 v28, 0x7ff80000
	v_cmp_ngt_f64_e32 vcc, -1.0, v[24:25]
	v_cndmask_b32_e32 v27, v28, v27, vcc
	v_cmp_nge_f64_e32 vcc, -1.0, v[24:25]
	v_cndmask_b32_e32 v26, 0, v26, vcc
	v_mov_b32_e32 v28, 0xfff00000
	v_cmp_neq_f64_e32 vcc, -1.0, v[24:25]
	v_cndmask_b32_e32 v27, v28, v27, vcc
	v_add_f64 v[24:25], v[22:23], v[26:27]
.LBB30_70:
	s_or_b64 exec, exec, s[48:49]
	v_pk_mov_b32 v[22:23], v[24:25], v[24:25] op_sel:[0,1]
.LBB30_71:
	s_or_b64 exec, exec, s[26:27]
	v_or_b32_e32 v24, 63, v0
	v_lshrrev_b32_e32 v52, 6, v0
	v_cmp_eq_u32_e32 vcc, v24, v0
	s_and_saveexec_b64 s[24:25], vcc
	s_cbranch_execz .LBB30_73
; %bb.72:
	v_lshlrev_b32_e32 v24, 3, v52
	ds_write_b64 v24, v[22:23]
.LBB30_73:
	s_or_b64 exec, exec, s[24:25]
	v_cmp_gt_u32_e32 vcc, 2, v0
	s_waitcnt lgkmcnt(0)
	s_barrier
	s_and_saveexec_b64 s[26:27], vcc
	s_cbranch_execz .LBB30_79
; %bb.74:
	ds_read_b64 v[24:25], v92
	v_and_b32_e32 v28, 1, v53
	v_cmp_eq_u32_e32 vcc, 1, v28
	s_waitcnt lgkmcnt(0)
	v_mov_b32_dpp v26, v24 row_shr:1 row_mask:0xf bank_mask:0xf
	v_mov_b32_dpp v27, v25 row_shr:1 row_mask:0xf bank_mask:0xf
	s_and_saveexec_b64 s[48:49], vcc
	s_cbranch_execz .LBB30_78
; %bb.75:
	v_max_f64 v[50:51], v[26:27], v[26:27]
	v_max_f64 v[54:55], v[24:25], v[24:25]
	v_min_f64 v[28:29], v[50:51], v[54:55]
	v_cmp_u_f64_e32 vcc, v[26:27], v[26:27]
	v_max_f64 v[50:51], v[50:51], v[54:55]
	v_cndmask_b32_e32 v28, v28, v26, vcc
	v_cndmask_b32_e32 v29, v29, v27, vcc
	v_cmp_u_f64_e64 s[24:25], v[24:25], v[24:25]
	v_cndmask_b32_e32 v50, v50, v26, vcc
	v_cndmask_b32_e32 v51, v51, v27, vcc
	v_cndmask_b32_e64 v29, v29, v25, s[24:25]
	v_cndmask_b32_e64 v28, v28, v24, s[24:25]
	;; [unrolled: 1-line block ×4, first 2 shown]
	s_movk_i32 s24, 0x1f8
	v_cmp_neq_f64_e32 vcc, v[28:29], v[24:25]
	v_cmp_class_f64_e64 s[24:25], v[28:29], s24
	s_or_b64 s[24:25], vcc, s[24:25]
	s_and_saveexec_b64 s[50:51], s[24:25]
	s_cbranch_execz .LBB30_77
; %bb.76:
	s_mov_b32 s24, 0x652b82fe
	v_add_f64 v[26:27], v[28:29], -v[24:25]
	s_mov_b32 s25, 0x3ff71547
	v_mul_f64 v[28:29], v[26:27], s[24:25]
	v_rndne_f64_e32 v[28:29], v[28:29]
	s_mov_b32 s53, 0xbfe62e42
	s_mov_b32 s52, 0xfefa39ef
	v_fma_f64 v[50:51], s[52:53], v[28:29], v[26:27]
	s_mov_b32 s55, 0xbc7abc9e
	s_mov_b32 s54, 0x3b39803f
	;; [unrolled: 1-line block ×3, first 2 shown]
	v_fmac_f64_e32 v[50:51], s[54:55], v[28:29]
	v_mov_b32_e32 v54, 0xfca7ab0c
	v_mov_b32_e32 v55, 0x3e928af3
	s_mov_b32 s25, 0x3e5ade15
	v_fmac_f64_e32 v[54:55], s[24:25], v[50:51]
	v_mov_b32_e32 v56, 0x623fde64
	v_mov_b32_e32 v57, 0x3ec71dee
	v_fmac_f64_e32 v[56:57], v[50:51], v[54:55]
	v_mov_b32_e32 v54, 0x7c89e6b0
	v_mov_b32_e32 v55, 0x3efa0199
	;; [unrolled: 3-line block ×8, first 2 shown]
	s_mov_b32 s24, 0
	v_fmac_f64_e32 v[54:55], v[50:51], v[56:57]
	s_mov_b32 s25, 0x40900000
	v_fma_f64 v[54:55], v[50:51], v[54:55], 1.0
	v_cmp_nlt_f64_e32 vcc, s[24:25], v[26:27]
	s_mov_b32 s24, 0
	v_fma_f64 v[50:51], v[50:51], v[54:55], 1.0
	v_cvt_i32_f64_e32 v28, v[28:29]
	s_mov_b32 s25, 0xc090cc00
	v_ldexp_f64 v[28:29], v[50:51], v28
	v_mov_b32_e32 v50, 0x7ff00000
	v_cmp_ngt_f64_e64 s[24:25], s[24:25], v[26:27]
	v_cndmask_b32_e32 v29, v50, v29, vcc
	s_and_b64 vcc, s[24:25], vcc
	v_cndmask_b32_e64 v27, 0, v29, s[24:25]
	v_cndmask_b32_e32 v26, 0, v28, vcc
	v_add_f64 v[28:29], v[26:27], 1.0
	v_add_f64 v[50:51], v[28:29], -1.0
	v_add_f64 v[54:55], v[50:51], -v[28:29]
	v_add_f64 v[54:55], v[54:55], 1.0
	v_add_f64 v[50:51], v[26:27], -v[50:51]
	s_mov_b32 s24, 0x55555555
	v_add_f64 v[50:51], v[50:51], v[54:55]
	v_frexp_mant_f64_e32 v[54:55], v[28:29]
	s_mov_b32 s25, 0x3fe55555
	v_frexp_exp_i32_f64_e32 v56, v[28:29]
	v_cmp_gt_f64_e32 vcc, s[24:25], v[54:55]
	v_subbrev_co_u32_e32 v70, vcc, 0, v56, vcc
	v_sub_u32_e32 v54, 0, v70
	v_ldexp_f64 v[28:29], v[28:29], v54
	v_ldexp_f64 v[50:51], v[50:51], v54
	v_add_f64 v[54:55], v[28:29], -1.0
	v_add_f64 v[60:61], v[28:29], 1.0
	v_add_f64 v[56:57], v[54:55], 1.0
	v_add_f64 v[62:63], v[60:61], -1.0
	v_add_f64 v[56:57], v[28:29], -v[56:57]
	v_add_f64 v[28:29], v[28:29], -v[62:63]
	v_add_f64 v[28:29], v[50:51], v[28:29]
	v_add_f64 v[56:57], v[50:51], v[56:57]
	;; [unrolled: 1-line block ×3, first 2 shown]
	v_rcp_f64_e32 v[62:63], v[50:51]
	v_add_f64 v[58:59], v[54:55], v[56:57]
	v_add_f64 v[54:55], v[58:59], -v[54:55]
	v_add_f64 v[54:55], v[56:57], -v[54:55]
	;; [unrolled: 1-line block ×4, first 2 shown]
	v_fma_f64 v[56:57], -v[50:51], v[62:63], 1.0
	v_fmac_f64_e32 v[62:63], v[56:57], v[62:63]
	v_fma_f64 v[56:57], -v[50:51], v[62:63], 1.0
	v_fmac_f64_e32 v[62:63], v[56:57], v[62:63]
	v_mul_f64 v[56:57], v[58:59], v[62:63]
	v_mul_f64 v[60:61], v[50:51], v[56:57]
	v_fma_f64 v[64:65], v[56:57], v[50:51], -v[60:61]
	v_fmac_f64_e32 v[64:65], v[56:57], v[28:29]
	v_add_f64 v[66:67], v[60:61], v[64:65]
	v_add_f64 v[68:69], v[58:59], -v[66:67]
	v_add_f64 v[58:59], v[58:59], -v[68:69]
	;; [unrolled: 1-line block ×4, first 2 shown]
	v_add_f64 v[54:55], v[54:55], v[58:59]
	v_add_f64 v[58:59], v[60:61], -v[64:65]
	v_add_f64 v[54:55], v[58:59], v[54:55]
	v_add_f64 v[58:59], v[68:69], v[54:55]
	v_add_f64 v[60:61], v[68:69], -v[58:59]
	v_add_f64 v[54:55], v[54:55], v[60:61]
	v_mul_f64 v[60:61], v[62:63], v[58:59]
	v_mul_f64 v[64:65], v[50:51], v[60:61]
	v_fma_f64 v[50:51], v[60:61], v[50:51], -v[64:65]
	v_fmac_f64_e32 v[50:51], v[60:61], v[28:29]
	v_add_f64 v[28:29], v[64:65], v[50:51]
	v_add_f64 v[66:67], v[58:59], -v[28:29]
	v_add_f64 v[58:59], v[58:59], -v[66:67]
	;; [unrolled: 1-line block ×4, first 2 shown]
	v_add_f64 v[28:29], v[54:55], v[28:29]
	v_add_f64 v[50:51], v[64:65], -v[50:51]
	v_add_f64 v[28:29], v[50:51], v[28:29]
	v_add_f64 v[50:51], v[56:57], v[60:61]
	;; [unrolled: 1-line block ×3, first 2 shown]
	v_add_f64 v[54:55], v[50:51], -v[56:57]
	v_mul_f64 v[28:29], v[62:63], v[28:29]
	v_add_f64 v[54:55], v[60:61], -v[54:55]
	v_add_f64 v[28:29], v[54:55], v[28:29]
	v_add_f64 v[54:55], v[50:51], v[28:29]
	v_add_f64 v[50:51], v[54:55], -v[50:51]
	s_mov_b32 s24, 0xbf559e2b
	v_add_f64 v[28:29], v[28:29], -v[50:51]
	v_mul_f64 v[50:51], v[54:55], v[54:55]
	v_mov_b32_e32 v56, 0x6b47b09a
	v_mov_b32_e32 v57, 0x3fc38538
	s_mov_b32 s25, 0x3fc3ab76
	v_fmac_f64_e32 v[56:57], s[24:25], v[50:51]
	v_mov_b32_e32 v58, 0xd7f4df2e
	v_mov_b32_e32 v59, 0x3fc7474d
	v_fmac_f64_e32 v[58:59], v[50:51], v[56:57]
	v_mov_b32_e32 v56, 0x16291751
	v_mov_b32_e32 v57, 0x3fcc71c0
	;; [unrolled: 3-line block ×5, first 2 shown]
	v_fmac_f64_e32 v[58:59], v[50:51], v[56:57]
	v_cvt_f64_i32_e32 v[56:57], v70
	s_mov_b32 s53, 0x3fe62e42
	v_mul_f64 v[60:61], v[56:57], s[52:53]
	v_fma_f64 v[62:63], v[56:57], s[52:53], -v[60:61]
	s_mov_b32 s55, 0x3c7abc9e
	v_fmac_f64_e32 v[62:63], s[54:55], v[56:57]
	v_add_f64 v[56:57], v[60:61], v[62:63]
	v_add_f64 v[60:61], v[56:57], -v[60:61]
	v_mul_f64 v[50:51], v[54:55], v[50:51]
	v_add_f64 v[60:61], v[62:63], -v[60:61]
	v_ldexp_f64 v[62:63], v[54:55], 1
	v_mul_f64 v[50:51], v[50:51], v[58:59]
	v_add_f64 v[54:55], v[62:63], v[50:51]
	v_add_f64 v[58:59], v[54:55], -v[62:63]
	v_ldexp_f64 v[28:29], v[28:29], 1
	v_add_f64 v[50:51], v[50:51], -v[58:59]
	v_add_f64 v[28:29], v[28:29], v[50:51]
	v_add_f64 v[50:51], v[54:55], v[28:29]
	v_add_f64 v[54:55], v[50:51], -v[54:55]
	v_add_f64 v[28:29], v[28:29], -v[54:55]
	v_add_f64 v[54:55], v[56:57], v[50:51]
	v_add_f64 v[58:59], v[54:55], -v[56:57]
	v_add_f64 v[62:63], v[54:55], -v[58:59]
	;; [unrolled: 1-line block ×4, first 2 shown]
	v_add_f64 v[50:51], v[50:51], v[56:57]
	v_add_f64 v[56:57], v[60:61], v[28:29]
	v_add_f64 v[58:59], v[56:57], -v[60:61]
	v_add_f64 v[50:51], v[56:57], v[50:51]
	v_add_f64 v[62:63], v[56:57], -v[58:59]
	;; [unrolled: 2-line block ×3, first 2 shown]
	v_add_f64 v[28:29], v[28:29], -v[58:59]
	v_add_f64 v[54:55], v[56:57], -v[54:55]
	v_add_f64 v[28:29], v[28:29], v[60:61]
	v_add_f64 v[50:51], v[50:51], -v[54:55]
	s_mov_b32 s24, 0
	v_add_f64 v[28:29], v[28:29], v[50:51]
	s_mov_b32 s25, 0x7ff00000
	v_add_f64 v[28:29], v[56:57], v[28:29]
	v_cmp_eq_f64_e32 vcc, s[24:25], v[26:27]
	v_cndmask_b32_e32 v28, v28, v26, vcc
	v_cndmask_b32_e32 v29, v29, v27, vcc
	v_mov_b32_e32 v50, 0x7ff80000
	v_cmp_ngt_f64_e32 vcc, -1.0, v[26:27]
	v_cndmask_b32_e32 v29, v50, v29, vcc
	v_cmp_nge_f64_e32 vcc, -1.0, v[26:27]
	v_cndmask_b32_e32 v28, 0, v28, vcc
	v_mov_b32_e32 v50, 0xfff00000
	v_cmp_neq_f64_e32 vcc, -1.0, v[26:27]
	v_cndmask_b32_e32 v29, v50, v29, vcc
	v_add_f64 v[26:27], v[24:25], v[28:29]
.LBB30_77:
	s_or_b64 exec, exec, s[50:51]
	v_pk_mov_b32 v[24:25], v[26:27], v[26:27] op_sel:[0,1]
.LBB30_78:
	s_or_b64 exec, exec, s[48:49]
	ds_write_b64 v92, v[24:25]
.LBB30_79:
	s_or_b64 exec, exec, s[26:27]
	v_cmp_gt_u32_e32 vcc, 64, v0
	v_cmp_lt_u32_e64 s[24:25], 63, v0
	s_waitcnt lgkmcnt(0)
	s_barrier
	s_waitcnt lgkmcnt(0)
                                        ; implicit-def: $vgpr50_vgpr51
	s_and_saveexec_b64 s[48:49], s[24:25]
	s_cbranch_execz .LBB30_83
; %bb.80:
	v_lshl_add_u32 v24, v52, 3, -8
	ds_read_b64 v[50:51], v24
	v_max_f64 v[24:25], v[22:23], v[22:23]
	v_cmp_u_f64_e64 s[26:27], v[22:23], v[22:23]
	s_waitcnt lgkmcnt(0)
	v_max_f64 v[28:29], v[50:51], v[50:51]
	v_min_f64 v[26:27], v[28:29], v[24:25]
	v_cmp_u_f64_e64 s[24:25], v[50:51], v[50:51]
	v_max_f64 v[24:25], v[28:29], v[24:25]
	v_cndmask_b32_e64 v26, v26, v50, s[24:25]
	v_cndmask_b32_e64 v27, v27, v51, s[24:25]
	;; [unrolled: 1-line block ×8, first 2 shown]
	s_movk_i32 s26, 0x1f8
	v_cmp_neq_f64_e64 s[24:25], v[26:27], v[24:25]
	v_cmp_class_f64_e64 s[26:27], v[26:27], s26
	s_or_b64 s[24:25], s[24:25], s[26:27]
	v_pk_mov_b32 v[22:23], v[50:51], v[50:51] op_sel:[0,1]
	s_and_saveexec_b64 s[50:51], s[24:25]
	s_cbranch_execz .LBB30_82
; %bb.81:
	s_mov_b32 s24, 0x652b82fe
	v_add_f64 v[22:23], v[26:27], -v[24:25]
	s_mov_b32 s25, 0x3ff71547
	v_mul_f64 v[26:27], v[22:23], s[24:25]
	v_rndne_f64_e32 v[26:27], v[26:27]
	s_mov_b32 s53, 0xbfe62e42
	s_mov_b32 s52, 0xfefa39ef
	v_fma_f64 v[28:29], s[52:53], v[26:27], v[22:23]
	s_mov_b32 s55, 0xbc7abc9e
	s_mov_b32 s54, 0x3b39803f
	;; [unrolled: 1-line block ×3, first 2 shown]
	v_fmac_f64_e32 v[28:29], s[54:55], v[26:27]
	v_mov_b32_e32 v54, 0xfca7ab0c
	v_mov_b32_e32 v55, 0x3e928af3
	s_mov_b32 s25, 0x3e5ade15
	v_fmac_f64_e32 v[54:55], s[24:25], v[28:29]
	v_mov_b32_e32 v56, 0x623fde64
	v_mov_b32_e32 v57, 0x3ec71dee
	v_fmac_f64_e32 v[56:57], v[28:29], v[54:55]
	v_mov_b32_e32 v54, 0x7c89e6b0
	v_mov_b32_e32 v55, 0x3efa0199
	;; [unrolled: 3-line block ×8, first 2 shown]
	v_fmac_f64_e32 v[54:55], v[28:29], v[56:57]
	v_fma_f64 v[54:55], v[28:29], v[54:55], 1.0
	s_mov_b32 s24, 0
	s_mov_b32 s26, 0
	v_fma_f64 v[28:29], v[28:29], v[54:55], 1.0
	v_cvt_i32_f64_e32 v26, v[26:27]
	s_mov_b32 s25, 0x40900000
	s_mov_b32 s27, 0xc090cc00
	v_ldexp_f64 v[26:27], v[28:29], v26
	v_mov_b32_e32 v28, 0x7ff00000
	v_cmp_nlt_f64_e64 s[24:25], s[24:25], v[22:23]
	v_cmp_ngt_f64_e64 s[26:27], s[26:27], v[22:23]
	v_cndmask_b32_e64 v27, v28, v27, s[24:25]
	s_and_b64 s[24:25], s[26:27], s[24:25]
	v_cndmask_b32_e64 v23, 0, v27, s[26:27]
	v_cndmask_b32_e64 v22, 0, v26, s[24:25]
	v_add_f64 v[26:27], v[22:23], 1.0
	v_add_f64 v[28:29], v[26:27], -1.0
	v_add_f64 v[54:55], v[28:29], -v[26:27]
	v_add_f64 v[54:55], v[54:55], 1.0
	v_add_f64 v[28:29], v[22:23], -v[28:29]
	s_mov_b32 s24, 0x55555555
	v_add_f64 v[28:29], v[28:29], v[54:55]
	v_frexp_mant_f64_e32 v[54:55], v[26:27]
	s_mov_b32 s25, 0x3fe55555
	v_frexp_exp_i32_f64_e32 v52, v[26:27]
	v_cmp_gt_f64_e64 s[24:25], s[24:25], v[54:55]
	v_subbrev_co_u32_e64 v52, s[24:25], 0, v52, s[24:25]
	v_sub_u32_e32 v54, 0, v52
	v_ldexp_f64 v[26:27], v[26:27], v54
	v_ldexp_f64 v[28:29], v[28:29], v54
	v_add_f64 v[54:55], v[26:27], -1.0
	v_add_f64 v[60:61], v[26:27], 1.0
	v_add_f64 v[56:57], v[54:55], 1.0
	v_add_f64 v[62:63], v[60:61], -1.0
	v_add_f64 v[56:57], v[26:27], -v[56:57]
	v_add_f64 v[26:27], v[26:27], -v[62:63]
	v_add_f64 v[26:27], v[28:29], v[26:27]
	v_add_f64 v[56:57], v[28:29], v[56:57]
	;; [unrolled: 1-line block ×3, first 2 shown]
	v_rcp_f64_e32 v[62:63], v[28:29]
	v_add_f64 v[58:59], v[54:55], v[56:57]
	v_add_f64 v[54:55], v[58:59], -v[54:55]
	v_add_f64 v[54:55], v[56:57], -v[54:55]
	;; [unrolled: 1-line block ×4, first 2 shown]
	v_fma_f64 v[56:57], -v[28:29], v[62:63], 1.0
	v_fmac_f64_e32 v[62:63], v[56:57], v[62:63]
	v_fma_f64 v[56:57], -v[28:29], v[62:63], 1.0
	v_fmac_f64_e32 v[62:63], v[56:57], v[62:63]
	v_mul_f64 v[56:57], v[58:59], v[62:63]
	v_mul_f64 v[60:61], v[28:29], v[56:57]
	v_fma_f64 v[64:65], v[56:57], v[28:29], -v[60:61]
	v_fmac_f64_e32 v[64:65], v[56:57], v[26:27]
	v_add_f64 v[66:67], v[60:61], v[64:65]
	v_add_f64 v[68:69], v[58:59], -v[66:67]
	v_add_f64 v[58:59], v[58:59], -v[68:69]
	;; [unrolled: 1-line block ×4, first 2 shown]
	v_add_f64 v[54:55], v[54:55], v[58:59]
	v_add_f64 v[58:59], v[60:61], -v[64:65]
	v_add_f64 v[54:55], v[58:59], v[54:55]
	v_add_f64 v[58:59], v[68:69], v[54:55]
	v_add_f64 v[60:61], v[68:69], -v[58:59]
	v_add_f64 v[54:55], v[54:55], v[60:61]
	v_mul_f64 v[60:61], v[62:63], v[58:59]
	v_mul_f64 v[64:65], v[28:29], v[60:61]
	v_fma_f64 v[28:29], v[60:61], v[28:29], -v[64:65]
	v_fmac_f64_e32 v[28:29], v[60:61], v[26:27]
	v_add_f64 v[26:27], v[64:65], v[28:29]
	v_add_f64 v[66:67], v[58:59], -v[26:27]
	v_add_f64 v[58:59], v[58:59], -v[66:67]
	;; [unrolled: 1-line block ×4, first 2 shown]
	v_add_f64 v[26:27], v[54:55], v[26:27]
	v_add_f64 v[28:29], v[64:65], -v[28:29]
	v_add_f64 v[26:27], v[28:29], v[26:27]
	v_add_f64 v[28:29], v[56:57], v[60:61]
	v_add_f64 v[26:27], v[66:67], v[26:27]
	v_add_f64 v[54:55], v[28:29], -v[56:57]
	v_mul_f64 v[26:27], v[62:63], v[26:27]
	v_add_f64 v[54:55], v[60:61], -v[54:55]
	v_add_f64 v[26:27], v[54:55], v[26:27]
	v_add_f64 v[54:55], v[28:29], v[26:27]
	v_add_f64 v[28:29], v[54:55], -v[28:29]
	s_mov_b32 s24, 0xbf559e2b
	v_add_f64 v[26:27], v[26:27], -v[28:29]
	v_mul_f64 v[28:29], v[54:55], v[54:55]
	v_mov_b32_e32 v56, 0x6b47b09a
	v_mov_b32_e32 v57, 0x3fc38538
	s_mov_b32 s25, 0x3fc3ab76
	v_fmac_f64_e32 v[56:57], s[24:25], v[28:29]
	v_mov_b32_e32 v58, 0xd7f4df2e
	v_mov_b32_e32 v59, 0x3fc7474d
	v_fmac_f64_e32 v[58:59], v[28:29], v[56:57]
	v_mov_b32_e32 v56, 0x16291751
	v_mov_b32_e32 v57, 0x3fcc71c0
	;; [unrolled: 3-line block ×5, first 2 shown]
	v_fmac_f64_e32 v[58:59], v[28:29], v[56:57]
	v_cvt_f64_i32_e32 v[56:57], v52
	s_mov_b32 s53, 0x3fe62e42
	v_mul_f64 v[60:61], v[56:57], s[52:53]
	v_fma_f64 v[62:63], v[56:57], s[52:53], -v[60:61]
	s_mov_b32 s55, 0x3c7abc9e
	v_fmac_f64_e32 v[62:63], s[54:55], v[56:57]
	v_add_f64 v[56:57], v[60:61], v[62:63]
	v_add_f64 v[60:61], v[56:57], -v[60:61]
	v_mul_f64 v[28:29], v[54:55], v[28:29]
	v_add_f64 v[60:61], v[62:63], -v[60:61]
	v_ldexp_f64 v[62:63], v[54:55], 1
	v_mul_f64 v[28:29], v[28:29], v[58:59]
	v_add_f64 v[54:55], v[62:63], v[28:29]
	v_add_f64 v[58:59], v[54:55], -v[62:63]
	v_ldexp_f64 v[26:27], v[26:27], 1
	v_add_f64 v[28:29], v[28:29], -v[58:59]
	v_add_f64 v[26:27], v[26:27], v[28:29]
	v_add_f64 v[28:29], v[54:55], v[26:27]
	v_add_f64 v[54:55], v[28:29], -v[54:55]
	v_add_f64 v[26:27], v[26:27], -v[54:55]
	v_add_f64 v[54:55], v[56:57], v[28:29]
	v_add_f64 v[58:59], v[54:55], -v[56:57]
	v_add_f64 v[62:63], v[54:55], -v[58:59]
	;; [unrolled: 1-line block ×4, first 2 shown]
	v_add_f64 v[28:29], v[28:29], v[56:57]
	v_add_f64 v[56:57], v[60:61], v[26:27]
	v_add_f64 v[58:59], v[56:57], -v[60:61]
	v_add_f64 v[28:29], v[56:57], v[28:29]
	v_add_f64 v[62:63], v[56:57], -v[58:59]
	v_add_f64 v[56:57], v[54:55], v[28:29]
	v_add_f64 v[60:61], v[60:61], -v[62:63]
	v_add_f64 v[26:27], v[26:27], -v[58:59]
	v_add_f64 v[54:55], v[56:57], -v[54:55]
	v_add_f64 v[26:27], v[26:27], v[60:61]
	v_add_f64 v[28:29], v[28:29], -v[54:55]
	s_mov_b32 s24, 0
	v_add_f64 v[26:27], v[26:27], v[28:29]
	s_mov_b32 s25, 0x7ff00000
	v_add_f64 v[26:27], v[56:57], v[26:27]
	v_cmp_eq_f64_e64 s[24:25], s[24:25], v[22:23]
	v_cndmask_b32_e64 v26, v26, v22, s[24:25]
	v_cndmask_b32_e64 v27, v27, v23, s[24:25]
	v_mov_b32_e32 v28, 0x7ff80000
	v_cmp_ngt_f64_e64 s[24:25], -1.0, v[22:23]
	v_cndmask_b32_e64 v27, v28, v27, s[24:25]
	v_cmp_nge_f64_e64 s[24:25], -1.0, v[22:23]
	v_cndmask_b32_e64 v26, 0, v26, s[24:25]
	v_mov_b32_e32 v28, 0xfff00000
	v_cmp_neq_f64_e64 s[24:25], -1.0, v[22:23]
	v_cndmask_b32_e64 v27, v28, v27, s[24:25]
	v_add_f64 v[22:23], v[24:25], v[26:27]
.LBB30_82:
	s_or_b64 exec, exec, s[50:51]
.LBB30_83:
	s_or_b64 exec, exec, s[48:49]
	v_add_u32_e32 v24, -1, v53
	v_and_b32_e32 v25, 64, v53
	v_cmp_lt_i32_e64 s[24:25], v24, v25
	v_cndmask_b32_e64 v24, v24, v53, s[24:25]
	v_lshlrev_b32_e32 v24, 2, v24
	ds_bpermute_b32 v94, v24, v22
	ds_bpermute_b32 v95, v24, v23
	v_cmp_eq_u32_e64 s[24:25], 0, v53
	s_and_saveexec_b64 s[48:49], vcc
	s_cbranch_execz .LBB30_158
; %bb.84:
	v_mov_b32_e32 v25, 0
	ds_read_b64 v[22:23], v25 offset:8
	s_and_saveexec_b64 s[26:27], s[24:25]
	s_cbranch_execz .LBB30_86
; %bb.85:
	s_add_i32 s50, s77, 64
	s_mov_b32 s51, 0
	s_lshl_b64 s[50:51], s[50:51], 4
	s_add_u32 s50, s34, s50
	s_addc_u32 s51, s35, s51
	v_mov_b32_e32 v24, 1
	v_pk_mov_b32 v[26:27], s[50:51], s[50:51] op_sel:[0,1]
	s_waitcnt lgkmcnt(0)
	;;#ASMSTART
	global_store_dwordx4 v[26:27], v[22:25] off	
s_waitcnt vmcnt(0)
	;;#ASMEND
.LBB30_86:
	s_or_b64 exec, exec, s[26:27]
	v_xad_u32 v52, v53, -1, s77
	v_add_u32_e32 v24, 64, v52
	v_lshlrev_b64 v[26:27], 4, v[24:25]
	v_mov_b32_e32 v24, s35
	v_add_co_u32_e32 v54, vcc, s34, v26
	v_addc_co_u32_e32 v55, vcc, v24, v27, vcc
	;;#ASMSTART
	global_load_dwordx4 v[26:29], v[54:55] off glc	
s_waitcnt vmcnt(0)
	;;#ASMEND
	v_and_b32_e32 v24, 0xff, v27
	v_and_b32_e32 v29, 0xff00, v27
	v_or3_b32 v24, 0, v24, v29
	v_or3_b32 v26, v26, 0, 0
	v_and_b32_e32 v29, 0xff000000, v27
	v_and_b32_e32 v27, 0xff0000, v27
	v_or3_b32 v27, v24, v27, v29
	v_or3_b32 v26, v26, 0, 0
	v_cmp_eq_u16_sdwa s[50:51], v28, v25 src0_sel:BYTE_0 src1_sel:DWORD
	s_and_saveexec_b64 s[26:27], s[50:51]
	s_cbranch_execz .LBB30_92
; %bb.87:
	s_mov_b32 s52, 1
	s_mov_b64 s[50:51], 0
	v_mov_b32_e32 v24, 0
.LBB30_88:                              ; =>This Loop Header: Depth=1
                                        ;     Child Loop BB30_89 Depth 2
	s_max_u32 s53, s52, 1
.LBB30_89:                              ;   Parent Loop BB30_88 Depth=1
                                        ; =>  This Inner Loop Header: Depth=2
	s_add_i32 s53, s53, -1
	s_cmp_eq_u32 s53, 0
	s_sleep 1
	s_cbranch_scc0 .LBB30_89
; %bb.90:                               ;   in Loop: Header=BB30_88 Depth=1
	s_cmp_lt_u32 s52, 32
	s_cselect_b64 s[54:55], -1, 0
	s_cmp_lg_u64 s[54:55], 0
	s_addc_u32 s52, s52, 0
	;;#ASMSTART
	global_load_dwordx4 v[26:29], v[54:55] off glc	
s_waitcnt vmcnt(0)
	;;#ASMEND
	v_cmp_ne_u16_sdwa s[54:55], v28, v24 src0_sel:BYTE_0 src1_sel:DWORD
	s_or_b64 s[50:51], s[54:55], s[50:51]
	s_andn2_b64 exec, exec, s[50:51]
	s_cbranch_execnz .LBB30_88
; %bb.91:
	s_or_b64 exec, exec, s[50:51]
.LBB30_92:
	s_or_b64 exec, exec, s[26:27]
	v_and_b32_e32 v96, 63, v53
	v_mov_b32_e32 v24, 2
	v_cmp_ne_u32_e32 vcc, 63, v96
	v_cmp_eq_u16_sdwa s[26:27], v28, v24 src0_sel:BYTE_0 src1_sel:DWORD
	v_lshlrev_b64 v[24:25], v53, -1
	v_addc_co_u32_e32 v54, vcc, 0, v53, vcc
	v_and_b32_e32 v29, s27, v25
	v_lshlrev_b32_e32 v97, 2, v54
	v_or_b32_e32 v29, 0x80000000, v29
	ds_bpermute_b32 v54, v97, v26
	ds_bpermute_b32 v55, v97, v27
	v_and_b32_e32 v56, s26, v24
	v_ffbl_b32_e32 v29, v29
	v_add_u32_e32 v29, 32, v29
	v_ffbl_b32_e32 v56, v56
	v_min_u32_e32 v29, v56, v29
	v_cmp_lt_u32_e32 vcc, v96, v29
	v_pk_mov_b32 v[86:87], v[26:27], v[26:27] op_sel:[0,1]
	s_and_saveexec_b64 s[50:51], vcc
	s_cbranch_execz .LBB30_96
; %bb.93:
	s_waitcnt lgkmcnt(0)
	v_max_f64 v[58:59], v[54:55], v[54:55]
	v_max_f64 v[60:61], v[26:27], v[26:27]
	v_min_f64 v[56:57], v[58:59], v[60:61]
	v_cmp_u_f64_e32 vcc, v[54:55], v[54:55]
	v_max_f64 v[58:59], v[58:59], v[60:61]
	v_cndmask_b32_e32 v56, v56, v54, vcc
	v_cndmask_b32_e32 v57, v57, v55, vcc
	v_cmp_u_f64_e64 s[26:27], v[26:27], v[26:27]
	v_cndmask_b32_e32 v58, v58, v54, vcc
	v_cndmask_b32_e32 v59, v59, v55, vcc
	v_cndmask_b32_e64 v57, v57, v27, s[26:27]
	v_cndmask_b32_e64 v56, v56, v26, s[26:27]
	;; [unrolled: 1-line block ×4, first 2 shown]
	s_movk_i32 s26, 0x1f8
	v_cmp_neq_f64_e32 vcc, v[56:57], v[26:27]
	v_cmp_class_f64_e64 s[26:27], v[56:57], s26
	s_or_b64 s[26:27], vcc, s[26:27]
	s_and_saveexec_b64 s[52:53], s[26:27]
	s_cbranch_execz .LBB30_95
; %bb.94:
	s_mov_b32 s26, 0x652b82fe
	v_add_f64 v[54:55], v[56:57], -v[26:27]
	s_mov_b32 s27, 0x3ff71547
	v_mul_f64 v[56:57], v[54:55], s[26:27]
	v_rndne_f64_e32 v[56:57], v[56:57]
	s_mov_b32 s55, 0xbfe62e42
	s_mov_b32 s54, 0xfefa39ef
	v_fma_f64 v[58:59], s[54:55], v[56:57], v[54:55]
	s_mov_b32 s57, 0xbc7abc9e
	s_mov_b32 s56, 0x3b39803f
	;; [unrolled: 1-line block ×3, first 2 shown]
	v_fmac_f64_e32 v[58:59], s[56:57], v[56:57]
	v_mov_b32_e32 v60, 0xfca7ab0c
	v_mov_b32_e32 v61, 0x3e928af3
	s_mov_b32 s27, 0x3e5ade15
	v_fmac_f64_e32 v[60:61], s[26:27], v[58:59]
	v_mov_b32_e32 v62, 0x623fde64
	v_mov_b32_e32 v63, 0x3ec71dee
	v_fmac_f64_e32 v[62:63], v[58:59], v[60:61]
	v_mov_b32_e32 v60, 0x7c89e6b0
	v_mov_b32_e32 v61, 0x3efa0199
	;; [unrolled: 3-line block ×8, first 2 shown]
	s_mov_b32 s26, 0
	v_fmac_f64_e32 v[60:61], v[58:59], v[62:63]
	s_mov_b32 s27, 0x40900000
	v_fma_f64 v[60:61], v[58:59], v[60:61], 1.0
	v_cmp_nlt_f64_e32 vcc, s[26:27], v[54:55]
	s_mov_b32 s26, 0
	v_fma_f64 v[58:59], v[58:59], v[60:61], 1.0
	v_cvt_i32_f64_e32 v56, v[56:57]
	s_mov_b32 s27, 0xc090cc00
	v_ldexp_f64 v[56:57], v[58:59], v56
	v_mov_b32_e32 v58, 0x7ff00000
	v_cmp_ngt_f64_e64 s[26:27], s[26:27], v[54:55]
	v_cndmask_b32_e32 v57, v58, v57, vcc
	s_and_b64 vcc, s[26:27], vcc
	v_cndmask_b32_e64 v55, 0, v57, s[26:27]
	v_cndmask_b32_e32 v54, 0, v56, vcc
	v_add_f64 v[56:57], v[54:55], 1.0
	v_add_f64 v[58:59], v[56:57], -1.0
	v_add_f64 v[60:61], v[58:59], -v[56:57]
	v_add_f64 v[60:61], v[60:61], 1.0
	v_add_f64 v[58:59], v[54:55], -v[58:59]
	s_mov_b32 s26, 0x55555555
	v_add_f64 v[58:59], v[58:59], v[60:61]
	v_frexp_mant_f64_e32 v[60:61], v[56:57]
	s_mov_b32 s27, 0x3fe55555
	v_frexp_exp_i32_f64_e32 v62, v[56:57]
	v_cmp_gt_f64_e32 vcc, s[26:27], v[60:61]
	v_subbrev_co_u32_e32 v76, vcc, 0, v62, vcc
	v_sub_u32_e32 v60, 0, v76
	v_ldexp_f64 v[56:57], v[56:57], v60
	v_ldexp_f64 v[58:59], v[58:59], v60
	v_add_f64 v[60:61], v[56:57], -1.0
	v_add_f64 v[66:67], v[56:57], 1.0
	v_add_f64 v[62:63], v[60:61], 1.0
	v_add_f64 v[68:69], v[66:67], -1.0
	v_add_f64 v[62:63], v[56:57], -v[62:63]
	v_add_f64 v[56:57], v[56:57], -v[68:69]
	v_add_f64 v[56:57], v[58:59], v[56:57]
	v_add_f64 v[62:63], v[58:59], v[62:63]
	;; [unrolled: 1-line block ×3, first 2 shown]
	v_rcp_f64_e32 v[68:69], v[58:59]
	v_add_f64 v[64:65], v[60:61], v[62:63]
	v_add_f64 v[60:61], v[64:65], -v[60:61]
	v_add_f64 v[60:61], v[62:63], -v[60:61]
	;; [unrolled: 1-line block ×4, first 2 shown]
	v_fma_f64 v[62:63], -v[58:59], v[68:69], 1.0
	v_fmac_f64_e32 v[68:69], v[62:63], v[68:69]
	v_fma_f64 v[62:63], -v[58:59], v[68:69], 1.0
	v_fmac_f64_e32 v[68:69], v[62:63], v[68:69]
	v_mul_f64 v[62:63], v[64:65], v[68:69]
	v_mul_f64 v[66:67], v[58:59], v[62:63]
	v_fma_f64 v[70:71], v[62:63], v[58:59], -v[66:67]
	v_fmac_f64_e32 v[70:71], v[62:63], v[56:57]
	v_add_f64 v[72:73], v[66:67], v[70:71]
	v_add_f64 v[74:75], v[64:65], -v[72:73]
	v_add_f64 v[64:65], v[64:65], -v[74:75]
	;; [unrolled: 1-line block ×4, first 2 shown]
	v_add_f64 v[60:61], v[60:61], v[64:65]
	v_add_f64 v[64:65], v[66:67], -v[70:71]
	v_add_f64 v[60:61], v[64:65], v[60:61]
	v_add_f64 v[64:65], v[74:75], v[60:61]
	v_add_f64 v[66:67], v[74:75], -v[64:65]
	v_add_f64 v[60:61], v[60:61], v[66:67]
	v_mul_f64 v[66:67], v[68:69], v[64:65]
	v_mul_f64 v[70:71], v[58:59], v[66:67]
	v_fma_f64 v[58:59], v[66:67], v[58:59], -v[70:71]
	v_fmac_f64_e32 v[58:59], v[66:67], v[56:57]
	v_add_f64 v[56:57], v[70:71], v[58:59]
	v_add_f64 v[72:73], v[64:65], -v[56:57]
	v_add_f64 v[64:65], v[64:65], -v[72:73]
	;; [unrolled: 1-line block ×4, first 2 shown]
	v_add_f64 v[56:57], v[60:61], v[56:57]
	v_add_f64 v[58:59], v[70:71], -v[58:59]
	v_add_f64 v[56:57], v[58:59], v[56:57]
	v_add_f64 v[58:59], v[62:63], v[66:67]
	;; [unrolled: 1-line block ×3, first 2 shown]
	v_add_f64 v[60:61], v[58:59], -v[62:63]
	v_mul_f64 v[56:57], v[68:69], v[56:57]
	v_add_f64 v[60:61], v[66:67], -v[60:61]
	v_add_f64 v[56:57], v[60:61], v[56:57]
	v_add_f64 v[60:61], v[58:59], v[56:57]
	v_add_f64 v[58:59], v[60:61], -v[58:59]
	s_mov_b32 s26, 0xbf559e2b
	v_add_f64 v[56:57], v[56:57], -v[58:59]
	v_mul_f64 v[58:59], v[60:61], v[60:61]
	v_mov_b32_e32 v62, 0x6b47b09a
	v_mov_b32_e32 v63, 0x3fc38538
	s_mov_b32 s27, 0x3fc3ab76
	v_fmac_f64_e32 v[62:63], s[26:27], v[58:59]
	v_mov_b32_e32 v64, 0xd7f4df2e
	v_mov_b32_e32 v65, 0x3fc7474d
	v_fmac_f64_e32 v[64:65], v[58:59], v[62:63]
	v_mov_b32_e32 v62, 0x16291751
	v_mov_b32_e32 v63, 0x3fcc71c0
	;; [unrolled: 3-line block ×5, first 2 shown]
	v_fmac_f64_e32 v[64:65], v[58:59], v[62:63]
	v_cvt_f64_i32_e32 v[62:63], v76
	s_mov_b32 s55, 0x3fe62e42
	v_mul_f64 v[66:67], v[62:63], s[54:55]
	v_fma_f64 v[68:69], v[62:63], s[54:55], -v[66:67]
	s_mov_b32 s57, 0x3c7abc9e
	v_fmac_f64_e32 v[68:69], s[56:57], v[62:63]
	v_add_f64 v[62:63], v[66:67], v[68:69]
	v_add_f64 v[66:67], v[62:63], -v[66:67]
	v_mul_f64 v[58:59], v[60:61], v[58:59]
	v_add_f64 v[66:67], v[68:69], -v[66:67]
	v_ldexp_f64 v[68:69], v[60:61], 1
	v_mul_f64 v[58:59], v[58:59], v[64:65]
	v_add_f64 v[60:61], v[68:69], v[58:59]
	v_add_f64 v[64:65], v[60:61], -v[68:69]
	v_ldexp_f64 v[56:57], v[56:57], 1
	v_add_f64 v[58:59], v[58:59], -v[64:65]
	v_add_f64 v[56:57], v[56:57], v[58:59]
	v_add_f64 v[58:59], v[60:61], v[56:57]
	v_add_f64 v[60:61], v[58:59], -v[60:61]
	v_add_f64 v[56:57], v[56:57], -v[60:61]
	v_add_f64 v[60:61], v[62:63], v[58:59]
	v_add_f64 v[64:65], v[60:61], -v[62:63]
	v_add_f64 v[68:69], v[60:61], -v[64:65]
	;; [unrolled: 1-line block ×4, first 2 shown]
	v_add_f64 v[58:59], v[58:59], v[62:63]
	v_add_f64 v[62:63], v[66:67], v[56:57]
	v_add_f64 v[64:65], v[62:63], -v[66:67]
	v_add_f64 v[58:59], v[62:63], v[58:59]
	v_add_f64 v[68:69], v[62:63], -v[64:65]
	;; [unrolled: 2-line block ×3, first 2 shown]
	v_add_f64 v[56:57], v[56:57], -v[64:65]
	v_add_f64 v[60:61], v[62:63], -v[60:61]
	v_add_f64 v[56:57], v[56:57], v[66:67]
	v_add_f64 v[58:59], v[58:59], -v[60:61]
	s_mov_b32 s26, 0
	v_add_f64 v[56:57], v[56:57], v[58:59]
	s_mov_b32 s27, 0x7ff00000
	v_add_f64 v[56:57], v[62:63], v[56:57]
	v_cmp_eq_f64_e32 vcc, s[26:27], v[54:55]
	v_cndmask_b32_e32 v56, v56, v54, vcc
	v_cndmask_b32_e32 v57, v57, v55, vcc
	v_mov_b32_e32 v58, 0x7ff80000
	v_cmp_ngt_f64_e32 vcc, -1.0, v[54:55]
	v_cndmask_b32_e32 v57, v58, v57, vcc
	v_cmp_nge_f64_e32 vcc, -1.0, v[54:55]
	v_cndmask_b32_e32 v56, 0, v56, vcc
	v_mov_b32_e32 v58, 0xfff00000
	v_cmp_neq_f64_e32 vcc, -1.0, v[54:55]
	v_cndmask_b32_e32 v57, v58, v57, vcc
	v_add_f64 v[54:55], v[26:27], v[56:57]
.LBB30_95:
	s_or_b64 exec, exec, s[52:53]
	v_mov_b32_e32 v26, v54
	v_mov_b32_e32 v27, v55
	v_pk_mov_b32 v[86:87], v[54:55], v[54:55] op_sel:[0,1]
.LBB30_96:
	s_or_b64 exec, exec, s[50:51]
	v_cmp_gt_u32_e32 vcc, 62, v96
	s_waitcnt lgkmcnt(1)
	v_cndmask_b32_e64 v54, 0, 1, vcc
	v_lshlrev_b32_e32 v54, 1, v54
	v_add_lshl_u32 v98, v54, v53, 2
	ds_bpermute_b32 v54, v98, v26
	s_waitcnt lgkmcnt(1)
	ds_bpermute_b32 v55, v98, v27
	v_add_u32_e32 v99, 2, v96
	v_cmp_le_u32_e32 vcc, v99, v29
	s_and_saveexec_b64 s[50:51], vcc
	s_cbranch_execz .LBB30_100
; %bb.97:
	s_waitcnt lgkmcnt(0)
	v_max_f64 v[26:27], v[54:55], v[54:55]
	v_max_f64 v[58:59], v[86:87], v[86:87]
	v_min_f64 v[56:57], v[26:27], v[58:59]
	v_cmp_u_f64_e32 vcc, v[54:55], v[54:55]
	v_max_f64 v[26:27], v[26:27], v[58:59]
	v_cndmask_b32_e32 v56, v56, v54, vcc
	v_cndmask_b32_e32 v57, v57, v55, vcc
	v_cmp_u_f64_e64 s[26:27], v[86:87], v[86:87]
	v_cndmask_b32_e32 v26, v26, v54, vcc
	v_cndmask_b32_e32 v27, v27, v55, vcc
	v_cndmask_b32_e64 v57, v57, v87, s[26:27]
	v_cndmask_b32_e64 v56, v56, v86, s[26:27]
	;; [unrolled: 1-line block ×4, first 2 shown]
	s_movk_i32 s26, 0x1f8
	v_cmp_neq_f64_e32 vcc, v[56:57], v[26:27]
	v_cmp_class_f64_e64 s[26:27], v[56:57], s26
	s_or_b64 s[26:27], vcc, s[26:27]
	s_and_saveexec_b64 s[52:53], s[26:27]
	s_cbranch_execz .LBB30_99
; %bb.98:
	s_mov_b32 s26, 0x652b82fe
	v_add_f64 v[54:55], v[56:57], -v[26:27]
	s_mov_b32 s27, 0x3ff71547
	v_mul_f64 v[56:57], v[54:55], s[26:27]
	v_rndne_f64_e32 v[56:57], v[56:57]
	s_mov_b32 s55, 0xbfe62e42
	s_mov_b32 s54, 0xfefa39ef
	v_fma_f64 v[58:59], s[54:55], v[56:57], v[54:55]
	s_mov_b32 s57, 0xbc7abc9e
	s_mov_b32 s56, 0x3b39803f
	;; [unrolled: 1-line block ×3, first 2 shown]
	v_fmac_f64_e32 v[58:59], s[56:57], v[56:57]
	v_mov_b32_e32 v60, 0xfca7ab0c
	v_mov_b32_e32 v61, 0x3e928af3
	s_mov_b32 s27, 0x3e5ade15
	v_fmac_f64_e32 v[60:61], s[26:27], v[58:59]
	v_mov_b32_e32 v62, 0x623fde64
	v_mov_b32_e32 v63, 0x3ec71dee
	v_fmac_f64_e32 v[62:63], v[58:59], v[60:61]
	v_mov_b32_e32 v60, 0x7c89e6b0
	v_mov_b32_e32 v61, 0x3efa0199
	;; [unrolled: 3-line block ×8, first 2 shown]
	s_mov_b32 s26, 0
	v_fmac_f64_e32 v[60:61], v[58:59], v[62:63]
	s_mov_b32 s27, 0x40900000
	v_fma_f64 v[60:61], v[58:59], v[60:61], 1.0
	v_cmp_nlt_f64_e32 vcc, s[26:27], v[54:55]
	s_mov_b32 s26, 0
	v_fma_f64 v[58:59], v[58:59], v[60:61], 1.0
	v_cvt_i32_f64_e32 v56, v[56:57]
	s_mov_b32 s27, 0xc090cc00
	v_ldexp_f64 v[56:57], v[58:59], v56
	v_mov_b32_e32 v58, 0x7ff00000
	v_cmp_ngt_f64_e64 s[26:27], s[26:27], v[54:55]
	v_cndmask_b32_e32 v57, v58, v57, vcc
	s_and_b64 vcc, s[26:27], vcc
	v_cndmask_b32_e64 v55, 0, v57, s[26:27]
	v_cndmask_b32_e32 v54, 0, v56, vcc
	v_add_f64 v[56:57], v[54:55], 1.0
	v_add_f64 v[58:59], v[56:57], -1.0
	v_add_f64 v[60:61], v[58:59], -v[56:57]
	v_add_f64 v[60:61], v[60:61], 1.0
	v_add_f64 v[58:59], v[54:55], -v[58:59]
	s_mov_b32 s26, 0x55555555
	v_add_f64 v[58:59], v[58:59], v[60:61]
	v_frexp_mant_f64_e32 v[60:61], v[56:57]
	s_mov_b32 s27, 0x3fe55555
	v_frexp_exp_i32_f64_e32 v62, v[56:57]
	v_cmp_gt_f64_e32 vcc, s[26:27], v[60:61]
	v_subbrev_co_u32_e32 v76, vcc, 0, v62, vcc
	v_sub_u32_e32 v60, 0, v76
	v_ldexp_f64 v[56:57], v[56:57], v60
	v_ldexp_f64 v[58:59], v[58:59], v60
	v_add_f64 v[60:61], v[56:57], -1.0
	v_add_f64 v[66:67], v[56:57], 1.0
	v_add_f64 v[62:63], v[60:61], 1.0
	v_add_f64 v[68:69], v[66:67], -1.0
	v_add_f64 v[62:63], v[56:57], -v[62:63]
	v_add_f64 v[56:57], v[56:57], -v[68:69]
	v_add_f64 v[56:57], v[58:59], v[56:57]
	v_add_f64 v[62:63], v[58:59], v[62:63]
	;; [unrolled: 1-line block ×3, first 2 shown]
	v_rcp_f64_e32 v[68:69], v[58:59]
	v_add_f64 v[64:65], v[60:61], v[62:63]
	v_add_f64 v[60:61], v[64:65], -v[60:61]
	v_add_f64 v[60:61], v[62:63], -v[60:61]
	;; [unrolled: 1-line block ×4, first 2 shown]
	v_fma_f64 v[62:63], -v[58:59], v[68:69], 1.0
	v_fmac_f64_e32 v[68:69], v[62:63], v[68:69]
	v_fma_f64 v[62:63], -v[58:59], v[68:69], 1.0
	v_fmac_f64_e32 v[68:69], v[62:63], v[68:69]
	v_mul_f64 v[62:63], v[64:65], v[68:69]
	v_mul_f64 v[66:67], v[58:59], v[62:63]
	v_fma_f64 v[70:71], v[62:63], v[58:59], -v[66:67]
	v_fmac_f64_e32 v[70:71], v[62:63], v[56:57]
	v_add_f64 v[72:73], v[66:67], v[70:71]
	v_add_f64 v[74:75], v[64:65], -v[72:73]
	v_add_f64 v[64:65], v[64:65], -v[74:75]
	;; [unrolled: 1-line block ×4, first 2 shown]
	v_add_f64 v[60:61], v[60:61], v[64:65]
	v_add_f64 v[64:65], v[66:67], -v[70:71]
	v_add_f64 v[60:61], v[64:65], v[60:61]
	v_add_f64 v[64:65], v[74:75], v[60:61]
	v_add_f64 v[66:67], v[74:75], -v[64:65]
	v_add_f64 v[60:61], v[60:61], v[66:67]
	v_mul_f64 v[66:67], v[68:69], v[64:65]
	v_mul_f64 v[70:71], v[58:59], v[66:67]
	v_fma_f64 v[58:59], v[66:67], v[58:59], -v[70:71]
	v_fmac_f64_e32 v[58:59], v[66:67], v[56:57]
	v_add_f64 v[56:57], v[70:71], v[58:59]
	v_add_f64 v[72:73], v[64:65], -v[56:57]
	v_add_f64 v[64:65], v[64:65], -v[72:73]
	;; [unrolled: 1-line block ×4, first 2 shown]
	v_add_f64 v[56:57], v[60:61], v[56:57]
	v_add_f64 v[58:59], v[70:71], -v[58:59]
	v_add_f64 v[56:57], v[58:59], v[56:57]
	v_add_f64 v[58:59], v[62:63], v[66:67]
	;; [unrolled: 1-line block ×3, first 2 shown]
	v_add_f64 v[60:61], v[58:59], -v[62:63]
	v_mul_f64 v[56:57], v[68:69], v[56:57]
	v_add_f64 v[60:61], v[66:67], -v[60:61]
	v_add_f64 v[56:57], v[60:61], v[56:57]
	v_add_f64 v[60:61], v[58:59], v[56:57]
	v_add_f64 v[58:59], v[60:61], -v[58:59]
	s_mov_b32 s26, 0xbf559e2b
	v_add_f64 v[56:57], v[56:57], -v[58:59]
	v_mul_f64 v[58:59], v[60:61], v[60:61]
	v_mov_b32_e32 v62, 0x6b47b09a
	v_mov_b32_e32 v63, 0x3fc38538
	s_mov_b32 s27, 0x3fc3ab76
	v_fmac_f64_e32 v[62:63], s[26:27], v[58:59]
	v_mov_b32_e32 v64, 0xd7f4df2e
	v_mov_b32_e32 v65, 0x3fc7474d
	v_fmac_f64_e32 v[64:65], v[58:59], v[62:63]
	v_mov_b32_e32 v62, 0x16291751
	v_mov_b32_e32 v63, 0x3fcc71c0
	;; [unrolled: 3-line block ×5, first 2 shown]
	v_fmac_f64_e32 v[64:65], v[58:59], v[62:63]
	v_cvt_f64_i32_e32 v[62:63], v76
	s_mov_b32 s55, 0x3fe62e42
	v_mul_f64 v[66:67], v[62:63], s[54:55]
	v_fma_f64 v[68:69], v[62:63], s[54:55], -v[66:67]
	s_mov_b32 s57, 0x3c7abc9e
	v_fmac_f64_e32 v[68:69], s[56:57], v[62:63]
	v_add_f64 v[62:63], v[66:67], v[68:69]
	v_add_f64 v[66:67], v[62:63], -v[66:67]
	v_mul_f64 v[58:59], v[60:61], v[58:59]
	v_add_f64 v[66:67], v[68:69], -v[66:67]
	v_ldexp_f64 v[68:69], v[60:61], 1
	v_mul_f64 v[58:59], v[58:59], v[64:65]
	v_add_f64 v[60:61], v[68:69], v[58:59]
	v_add_f64 v[64:65], v[60:61], -v[68:69]
	v_ldexp_f64 v[56:57], v[56:57], 1
	v_add_f64 v[58:59], v[58:59], -v[64:65]
	v_add_f64 v[56:57], v[56:57], v[58:59]
	v_add_f64 v[58:59], v[60:61], v[56:57]
	v_add_f64 v[60:61], v[58:59], -v[60:61]
	v_add_f64 v[56:57], v[56:57], -v[60:61]
	v_add_f64 v[60:61], v[62:63], v[58:59]
	v_add_f64 v[64:65], v[60:61], -v[62:63]
	v_add_f64 v[68:69], v[60:61], -v[64:65]
	;; [unrolled: 1-line block ×4, first 2 shown]
	v_add_f64 v[58:59], v[58:59], v[62:63]
	v_add_f64 v[62:63], v[66:67], v[56:57]
	v_add_f64 v[64:65], v[62:63], -v[66:67]
	v_add_f64 v[58:59], v[62:63], v[58:59]
	v_add_f64 v[68:69], v[62:63], -v[64:65]
	;; [unrolled: 2-line block ×3, first 2 shown]
	v_add_f64 v[56:57], v[56:57], -v[64:65]
	v_add_f64 v[60:61], v[62:63], -v[60:61]
	v_add_f64 v[56:57], v[56:57], v[66:67]
	v_add_f64 v[58:59], v[58:59], -v[60:61]
	s_mov_b32 s26, 0
	v_add_f64 v[56:57], v[56:57], v[58:59]
	s_mov_b32 s27, 0x7ff00000
	v_add_f64 v[56:57], v[62:63], v[56:57]
	v_cmp_eq_f64_e32 vcc, s[26:27], v[54:55]
	v_cndmask_b32_e32 v56, v56, v54, vcc
	v_cndmask_b32_e32 v57, v57, v55, vcc
	v_mov_b32_e32 v58, 0x7ff80000
	v_cmp_ngt_f64_e32 vcc, -1.0, v[54:55]
	v_cndmask_b32_e32 v57, v58, v57, vcc
	v_cmp_nge_f64_e32 vcc, -1.0, v[54:55]
	v_cndmask_b32_e32 v56, 0, v56, vcc
	v_mov_b32_e32 v58, 0xfff00000
	v_cmp_neq_f64_e32 vcc, -1.0, v[54:55]
	v_cndmask_b32_e32 v57, v58, v57, vcc
	v_add_f64 v[54:55], v[26:27], v[56:57]
.LBB30_99:
	s_or_b64 exec, exec, s[52:53]
	v_mov_b32_e32 v26, v54
	v_mov_b32_e32 v27, v55
	v_pk_mov_b32 v[86:87], v[54:55], v[54:55] op_sel:[0,1]
.LBB30_100:
	s_or_b64 exec, exec, s[50:51]
	v_cmp_gt_u32_e32 vcc, 60, v96
	s_waitcnt lgkmcnt(1)
	v_cndmask_b32_e64 v54, 0, 1, vcc
	v_lshlrev_b32_e32 v54, 2, v54
	v_add_lshl_u32 v100, v54, v53, 2
	ds_bpermute_b32 v54, v100, v26
	s_waitcnt lgkmcnt(1)
	ds_bpermute_b32 v55, v100, v27
	v_add_u32_e32 v101, 4, v96
	v_cmp_le_u32_e32 vcc, v101, v29
	s_and_saveexec_b64 s[50:51], vcc
	s_cbranch_execz .LBB30_104
; %bb.101:
	s_waitcnt lgkmcnt(0)
	v_max_f64 v[26:27], v[54:55], v[54:55]
	v_max_f64 v[58:59], v[86:87], v[86:87]
	v_min_f64 v[56:57], v[26:27], v[58:59]
	v_cmp_u_f64_e32 vcc, v[54:55], v[54:55]
	v_max_f64 v[26:27], v[26:27], v[58:59]
	v_cndmask_b32_e32 v56, v56, v54, vcc
	v_cndmask_b32_e32 v57, v57, v55, vcc
	v_cmp_u_f64_e64 s[26:27], v[86:87], v[86:87]
	v_cndmask_b32_e32 v26, v26, v54, vcc
	v_cndmask_b32_e32 v27, v27, v55, vcc
	v_cndmask_b32_e64 v57, v57, v87, s[26:27]
	v_cndmask_b32_e64 v56, v56, v86, s[26:27]
	;; [unrolled: 1-line block ×4, first 2 shown]
	s_movk_i32 s26, 0x1f8
	v_cmp_neq_f64_e32 vcc, v[56:57], v[26:27]
	v_cmp_class_f64_e64 s[26:27], v[56:57], s26
	s_or_b64 s[26:27], vcc, s[26:27]
	s_and_saveexec_b64 s[52:53], s[26:27]
	s_cbranch_execz .LBB30_103
; %bb.102:
	s_mov_b32 s26, 0x652b82fe
	v_add_f64 v[54:55], v[56:57], -v[26:27]
	s_mov_b32 s27, 0x3ff71547
	v_mul_f64 v[56:57], v[54:55], s[26:27]
	v_rndne_f64_e32 v[56:57], v[56:57]
	s_mov_b32 s55, 0xbfe62e42
	s_mov_b32 s54, 0xfefa39ef
	v_fma_f64 v[58:59], s[54:55], v[56:57], v[54:55]
	s_mov_b32 s57, 0xbc7abc9e
	s_mov_b32 s56, 0x3b39803f
	;; [unrolled: 1-line block ×3, first 2 shown]
	v_fmac_f64_e32 v[58:59], s[56:57], v[56:57]
	v_mov_b32_e32 v60, 0xfca7ab0c
	v_mov_b32_e32 v61, 0x3e928af3
	s_mov_b32 s27, 0x3e5ade15
	v_fmac_f64_e32 v[60:61], s[26:27], v[58:59]
	v_mov_b32_e32 v62, 0x623fde64
	v_mov_b32_e32 v63, 0x3ec71dee
	v_fmac_f64_e32 v[62:63], v[58:59], v[60:61]
	v_mov_b32_e32 v60, 0x7c89e6b0
	v_mov_b32_e32 v61, 0x3efa0199
	;; [unrolled: 3-line block ×8, first 2 shown]
	s_mov_b32 s26, 0
	v_fmac_f64_e32 v[60:61], v[58:59], v[62:63]
	s_mov_b32 s27, 0x40900000
	v_fma_f64 v[60:61], v[58:59], v[60:61], 1.0
	v_cmp_nlt_f64_e32 vcc, s[26:27], v[54:55]
	s_mov_b32 s26, 0
	v_fma_f64 v[58:59], v[58:59], v[60:61], 1.0
	v_cvt_i32_f64_e32 v56, v[56:57]
	s_mov_b32 s27, 0xc090cc00
	v_ldexp_f64 v[56:57], v[58:59], v56
	v_mov_b32_e32 v58, 0x7ff00000
	v_cmp_ngt_f64_e64 s[26:27], s[26:27], v[54:55]
	v_cndmask_b32_e32 v57, v58, v57, vcc
	s_and_b64 vcc, s[26:27], vcc
	v_cndmask_b32_e64 v55, 0, v57, s[26:27]
	v_cndmask_b32_e32 v54, 0, v56, vcc
	v_add_f64 v[56:57], v[54:55], 1.0
	v_add_f64 v[58:59], v[56:57], -1.0
	v_add_f64 v[60:61], v[58:59], -v[56:57]
	v_add_f64 v[60:61], v[60:61], 1.0
	v_add_f64 v[58:59], v[54:55], -v[58:59]
	s_mov_b32 s26, 0x55555555
	v_add_f64 v[58:59], v[58:59], v[60:61]
	v_frexp_mant_f64_e32 v[60:61], v[56:57]
	s_mov_b32 s27, 0x3fe55555
	v_frexp_exp_i32_f64_e32 v62, v[56:57]
	v_cmp_gt_f64_e32 vcc, s[26:27], v[60:61]
	v_subbrev_co_u32_e32 v76, vcc, 0, v62, vcc
	v_sub_u32_e32 v60, 0, v76
	v_ldexp_f64 v[56:57], v[56:57], v60
	v_ldexp_f64 v[58:59], v[58:59], v60
	v_add_f64 v[60:61], v[56:57], -1.0
	v_add_f64 v[66:67], v[56:57], 1.0
	v_add_f64 v[62:63], v[60:61], 1.0
	v_add_f64 v[68:69], v[66:67], -1.0
	v_add_f64 v[62:63], v[56:57], -v[62:63]
	v_add_f64 v[56:57], v[56:57], -v[68:69]
	v_add_f64 v[56:57], v[58:59], v[56:57]
	v_add_f64 v[62:63], v[58:59], v[62:63]
	;; [unrolled: 1-line block ×3, first 2 shown]
	v_rcp_f64_e32 v[68:69], v[58:59]
	v_add_f64 v[64:65], v[60:61], v[62:63]
	v_add_f64 v[60:61], v[64:65], -v[60:61]
	v_add_f64 v[60:61], v[62:63], -v[60:61]
	;; [unrolled: 1-line block ×4, first 2 shown]
	v_fma_f64 v[62:63], -v[58:59], v[68:69], 1.0
	v_fmac_f64_e32 v[68:69], v[62:63], v[68:69]
	v_fma_f64 v[62:63], -v[58:59], v[68:69], 1.0
	v_fmac_f64_e32 v[68:69], v[62:63], v[68:69]
	v_mul_f64 v[62:63], v[64:65], v[68:69]
	v_mul_f64 v[66:67], v[58:59], v[62:63]
	v_fma_f64 v[70:71], v[62:63], v[58:59], -v[66:67]
	v_fmac_f64_e32 v[70:71], v[62:63], v[56:57]
	v_add_f64 v[72:73], v[66:67], v[70:71]
	v_add_f64 v[74:75], v[64:65], -v[72:73]
	v_add_f64 v[64:65], v[64:65], -v[74:75]
	v_add_f64 v[66:67], v[72:73], -v[66:67]
	v_add_f64 v[64:65], v[64:65], -v[72:73]
	v_add_f64 v[60:61], v[60:61], v[64:65]
	v_add_f64 v[64:65], v[66:67], -v[70:71]
	v_add_f64 v[60:61], v[64:65], v[60:61]
	v_add_f64 v[64:65], v[74:75], v[60:61]
	v_add_f64 v[66:67], v[74:75], -v[64:65]
	v_add_f64 v[60:61], v[60:61], v[66:67]
	v_mul_f64 v[66:67], v[68:69], v[64:65]
	v_mul_f64 v[70:71], v[58:59], v[66:67]
	v_fma_f64 v[58:59], v[66:67], v[58:59], -v[70:71]
	v_fmac_f64_e32 v[58:59], v[66:67], v[56:57]
	v_add_f64 v[56:57], v[70:71], v[58:59]
	v_add_f64 v[72:73], v[64:65], -v[56:57]
	v_add_f64 v[64:65], v[64:65], -v[72:73]
	;; [unrolled: 1-line block ×4, first 2 shown]
	v_add_f64 v[56:57], v[60:61], v[56:57]
	v_add_f64 v[58:59], v[70:71], -v[58:59]
	v_add_f64 v[56:57], v[58:59], v[56:57]
	v_add_f64 v[58:59], v[62:63], v[66:67]
	v_add_f64 v[56:57], v[72:73], v[56:57]
	v_add_f64 v[60:61], v[58:59], -v[62:63]
	v_mul_f64 v[56:57], v[68:69], v[56:57]
	v_add_f64 v[60:61], v[66:67], -v[60:61]
	v_add_f64 v[56:57], v[60:61], v[56:57]
	v_add_f64 v[60:61], v[58:59], v[56:57]
	v_add_f64 v[58:59], v[60:61], -v[58:59]
	s_mov_b32 s26, 0xbf559e2b
	v_add_f64 v[56:57], v[56:57], -v[58:59]
	v_mul_f64 v[58:59], v[60:61], v[60:61]
	v_mov_b32_e32 v62, 0x6b47b09a
	v_mov_b32_e32 v63, 0x3fc38538
	s_mov_b32 s27, 0x3fc3ab76
	v_fmac_f64_e32 v[62:63], s[26:27], v[58:59]
	v_mov_b32_e32 v64, 0xd7f4df2e
	v_mov_b32_e32 v65, 0x3fc7474d
	v_fmac_f64_e32 v[64:65], v[58:59], v[62:63]
	v_mov_b32_e32 v62, 0x16291751
	v_mov_b32_e32 v63, 0x3fcc71c0
	;; [unrolled: 3-line block ×5, first 2 shown]
	v_fmac_f64_e32 v[64:65], v[58:59], v[62:63]
	v_cvt_f64_i32_e32 v[62:63], v76
	s_mov_b32 s55, 0x3fe62e42
	v_mul_f64 v[66:67], v[62:63], s[54:55]
	v_fma_f64 v[68:69], v[62:63], s[54:55], -v[66:67]
	s_mov_b32 s57, 0x3c7abc9e
	v_fmac_f64_e32 v[68:69], s[56:57], v[62:63]
	v_add_f64 v[62:63], v[66:67], v[68:69]
	v_add_f64 v[66:67], v[62:63], -v[66:67]
	v_mul_f64 v[58:59], v[60:61], v[58:59]
	v_add_f64 v[66:67], v[68:69], -v[66:67]
	v_ldexp_f64 v[68:69], v[60:61], 1
	v_mul_f64 v[58:59], v[58:59], v[64:65]
	v_add_f64 v[60:61], v[68:69], v[58:59]
	v_add_f64 v[64:65], v[60:61], -v[68:69]
	v_ldexp_f64 v[56:57], v[56:57], 1
	v_add_f64 v[58:59], v[58:59], -v[64:65]
	v_add_f64 v[56:57], v[56:57], v[58:59]
	v_add_f64 v[58:59], v[60:61], v[56:57]
	v_add_f64 v[60:61], v[58:59], -v[60:61]
	v_add_f64 v[56:57], v[56:57], -v[60:61]
	v_add_f64 v[60:61], v[62:63], v[58:59]
	v_add_f64 v[64:65], v[60:61], -v[62:63]
	v_add_f64 v[68:69], v[60:61], -v[64:65]
	;; [unrolled: 1-line block ×4, first 2 shown]
	v_add_f64 v[58:59], v[58:59], v[62:63]
	v_add_f64 v[62:63], v[66:67], v[56:57]
	v_add_f64 v[64:65], v[62:63], -v[66:67]
	v_add_f64 v[58:59], v[62:63], v[58:59]
	v_add_f64 v[68:69], v[62:63], -v[64:65]
	;; [unrolled: 2-line block ×3, first 2 shown]
	v_add_f64 v[56:57], v[56:57], -v[64:65]
	v_add_f64 v[60:61], v[62:63], -v[60:61]
	v_add_f64 v[56:57], v[56:57], v[66:67]
	v_add_f64 v[58:59], v[58:59], -v[60:61]
	s_mov_b32 s26, 0
	v_add_f64 v[56:57], v[56:57], v[58:59]
	s_mov_b32 s27, 0x7ff00000
	v_add_f64 v[56:57], v[62:63], v[56:57]
	v_cmp_eq_f64_e32 vcc, s[26:27], v[54:55]
	v_cndmask_b32_e32 v56, v56, v54, vcc
	v_cndmask_b32_e32 v57, v57, v55, vcc
	v_mov_b32_e32 v58, 0x7ff80000
	v_cmp_ngt_f64_e32 vcc, -1.0, v[54:55]
	v_cndmask_b32_e32 v57, v58, v57, vcc
	v_cmp_nge_f64_e32 vcc, -1.0, v[54:55]
	v_cndmask_b32_e32 v56, 0, v56, vcc
	v_mov_b32_e32 v58, 0xfff00000
	v_cmp_neq_f64_e32 vcc, -1.0, v[54:55]
	v_cndmask_b32_e32 v57, v58, v57, vcc
	v_add_f64 v[54:55], v[26:27], v[56:57]
.LBB30_103:
	s_or_b64 exec, exec, s[52:53]
	v_mov_b32_e32 v26, v54
	v_mov_b32_e32 v27, v55
	v_pk_mov_b32 v[86:87], v[54:55], v[54:55] op_sel:[0,1]
.LBB30_104:
	s_or_b64 exec, exec, s[50:51]
	v_cmp_gt_u32_e32 vcc, 56, v96
	s_waitcnt lgkmcnt(1)
	v_cndmask_b32_e64 v54, 0, 1, vcc
	v_lshlrev_b32_e32 v54, 3, v54
	v_add_lshl_u32 v102, v54, v53, 2
	ds_bpermute_b32 v54, v102, v26
	s_waitcnt lgkmcnt(1)
	ds_bpermute_b32 v55, v102, v27
	v_add_u32_e32 v103, 8, v96
	v_cmp_le_u32_e32 vcc, v103, v29
	s_and_saveexec_b64 s[50:51], vcc
	s_cbranch_execz .LBB30_108
; %bb.105:
	s_waitcnt lgkmcnt(0)
	v_max_f64 v[26:27], v[54:55], v[54:55]
	v_max_f64 v[58:59], v[86:87], v[86:87]
	v_min_f64 v[56:57], v[26:27], v[58:59]
	v_cmp_u_f64_e32 vcc, v[54:55], v[54:55]
	v_max_f64 v[26:27], v[26:27], v[58:59]
	v_cndmask_b32_e32 v56, v56, v54, vcc
	v_cndmask_b32_e32 v57, v57, v55, vcc
	v_cmp_u_f64_e64 s[26:27], v[86:87], v[86:87]
	v_cndmask_b32_e32 v26, v26, v54, vcc
	v_cndmask_b32_e32 v27, v27, v55, vcc
	v_cndmask_b32_e64 v57, v57, v87, s[26:27]
	v_cndmask_b32_e64 v56, v56, v86, s[26:27]
	;; [unrolled: 1-line block ×4, first 2 shown]
	s_movk_i32 s26, 0x1f8
	v_cmp_neq_f64_e32 vcc, v[56:57], v[26:27]
	v_cmp_class_f64_e64 s[26:27], v[56:57], s26
	s_or_b64 s[26:27], vcc, s[26:27]
	s_and_saveexec_b64 s[52:53], s[26:27]
	s_cbranch_execz .LBB30_107
; %bb.106:
	s_mov_b32 s26, 0x652b82fe
	v_add_f64 v[54:55], v[56:57], -v[26:27]
	s_mov_b32 s27, 0x3ff71547
	v_mul_f64 v[56:57], v[54:55], s[26:27]
	v_rndne_f64_e32 v[56:57], v[56:57]
	s_mov_b32 s55, 0xbfe62e42
	s_mov_b32 s54, 0xfefa39ef
	v_fma_f64 v[58:59], s[54:55], v[56:57], v[54:55]
	s_mov_b32 s57, 0xbc7abc9e
	s_mov_b32 s56, 0x3b39803f
	;; [unrolled: 1-line block ×3, first 2 shown]
	v_fmac_f64_e32 v[58:59], s[56:57], v[56:57]
	v_mov_b32_e32 v60, 0xfca7ab0c
	v_mov_b32_e32 v61, 0x3e928af3
	s_mov_b32 s27, 0x3e5ade15
	v_fmac_f64_e32 v[60:61], s[26:27], v[58:59]
	v_mov_b32_e32 v62, 0x623fde64
	v_mov_b32_e32 v63, 0x3ec71dee
	v_fmac_f64_e32 v[62:63], v[58:59], v[60:61]
	v_mov_b32_e32 v60, 0x7c89e6b0
	v_mov_b32_e32 v61, 0x3efa0199
	;; [unrolled: 3-line block ×8, first 2 shown]
	s_mov_b32 s26, 0
	v_fmac_f64_e32 v[60:61], v[58:59], v[62:63]
	s_mov_b32 s27, 0x40900000
	v_fma_f64 v[60:61], v[58:59], v[60:61], 1.0
	v_cmp_nlt_f64_e32 vcc, s[26:27], v[54:55]
	s_mov_b32 s26, 0
	v_fma_f64 v[58:59], v[58:59], v[60:61], 1.0
	v_cvt_i32_f64_e32 v56, v[56:57]
	s_mov_b32 s27, 0xc090cc00
	v_ldexp_f64 v[56:57], v[58:59], v56
	v_mov_b32_e32 v58, 0x7ff00000
	v_cmp_ngt_f64_e64 s[26:27], s[26:27], v[54:55]
	v_cndmask_b32_e32 v57, v58, v57, vcc
	s_and_b64 vcc, s[26:27], vcc
	v_cndmask_b32_e64 v55, 0, v57, s[26:27]
	v_cndmask_b32_e32 v54, 0, v56, vcc
	v_add_f64 v[56:57], v[54:55], 1.0
	v_add_f64 v[58:59], v[56:57], -1.0
	v_add_f64 v[60:61], v[58:59], -v[56:57]
	v_add_f64 v[60:61], v[60:61], 1.0
	v_add_f64 v[58:59], v[54:55], -v[58:59]
	s_mov_b32 s26, 0x55555555
	v_add_f64 v[58:59], v[58:59], v[60:61]
	v_frexp_mant_f64_e32 v[60:61], v[56:57]
	s_mov_b32 s27, 0x3fe55555
	v_frexp_exp_i32_f64_e32 v62, v[56:57]
	v_cmp_gt_f64_e32 vcc, s[26:27], v[60:61]
	v_subbrev_co_u32_e32 v76, vcc, 0, v62, vcc
	v_sub_u32_e32 v60, 0, v76
	v_ldexp_f64 v[56:57], v[56:57], v60
	v_ldexp_f64 v[58:59], v[58:59], v60
	v_add_f64 v[60:61], v[56:57], -1.0
	v_add_f64 v[66:67], v[56:57], 1.0
	v_add_f64 v[62:63], v[60:61], 1.0
	v_add_f64 v[68:69], v[66:67], -1.0
	v_add_f64 v[62:63], v[56:57], -v[62:63]
	v_add_f64 v[56:57], v[56:57], -v[68:69]
	v_add_f64 v[56:57], v[58:59], v[56:57]
	v_add_f64 v[62:63], v[58:59], v[62:63]
	;; [unrolled: 1-line block ×3, first 2 shown]
	v_rcp_f64_e32 v[68:69], v[58:59]
	v_add_f64 v[64:65], v[60:61], v[62:63]
	v_add_f64 v[60:61], v[64:65], -v[60:61]
	v_add_f64 v[60:61], v[62:63], -v[60:61]
	;; [unrolled: 1-line block ×4, first 2 shown]
	v_fma_f64 v[62:63], -v[58:59], v[68:69], 1.0
	v_fmac_f64_e32 v[68:69], v[62:63], v[68:69]
	v_fma_f64 v[62:63], -v[58:59], v[68:69], 1.0
	v_fmac_f64_e32 v[68:69], v[62:63], v[68:69]
	v_mul_f64 v[62:63], v[64:65], v[68:69]
	v_mul_f64 v[66:67], v[58:59], v[62:63]
	v_fma_f64 v[70:71], v[62:63], v[58:59], -v[66:67]
	v_fmac_f64_e32 v[70:71], v[62:63], v[56:57]
	v_add_f64 v[72:73], v[66:67], v[70:71]
	v_add_f64 v[74:75], v[64:65], -v[72:73]
	v_add_f64 v[64:65], v[64:65], -v[74:75]
	;; [unrolled: 1-line block ×4, first 2 shown]
	v_add_f64 v[60:61], v[60:61], v[64:65]
	v_add_f64 v[64:65], v[66:67], -v[70:71]
	v_add_f64 v[60:61], v[64:65], v[60:61]
	v_add_f64 v[64:65], v[74:75], v[60:61]
	v_add_f64 v[66:67], v[74:75], -v[64:65]
	v_add_f64 v[60:61], v[60:61], v[66:67]
	v_mul_f64 v[66:67], v[68:69], v[64:65]
	v_mul_f64 v[70:71], v[58:59], v[66:67]
	v_fma_f64 v[58:59], v[66:67], v[58:59], -v[70:71]
	v_fmac_f64_e32 v[58:59], v[66:67], v[56:57]
	v_add_f64 v[56:57], v[70:71], v[58:59]
	v_add_f64 v[72:73], v[64:65], -v[56:57]
	v_add_f64 v[64:65], v[64:65], -v[72:73]
	v_add_f64 v[70:71], v[56:57], -v[70:71]
	v_add_f64 v[56:57], v[64:65], -v[56:57]
	v_add_f64 v[56:57], v[60:61], v[56:57]
	v_add_f64 v[58:59], v[70:71], -v[58:59]
	v_add_f64 v[56:57], v[58:59], v[56:57]
	v_add_f64 v[58:59], v[62:63], v[66:67]
	;; [unrolled: 1-line block ×3, first 2 shown]
	v_add_f64 v[60:61], v[58:59], -v[62:63]
	v_mul_f64 v[56:57], v[68:69], v[56:57]
	v_add_f64 v[60:61], v[66:67], -v[60:61]
	v_add_f64 v[56:57], v[60:61], v[56:57]
	v_add_f64 v[60:61], v[58:59], v[56:57]
	v_add_f64 v[58:59], v[60:61], -v[58:59]
	s_mov_b32 s26, 0xbf559e2b
	v_add_f64 v[56:57], v[56:57], -v[58:59]
	v_mul_f64 v[58:59], v[60:61], v[60:61]
	v_mov_b32_e32 v62, 0x6b47b09a
	v_mov_b32_e32 v63, 0x3fc38538
	s_mov_b32 s27, 0x3fc3ab76
	v_fmac_f64_e32 v[62:63], s[26:27], v[58:59]
	v_mov_b32_e32 v64, 0xd7f4df2e
	v_mov_b32_e32 v65, 0x3fc7474d
	v_fmac_f64_e32 v[64:65], v[58:59], v[62:63]
	v_mov_b32_e32 v62, 0x16291751
	v_mov_b32_e32 v63, 0x3fcc71c0
	;; [unrolled: 3-line block ×5, first 2 shown]
	v_fmac_f64_e32 v[64:65], v[58:59], v[62:63]
	v_cvt_f64_i32_e32 v[62:63], v76
	s_mov_b32 s55, 0x3fe62e42
	v_mul_f64 v[66:67], v[62:63], s[54:55]
	v_fma_f64 v[68:69], v[62:63], s[54:55], -v[66:67]
	s_mov_b32 s57, 0x3c7abc9e
	v_fmac_f64_e32 v[68:69], s[56:57], v[62:63]
	v_add_f64 v[62:63], v[66:67], v[68:69]
	v_add_f64 v[66:67], v[62:63], -v[66:67]
	v_mul_f64 v[58:59], v[60:61], v[58:59]
	v_add_f64 v[66:67], v[68:69], -v[66:67]
	v_ldexp_f64 v[68:69], v[60:61], 1
	v_mul_f64 v[58:59], v[58:59], v[64:65]
	v_add_f64 v[60:61], v[68:69], v[58:59]
	v_add_f64 v[64:65], v[60:61], -v[68:69]
	v_ldexp_f64 v[56:57], v[56:57], 1
	v_add_f64 v[58:59], v[58:59], -v[64:65]
	v_add_f64 v[56:57], v[56:57], v[58:59]
	v_add_f64 v[58:59], v[60:61], v[56:57]
	v_add_f64 v[60:61], v[58:59], -v[60:61]
	v_add_f64 v[56:57], v[56:57], -v[60:61]
	v_add_f64 v[60:61], v[62:63], v[58:59]
	v_add_f64 v[64:65], v[60:61], -v[62:63]
	v_add_f64 v[68:69], v[60:61], -v[64:65]
	;; [unrolled: 1-line block ×4, first 2 shown]
	v_add_f64 v[58:59], v[58:59], v[62:63]
	v_add_f64 v[62:63], v[66:67], v[56:57]
	v_add_f64 v[64:65], v[62:63], -v[66:67]
	v_add_f64 v[58:59], v[62:63], v[58:59]
	v_add_f64 v[68:69], v[62:63], -v[64:65]
	;; [unrolled: 2-line block ×3, first 2 shown]
	v_add_f64 v[56:57], v[56:57], -v[64:65]
	v_add_f64 v[60:61], v[62:63], -v[60:61]
	v_add_f64 v[56:57], v[56:57], v[66:67]
	v_add_f64 v[58:59], v[58:59], -v[60:61]
	s_mov_b32 s26, 0
	v_add_f64 v[56:57], v[56:57], v[58:59]
	s_mov_b32 s27, 0x7ff00000
	v_add_f64 v[56:57], v[62:63], v[56:57]
	v_cmp_eq_f64_e32 vcc, s[26:27], v[54:55]
	v_cndmask_b32_e32 v56, v56, v54, vcc
	v_cndmask_b32_e32 v57, v57, v55, vcc
	v_mov_b32_e32 v58, 0x7ff80000
	v_cmp_ngt_f64_e32 vcc, -1.0, v[54:55]
	v_cndmask_b32_e32 v57, v58, v57, vcc
	v_cmp_nge_f64_e32 vcc, -1.0, v[54:55]
	v_cndmask_b32_e32 v56, 0, v56, vcc
	v_mov_b32_e32 v58, 0xfff00000
	v_cmp_neq_f64_e32 vcc, -1.0, v[54:55]
	v_cndmask_b32_e32 v57, v58, v57, vcc
	v_add_f64 v[54:55], v[26:27], v[56:57]
.LBB30_107:
	s_or_b64 exec, exec, s[52:53]
	v_mov_b32_e32 v26, v54
	v_mov_b32_e32 v27, v55
	v_pk_mov_b32 v[86:87], v[54:55], v[54:55] op_sel:[0,1]
.LBB30_108:
	s_or_b64 exec, exec, s[50:51]
	v_cmp_gt_u32_e32 vcc, 48, v96
	s_waitcnt lgkmcnt(1)
	v_cndmask_b32_e64 v54, 0, 1, vcc
	v_lshlrev_b32_e32 v54, 4, v54
	v_add_lshl_u32 v104, v54, v53, 2
	ds_bpermute_b32 v54, v104, v26
	s_waitcnt lgkmcnt(1)
	ds_bpermute_b32 v55, v104, v27
	v_add_u32_e32 v105, 16, v96
	v_cmp_le_u32_e32 vcc, v105, v29
	s_and_saveexec_b64 s[50:51], vcc
	s_cbranch_execz .LBB30_112
; %bb.109:
	s_waitcnt lgkmcnt(0)
	v_max_f64 v[26:27], v[54:55], v[54:55]
	v_max_f64 v[58:59], v[86:87], v[86:87]
	v_min_f64 v[56:57], v[26:27], v[58:59]
	v_cmp_u_f64_e32 vcc, v[54:55], v[54:55]
	v_max_f64 v[26:27], v[26:27], v[58:59]
	v_cndmask_b32_e32 v56, v56, v54, vcc
	v_cndmask_b32_e32 v57, v57, v55, vcc
	v_cmp_u_f64_e64 s[26:27], v[86:87], v[86:87]
	v_cndmask_b32_e32 v26, v26, v54, vcc
	v_cndmask_b32_e32 v27, v27, v55, vcc
	v_cndmask_b32_e64 v57, v57, v87, s[26:27]
	v_cndmask_b32_e64 v56, v56, v86, s[26:27]
	;; [unrolled: 1-line block ×4, first 2 shown]
	s_movk_i32 s26, 0x1f8
	v_cmp_neq_f64_e32 vcc, v[56:57], v[26:27]
	v_cmp_class_f64_e64 s[26:27], v[56:57], s26
	s_or_b64 s[26:27], vcc, s[26:27]
	s_and_saveexec_b64 s[52:53], s[26:27]
	s_cbranch_execz .LBB30_111
; %bb.110:
	s_mov_b32 s26, 0x652b82fe
	v_add_f64 v[54:55], v[56:57], -v[26:27]
	s_mov_b32 s27, 0x3ff71547
	v_mul_f64 v[56:57], v[54:55], s[26:27]
	v_rndne_f64_e32 v[56:57], v[56:57]
	s_mov_b32 s55, 0xbfe62e42
	s_mov_b32 s54, 0xfefa39ef
	v_fma_f64 v[58:59], s[54:55], v[56:57], v[54:55]
	s_mov_b32 s57, 0xbc7abc9e
	s_mov_b32 s56, 0x3b39803f
	;; [unrolled: 1-line block ×3, first 2 shown]
	v_fmac_f64_e32 v[58:59], s[56:57], v[56:57]
	v_mov_b32_e32 v60, 0xfca7ab0c
	v_mov_b32_e32 v61, 0x3e928af3
	s_mov_b32 s27, 0x3e5ade15
	v_fmac_f64_e32 v[60:61], s[26:27], v[58:59]
	v_mov_b32_e32 v62, 0x623fde64
	v_mov_b32_e32 v63, 0x3ec71dee
	v_fmac_f64_e32 v[62:63], v[58:59], v[60:61]
	v_mov_b32_e32 v60, 0x7c89e6b0
	v_mov_b32_e32 v61, 0x3efa0199
	;; [unrolled: 3-line block ×8, first 2 shown]
	s_mov_b32 s26, 0
	v_fmac_f64_e32 v[60:61], v[58:59], v[62:63]
	s_mov_b32 s27, 0x40900000
	v_fma_f64 v[60:61], v[58:59], v[60:61], 1.0
	v_cmp_nlt_f64_e32 vcc, s[26:27], v[54:55]
	s_mov_b32 s26, 0
	v_fma_f64 v[58:59], v[58:59], v[60:61], 1.0
	v_cvt_i32_f64_e32 v56, v[56:57]
	s_mov_b32 s27, 0xc090cc00
	v_ldexp_f64 v[56:57], v[58:59], v56
	v_mov_b32_e32 v58, 0x7ff00000
	v_cmp_ngt_f64_e64 s[26:27], s[26:27], v[54:55]
	v_cndmask_b32_e32 v57, v58, v57, vcc
	s_and_b64 vcc, s[26:27], vcc
	v_cndmask_b32_e64 v55, 0, v57, s[26:27]
	v_cndmask_b32_e32 v54, 0, v56, vcc
	v_add_f64 v[56:57], v[54:55], 1.0
	v_add_f64 v[58:59], v[56:57], -1.0
	v_add_f64 v[60:61], v[58:59], -v[56:57]
	v_add_f64 v[60:61], v[60:61], 1.0
	v_add_f64 v[58:59], v[54:55], -v[58:59]
	s_mov_b32 s26, 0x55555555
	v_add_f64 v[58:59], v[58:59], v[60:61]
	v_frexp_mant_f64_e32 v[60:61], v[56:57]
	s_mov_b32 s27, 0x3fe55555
	v_frexp_exp_i32_f64_e32 v62, v[56:57]
	v_cmp_gt_f64_e32 vcc, s[26:27], v[60:61]
	v_subbrev_co_u32_e32 v76, vcc, 0, v62, vcc
	v_sub_u32_e32 v60, 0, v76
	v_ldexp_f64 v[56:57], v[56:57], v60
	v_ldexp_f64 v[58:59], v[58:59], v60
	v_add_f64 v[60:61], v[56:57], -1.0
	v_add_f64 v[66:67], v[56:57], 1.0
	v_add_f64 v[62:63], v[60:61], 1.0
	v_add_f64 v[68:69], v[66:67], -1.0
	v_add_f64 v[62:63], v[56:57], -v[62:63]
	v_add_f64 v[56:57], v[56:57], -v[68:69]
	v_add_f64 v[56:57], v[58:59], v[56:57]
	v_add_f64 v[62:63], v[58:59], v[62:63]
	;; [unrolled: 1-line block ×3, first 2 shown]
	v_rcp_f64_e32 v[68:69], v[58:59]
	v_add_f64 v[64:65], v[60:61], v[62:63]
	v_add_f64 v[60:61], v[64:65], -v[60:61]
	v_add_f64 v[60:61], v[62:63], -v[60:61]
	;; [unrolled: 1-line block ×4, first 2 shown]
	v_fma_f64 v[62:63], -v[58:59], v[68:69], 1.0
	v_fmac_f64_e32 v[68:69], v[62:63], v[68:69]
	v_fma_f64 v[62:63], -v[58:59], v[68:69], 1.0
	v_fmac_f64_e32 v[68:69], v[62:63], v[68:69]
	v_mul_f64 v[62:63], v[64:65], v[68:69]
	v_mul_f64 v[66:67], v[58:59], v[62:63]
	v_fma_f64 v[70:71], v[62:63], v[58:59], -v[66:67]
	v_fmac_f64_e32 v[70:71], v[62:63], v[56:57]
	v_add_f64 v[72:73], v[66:67], v[70:71]
	v_add_f64 v[74:75], v[64:65], -v[72:73]
	v_add_f64 v[64:65], v[64:65], -v[74:75]
	v_add_f64 v[66:67], v[72:73], -v[66:67]
	v_add_f64 v[64:65], v[64:65], -v[72:73]
	v_add_f64 v[60:61], v[60:61], v[64:65]
	v_add_f64 v[64:65], v[66:67], -v[70:71]
	v_add_f64 v[60:61], v[64:65], v[60:61]
	v_add_f64 v[64:65], v[74:75], v[60:61]
	v_add_f64 v[66:67], v[74:75], -v[64:65]
	v_add_f64 v[60:61], v[60:61], v[66:67]
	v_mul_f64 v[66:67], v[68:69], v[64:65]
	v_mul_f64 v[70:71], v[58:59], v[66:67]
	v_fma_f64 v[58:59], v[66:67], v[58:59], -v[70:71]
	v_fmac_f64_e32 v[58:59], v[66:67], v[56:57]
	v_add_f64 v[56:57], v[70:71], v[58:59]
	v_add_f64 v[72:73], v[64:65], -v[56:57]
	v_add_f64 v[64:65], v[64:65], -v[72:73]
	;; [unrolled: 1-line block ×4, first 2 shown]
	v_add_f64 v[56:57], v[60:61], v[56:57]
	v_add_f64 v[58:59], v[70:71], -v[58:59]
	v_add_f64 v[56:57], v[58:59], v[56:57]
	v_add_f64 v[58:59], v[62:63], v[66:67]
	;; [unrolled: 1-line block ×3, first 2 shown]
	v_add_f64 v[60:61], v[58:59], -v[62:63]
	v_mul_f64 v[56:57], v[68:69], v[56:57]
	v_add_f64 v[60:61], v[66:67], -v[60:61]
	v_add_f64 v[56:57], v[60:61], v[56:57]
	v_add_f64 v[60:61], v[58:59], v[56:57]
	v_add_f64 v[58:59], v[60:61], -v[58:59]
	s_mov_b32 s26, 0xbf559e2b
	v_add_f64 v[56:57], v[56:57], -v[58:59]
	v_mul_f64 v[58:59], v[60:61], v[60:61]
	v_mov_b32_e32 v62, 0x6b47b09a
	v_mov_b32_e32 v63, 0x3fc38538
	s_mov_b32 s27, 0x3fc3ab76
	v_fmac_f64_e32 v[62:63], s[26:27], v[58:59]
	v_mov_b32_e32 v64, 0xd7f4df2e
	v_mov_b32_e32 v65, 0x3fc7474d
	v_fmac_f64_e32 v[64:65], v[58:59], v[62:63]
	v_mov_b32_e32 v62, 0x16291751
	v_mov_b32_e32 v63, 0x3fcc71c0
	;; [unrolled: 3-line block ×5, first 2 shown]
	v_fmac_f64_e32 v[64:65], v[58:59], v[62:63]
	v_cvt_f64_i32_e32 v[62:63], v76
	s_mov_b32 s55, 0x3fe62e42
	v_mul_f64 v[66:67], v[62:63], s[54:55]
	v_fma_f64 v[68:69], v[62:63], s[54:55], -v[66:67]
	s_mov_b32 s57, 0x3c7abc9e
	v_fmac_f64_e32 v[68:69], s[56:57], v[62:63]
	v_add_f64 v[62:63], v[66:67], v[68:69]
	v_add_f64 v[66:67], v[62:63], -v[66:67]
	v_mul_f64 v[58:59], v[60:61], v[58:59]
	v_add_f64 v[66:67], v[68:69], -v[66:67]
	v_ldexp_f64 v[68:69], v[60:61], 1
	v_mul_f64 v[58:59], v[58:59], v[64:65]
	v_add_f64 v[60:61], v[68:69], v[58:59]
	v_add_f64 v[64:65], v[60:61], -v[68:69]
	v_ldexp_f64 v[56:57], v[56:57], 1
	v_add_f64 v[58:59], v[58:59], -v[64:65]
	v_add_f64 v[56:57], v[56:57], v[58:59]
	v_add_f64 v[58:59], v[60:61], v[56:57]
	v_add_f64 v[60:61], v[58:59], -v[60:61]
	v_add_f64 v[56:57], v[56:57], -v[60:61]
	v_add_f64 v[60:61], v[62:63], v[58:59]
	v_add_f64 v[64:65], v[60:61], -v[62:63]
	v_add_f64 v[68:69], v[60:61], -v[64:65]
	;; [unrolled: 1-line block ×4, first 2 shown]
	v_add_f64 v[58:59], v[58:59], v[62:63]
	v_add_f64 v[62:63], v[66:67], v[56:57]
	v_add_f64 v[64:65], v[62:63], -v[66:67]
	v_add_f64 v[58:59], v[62:63], v[58:59]
	v_add_f64 v[68:69], v[62:63], -v[64:65]
	v_add_f64 v[62:63], v[60:61], v[58:59]
	v_add_f64 v[66:67], v[66:67], -v[68:69]
	v_add_f64 v[56:57], v[56:57], -v[64:65]
	v_add_f64 v[60:61], v[62:63], -v[60:61]
	v_add_f64 v[56:57], v[56:57], v[66:67]
	v_add_f64 v[58:59], v[58:59], -v[60:61]
	s_mov_b32 s26, 0
	v_add_f64 v[56:57], v[56:57], v[58:59]
	s_mov_b32 s27, 0x7ff00000
	v_add_f64 v[56:57], v[62:63], v[56:57]
	v_cmp_eq_f64_e32 vcc, s[26:27], v[54:55]
	v_cndmask_b32_e32 v56, v56, v54, vcc
	v_cndmask_b32_e32 v57, v57, v55, vcc
	v_mov_b32_e32 v58, 0x7ff80000
	v_cmp_ngt_f64_e32 vcc, -1.0, v[54:55]
	v_cndmask_b32_e32 v57, v58, v57, vcc
	v_cmp_nge_f64_e32 vcc, -1.0, v[54:55]
	v_cndmask_b32_e32 v56, 0, v56, vcc
	v_mov_b32_e32 v58, 0xfff00000
	v_cmp_neq_f64_e32 vcc, -1.0, v[54:55]
	v_cndmask_b32_e32 v57, v58, v57, vcc
	v_add_f64 v[54:55], v[26:27], v[56:57]
.LBB30_111:
	s_or_b64 exec, exec, s[52:53]
	v_mov_b32_e32 v26, v54
	v_mov_b32_e32 v27, v55
	v_pk_mov_b32 v[86:87], v[54:55], v[54:55] op_sel:[0,1]
.LBB30_112:
	s_or_b64 exec, exec, s[50:51]
	v_cmp_gt_u32_e32 vcc, 32, v96
	s_waitcnt lgkmcnt(1)
	v_cndmask_b32_e64 v54, 0, 1, vcc
	v_lshlrev_b32_e32 v54, 5, v54
	v_add_lshl_u32 v106, v54, v53, 2
	ds_bpermute_b32 v54, v106, v26
	s_waitcnt lgkmcnt(1)
	ds_bpermute_b32 v55, v106, v27
	v_add_u32_e32 v107, 32, v96
	v_cmp_le_u32_e32 vcc, v107, v29
	s_and_saveexec_b64 s[50:51], vcc
	s_cbranch_execz .LBB30_116
; %bb.113:
	s_waitcnt lgkmcnt(0)
	v_max_f64 v[26:27], v[54:55], v[54:55]
	v_max_f64 v[58:59], v[86:87], v[86:87]
	v_min_f64 v[56:57], v[26:27], v[58:59]
	v_cmp_u_f64_e32 vcc, v[54:55], v[54:55]
	v_max_f64 v[26:27], v[26:27], v[58:59]
	v_cndmask_b32_e32 v29, v56, v54, vcc
	v_cndmask_b32_e32 v53, v57, v55, vcc
	v_cmp_u_f64_e64 s[26:27], v[86:87], v[86:87]
	v_cndmask_b32_e32 v26, v26, v54, vcc
	v_cndmask_b32_e32 v27, v27, v55, vcc
	v_cndmask_b32_e64 v57, v53, v87, s[26:27]
	v_cndmask_b32_e64 v56, v29, v86, s[26:27]
	;; [unrolled: 1-line block ×4, first 2 shown]
	s_movk_i32 s26, 0x1f8
	v_cmp_neq_f64_e32 vcc, v[56:57], v[26:27]
	v_cmp_class_f64_e64 s[26:27], v[56:57], s26
	s_or_b64 s[26:27], vcc, s[26:27]
	s_and_saveexec_b64 s[52:53], s[26:27]
	s_cbranch_execz .LBB30_115
; %bb.114:
	s_mov_b32 s26, 0x652b82fe
	v_add_f64 v[54:55], v[56:57], -v[26:27]
	s_mov_b32 s27, 0x3ff71547
	v_mul_f64 v[56:57], v[54:55], s[26:27]
	v_rndne_f64_e32 v[56:57], v[56:57]
	s_mov_b32 s55, 0xbfe62e42
	s_mov_b32 s54, 0xfefa39ef
	v_fma_f64 v[58:59], s[54:55], v[56:57], v[54:55]
	s_mov_b32 s57, 0xbc7abc9e
	s_mov_b32 s56, 0x3b39803f
	;; [unrolled: 1-line block ×3, first 2 shown]
	v_fmac_f64_e32 v[58:59], s[56:57], v[56:57]
	v_mov_b32_e32 v60, 0xfca7ab0c
	v_mov_b32_e32 v61, 0x3e928af3
	s_mov_b32 s27, 0x3e5ade15
	v_fmac_f64_e32 v[60:61], s[26:27], v[58:59]
	v_mov_b32_e32 v62, 0x623fde64
	v_mov_b32_e32 v63, 0x3ec71dee
	v_fmac_f64_e32 v[62:63], v[58:59], v[60:61]
	v_mov_b32_e32 v60, 0x7c89e6b0
	v_mov_b32_e32 v61, 0x3efa0199
	;; [unrolled: 3-line block ×8, first 2 shown]
	s_mov_b32 s26, 0
	v_fmac_f64_e32 v[60:61], v[58:59], v[62:63]
	s_mov_b32 s27, 0x40900000
	v_fma_f64 v[60:61], v[58:59], v[60:61], 1.0
	v_cmp_nlt_f64_e32 vcc, s[26:27], v[54:55]
	s_mov_b32 s26, 0
	v_fma_f64 v[58:59], v[58:59], v[60:61], 1.0
	v_cvt_i32_f64_e32 v29, v[56:57]
	s_mov_b32 s27, 0xc090cc00
	v_ldexp_f64 v[56:57], v[58:59], v29
	v_mov_b32_e32 v29, 0x7ff00000
	v_cmp_ngt_f64_e64 s[26:27], s[26:27], v[54:55]
	v_cndmask_b32_e32 v29, v29, v57, vcc
	s_and_b64 vcc, s[26:27], vcc
	v_cndmask_b32_e64 v55, 0, v29, s[26:27]
	v_cndmask_b32_e32 v54, 0, v56, vcc
	v_add_f64 v[56:57], v[54:55], 1.0
	v_add_f64 v[58:59], v[56:57], -1.0
	v_add_f64 v[60:61], v[58:59], -v[56:57]
	v_add_f64 v[60:61], v[60:61], 1.0
	v_add_f64 v[58:59], v[54:55], -v[58:59]
	s_mov_b32 s26, 0x55555555
	v_add_f64 v[58:59], v[58:59], v[60:61]
	v_frexp_mant_f64_e32 v[60:61], v[56:57]
	s_mov_b32 s27, 0x3fe55555
	v_frexp_exp_i32_f64_e32 v29, v[56:57]
	v_cmp_gt_f64_e32 vcc, s[26:27], v[60:61]
	v_subbrev_co_u32_e32 v29, vcc, 0, v29, vcc
	v_sub_u32_e32 v53, 0, v29
	v_ldexp_f64 v[56:57], v[56:57], v53
	v_add_f64 v[60:61], v[56:57], -1.0
	v_add_f64 v[66:67], v[56:57], 1.0
	v_add_f64 v[62:63], v[60:61], 1.0
	v_add_f64 v[68:69], v[66:67], -1.0
	v_ldexp_f64 v[58:59], v[58:59], v53
	v_add_f64 v[62:63], v[56:57], -v[62:63]
	v_add_f64 v[56:57], v[56:57], -v[68:69]
	v_add_f64 v[56:57], v[58:59], v[56:57]
	v_add_f64 v[62:63], v[58:59], v[62:63]
	;; [unrolled: 1-line block ×3, first 2 shown]
	v_rcp_f64_e32 v[68:69], v[58:59]
	v_add_f64 v[64:65], v[60:61], v[62:63]
	v_add_f64 v[60:61], v[64:65], -v[60:61]
	v_add_f64 v[60:61], v[62:63], -v[60:61]
	;; [unrolled: 1-line block ×4, first 2 shown]
	v_fma_f64 v[62:63], -v[58:59], v[68:69], 1.0
	v_fmac_f64_e32 v[68:69], v[62:63], v[68:69]
	v_fma_f64 v[62:63], -v[58:59], v[68:69], 1.0
	v_fmac_f64_e32 v[68:69], v[62:63], v[68:69]
	v_mul_f64 v[62:63], v[64:65], v[68:69]
	v_mul_f64 v[66:67], v[58:59], v[62:63]
	v_fma_f64 v[70:71], v[62:63], v[58:59], -v[66:67]
	v_fmac_f64_e32 v[70:71], v[62:63], v[56:57]
	v_add_f64 v[72:73], v[66:67], v[70:71]
	v_add_f64 v[74:75], v[64:65], -v[72:73]
	v_add_f64 v[64:65], v[64:65], -v[74:75]
	;; [unrolled: 1-line block ×4, first 2 shown]
	v_add_f64 v[60:61], v[60:61], v[64:65]
	v_add_f64 v[64:65], v[66:67], -v[70:71]
	v_add_f64 v[60:61], v[64:65], v[60:61]
	v_add_f64 v[64:65], v[74:75], v[60:61]
	v_add_f64 v[66:67], v[74:75], -v[64:65]
	v_add_f64 v[60:61], v[60:61], v[66:67]
	v_mul_f64 v[66:67], v[68:69], v[64:65]
	v_mul_f64 v[70:71], v[58:59], v[66:67]
	v_fma_f64 v[58:59], v[66:67], v[58:59], -v[70:71]
	v_fmac_f64_e32 v[58:59], v[66:67], v[56:57]
	v_add_f64 v[56:57], v[70:71], v[58:59]
	v_add_f64 v[72:73], v[64:65], -v[56:57]
	v_add_f64 v[64:65], v[64:65], -v[72:73]
	;; [unrolled: 1-line block ×4, first 2 shown]
	v_add_f64 v[56:57], v[60:61], v[56:57]
	v_add_f64 v[58:59], v[70:71], -v[58:59]
	v_add_f64 v[56:57], v[58:59], v[56:57]
	v_add_f64 v[58:59], v[62:63], v[66:67]
	;; [unrolled: 1-line block ×3, first 2 shown]
	v_add_f64 v[60:61], v[58:59], -v[62:63]
	v_mul_f64 v[56:57], v[68:69], v[56:57]
	v_add_f64 v[60:61], v[66:67], -v[60:61]
	v_add_f64 v[56:57], v[60:61], v[56:57]
	v_add_f64 v[60:61], v[58:59], v[56:57]
	v_add_f64 v[58:59], v[60:61], -v[58:59]
	s_mov_b32 s26, 0xbf559e2b
	v_add_f64 v[56:57], v[56:57], -v[58:59]
	v_mul_f64 v[58:59], v[60:61], v[60:61]
	v_mov_b32_e32 v62, 0x6b47b09a
	v_mov_b32_e32 v63, 0x3fc38538
	s_mov_b32 s27, 0x3fc3ab76
	v_fmac_f64_e32 v[62:63], s[26:27], v[58:59]
	v_mov_b32_e32 v64, 0xd7f4df2e
	v_mov_b32_e32 v65, 0x3fc7474d
	v_fmac_f64_e32 v[64:65], v[58:59], v[62:63]
	v_mov_b32_e32 v62, 0x16291751
	v_mov_b32_e32 v63, 0x3fcc71c0
	;; [unrolled: 3-line block ×5, first 2 shown]
	v_fmac_f64_e32 v[64:65], v[58:59], v[62:63]
	v_cvt_f64_i32_e32 v[62:63], v29
	s_mov_b32 s55, 0x3fe62e42
	v_mul_f64 v[66:67], v[62:63], s[54:55]
	v_fma_f64 v[68:69], v[62:63], s[54:55], -v[66:67]
	s_mov_b32 s57, 0x3c7abc9e
	v_fmac_f64_e32 v[68:69], s[56:57], v[62:63]
	v_add_f64 v[62:63], v[66:67], v[68:69]
	v_add_f64 v[66:67], v[62:63], -v[66:67]
	v_mul_f64 v[58:59], v[60:61], v[58:59]
	v_add_f64 v[66:67], v[68:69], -v[66:67]
	v_ldexp_f64 v[68:69], v[60:61], 1
	v_mul_f64 v[58:59], v[58:59], v[64:65]
	v_add_f64 v[60:61], v[68:69], v[58:59]
	v_add_f64 v[64:65], v[60:61], -v[68:69]
	v_ldexp_f64 v[56:57], v[56:57], 1
	v_add_f64 v[58:59], v[58:59], -v[64:65]
	v_add_f64 v[56:57], v[56:57], v[58:59]
	v_add_f64 v[58:59], v[60:61], v[56:57]
	v_add_f64 v[60:61], v[58:59], -v[60:61]
	v_add_f64 v[56:57], v[56:57], -v[60:61]
	v_add_f64 v[60:61], v[62:63], v[58:59]
	v_add_f64 v[64:65], v[60:61], -v[62:63]
	v_add_f64 v[68:69], v[60:61], -v[64:65]
	;; [unrolled: 1-line block ×4, first 2 shown]
	v_add_f64 v[58:59], v[58:59], v[62:63]
	v_add_f64 v[62:63], v[66:67], v[56:57]
	v_add_f64 v[64:65], v[62:63], -v[66:67]
	v_add_f64 v[58:59], v[62:63], v[58:59]
	v_add_f64 v[68:69], v[62:63], -v[64:65]
	;; [unrolled: 2-line block ×3, first 2 shown]
	v_add_f64 v[56:57], v[56:57], -v[64:65]
	v_add_f64 v[60:61], v[62:63], -v[60:61]
	v_add_f64 v[56:57], v[56:57], v[66:67]
	v_add_f64 v[58:59], v[58:59], -v[60:61]
	s_mov_b32 s26, 0
	v_add_f64 v[56:57], v[56:57], v[58:59]
	s_mov_b32 s27, 0x7ff00000
	v_add_f64 v[56:57], v[62:63], v[56:57]
	v_cmp_eq_f64_e32 vcc, s[26:27], v[54:55]
	v_cndmask_b32_e32 v29, v56, v54, vcc
	v_cndmask_b32_e32 v53, v57, v55, vcc
	v_mov_b32_e32 v56, 0x7ff80000
	v_cmp_ngt_f64_e32 vcc, -1.0, v[54:55]
	v_cndmask_b32_e32 v53, v56, v53, vcc
	v_cmp_nge_f64_e32 vcc, -1.0, v[54:55]
	v_cndmask_b32_e32 v56, 0, v29, vcc
	v_mov_b32_e32 v29, 0xfff00000
	v_cmp_neq_f64_e32 vcc, -1.0, v[54:55]
	v_cndmask_b32_e32 v57, v29, v53, vcc
	v_add_f64 v[54:55], v[26:27], v[56:57]
.LBB30_115:
	s_or_b64 exec, exec, s[52:53]
	v_pk_mov_b32 v[86:87], v[54:55], v[54:55] op_sel:[0,1]
.LBB30_116:
	s_or_b64 exec, exec, s[50:51]
	s_mov_b32 s50, 0x652b82fe
	s_mov_b32 s52, 0xfefa39ef
	;; [unrolled: 1-line block ×9, first 2 shown]
	v_mov_b32_e32 v53, 0
	s_movk_i32 s78, 0x1f8
	s_mov_b32 s51, 0x3ff71547
	s_mov_b32 s53, 0xbfe62e42
	;; [unrolled: 1-line block ×11, first 2 shown]
	v_mov_b32_e32 v108, 2
	v_mov_b32_e32 v56, 0xfca7ab0c
	;; [unrolled: 1-line block ×34, first 2 shown]
	s_branch .LBB30_118
.LBB30_117:                             ;   in Loop: Header=BB30_118 Depth=1
	s_or_b64 exec, exec, s[72:73]
	v_subrev_u32_e32 v52, 64, v52
.LBB30_118:                             ; =>This Loop Header: Depth=1
                                        ;     Child Loop BB30_121 Depth 2
                                        ;       Child Loop BB30_122 Depth 3
	v_cmp_ne_u16_sdwa s[26:27], v28, v108 src0_sel:BYTE_0 src1_sel:DWORD
	v_cndmask_b32_e64 v26, 0, 1, s[26:27]
	;;#ASMSTART
	;;#ASMEND
	v_cmp_ne_u32_e32 vcc, 0, v26
	s_cmp_lg_u64 vcc, exec
	s_waitcnt lgkmcnt(0)
	v_pk_mov_b32 v[54:55], v[86:87], v[86:87] op_sel:[0,1]
	s_cbranch_scc1 .LBB30_151
; %bb.119:                              ;   in Loop: Header=BB30_118 Depth=1
	v_lshlrev_b64 v[26:27], 4, v[52:53]
	v_mov_b32_e32 v28, s35
	v_add_co_u32_e32 v86, vcc, s34, v26
	v_addc_co_u32_e32 v87, vcc, v28, v27, vcc
	;;#ASMSTART
	global_load_dwordx4 v[26:29], v[86:87] off glc	
s_waitcnt vmcnt(0)
	;;#ASMEND
	v_and_b32_e32 v29, 0xff, v27
	v_and_b32_e32 v88, 0xff00, v27
	v_or3_b32 v29, 0, v29, v88
	v_or3_b32 v26, v26, 0, 0
	v_and_b32_e32 v88, 0xff000000, v27
	v_and_b32_e32 v27, 0xff0000, v27
	v_or3_b32 v27, v29, v27, v88
	v_or3_b32 v26, v26, 0, 0
	v_cmp_eq_u16_sdwa s[72:73], v28, v53 src0_sel:BYTE_0 src1_sel:DWORD
	s_and_saveexec_b64 s[26:27], s[72:73]
	s_cbranch_execz .LBB30_125
; %bb.120:                              ;   in Loop: Header=BB30_118 Depth=1
	s_mov_b32 s66, 1
	s_mov_b64 s[72:73], 0
.LBB30_121:                             ;   Parent Loop BB30_118 Depth=1
                                        ; =>  This Loop Header: Depth=2
                                        ;       Child Loop BB30_122 Depth 3
	s_max_u32 s68, s66, 1
.LBB30_122:                             ;   Parent Loop BB30_118 Depth=1
                                        ;     Parent Loop BB30_121 Depth=2
                                        ; =>    This Inner Loop Header: Depth=3
	s_add_i32 s68, s68, -1
	s_cmp_eq_u32 s68, 0
	s_sleep 1
	s_cbranch_scc0 .LBB30_122
; %bb.123:                              ;   in Loop: Header=BB30_121 Depth=2
	s_cmp_lt_u32 s66, 32
	s_cselect_b64 s[74:75], -1, 0
	s_cmp_lg_u64 s[74:75], 0
	s_addc_u32 s66, s66, 0
	;;#ASMSTART
	global_load_dwordx4 v[26:29], v[86:87] off glc	
s_waitcnt vmcnt(0)
	;;#ASMEND
	v_cmp_ne_u16_sdwa s[74:75], v28, v53 src0_sel:BYTE_0 src1_sel:DWORD
	s_or_b64 s[72:73], s[74:75], s[72:73]
	s_andn2_b64 exec, exec, s[72:73]
	s_cbranch_execnz .LBB30_121
; %bb.124:                              ;   in Loop: Header=BB30_118 Depth=1
	s_or_b64 exec, exec, s[72:73]
.LBB30_125:                             ;   in Loop: Header=BB30_118 Depth=1
	s_or_b64 exec, exec, s[26:27]
	v_cmp_eq_u16_sdwa s[26:27], v28, v108 src0_sel:BYTE_0 src1_sel:DWORD
	v_and_b32_e32 v29, s27, v25
	v_or_b32_e32 v29, 0x80000000, v29
	ds_bpermute_b32 v88, v97, v26
	ds_bpermute_b32 v89, v97, v27
	v_and_b32_e32 v86, s26, v24
	v_ffbl_b32_e32 v29, v29
	v_add_u32_e32 v29, 32, v29
	v_ffbl_b32_e32 v86, v86
	v_min_u32_e32 v29, v86, v29
	v_cmp_lt_u32_e32 vcc, v96, v29
	v_pk_mov_b32 v[86:87], v[26:27], v[26:27] op_sel:[0,1]
	s_and_saveexec_b64 s[72:73], vcc
	s_cbranch_execz .LBB30_129
; %bb.126:                              ;   in Loop: Header=BB30_118 Depth=1
	s_waitcnt lgkmcnt(0)
	v_max_f64 v[90:91], v[88:89], v[88:89]
	v_max_f64 v[112:113], v[26:27], v[26:27]
	v_min_f64 v[86:87], v[90:91], v[112:113]
	v_cmp_u_f64_e32 vcc, v[88:89], v[88:89]
	v_max_f64 v[90:91], v[90:91], v[112:113]
	v_cndmask_b32_e32 v86, v86, v88, vcc
	v_cndmask_b32_e32 v87, v87, v89, vcc
	v_cmp_u_f64_e64 s[26:27], v[26:27], v[26:27]
	v_cndmask_b32_e32 v90, v90, v88, vcc
	v_cndmask_b32_e32 v91, v91, v89, vcc
	v_cndmask_b32_e64 v87, v87, v27, s[26:27]
	v_cndmask_b32_e64 v86, v86, v26, s[26:27]
	;; [unrolled: 1-line block ×4, first 2 shown]
	v_cmp_neq_f64_e32 vcc, v[86:87], v[26:27]
	v_cmp_class_f64_e64 s[26:27], v[86:87], s78
	s_or_b64 s[26:27], vcc, s[26:27]
	s_and_saveexec_b64 s[74:75], s[26:27]
	s_cbranch_execz .LBB30_128
; %bb.127:                              ;   in Loop: Header=BB30_118 Depth=1
	v_add_f64 v[86:87], v[86:87], -v[26:27]
	v_mul_f64 v[88:89], v[86:87], s[50:51]
	v_rndne_f64_e32 v[88:89], v[88:89]
	v_fma_f64 v[90:91], s[52:53], v[88:89], v[86:87]
	v_fmac_f64_e32 v[90:91], s[54:55], v[88:89]
	v_pk_mov_b32 v[112:113], v[56:57], v[56:57] op_sel:[0,1]
	v_fmac_f64_e32 v[112:113], s[56:57], v[90:91]
	v_pk_mov_b32 v[114:115], v[58:59], v[58:59] op_sel:[0,1]
	;; [unrolled: 2-line block ×9, first 2 shown]
	v_fmac_f64_e32 v[112:113], v[90:91], v[114:115]
	v_fma_f64 v[112:113], v[90:91], v[112:113], 1.0
	v_fma_f64 v[90:91], v[90:91], v[112:113], 1.0
	v_cvt_i32_f64_e32 v88, v[88:89]
	v_ldexp_f64 v[88:89], v[90:91], v88
	v_cmp_nlt_f64_e32 vcc, s[58:59], v[86:87]
	v_cmp_ngt_f64_e64 s[26:27], s[60:61], v[86:87]
	v_cndmask_b32_e32 v89, v109, v89, vcc
	s_and_b64 vcc, s[26:27], vcc
	v_cndmask_b32_e64 v87, 0, v89, s[26:27]
	v_cndmask_b32_e32 v86, 0, v88, vcc
	v_add_f64 v[88:89], v[86:87], 1.0
	v_add_f64 v[90:91], v[88:89], -1.0
	v_add_f64 v[112:113], v[90:91], -v[88:89]
	v_add_f64 v[112:113], v[112:113], 1.0
	v_add_f64 v[90:91], v[86:87], -v[90:91]
	v_add_f64 v[90:91], v[90:91], v[112:113]
	v_frexp_mant_f64_e32 v[112:113], v[88:89]
	v_frexp_exp_i32_f64_e32 v114, v[88:89]
	v_cmp_gt_f64_e32 vcc, s[62:63], v[112:113]
	v_subbrev_co_u32_e32 v128, vcc, 0, v114, vcc
	v_sub_u32_e32 v112, 0, v128
	v_ldexp_f64 v[88:89], v[88:89], v112
	v_ldexp_f64 v[90:91], v[90:91], v112
	v_add_f64 v[112:113], v[88:89], -1.0
	v_add_f64 v[118:119], v[88:89], 1.0
	v_add_f64 v[114:115], v[112:113], 1.0
	v_add_f64 v[120:121], v[118:119], -1.0
	v_add_f64 v[114:115], v[88:89], -v[114:115]
	v_add_f64 v[88:89], v[88:89], -v[120:121]
	v_add_f64 v[88:89], v[90:91], v[88:89]
	v_add_f64 v[114:115], v[90:91], v[114:115]
	;; [unrolled: 1-line block ×3, first 2 shown]
	v_rcp_f64_e32 v[120:121], v[90:91]
	v_add_f64 v[116:117], v[112:113], v[114:115]
	v_add_f64 v[112:113], v[116:117], -v[112:113]
	v_add_f64 v[112:113], v[114:115], -v[112:113]
	;; [unrolled: 1-line block ×4, first 2 shown]
	v_fma_f64 v[114:115], -v[90:91], v[120:121], 1.0
	v_fmac_f64_e32 v[120:121], v[114:115], v[120:121]
	v_fma_f64 v[114:115], -v[90:91], v[120:121], 1.0
	v_fmac_f64_e32 v[120:121], v[114:115], v[120:121]
	v_mul_f64 v[114:115], v[116:117], v[120:121]
	v_mul_f64 v[118:119], v[90:91], v[114:115]
	v_fma_f64 v[122:123], v[114:115], v[90:91], -v[118:119]
	v_fmac_f64_e32 v[122:123], v[114:115], v[88:89]
	v_add_f64 v[124:125], v[118:119], v[122:123]
	v_add_f64 v[126:127], v[116:117], -v[124:125]
	v_add_f64 v[116:117], v[116:117], -v[126:127]
	;; [unrolled: 1-line block ×4, first 2 shown]
	v_add_f64 v[112:113], v[112:113], v[116:117]
	v_add_f64 v[116:117], v[118:119], -v[122:123]
	v_add_f64 v[112:113], v[116:117], v[112:113]
	v_add_f64 v[116:117], v[126:127], v[112:113]
	v_add_f64 v[118:119], v[126:127], -v[116:117]
	v_add_f64 v[112:113], v[112:113], v[118:119]
	v_mul_f64 v[118:119], v[120:121], v[116:117]
	v_mul_f64 v[122:123], v[90:91], v[118:119]
	v_fma_f64 v[90:91], v[118:119], v[90:91], -v[122:123]
	v_fmac_f64_e32 v[90:91], v[118:119], v[88:89]
	v_add_f64 v[88:89], v[122:123], v[90:91]
	v_add_f64 v[124:125], v[116:117], -v[88:89]
	v_add_f64 v[116:117], v[116:117], -v[124:125]
	;; [unrolled: 1-line block ×4, first 2 shown]
	v_add_f64 v[88:89], v[112:113], v[88:89]
	v_add_f64 v[90:91], v[122:123], -v[90:91]
	v_add_f64 v[88:89], v[90:91], v[88:89]
	v_add_f64 v[90:91], v[114:115], v[118:119]
	v_add_f64 v[88:89], v[124:125], v[88:89]
	v_add_f64 v[112:113], v[90:91], -v[114:115]
	v_mul_f64 v[88:89], v[120:121], v[88:89]
	v_add_f64 v[112:113], v[118:119], -v[112:113]
	v_add_f64 v[88:89], v[112:113], v[88:89]
	v_add_f64 v[112:113], v[90:91], v[88:89]
	v_add_f64 v[90:91], v[112:113], -v[90:91]
	v_add_f64 v[88:89], v[88:89], -v[90:91]
	v_mul_f64 v[90:91], v[112:113], v[112:113]
	v_pk_mov_b32 v[114:115], v[74:75], v[74:75] op_sel:[0,1]
	v_fmac_f64_e32 v[114:115], s[64:65], v[90:91]
	v_pk_mov_b32 v[116:117], v[76:77], v[76:77] op_sel:[0,1]
	v_fmac_f64_e32 v[116:117], v[90:91], v[114:115]
	v_pk_mov_b32 v[114:115], v[78:79], v[78:79] op_sel:[0,1]
	v_fmac_f64_e32 v[114:115], v[90:91], v[116:117]
	v_pk_mov_b32 v[116:117], v[80:81], v[80:81] op_sel:[0,1]
	v_fmac_f64_e32 v[116:117], v[90:91], v[114:115]
	v_pk_mov_b32 v[114:115], v[82:83], v[82:83] op_sel:[0,1]
	v_fmac_f64_e32 v[114:115], v[90:91], v[116:117]
	v_pk_mov_b32 v[116:117], v[84:85], v[84:85] op_sel:[0,1]
	v_fmac_f64_e32 v[116:117], v[90:91], v[114:115]
	v_cvt_f64_i32_e32 v[114:115], v128
	s_mov_b32 s66, s52
	v_mul_f64 v[118:119], v[114:115], s[66:67]
	v_fma_f64 v[120:121], v[114:115], s[66:67], -v[118:119]
	s_mov_b32 s68, s54
	v_fmac_f64_e32 v[120:121], s[68:69], v[114:115]
	v_add_f64 v[114:115], v[118:119], v[120:121]
	v_add_f64 v[118:119], v[114:115], -v[118:119]
	v_mul_f64 v[90:91], v[112:113], v[90:91]
	v_add_f64 v[118:119], v[120:121], -v[118:119]
	v_ldexp_f64 v[120:121], v[112:113], 1
	v_mul_f64 v[90:91], v[90:91], v[116:117]
	v_add_f64 v[112:113], v[120:121], v[90:91]
	v_add_f64 v[116:117], v[112:113], -v[120:121]
	v_ldexp_f64 v[88:89], v[88:89], 1
	v_add_f64 v[90:91], v[90:91], -v[116:117]
	v_add_f64 v[88:89], v[88:89], v[90:91]
	v_add_f64 v[90:91], v[112:113], v[88:89]
	v_add_f64 v[112:113], v[90:91], -v[112:113]
	v_add_f64 v[88:89], v[88:89], -v[112:113]
	v_add_f64 v[112:113], v[114:115], v[90:91]
	v_add_f64 v[116:117], v[112:113], -v[114:115]
	v_add_f64 v[120:121], v[112:113], -v[116:117]
	;; [unrolled: 1-line block ×4, first 2 shown]
	v_add_f64 v[90:91], v[90:91], v[114:115]
	v_add_f64 v[114:115], v[118:119], v[88:89]
	v_add_f64 v[116:117], v[114:115], -v[118:119]
	v_add_f64 v[90:91], v[114:115], v[90:91]
	v_add_f64 v[120:121], v[114:115], -v[116:117]
	;; [unrolled: 2-line block ×3, first 2 shown]
	v_add_f64 v[88:89], v[88:89], -v[116:117]
	v_add_f64 v[112:113], v[114:115], -v[112:113]
	v_add_f64 v[88:89], v[88:89], v[118:119]
	v_add_f64 v[90:91], v[90:91], -v[112:113]
	v_add_f64 v[88:89], v[88:89], v[90:91]
	v_add_f64 v[88:89], v[114:115], v[88:89]
	v_cmp_eq_f64_e32 vcc, s[70:71], v[86:87]
	v_cndmask_b32_e32 v88, v88, v86, vcc
	v_cndmask_b32_e32 v89, v89, v87, vcc
	v_cmp_ngt_f64_e32 vcc, -1.0, v[86:87]
	v_cndmask_b32_e32 v89, v110, v89, vcc
	v_cmp_nge_f64_e32 vcc, -1.0, v[86:87]
	v_cndmask_b32_e32 v88, 0, v88, vcc
	v_cmp_neq_f64_e32 vcc, -1.0, v[86:87]
	v_cndmask_b32_e32 v89, v111, v89, vcc
	v_add_f64 v[88:89], v[26:27], v[88:89]
.LBB30_128:                             ;   in Loop: Header=BB30_118 Depth=1
	s_or_b64 exec, exec, s[74:75]
	v_mov_b32_e32 v26, v88
	v_mov_b32_e32 v27, v89
	v_pk_mov_b32 v[86:87], v[88:89], v[88:89] op_sel:[0,1]
.LBB30_129:                             ;   in Loop: Header=BB30_118 Depth=1
	s_or_b64 exec, exec, s[72:73]
	s_waitcnt lgkmcnt(1)
	ds_bpermute_b32 v88, v98, v26
	s_waitcnt lgkmcnt(1)
	ds_bpermute_b32 v89, v98, v27
	v_cmp_le_u32_e32 vcc, v99, v29
	s_and_saveexec_b64 s[72:73], vcc
	s_cbranch_execz .LBB30_133
; %bb.130:                              ;   in Loop: Header=BB30_118 Depth=1
	s_waitcnt lgkmcnt(0)
	v_max_f64 v[26:27], v[88:89], v[88:89]
	v_max_f64 v[112:113], v[86:87], v[86:87]
	v_min_f64 v[90:91], v[26:27], v[112:113]
	v_cmp_u_f64_e32 vcc, v[88:89], v[88:89]
	v_max_f64 v[26:27], v[26:27], v[112:113]
	v_cndmask_b32_e32 v90, v90, v88, vcc
	v_cndmask_b32_e32 v91, v91, v89, vcc
	v_cmp_u_f64_e64 s[26:27], v[86:87], v[86:87]
	v_cndmask_b32_e32 v26, v26, v88, vcc
	v_cndmask_b32_e32 v27, v27, v89, vcc
	v_cndmask_b32_e64 v91, v91, v87, s[26:27]
	v_cndmask_b32_e64 v90, v90, v86, s[26:27]
	v_cndmask_b32_e64 v27, v27, v87, s[26:27]
	v_cndmask_b32_e64 v26, v26, v86, s[26:27]
	v_cmp_neq_f64_e32 vcc, v[90:91], v[26:27]
	v_cmp_class_f64_e64 s[26:27], v[90:91], s78
	s_or_b64 s[26:27], vcc, s[26:27]
	s_and_saveexec_b64 s[74:75], s[26:27]
	s_cbranch_execz .LBB30_132
; %bb.131:                              ;   in Loop: Header=BB30_118 Depth=1
	v_add_f64 v[86:87], v[90:91], -v[26:27]
	v_mul_f64 v[88:89], v[86:87], s[50:51]
	v_rndne_f64_e32 v[88:89], v[88:89]
	v_fma_f64 v[90:91], s[52:53], v[88:89], v[86:87]
	v_fmac_f64_e32 v[90:91], s[54:55], v[88:89]
	v_pk_mov_b32 v[112:113], v[56:57], v[56:57] op_sel:[0,1]
	v_fmac_f64_e32 v[112:113], s[56:57], v[90:91]
	v_pk_mov_b32 v[114:115], v[58:59], v[58:59] op_sel:[0,1]
	;; [unrolled: 2-line block ×9, first 2 shown]
	v_fmac_f64_e32 v[112:113], v[90:91], v[114:115]
	v_fma_f64 v[112:113], v[90:91], v[112:113], 1.0
	v_fma_f64 v[90:91], v[90:91], v[112:113], 1.0
	v_cvt_i32_f64_e32 v88, v[88:89]
	v_ldexp_f64 v[88:89], v[90:91], v88
	v_cmp_nlt_f64_e32 vcc, s[58:59], v[86:87]
	v_cmp_ngt_f64_e64 s[26:27], s[60:61], v[86:87]
	v_cndmask_b32_e32 v89, v109, v89, vcc
	s_and_b64 vcc, s[26:27], vcc
	v_cndmask_b32_e64 v87, 0, v89, s[26:27]
	v_cndmask_b32_e32 v86, 0, v88, vcc
	v_add_f64 v[88:89], v[86:87], 1.0
	v_add_f64 v[90:91], v[88:89], -1.0
	v_add_f64 v[112:113], v[90:91], -v[88:89]
	v_add_f64 v[112:113], v[112:113], 1.0
	v_add_f64 v[90:91], v[86:87], -v[90:91]
	v_add_f64 v[90:91], v[90:91], v[112:113]
	v_frexp_mant_f64_e32 v[112:113], v[88:89]
	v_frexp_exp_i32_f64_e32 v114, v[88:89]
	v_cmp_gt_f64_e32 vcc, s[62:63], v[112:113]
	v_subbrev_co_u32_e32 v128, vcc, 0, v114, vcc
	v_sub_u32_e32 v112, 0, v128
	v_ldexp_f64 v[88:89], v[88:89], v112
	v_ldexp_f64 v[90:91], v[90:91], v112
	v_add_f64 v[112:113], v[88:89], -1.0
	v_add_f64 v[118:119], v[88:89], 1.0
	v_add_f64 v[114:115], v[112:113], 1.0
	v_add_f64 v[120:121], v[118:119], -1.0
	v_add_f64 v[114:115], v[88:89], -v[114:115]
	v_add_f64 v[88:89], v[88:89], -v[120:121]
	v_add_f64 v[88:89], v[90:91], v[88:89]
	v_add_f64 v[114:115], v[90:91], v[114:115]
	;; [unrolled: 1-line block ×3, first 2 shown]
	v_rcp_f64_e32 v[120:121], v[90:91]
	v_add_f64 v[116:117], v[112:113], v[114:115]
	v_add_f64 v[112:113], v[116:117], -v[112:113]
	v_add_f64 v[112:113], v[114:115], -v[112:113]
	;; [unrolled: 1-line block ×4, first 2 shown]
	v_fma_f64 v[114:115], -v[90:91], v[120:121], 1.0
	v_fmac_f64_e32 v[120:121], v[114:115], v[120:121]
	v_fma_f64 v[114:115], -v[90:91], v[120:121], 1.0
	v_fmac_f64_e32 v[120:121], v[114:115], v[120:121]
	v_mul_f64 v[114:115], v[116:117], v[120:121]
	v_mul_f64 v[118:119], v[90:91], v[114:115]
	v_fma_f64 v[122:123], v[114:115], v[90:91], -v[118:119]
	v_fmac_f64_e32 v[122:123], v[114:115], v[88:89]
	v_add_f64 v[124:125], v[118:119], v[122:123]
	v_add_f64 v[126:127], v[116:117], -v[124:125]
	v_add_f64 v[116:117], v[116:117], -v[126:127]
	;; [unrolled: 1-line block ×4, first 2 shown]
	v_add_f64 v[112:113], v[112:113], v[116:117]
	v_add_f64 v[116:117], v[118:119], -v[122:123]
	v_add_f64 v[112:113], v[116:117], v[112:113]
	v_add_f64 v[116:117], v[126:127], v[112:113]
	v_add_f64 v[118:119], v[126:127], -v[116:117]
	v_add_f64 v[112:113], v[112:113], v[118:119]
	v_mul_f64 v[118:119], v[120:121], v[116:117]
	v_mul_f64 v[122:123], v[90:91], v[118:119]
	v_fma_f64 v[90:91], v[118:119], v[90:91], -v[122:123]
	v_fmac_f64_e32 v[90:91], v[118:119], v[88:89]
	v_add_f64 v[88:89], v[122:123], v[90:91]
	v_add_f64 v[124:125], v[116:117], -v[88:89]
	v_add_f64 v[116:117], v[116:117], -v[124:125]
	;; [unrolled: 1-line block ×4, first 2 shown]
	v_add_f64 v[88:89], v[112:113], v[88:89]
	v_add_f64 v[90:91], v[122:123], -v[90:91]
	v_add_f64 v[88:89], v[90:91], v[88:89]
	v_add_f64 v[90:91], v[114:115], v[118:119]
	;; [unrolled: 1-line block ×3, first 2 shown]
	v_add_f64 v[112:113], v[90:91], -v[114:115]
	v_mul_f64 v[88:89], v[120:121], v[88:89]
	v_add_f64 v[112:113], v[118:119], -v[112:113]
	v_add_f64 v[88:89], v[112:113], v[88:89]
	v_add_f64 v[112:113], v[90:91], v[88:89]
	v_add_f64 v[90:91], v[112:113], -v[90:91]
	v_add_f64 v[88:89], v[88:89], -v[90:91]
	v_mul_f64 v[90:91], v[112:113], v[112:113]
	v_pk_mov_b32 v[114:115], v[74:75], v[74:75] op_sel:[0,1]
	v_fmac_f64_e32 v[114:115], s[64:65], v[90:91]
	v_pk_mov_b32 v[116:117], v[76:77], v[76:77] op_sel:[0,1]
	v_fmac_f64_e32 v[116:117], v[90:91], v[114:115]
	;; [unrolled: 2-line block ×6, first 2 shown]
	v_cvt_f64_i32_e32 v[114:115], v128
	s_mov_b32 s66, s52
	v_mul_f64 v[118:119], v[114:115], s[66:67]
	v_fma_f64 v[120:121], v[114:115], s[66:67], -v[118:119]
	s_mov_b32 s68, s54
	v_fmac_f64_e32 v[120:121], s[68:69], v[114:115]
	v_add_f64 v[114:115], v[118:119], v[120:121]
	v_add_f64 v[118:119], v[114:115], -v[118:119]
	v_mul_f64 v[90:91], v[112:113], v[90:91]
	v_add_f64 v[118:119], v[120:121], -v[118:119]
	v_ldexp_f64 v[120:121], v[112:113], 1
	v_mul_f64 v[90:91], v[90:91], v[116:117]
	v_add_f64 v[112:113], v[120:121], v[90:91]
	v_add_f64 v[116:117], v[112:113], -v[120:121]
	v_ldexp_f64 v[88:89], v[88:89], 1
	v_add_f64 v[90:91], v[90:91], -v[116:117]
	v_add_f64 v[88:89], v[88:89], v[90:91]
	v_add_f64 v[90:91], v[112:113], v[88:89]
	v_add_f64 v[112:113], v[90:91], -v[112:113]
	v_add_f64 v[88:89], v[88:89], -v[112:113]
	v_add_f64 v[112:113], v[114:115], v[90:91]
	v_add_f64 v[116:117], v[112:113], -v[114:115]
	v_add_f64 v[120:121], v[112:113], -v[116:117]
	;; [unrolled: 1-line block ×4, first 2 shown]
	v_add_f64 v[90:91], v[90:91], v[114:115]
	v_add_f64 v[114:115], v[118:119], v[88:89]
	v_add_f64 v[116:117], v[114:115], -v[118:119]
	v_add_f64 v[90:91], v[114:115], v[90:91]
	v_add_f64 v[120:121], v[114:115], -v[116:117]
	v_add_f64 v[114:115], v[112:113], v[90:91]
	v_add_f64 v[118:119], v[118:119], -v[120:121]
	v_add_f64 v[88:89], v[88:89], -v[116:117]
	v_add_f64 v[112:113], v[114:115], -v[112:113]
	v_add_f64 v[88:89], v[88:89], v[118:119]
	v_add_f64 v[90:91], v[90:91], -v[112:113]
	v_add_f64 v[88:89], v[88:89], v[90:91]
	v_add_f64 v[88:89], v[114:115], v[88:89]
	v_cmp_eq_f64_e32 vcc, s[70:71], v[86:87]
	v_cndmask_b32_e32 v88, v88, v86, vcc
	v_cndmask_b32_e32 v89, v89, v87, vcc
	v_cmp_ngt_f64_e32 vcc, -1.0, v[86:87]
	v_cndmask_b32_e32 v89, v110, v89, vcc
	v_cmp_nge_f64_e32 vcc, -1.0, v[86:87]
	v_cndmask_b32_e32 v88, 0, v88, vcc
	v_cmp_neq_f64_e32 vcc, -1.0, v[86:87]
	v_cndmask_b32_e32 v89, v111, v89, vcc
	v_add_f64 v[88:89], v[26:27], v[88:89]
.LBB30_132:                             ;   in Loop: Header=BB30_118 Depth=1
	s_or_b64 exec, exec, s[74:75]
	v_mov_b32_e32 v26, v88
	v_mov_b32_e32 v27, v89
	v_pk_mov_b32 v[86:87], v[88:89], v[88:89] op_sel:[0,1]
.LBB30_133:                             ;   in Loop: Header=BB30_118 Depth=1
	s_or_b64 exec, exec, s[72:73]
	s_waitcnt lgkmcnt(1)
	ds_bpermute_b32 v88, v100, v26
	s_waitcnt lgkmcnt(1)
	ds_bpermute_b32 v89, v100, v27
	v_cmp_le_u32_e32 vcc, v101, v29
	s_and_saveexec_b64 s[72:73], vcc
	s_cbranch_execz .LBB30_137
; %bb.134:                              ;   in Loop: Header=BB30_118 Depth=1
	s_waitcnt lgkmcnt(0)
	v_max_f64 v[26:27], v[88:89], v[88:89]
	v_max_f64 v[112:113], v[86:87], v[86:87]
	v_min_f64 v[90:91], v[26:27], v[112:113]
	v_cmp_u_f64_e32 vcc, v[88:89], v[88:89]
	v_max_f64 v[26:27], v[26:27], v[112:113]
	v_cndmask_b32_e32 v90, v90, v88, vcc
	v_cndmask_b32_e32 v91, v91, v89, vcc
	v_cmp_u_f64_e64 s[26:27], v[86:87], v[86:87]
	v_cndmask_b32_e32 v26, v26, v88, vcc
	v_cndmask_b32_e32 v27, v27, v89, vcc
	v_cndmask_b32_e64 v91, v91, v87, s[26:27]
	v_cndmask_b32_e64 v90, v90, v86, s[26:27]
	v_cndmask_b32_e64 v27, v27, v87, s[26:27]
	v_cndmask_b32_e64 v26, v26, v86, s[26:27]
	v_cmp_neq_f64_e32 vcc, v[90:91], v[26:27]
	v_cmp_class_f64_e64 s[26:27], v[90:91], s78
	s_or_b64 s[26:27], vcc, s[26:27]
	s_and_saveexec_b64 s[74:75], s[26:27]
	s_cbranch_execz .LBB30_136
; %bb.135:                              ;   in Loop: Header=BB30_118 Depth=1
	v_add_f64 v[86:87], v[90:91], -v[26:27]
	v_mul_f64 v[88:89], v[86:87], s[50:51]
	v_rndne_f64_e32 v[88:89], v[88:89]
	v_fma_f64 v[90:91], s[52:53], v[88:89], v[86:87]
	v_fmac_f64_e32 v[90:91], s[54:55], v[88:89]
	v_pk_mov_b32 v[112:113], v[56:57], v[56:57] op_sel:[0,1]
	v_fmac_f64_e32 v[112:113], s[56:57], v[90:91]
	v_pk_mov_b32 v[114:115], v[58:59], v[58:59] op_sel:[0,1]
	;; [unrolled: 2-line block ×9, first 2 shown]
	v_fmac_f64_e32 v[112:113], v[90:91], v[114:115]
	v_fma_f64 v[112:113], v[90:91], v[112:113], 1.0
	v_fma_f64 v[90:91], v[90:91], v[112:113], 1.0
	v_cvt_i32_f64_e32 v88, v[88:89]
	v_ldexp_f64 v[88:89], v[90:91], v88
	v_cmp_nlt_f64_e32 vcc, s[58:59], v[86:87]
	v_cmp_ngt_f64_e64 s[26:27], s[60:61], v[86:87]
	v_cndmask_b32_e32 v89, v109, v89, vcc
	s_and_b64 vcc, s[26:27], vcc
	v_cndmask_b32_e64 v87, 0, v89, s[26:27]
	v_cndmask_b32_e32 v86, 0, v88, vcc
	v_add_f64 v[88:89], v[86:87], 1.0
	v_add_f64 v[90:91], v[88:89], -1.0
	v_add_f64 v[112:113], v[90:91], -v[88:89]
	v_add_f64 v[112:113], v[112:113], 1.0
	v_add_f64 v[90:91], v[86:87], -v[90:91]
	v_add_f64 v[90:91], v[90:91], v[112:113]
	v_frexp_mant_f64_e32 v[112:113], v[88:89]
	v_frexp_exp_i32_f64_e32 v114, v[88:89]
	v_cmp_gt_f64_e32 vcc, s[62:63], v[112:113]
	v_subbrev_co_u32_e32 v128, vcc, 0, v114, vcc
	v_sub_u32_e32 v112, 0, v128
	v_ldexp_f64 v[88:89], v[88:89], v112
	v_ldexp_f64 v[90:91], v[90:91], v112
	v_add_f64 v[112:113], v[88:89], -1.0
	v_add_f64 v[118:119], v[88:89], 1.0
	v_add_f64 v[114:115], v[112:113], 1.0
	v_add_f64 v[120:121], v[118:119], -1.0
	v_add_f64 v[114:115], v[88:89], -v[114:115]
	v_add_f64 v[88:89], v[88:89], -v[120:121]
	v_add_f64 v[88:89], v[90:91], v[88:89]
	v_add_f64 v[114:115], v[90:91], v[114:115]
	v_add_f64 v[90:91], v[118:119], v[88:89]
	v_rcp_f64_e32 v[120:121], v[90:91]
	v_add_f64 v[116:117], v[112:113], v[114:115]
	v_add_f64 v[112:113], v[116:117], -v[112:113]
	v_add_f64 v[112:113], v[114:115], -v[112:113]
	;; [unrolled: 1-line block ×4, first 2 shown]
	v_fma_f64 v[114:115], -v[90:91], v[120:121], 1.0
	v_fmac_f64_e32 v[120:121], v[114:115], v[120:121]
	v_fma_f64 v[114:115], -v[90:91], v[120:121], 1.0
	v_fmac_f64_e32 v[120:121], v[114:115], v[120:121]
	v_mul_f64 v[114:115], v[116:117], v[120:121]
	v_mul_f64 v[118:119], v[90:91], v[114:115]
	v_fma_f64 v[122:123], v[114:115], v[90:91], -v[118:119]
	v_fmac_f64_e32 v[122:123], v[114:115], v[88:89]
	v_add_f64 v[124:125], v[118:119], v[122:123]
	v_add_f64 v[126:127], v[116:117], -v[124:125]
	v_add_f64 v[116:117], v[116:117], -v[126:127]
	;; [unrolled: 1-line block ×4, first 2 shown]
	v_add_f64 v[112:113], v[112:113], v[116:117]
	v_add_f64 v[116:117], v[118:119], -v[122:123]
	v_add_f64 v[112:113], v[116:117], v[112:113]
	v_add_f64 v[116:117], v[126:127], v[112:113]
	v_add_f64 v[118:119], v[126:127], -v[116:117]
	v_add_f64 v[112:113], v[112:113], v[118:119]
	v_mul_f64 v[118:119], v[120:121], v[116:117]
	v_mul_f64 v[122:123], v[90:91], v[118:119]
	v_fma_f64 v[90:91], v[118:119], v[90:91], -v[122:123]
	v_fmac_f64_e32 v[90:91], v[118:119], v[88:89]
	v_add_f64 v[88:89], v[122:123], v[90:91]
	v_add_f64 v[124:125], v[116:117], -v[88:89]
	v_add_f64 v[116:117], v[116:117], -v[124:125]
	;; [unrolled: 1-line block ×4, first 2 shown]
	v_add_f64 v[88:89], v[112:113], v[88:89]
	v_add_f64 v[90:91], v[122:123], -v[90:91]
	v_add_f64 v[88:89], v[90:91], v[88:89]
	v_add_f64 v[90:91], v[114:115], v[118:119]
	;; [unrolled: 1-line block ×3, first 2 shown]
	v_add_f64 v[112:113], v[90:91], -v[114:115]
	v_mul_f64 v[88:89], v[120:121], v[88:89]
	v_add_f64 v[112:113], v[118:119], -v[112:113]
	v_add_f64 v[88:89], v[112:113], v[88:89]
	v_add_f64 v[112:113], v[90:91], v[88:89]
	v_add_f64 v[90:91], v[112:113], -v[90:91]
	v_add_f64 v[88:89], v[88:89], -v[90:91]
	v_mul_f64 v[90:91], v[112:113], v[112:113]
	v_pk_mov_b32 v[114:115], v[74:75], v[74:75] op_sel:[0,1]
	v_fmac_f64_e32 v[114:115], s[64:65], v[90:91]
	v_pk_mov_b32 v[116:117], v[76:77], v[76:77] op_sel:[0,1]
	v_fmac_f64_e32 v[116:117], v[90:91], v[114:115]
	;; [unrolled: 2-line block ×6, first 2 shown]
	v_cvt_f64_i32_e32 v[114:115], v128
	s_mov_b32 s66, s52
	v_mul_f64 v[118:119], v[114:115], s[66:67]
	v_fma_f64 v[120:121], v[114:115], s[66:67], -v[118:119]
	s_mov_b32 s68, s54
	v_fmac_f64_e32 v[120:121], s[68:69], v[114:115]
	v_add_f64 v[114:115], v[118:119], v[120:121]
	v_add_f64 v[118:119], v[114:115], -v[118:119]
	v_mul_f64 v[90:91], v[112:113], v[90:91]
	v_add_f64 v[118:119], v[120:121], -v[118:119]
	v_ldexp_f64 v[120:121], v[112:113], 1
	v_mul_f64 v[90:91], v[90:91], v[116:117]
	v_add_f64 v[112:113], v[120:121], v[90:91]
	v_add_f64 v[116:117], v[112:113], -v[120:121]
	v_ldexp_f64 v[88:89], v[88:89], 1
	v_add_f64 v[90:91], v[90:91], -v[116:117]
	v_add_f64 v[88:89], v[88:89], v[90:91]
	v_add_f64 v[90:91], v[112:113], v[88:89]
	v_add_f64 v[112:113], v[90:91], -v[112:113]
	v_add_f64 v[88:89], v[88:89], -v[112:113]
	v_add_f64 v[112:113], v[114:115], v[90:91]
	v_add_f64 v[116:117], v[112:113], -v[114:115]
	v_add_f64 v[120:121], v[112:113], -v[116:117]
	;; [unrolled: 1-line block ×4, first 2 shown]
	v_add_f64 v[90:91], v[90:91], v[114:115]
	v_add_f64 v[114:115], v[118:119], v[88:89]
	v_add_f64 v[116:117], v[114:115], -v[118:119]
	v_add_f64 v[90:91], v[114:115], v[90:91]
	v_add_f64 v[120:121], v[114:115], -v[116:117]
	;; [unrolled: 2-line block ×3, first 2 shown]
	v_add_f64 v[88:89], v[88:89], -v[116:117]
	v_add_f64 v[112:113], v[114:115], -v[112:113]
	v_add_f64 v[88:89], v[88:89], v[118:119]
	v_add_f64 v[90:91], v[90:91], -v[112:113]
	v_add_f64 v[88:89], v[88:89], v[90:91]
	v_add_f64 v[88:89], v[114:115], v[88:89]
	v_cmp_eq_f64_e32 vcc, s[70:71], v[86:87]
	v_cndmask_b32_e32 v88, v88, v86, vcc
	v_cndmask_b32_e32 v89, v89, v87, vcc
	v_cmp_ngt_f64_e32 vcc, -1.0, v[86:87]
	v_cndmask_b32_e32 v89, v110, v89, vcc
	v_cmp_nge_f64_e32 vcc, -1.0, v[86:87]
	v_cndmask_b32_e32 v88, 0, v88, vcc
	v_cmp_neq_f64_e32 vcc, -1.0, v[86:87]
	v_cndmask_b32_e32 v89, v111, v89, vcc
	v_add_f64 v[88:89], v[26:27], v[88:89]
.LBB30_136:                             ;   in Loop: Header=BB30_118 Depth=1
	s_or_b64 exec, exec, s[74:75]
	v_mov_b32_e32 v26, v88
	v_mov_b32_e32 v27, v89
	v_pk_mov_b32 v[86:87], v[88:89], v[88:89] op_sel:[0,1]
.LBB30_137:                             ;   in Loop: Header=BB30_118 Depth=1
	s_or_b64 exec, exec, s[72:73]
	s_waitcnt lgkmcnt(1)
	ds_bpermute_b32 v88, v102, v26
	s_waitcnt lgkmcnt(1)
	ds_bpermute_b32 v89, v102, v27
	v_cmp_le_u32_e32 vcc, v103, v29
	s_and_saveexec_b64 s[72:73], vcc
	s_cbranch_execz .LBB30_141
; %bb.138:                              ;   in Loop: Header=BB30_118 Depth=1
	s_waitcnt lgkmcnt(0)
	v_max_f64 v[26:27], v[88:89], v[88:89]
	v_max_f64 v[112:113], v[86:87], v[86:87]
	v_min_f64 v[90:91], v[26:27], v[112:113]
	v_cmp_u_f64_e32 vcc, v[88:89], v[88:89]
	v_max_f64 v[26:27], v[26:27], v[112:113]
	v_cndmask_b32_e32 v90, v90, v88, vcc
	v_cndmask_b32_e32 v91, v91, v89, vcc
	v_cmp_u_f64_e64 s[26:27], v[86:87], v[86:87]
	v_cndmask_b32_e32 v26, v26, v88, vcc
	v_cndmask_b32_e32 v27, v27, v89, vcc
	v_cndmask_b32_e64 v91, v91, v87, s[26:27]
	v_cndmask_b32_e64 v90, v90, v86, s[26:27]
	;; [unrolled: 1-line block ×4, first 2 shown]
	v_cmp_neq_f64_e32 vcc, v[90:91], v[26:27]
	v_cmp_class_f64_e64 s[26:27], v[90:91], s78
	s_or_b64 s[26:27], vcc, s[26:27]
	s_and_saveexec_b64 s[74:75], s[26:27]
	s_cbranch_execz .LBB30_140
; %bb.139:                              ;   in Loop: Header=BB30_118 Depth=1
	v_add_f64 v[86:87], v[90:91], -v[26:27]
	v_mul_f64 v[88:89], v[86:87], s[50:51]
	v_rndne_f64_e32 v[88:89], v[88:89]
	v_fma_f64 v[90:91], s[52:53], v[88:89], v[86:87]
	v_fmac_f64_e32 v[90:91], s[54:55], v[88:89]
	v_pk_mov_b32 v[112:113], v[56:57], v[56:57] op_sel:[0,1]
	v_fmac_f64_e32 v[112:113], s[56:57], v[90:91]
	v_pk_mov_b32 v[114:115], v[58:59], v[58:59] op_sel:[0,1]
	v_fmac_f64_e32 v[114:115], v[90:91], v[112:113]
	v_pk_mov_b32 v[112:113], v[60:61], v[60:61] op_sel:[0,1]
	v_fmac_f64_e32 v[112:113], v[90:91], v[114:115]
	v_pk_mov_b32 v[114:115], v[62:63], v[62:63] op_sel:[0,1]
	v_fmac_f64_e32 v[114:115], v[90:91], v[112:113]
	v_pk_mov_b32 v[112:113], v[64:65], v[64:65] op_sel:[0,1]
	v_fmac_f64_e32 v[112:113], v[90:91], v[114:115]
	v_pk_mov_b32 v[114:115], v[66:67], v[66:67] op_sel:[0,1]
	v_fmac_f64_e32 v[114:115], v[90:91], v[112:113]
	v_pk_mov_b32 v[112:113], v[68:69], v[68:69] op_sel:[0,1]
	v_fmac_f64_e32 v[112:113], v[90:91], v[114:115]
	v_pk_mov_b32 v[114:115], v[70:71], v[70:71] op_sel:[0,1]
	v_fmac_f64_e32 v[114:115], v[90:91], v[112:113]
	v_pk_mov_b32 v[112:113], v[72:73], v[72:73] op_sel:[0,1]
	v_fmac_f64_e32 v[112:113], v[90:91], v[114:115]
	v_fma_f64 v[112:113], v[90:91], v[112:113], 1.0
	v_fma_f64 v[90:91], v[90:91], v[112:113], 1.0
	v_cvt_i32_f64_e32 v88, v[88:89]
	v_ldexp_f64 v[88:89], v[90:91], v88
	v_cmp_nlt_f64_e32 vcc, s[58:59], v[86:87]
	v_cmp_ngt_f64_e64 s[26:27], s[60:61], v[86:87]
	v_cndmask_b32_e32 v89, v109, v89, vcc
	s_and_b64 vcc, s[26:27], vcc
	v_cndmask_b32_e64 v87, 0, v89, s[26:27]
	v_cndmask_b32_e32 v86, 0, v88, vcc
	v_add_f64 v[88:89], v[86:87], 1.0
	v_add_f64 v[90:91], v[88:89], -1.0
	v_add_f64 v[112:113], v[90:91], -v[88:89]
	v_add_f64 v[112:113], v[112:113], 1.0
	v_add_f64 v[90:91], v[86:87], -v[90:91]
	v_add_f64 v[90:91], v[90:91], v[112:113]
	v_frexp_mant_f64_e32 v[112:113], v[88:89]
	v_frexp_exp_i32_f64_e32 v114, v[88:89]
	v_cmp_gt_f64_e32 vcc, s[62:63], v[112:113]
	v_subbrev_co_u32_e32 v128, vcc, 0, v114, vcc
	v_sub_u32_e32 v112, 0, v128
	v_ldexp_f64 v[88:89], v[88:89], v112
	v_ldexp_f64 v[90:91], v[90:91], v112
	v_add_f64 v[112:113], v[88:89], -1.0
	v_add_f64 v[118:119], v[88:89], 1.0
	v_add_f64 v[114:115], v[112:113], 1.0
	v_add_f64 v[120:121], v[118:119], -1.0
	v_add_f64 v[114:115], v[88:89], -v[114:115]
	v_add_f64 v[88:89], v[88:89], -v[120:121]
	v_add_f64 v[88:89], v[90:91], v[88:89]
	v_add_f64 v[114:115], v[90:91], v[114:115]
	;; [unrolled: 1-line block ×3, first 2 shown]
	v_rcp_f64_e32 v[120:121], v[90:91]
	v_add_f64 v[116:117], v[112:113], v[114:115]
	v_add_f64 v[112:113], v[116:117], -v[112:113]
	v_add_f64 v[112:113], v[114:115], -v[112:113]
	;; [unrolled: 1-line block ×4, first 2 shown]
	v_fma_f64 v[114:115], -v[90:91], v[120:121], 1.0
	v_fmac_f64_e32 v[120:121], v[114:115], v[120:121]
	v_fma_f64 v[114:115], -v[90:91], v[120:121], 1.0
	v_fmac_f64_e32 v[120:121], v[114:115], v[120:121]
	v_mul_f64 v[114:115], v[116:117], v[120:121]
	v_mul_f64 v[118:119], v[90:91], v[114:115]
	v_fma_f64 v[122:123], v[114:115], v[90:91], -v[118:119]
	v_fmac_f64_e32 v[122:123], v[114:115], v[88:89]
	v_add_f64 v[124:125], v[118:119], v[122:123]
	v_add_f64 v[126:127], v[116:117], -v[124:125]
	v_add_f64 v[116:117], v[116:117], -v[126:127]
	;; [unrolled: 1-line block ×4, first 2 shown]
	v_add_f64 v[112:113], v[112:113], v[116:117]
	v_add_f64 v[116:117], v[118:119], -v[122:123]
	v_add_f64 v[112:113], v[116:117], v[112:113]
	v_add_f64 v[116:117], v[126:127], v[112:113]
	v_add_f64 v[118:119], v[126:127], -v[116:117]
	v_add_f64 v[112:113], v[112:113], v[118:119]
	v_mul_f64 v[118:119], v[120:121], v[116:117]
	v_mul_f64 v[122:123], v[90:91], v[118:119]
	v_fma_f64 v[90:91], v[118:119], v[90:91], -v[122:123]
	v_fmac_f64_e32 v[90:91], v[118:119], v[88:89]
	v_add_f64 v[88:89], v[122:123], v[90:91]
	v_add_f64 v[124:125], v[116:117], -v[88:89]
	v_add_f64 v[116:117], v[116:117], -v[124:125]
	;; [unrolled: 1-line block ×4, first 2 shown]
	v_add_f64 v[88:89], v[112:113], v[88:89]
	v_add_f64 v[90:91], v[122:123], -v[90:91]
	v_add_f64 v[88:89], v[90:91], v[88:89]
	v_add_f64 v[90:91], v[114:115], v[118:119]
	;; [unrolled: 1-line block ×3, first 2 shown]
	v_add_f64 v[112:113], v[90:91], -v[114:115]
	v_mul_f64 v[88:89], v[120:121], v[88:89]
	v_add_f64 v[112:113], v[118:119], -v[112:113]
	v_add_f64 v[88:89], v[112:113], v[88:89]
	v_add_f64 v[112:113], v[90:91], v[88:89]
	v_add_f64 v[90:91], v[112:113], -v[90:91]
	v_add_f64 v[88:89], v[88:89], -v[90:91]
	v_mul_f64 v[90:91], v[112:113], v[112:113]
	v_pk_mov_b32 v[114:115], v[74:75], v[74:75] op_sel:[0,1]
	v_fmac_f64_e32 v[114:115], s[64:65], v[90:91]
	v_pk_mov_b32 v[116:117], v[76:77], v[76:77] op_sel:[0,1]
	v_fmac_f64_e32 v[116:117], v[90:91], v[114:115]
	;; [unrolled: 2-line block ×6, first 2 shown]
	v_cvt_f64_i32_e32 v[114:115], v128
	s_mov_b32 s66, s52
	v_mul_f64 v[118:119], v[114:115], s[66:67]
	v_fma_f64 v[120:121], v[114:115], s[66:67], -v[118:119]
	s_mov_b32 s68, s54
	v_fmac_f64_e32 v[120:121], s[68:69], v[114:115]
	v_add_f64 v[114:115], v[118:119], v[120:121]
	v_add_f64 v[118:119], v[114:115], -v[118:119]
	v_mul_f64 v[90:91], v[112:113], v[90:91]
	v_add_f64 v[118:119], v[120:121], -v[118:119]
	v_ldexp_f64 v[120:121], v[112:113], 1
	v_mul_f64 v[90:91], v[90:91], v[116:117]
	v_add_f64 v[112:113], v[120:121], v[90:91]
	v_add_f64 v[116:117], v[112:113], -v[120:121]
	v_ldexp_f64 v[88:89], v[88:89], 1
	v_add_f64 v[90:91], v[90:91], -v[116:117]
	v_add_f64 v[88:89], v[88:89], v[90:91]
	v_add_f64 v[90:91], v[112:113], v[88:89]
	v_add_f64 v[112:113], v[90:91], -v[112:113]
	v_add_f64 v[88:89], v[88:89], -v[112:113]
	v_add_f64 v[112:113], v[114:115], v[90:91]
	v_add_f64 v[116:117], v[112:113], -v[114:115]
	v_add_f64 v[120:121], v[112:113], -v[116:117]
	;; [unrolled: 1-line block ×4, first 2 shown]
	v_add_f64 v[90:91], v[90:91], v[114:115]
	v_add_f64 v[114:115], v[118:119], v[88:89]
	v_add_f64 v[116:117], v[114:115], -v[118:119]
	v_add_f64 v[90:91], v[114:115], v[90:91]
	v_add_f64 v[120:121], v[114:115], -v[116:117]
	;; [unrolled: 2-line block ×3, first 2 shown]
	v_add_f64 v[88:89], v[88:89], -v[116:117]
	v_add_f64 v[112:113], v[114:115], -v[112:113]
	v_add_f64 v[88:89], v[88:89], v[118:119]
	v_add_f64 v[90:91], v[90:91], -v[112:113]
	v_add_f64 v[88:89], v[88:89], v[90:91]
	v_add_f64 v[88:89], v[114:115], v[88:89]
	v_cmp_eq_f64_e32 vcc, s[70:71], v[86:87]
	v_cndmask_b32_e32 v88, v88, v86, vcc
	v_cndmask_b32_e32 v89, v89, v87, vcc
	v_cmp_ngt_f64_e32 vcc, -1.0, v[86:87]
	v_cndmask_b32_e32 v89, v110, v89, vcc
	v_cmp_nge_f64_e32 vcc, -1.0, v[86:87]
	v_cndmask_b32_e32 v88, 0, v88, vcc
	v_cmp_neq_f64_e32 vcc, -1.0, v[86:87]
	v_cndmask_b32_e32 v89, v111, v89, vcc
	v_add_f64 v[88:89], v[26:27], v[88:89]
.LBB30_140:                             ;   in Loop: Header=BB30_118 Depth=1
	s_or_b64 exec, exec, s[74:75]
	v_mov_b32_e32 v26, v88
	v_mov_b32_e32 v27, v89
	v_pk_mov_b32 v[86:87], v[88:89], v[88:89] op_sel:[0,1]
.LBB30_141:                             ;   in Loop: Header=BB30_118 Depth=1
	s_or_b64 exec, exec, s[72:73]
	s_waitcnt lgkmcnt(1)
	ds_bpermute_b32 v88, v104, v26
	s_waitcnt lgkmcnt(1)
	ds_bpermute_b32 v89, v104, v27
	v_cmp_le_u32_e32 vcc, v105, v29
	s_and_saveexec_b64 s[72:73], vcc
	s_cbranch_execz .LBB30_145
; %bb.142:                              ;   in Loop: Header=BB30_118 Depth=1
	s_waitcnt lgkmcnt(0)
	v_max_f64 v[26:27], v[88:89], v[88:89]
	v_max_f64 v[112:113], v[86:87], v[86:87]
	v_min_f64 v[90:91], v[26:27], v[112:113]
	v_cmp_u_f64_e32 vcc, v[88:89], v[88:89]
	v_max_f64 v[26:27], v[26:27], v[112:113]
	v_cndmask_b32_e32 v90, v90, v88, vcc
	v_cndmask_b32_e32 v91, v91, v89, vcc
	v_cmp_u_f64_e64 s[26:27], v[86:87], v[86:87]
	v_cndmask_b32_e32 v26, v26, v88, vcc
	v_cndmask_b32_e32 v27, v27, v89, vcc
	v_cndmask_b32_e64 v91, v91, v87, s[26:27]
	v_cndmask_b32_e64 v90, v90, v86, s[26:27]
	;; [unrolled: 1-line block ×4, first 2 shown]
	v_cmp_neq_f64_e32 vcc, v[90:91], v[26:27]
	v_cmp_class_f64_e64 s[26:27], v[90:91], s78
	s_or_b64 s[26:27], vcc, s[26:27]
	s_and_saveexec_b64 s[74:75], s[26:27]
	s_cbranch_execz .LBB30_144
; %bb.143:                              ;   in Loop: Header=BB30_118 Depth=1
	v_add_f64 v[86:87], v[90:91], -v[26:27]
	v_mul_f64 v[88:89], v[86:87], s[50:51]
	v_rndne_f64_e32 v[88:89], v[88:89]
	v_fma_f64 v[90:91], s[52:53], v[88:89], v[86:87]
	v_fmac_f64_e32 v[90:91], s[54:55], v[88:89]
	v_pk_mov_b32 v[112:113], v[56:57], v[56:57] op_sel:[0,1]
	v_fmac_f64_e32 v[112:113], s[56:57], v[90:91]
	v_pk_mov_b32 v[114:115], v[58:59], v[58:59] op_sel:[0,1]
	;; [unrolled: 2-line block ×9, first 2 shown]
	v_fmac_f64_e32 v[112:113], v[90:91], v[114:115]
	v_fma_f64 v[112:113], v[90:91], v[112:113], 1.0
	v_fma_f64 v[90:91], v[90:91], v[112:113], 1.0
	v_cvt_i32_f64_e32 v88, v[88:89]
	v_ldexp_f64 v[88:89], v[90:91], v88
	v_cmp_nlt_f64_e32 vcc, s[58:59], v[86:87]
	v_cmp_ngt_f64_e64 s[26:27], s[60:61], v[86:87]
	v_cndmask_b32_e32 v89, v109, v89, vcc
	s_and_b64 vcc, s[26:27], vcc
	v_cndmask_b32_e64 v87, 0, v89, s[26:27]
	v_cndmask_b32_e32 v86, 0, v88, vcc
	v_add_f64 v[88:89], v[86:87], 1.0
	v_add_f64 v[90:91], v[88:89], -1.0
	v_add_f64 v[112:113], v[90:91], -v[88:89]
	v_add_f64 v[112:113], v[112:113], 1.0
	v_add_f64 v[90:91], v[86:87], -v[90:91]
	v_add_f64 v[90:91], v[90:91], v[112:113]
	v_frexp_mant_f64_e32 v[112:113], v[88:89]
	v_frexp_exp_i32_f64_e32 v114, v[88:89]
	v_cmp_gt_f64_e32 vcc, s[62:63], v[112:113]
	v_subbrev_co_u32_e32 v128, vcc, 0, v114, vcc
	v_sub_u32_e32 v112, 0, v128
	v_ldexp_f64 v[88:89], v[88:89], v112
	v_ldexp_f64 v[90:91], v[90:91], v112
	v_add_f64 v[112:113], v[88:89], -1.0
	v_add_f64 v[118:119], v[88:89], 1.0
	v_add_f64 v[114:115], v[112:113], 1.0
	v_add_f64 v[120:121], v[118:119], -1.0
	v_add_f64 v[114:115], v[88:89], -v[114:115]
	v_add_f64 v[88:89], v[88:89], -v[120:121]
	v_add_f64 v[88:89], v[90:91], v[88:89]
	v_add_f64 v[114:115], v[90:91], v[114:115]
	;; [unrolled: 1-line block ×3, first 2 shown]
	v_rcp_f64_e32 v[120:121], v[90:91]
	v_add_f64 v[116:117], v[112:113], v[114:115]
	v_add_f64 v[112:113], v[116:117], -v[112:113]
	v_add_f64 v[112:113], v[114:115], -v[112:113]
	;; [unrolled: 1-line block ×4, first 2 shown]
	v_fma_f64 v[114:115], -v[90:91], v[120:121], 1.0
	v_fmac_f64_e32 v[120:121], v[114:115], v[120:121]
	v_fma_f64 v[114:115], -v[90:91], v[120:121], 1.0
	v_fmac_f64_e32 v[120:121], v[114:115], v[120:121]
	v_mul_f64 v[114:115], v[116:117], v[120:121]
	v_mul_f64 v[118:119], v[90:91], v[114:115]
	v_fma_f64 v[122:123], v[114:115], v[90:91], -v[118:119]
	v_fmac_f64_e32 v[122:123], v[114:115], v[88:89]
	v_add_f64 v[124:125], v[118:119], v[122:123]
	v_add_f64 v[126:127], v[116:117], -v[124:125]
	v_add_f64 v[116:117], v[116:117], -v[126:127]
	;; [unrolled: 1-line block ×4, first 2 shown]
	v_add_f64 v[112:113], v[112:113], v[116:117]
	v_add_f64 v[116:117], v[118:119], -v[122:123]
	v_add_f64 v[112:113], v[116:117], v[112:113]
	v_add_f64 v[116:117], v[126:127], v[112:113]
	v_add_f64 v[118:119], v[126:127], -v[116:117]
	v_add_f64 v[112:113], v[112:113], v[118:119]
	v_mul_f64 v[118:119], v[120:121], v[116:117]
	v_mul_f64 v[122:123], v[90:91], v[118:119]
	v_fma_f64 v[90:91], v[118:119], v[90:91], -v[122:123]
	v_fmac_f64_e32 v[90:91], v[118:119], v[88:89]
	v_add_f64 v[88:89], v[122:123], v[90:91]
	v_add_f64 v[124:125], v[116:117], -v[88:89]
	v_add_f64 v[116:117], v[116:117], -v[124:125]
	;; [unrolled: 1-line block ×4, first 2 shown]
	v_add_f64 v[88:89], v[112:113], v[88:89]
	v_add_f64 v[90:91], v[122:123], -v[90:91]
	v_add_f64 v[88:89], v[90:91], v[88:89]
	v_add_f64 v[90:91], v[114:115], v[118:119]
	;; [unrolled: 1-line block ×3, first 2 shown]
	v_add_f64 v[112:113], v[90:91], -v[114:115]
	v_mul_f64 v[88:89], v[120:121], v[88:89]
	v_add_f64 v[112:113], v[118:119], -v[112:113]
	v_add_f64 v[88:89], v[112:113], v[88:89]
	v_add_f64 v[112:113], v[90:91], v[88:89]
	v_add_f64 v[90:91], v[112:113], -v[90:91]
	v_add_f64 v[88:89], v[88:89], -v[90:91]
	v_mul_f64 v[90:91], v[112:113], v[112:113]
	v_pk_mov_b32 v[114:115], v[74:75], v[74:75] op_sel:[0,1]
	v_fmac_f64_e32 v[114:115], s[64:65], v[90:91]
	v_pk_mov_b32 v[116:117], v[76:77], v[76:77] op_sel:[0,1]
	v_fmac_f64_e32 v[116:117], v[90:91], v[114:115]
	;; [unrolled: 2-line block ×6, first 2 shown]
	v_cvt_f64_i32_e32 v[114:115], v128
	s_mov_b32 s66, s52
	v_mul_f64 v[118:119], v[114:115], s[66:67]
	v_fma_f64 v[120:121], v[114:115], s[66:67], -v[118:119]
	s_mov_b32 s68, s54
	v_fmac_f64_e32 v[120:121], s[68:69], v[114:115]
	v_add_f64 v[114:115], v[118:119], v[120:121]
	v_add_f64 v[118:119], v[114:115], -v[118:119]
	v_mul_f64 v[90:91], v[112:113], v[90:91]
	v_add_f64 v[118:119], v[120:121], -v[118:119]
	v_ldexp_f64 v[120:121], v[112:113], 1
	v_mul_f64 v[90:91], v[90:91], v[116:117]
	v_add_f64 v[112:113], v[120:121], v[90:91]
	v_add_f64 v[116:117], v[112:113], -v[120:121]
	v_ldexp_f64 v[88:89], v[88:89], 1
	v_add_f64 v[90:91], v[90:91], -v[116:117]
	v_add_f64 v[88:89], v[88:89], v[90:91]
	v_add_f64 v[90:91], v[112:113], v[88:89]
	v_add_f64 v[112:113], v[90:91], -v[112:113]
	v_add_f64 v[88:89], v[88:89], -v[112:113]
	v_add_f64 v[112:113], v[114:115], v[90:91]
	v_add_f64 v[116:117], v[112:113], -v[114:115]
	v_add_f64 v[120:121], v[112:113], -v[116:117]
	;; [unrolled: 1-line block ×4, first 2 shown]
	v_add_f64 v[90:91], v[90:91], v[114:115]
	v_add_f64 v[114:115], v[118:119], v[88:89]
	v_add_f64 v[116:117], v[114:115], -v[118:119]
	v_add_f64 v[90:91], v[114:115], v[90:91]
	v_add_f64 v[120:121], v[114:115], -v[116:117]
	;; [unrolled: 2-line block ×3, first 2 shown]
	v_add_f64 v[88:89], v[88:89], -v[116:117]
	v_add_f64 v[112:113], v[114:115], -v[112:113]
	v_add_f64 v[88:89], v[88:89], v[118:119]
	v_add_f64 v[90:91], v[90:91], -v[112:113]
	v_add_f64 v[88:89], v[88:89], v[90:91]
	v_add_f64 v[88:89], v[114:115], v[88:89]
	v_cmp_eq_f64_e32 vcc, s[70:71], v[86:87]
	v_cndmask_b32_e32 v88, v88, v86, vcc
	v_cndmask_b32_e32 v89, v89, v87, vcc
	v_cmp_ngt_f64_e32 vcc, -1.0, v[86:87]
	v_cndmask_b32_e32 v89, v110, v89, vcc
	v_cmp_nge_f64_e32 vcc, -1.0, v[86:87]
	v_cndmask_b32_e32 v88, 0, v88, vcc
	v_cmp_neq_f64_e32 vcc, -1.0, v[86:87]
	v_cndmask_b32_e32 v89, v111, v89, vcc
	v_add_f64 v[88:89], v[26:27], v[88:89]
.LBB30_144:                             ;   in Loop: Header=BB30_118 Depth=1
	s_or_b64 exec, exec, s[74:75]
	v_mov_b32_e32 v26, v88
	v_mov_b32_e32 v27, v89
	v_pk_mov_b32 v[86:87], v[88:89], v[88:89] op_sel:[0,1]
.LBB30_145:                             ;   in Loop: Header=BB30_118 Depth=1
	s_or_b64 exec, exec, s[72:73]
	s_waitcnt lgkmcnt(1)
	ds_bpermute_b32 v88, v106, v26
	s_waitcnt lgkmcnt(1)
	ds_bpermute_b32 v89, v106, v27
	v_cmp_le_u32_e32 vcc, v107, v29
	s_and_saveexec_b64 s[72:73], vcc
	s_cbranch_execz .LBB30_149
; %bb.146:                              ;   in Loop: Header=BB30_118 Depth=1
	s_waitcnt lgkmcnt(0)
	v_max_f64 v[26:27], v[88:89], v[88:89]
	v_max_f64 v[112:113], v[86:87], v[86:87]
	v_min_f64 v[90:91], v[26:27], v[112:113]
	v_cmp_u_f64_e32 vcc, v[88:89], v[88:89]
	v_max_f64 v[26:27], v[26:27], v[112:113]
	v_cndmask_b32_e32 v29, v90, v88, vcc
	v_cndmask_b32_e32 v90, v91, v89, vcc
	v_cmp_u_f64_e64 s[26:27], v[86:87], v[86:87]
	v_cndmask_b32_e32 v26, v26, v88, vcc
	v_cndmask_b32_e32 v27, v27, v89, vcc
	v_cndmask_b32_e64 v91, v90, v87, s[26:27]
	v_cndmask_b32_e64 v90, v29, v86, s[26:27]
	;; [unrolled: 1-line block ×4, first 2 shown]
	v_cmp_neq_f64_e32 vcc, v[90:91], v[26:27]
	v_cmp_class_f64_e64 s[26:27], v[90:91], s78
	s_or_b64 s[26:27], vcc, s[26:27]
	s_and_saveexec_b64 s[74:75], s[26:27]
	s_cbranch_execz .LBB30_148
; %bb.147:                              ;   in Loop: Header=BB30_118 Depth=1
	v_add_f64 v[86:87], v[90:91], -v[26:27]
	v_mul_f64 v[88:89], v[86:87], s[50:51]
	v_rndne_f64_e32 v[88:89], v[88:89]
	v_fma_f64 v[90:91], s[52:53], v[88:89], v[86:87]
	v_fmac_f64_e32 v[90:91], s[54:55], v[88:89]
	v_pk_mov_b32 v[112:113], v[56:57], v[56:57] op_sel:[0,1]
	v_fmac_f64_e32 v[112:113], s[56:57], v[90:91]
	v_pk_mov_b32 v[114:115], v[58:59], v[58:59] op_sel:[0,1]
	;; [unrolled: 2-line block ×9, first 2 shown]
	v_fmac_f64_e32 v[112:113], v[90:91], v[114:115]
	v_fma_f64 v[112:113], v[90:91], v[112:113], 1.0
	v_fma_f64 v[90:91], v[90:91], v[112:113], 1.0
	v_cvt_i32_f64_e32 v29, v[88:89]
	v_ldexp_f64 v[88:89], v[90:91], v29
	v_cmp_nlt_f64_e32 vcc, s[58:59], v[86:87]
	v_cmp_ngt_f64_e64 s[26:27], s[60:61], v[86:87]
	v_cndmask_b32_e32 v29, v109, v89, vcc
	s_and_b64 vcc, s[26:27], vcc
	v_cndmask_b32_e64 v87, 0, v29, s[26:27]
	v_cndmask_b32_e32 v86, 0, v88, vcc
	v_add_f64 v[88:89], v[86:87], 1.0
	v_add_f64 v[90:91], v[88:89], -1.0
	v_add_f64 v[112:113], v[90:91], -v[88:89]
	v_add_f64 v[112:113], v[112:113], 1.0
	v_add_f64 v[90:91], v[86:87], -v[90:91]
	v_add_f64 v[90:91], v[90:91], v[112:113]
	v_frexp_mant_f64_e32 v[112:113], v[88:89]
	v_frexp_exp_i32_f64_e32 v29, v[88:89]
	v_cmp_gt_f64_e32 vcc, s[62:63], v[112:113]
	v_subbrev_co_u32_e32 v29, vcc, 0, v29, vcc
	v_sub_u32_e32 v112, 0, v29
	v_ldexp_f64 v[88:89], v[88:89], v112
	v_ldexp_f64 v[90:91], v[90:91], v112
	v_add_f64 v[112:113], v[88:89], -1.0
	v_add_f64 v[118:119], v[88:89], 1.0
	v_add_f64 v[114:115], v[112:113], 1.0
	v_add_f64 v[120:121], v[118:119], -1.0
	v_add_f64 v[114:115], v[88:89], -v[114:115]
	v_add_f64 v[88:89], v[88:89], -v[120:121]
	v_add_f64 v[88:89], v[90:91], v[88:89]
	v_add_f64 v[114:115], v[90:91], v[114:115]
	;; [unrolled: 1-line block ×3, first 2 shown]
	v_rcp_f64_e32 v[120:121], v[90:91]
	v_add_f64 v[116:117], v[112:113], v[114:115]
	v_add_f64 v[112:113], v[116:117], -v[112:113]
	v_add_f64 v[112:113], v[114:115], -v[112:113]
	;; [unrolled: 1-line block ×4, first 2 shown]
	v_fma_f64 v[114:115], -v[90:91], v[120:121], 1.0
	v_fmac_f64_e32 v[120:121], v[114:115], v[120:121]
	v_fma_f64 v[114:115], -v[90:91], v[120:121], 1.0
	v_fmac_f64_e32 v[120:121], v[114:115], v[120:121]
	v_mul_f64 v[114:115], v[116:117], v[120:121]
	v_mul_f64 v[118:119], v[90:91], v[114:115]
	v_fma_f64 v[122:123], v[114:115], v[90:91], -v[118:119]
	v_fmac_f64_e32 v[122:123], v[114:115], v[88:89]
	v_add_f64 v[124:125], v[118:119], v[122:123]
	v_add_f64 v[126:127], v[116:117], -v[124:125]
	v_add_f64 v[116:117], v[116:117], -v[126:127]
	;; [unrolled: 1-line block ×4, first 2 shown]
	v_add_f64 v[112:113], v[112:113], v[116:117]
	v_add_f64 v[116:117], v[118:119], -v[122:123]
	v_add_f64 v[112:113], v[116:117], v[112:113]
	v_add_f64 v[116:117], v[126:127], v[112:113]
	v_add_f64 v[118:119], v[126:127], -v[116:117]
	v_add_f64 v[112:113], v[112:113], v[118:119]
	v_mul_f64 v[118:119], v[120:121], v[116:117]
	v_mul_f64 v[122:123], v[90:91], v[118:119]
	v_fma_f64 v[90:91], v[118:119], v[90:91], -v[122:123]
	v_fmac_f64_e32 v[90:91], v[118:119], v[88:89]
	v_add_f64 v[88:89], v[122:123], v[90:91]
	v_add_f64 v[124:125], v[116:117], -v[88:89]
	v_add_f64 v[116:117], v[116:117], -v[124:125]
	;; [unrolled: 1-line block ×4, first 2 shown]
	v_add_f64 v[88:89], v[112:113], v[88:89]
	v_add_f64 v[90:91], v[122:123], -v[90:91]
	v_add_f64 v[88:89], v[90:91], v[88:89]
	v_add_f64 v[90:91], v[114:115], v[118:119]
	;; [unrolled: 1-line block ×3, first 2 shown]
	v_add_f64 v[112:113], v[90:91], -v[114:115]
	v_mul_f64 v[88:89], v[120:121], v[88:89]
	v_add_f64 v[112:113], v[118:119], -v[112:113]
	v_add_f64 v[88:89], v[112:113], v[88:89]
	v_add_f64 v[112:113], v[90:91], v[88:89]
	v_add_f64 v[90:91], v[112:113], -v[90:91]
	v_add_f64 v[88:89], v[88:89], -v[90:91]
	v_mul_f64 v[90:91], v[112:113], v[112:113]
	v_pk_mov_b32 v[114:115], v[74:75], v[74:75] op_sel:[0,1]
	v_fmac_f64_e32 v[114:115], s[64:65], v[90:91]
	v_pk_mov_b32 v[116:117], v[76:77], v[76:77] op_sel:[0,1]
	v_fmac_f64_e32 v[116:117], v[90:91], v[114:115]
	;; [unrolled: 2-line block ×6, first 2 shown]
	v_cvt_f64_i32_e32 v[114:115], v29
	s_mov_b32 s66, s52
	v_mul_f64 v[118:119], v[114:115], s[66:67]
	v_fma_f64 v[120:121], v[114:115], s[66:67], -v[118:119]
	s_mov_b32 s68, s54
	v_fmac_f64_e32 v[120:121], s[68:69], v[114:115]
	v_add_f64 v[114:115], v[118:119], v[120:121]
	v_add_f64 v[118:119], v[114:115], -v[118:119]
	v_mul_f64 v[90:91], v[112:113], v[90:91]
	v_add_f64 v[118:119], v[120:121], -v[118:119]
	v_ldexp_f64 v[120:121], v[112:113], 1
	v_mul_f64 v[90:91], v[90:91], v[116:117]
	v_add_f64 v[112:113], v[120:121], v[90:91]
	v_add_f64 v[116:117], v[112:113], -v[120:121]
	v_ldexp_f64 v[88:89], v[88:89], 1
	v_add_f64 v[90:91], v[90:91], -v[116:117]
	v_add_f64 v[88:89], v[88:89], v[90:91]
	v_add_f64 v[90:91], v[112:113], v[88:89]
	v_add_f64 v[112:113], v[90:91], -v[112:113]
	v_add_f64 v[88:89], v[88:89], -v[112:113]
	v_add_f64 v[112:113], v[114:115], v[90:91]
	v_add_f64 v[116:117], v[112:113], -v[114:115]
	v_add_f64 v[120:121], v[112:113], -v[116:117]
	;; [unrolled: 1-line block ×4, first 2 shown]
	v_add_f64 v[90:91], v[90:91], v[114:115]
	v_add_f64 v[114:115], v[118:119], v[88:89]
	v_add_f64 v[116:117], v[114:115], -v[118:119]
	v_add_f64 v[90:91], v[114:115], v[90:91]
	v_add_f64 v[120:121], v[114:115], -v[116:117]
	v_add_f64 v[114:115], v[112:113], v[90:91]
	v_add_f64 v[118:119], v[118:119], -v[120:121]
	v_add_f64 v[88:89], v[88:89], -v[116:117]
	v_add_f64 v[112:113], v[114:115], -v[112:113]
	v_add_f64 v[88:89], v[88:89], v[118:119]
	v_add_f64 v[90:91], v[90:91], -v[112:113]
	v_add_f64 v[88:89], v[88:89], v[90:91]
	v_add_f64 v[88:89], v[114:115], v[88:89]
	v_cmp_eq_f64_e32 vcc, s[70:71], v[86:87]
	v_cndmask_b32_e32 v29, v88, v86, vcc
	v_cndmask_b32_e32 v88, v89, v87, vcc
	v_cmp_ngt_f64_e32 vcc, -1.0, v[86:87]
	v_cndmask_b32_e32 v89, v110, v88, vcc
	v_cmp_nge_f64_e32 vcc, -1.0, v[86:87]
	v_cndmask_b32_e32 v88, 0, v29, vcc
	v_cmp_neq_f64_e32 vcc, -1.0, v[86:87]
	v_cndmask_b32_e32 v89, v111, v89, vcc
	v_add_f64 v[88:89], v[26:27], v[88:89]
.LBB30_148:                             ;   in Loop: Header=BB30_118 Depth=1
	s_or_b64 exec, exec, s[74:75]
	v_pk_mov_b32 v[86:87], v[88:89], v[88:89] op_sel:[0,1]
.LBB30_149:                             ;   in Loop: Header=BB30_118 Depth=1
	s_or_b64 exec, exec, s[72:73]
	v_max_f64 v[26:27], v[54:55], v[54:55]
	v_max_f64 v[90:91], v[86:87], v[86:87]
	s_waitcnt lgkmcnt(0)
	v_min_f64 v[88:89], v[90:91], v[26:27]
	v_cmp_u_f64_e32 vcc, v[86:87], v[86:87]
	v_max_f64 v[26:27], v[90:91], v[26:27]
	v_cndmask_b32_e32 v29, v88, v86, vcc
	v_cndmask_b32_e32 v88, v89, v87, vcc
	v_cmp_u_f64_e64 s[26:27], v[54:55], v[54:55]
	v_cndmask_b32_e32 v26, v26, v86, vcc
	v_cndmask_b32_e32 v27, v27, v87, vcc
	v_cndmask_b32_e64 v89, v88, v55, s[26:27]
	v_cndmask_b32_e64 v88, v29, v54, s[26:27]
	;; [unrolled: 1-line block ×4, first 2 shown]
	v_cmp_neq_f64_e32 vcc, v[88:89], v[26:27]
	v_cmp_class_f64_e64 s[26:27], v[88:89], s78
	s_or_b64 s[26:27], vcc, s[26:27]
	s_and_saveexec_b64 s[72:73], s[26:27]
	s_xor_b64 s[72:73], exec, s[72:73]
	s_cbranch_execz .LBB30_117
; %bb.150:                              ;   in Loop: Header=BB30_118 Depth=1
	v_add_f64 v[86:87], v[88:89], -v[26:27]
	v_mul_f64 v[88:89], v[86:87], s[50:51]
	v_rndne_f64_e32 v[88:89], v[88:89]
	v_fma_f64 v[90:91], s[52:53], v[88:89], v[86:87]
	v_fmac_f64_e32 v[90:91], s[54:55], v[88:89]
	v_pk_mov_b32 v[112:113], v[56:57], v[56:57] op_sel:[0,1]
	v_fmac_f64_e32 v[112:113], s[56:57], v[90:91]
	v_pk_mov_b32 v[114:115], v[58:59], v[58:59] op_sel:[0,1]
	;; [unrolled: 2-line block ×9, first 2 shown]
	v_fmac_f64_e32 v[112:113], v[90:91], v[114:115]
	v_fma_f64 v[112:113], v[90:91], v[112:113], 1.0
	v_fma_f64 v[90:91], v[90:91], v[112:113], 1.0
	v_cvt_i32_f64_e32 v29, v[88:89]
	v_ldexp_f64 v[88:89], v[90:91], v29
	v_cmp_nlt_f64_e32 vcc, s[58:59], v[86:87]
	v_cmp_ngt_f64_e64 s[26:27], s[60:61], v[86:87]
	v_cndmask_b32_e32 v29, v109, v89, vcc
	s_and_b64 vcc, s[26:27], vcc
	v_cndmask_b32_e64 v87, 0, v29, s[26:27]
	v_cndmask_b32_e32 v86, 0, v88, vcc
	v_add_f64 v[88:89], v[86:87], 1.0
	v_add_f64 v[90:91], v[88:89], -1.0
	v_add_f64 v[112:113], v[90:91], -v[88:89]
	v_add_f64 v[112:113], v[112:113], 1.0
	v_add_f64 v[90:91], v[86:87], -v[90:91]
	v_add_f64 v[90:91], v[90:91], v[112:113]
	v_frexp_mant_f64_e32 v[112:113], v[88:89]
	v_frexp_exp_i32_f64_e32 v29, v[88:89]
	v_cmp_gt_f64_e32 vcc, s[62:63], v[112:113]
	v_subbrev_co_u32_e32 v29, vcc, 0, v29, vcc
	v_sub_u32_e32 v112, 0, v29
	v_ldexp_f64 v[88:89], v[88:89], v112
	v_ldexp_f64 v[90:91], v[90:91], v112
	v_add_f64 v[112:113], v[88:89], -1.0
	v_add_f64 v[118:119], v[88:89], 1.0
	v_add_f64 v[114:115], v[112:113], 1.0
	v_add_f64 v[120:121], v[118:119], -1.0
	v_add_f64 v[114:115], v[88:89], -v[114:115]
	v_add_f64 v[88:89], v[88:89], -v[120:121]
	v_add_f64 v[88:89], v[90:91], v[88:89]
	v_add_f64 v[114:115], v[90:91], v[114:115]
	;; [unrolled: 1-line block ×3, first 2 shown]
	v_rcp_f64_e32 v[120:121], v[90:91]
	v_add_f64 v[116:117], v[112:113], v[114:115]
	v_add_f64 v[112:113], v[116:117], -v[112:113]
	v_add_f64 v[112:113], v[114:115], -v[112:113]
	;; [unrolled: 1-line block ×4, first 2 shown]
	v_fma_f64 v[114:115], -v[90:91], v[120:121], 1.0
	v_fmac_f64_e32 v[120:121], v[114:115], v[120:121]
	v_fma_f64 v[114:115], -v[90:91], v[120:121], 1.0
	v_fmac_f64_e32 v[120:121], v[114:115], v[120:121]
	v_mul_f64 v[114:115], v[116:117], v[120:121]
	v_mul_f64 v[118:119], v[90:91], v[114:115]
	v_fma_f64 v[122:123], v[114:115], v[90:91], -v[118:119]
	v_fmac_f64_e32 v[122:123], v[114:115], v[88:89]
	v_add_f64 v[124:125], v[118:119], v[122:123]
	v_add_f64 v[126:127], v[116:117], -v[124:125]
	v_add_f64 v[116:117], v[116:117], -v[126:127]
	;; [unrolled: 1-line block ×4, first 2 shown]
	v_add_f64 v[112:113], v[112:113], v[116:117]
	v_add_f64 v[116:117], v[118:119], -v[122:123]
	v_add_f64 v[112:113], v[116:117], v[112:113]
	v_add_f64 v[116:117], v[126:127], v[112:113]
	v_add_f64 v[118:119], v[126:127], -v[116:117]
	v_add_f64 v[112:113], v[112:113], v[118:119]
	v_mul_f64 v[118:119], v[120:121], v[116:117]
	v_mul_f64 v[122:123], v[90:91], v[118:119]
	v_fma_f64 v[90:91], v[118:119], v[90:91], -v[122:123]
	v_fmac_f64_e32 v[90:91], v[118:119], v[88:89]
	v_add_f64 v[88:89], v[122:123], v[90:91]
	v_add_f64 v[124:125], v[116:117], -v[88:89]
	v_add_f64 v[116:117], v[116:117], -v[124:125]
	v_add_f64 v[122:123], v[88:89], -v[122:123]
	v_add_f64 v[88:89], v[116:117], -v[88:89]
	v_add_f64 v[88:89], v[112:113], v[88:89]
	v_add_f64 v[90:91], v[122:123], -v[90:91]
	v_add_f64 v[88:89], v[90:91], v[88:89]
	v_add_f64 v[90:91], v[114:115], v[118:119]
	;; [unrolled: 1-line block ×3, first 2 shown]
	v_add_f64 v[112:113], v[90:91], -v[114:115]
	v_mul_f64 v[88:89], v[120:121], v[88:89]
	v_add_f64 v[112:113], v[118:119], -v[112:113]
	v_add_f64 v[88:89], v[112:113], v[88:89]
	v_add_f64 v[112:113], v[90:91], v[88:89]
	v_add_f64 v[90:91], v[112:113], -v[90:91]
	v_add_f64 v[88:89], v[88:89], -v[90:91]
	v_mul_f64 v[90:91], v[112:113], v[112:113]
	v_pk_mov_b32 v[114:115], v[74:75], v[74:75] op_sel:[0,1]
	v_fmac_f64_e32 v[114:115], s[64:65], v[90:91]
	v_pk_mov_b32 v[116:117], v[76:77], v[76:77] op_sel:[0,1]
	v_fmac_f64_e32 v[116:117], v[90:91], v[114:115]
	;; [unrolled: 2-line block ×6, first 2 shown]
	v_cvt_f64_i32_e32 v[114:115], v29
	s_mov_b32 s66, s52
	v_mul_f64 v[118:119], v[114:115], s[66:67]
	v_fma_f64 v[120:121], v[114:115], s[66:67], -v[118:119]
	s_mov_b32 s68, s54
	v_fmac_f64_e32 v[120:121], s[68:69], v[114:115]
	v_add_f64 v[114:115], v[118:119], v[120:121]
	v_add_f64 v[118:119], v[114:115], -v[118:119]
	v_mul_f64 v[90:91], v[112:113], v[90:91]
	v_add_f64 v[118:119], v[120:121], -v[118:119]
	v_ldexp_f64 v[120:121], v[112:113], 1
	v_mul_f64 v[90:91], v[90:91], v[116:117]
	v_add_f64 v[112:113], v[120:121], v[90:91]
	v_add_f64 v[116:117], v[112:113], -v[120:121]
	v_ldexp_f64 v[88:89], v[88:89], 1
	v_add_f64 v[90:91], v[90:91], -v[116:117]
	v_add_f64 v[88:89], v[88:89], v[90:91]
	v_add_f64 v[90:91], v[112:113], v[88:89]
	v_add_f64 v[112:113], v[90:91], -v[112:113]
	v_add_f64 v[88:89], v[88:89], -v[112:113]
	v_add_f64 v[112:113], v[114:115], v[90:91]
	v_add_f64 v[116:117], v[112:113], -v[114:115]
	v_add_f64 v[120:121], v[112:113], -v[116:117]
	;; [unrolled: 1-line block ×4, first 2 shown]
	v_add_f64 v[90:91], v[90:91], v[114:115]
	v_add_f64 v[114:115], v[118:119], v[88:89]
	v_add_f64 v[116:117], v[114:115], -v[118:119]
	v_add_f64 v[90:91], v[114:115], v[90:91]
	v_add_f64 v[120:121], v[114:115], -v[116:117]
	;; [unrolled: 2-line block ×3, first 2 shown]
	v_add_f64 v[88:89], v[88:89], -v[116:117]
	v_add_f64 v[112:113], v[114:115], -v[112:113]
	v_add_f64 v[88:89], v[88:89], v[118:119]
	v_add_f64 v[90:91], v[90:91], -v[112:113]
	v_add_f64 v[88:89], v[88:89], v[90:91]
	v_add_f64 v[88:89], v[114:115], v[88:89]
	v_cmp_eq_f64_e32 vcc, s[70:71], v[86:87]
	v_cndmask_b32_e32 v29, v88, v86, vcc
	v_cndmask_b32_e32 v88, v89, v87, vcc
	v_cmp_ngt_f64_e32 vcc, -1.0, v[86:87]
	v_cndmask_b32_e32 v89, v110, v88, vcc
	v_cmp_nge_f64_e32 vcc, -1.0, v[86:87]
	v_cndmask_b32_e32 v88, 0, v29, vcc
	v_cmp_neq_f64_e32 vcc, -1.0, v[86:87]
	v_cndmask_b32_e32 v89, v111, v89, vcc
	v_add_f64 v[86:87], v[26:27], v[88:89]
	s_branch .LBB30_117
.LBB30_151:                             ;   in Loop: Header=BB30_118 Depth=1
                                        ; implicit-def: $vgpr86_vgpr87
                                        ; implicit-def: $vgpr28
	s_cbranch_execz .LBB30_118
; %bb.152:
	s_and_saveexec_b64 s[50:51], s[24:25]
	s_cbranch_execz .LBB30_156
; %bb.153:
	v_max_f64 v[24:25], v[22:23], v[22:23]
	v_max_f64 v[28:29], v[54:55], v[54:55]
	v_min_f64 v[26:27], v[28:29], v[24:25]
	v_cmp_u_f64_e32 vcc, v[54:55], v[54:55]
	v_max_f64 v[24:25], v[28:29], v[24:25]
	v_cndmask_b32_e32 v26, v26, v54, vcc
	v_cndmask_b32_e32 v27, v27, v55, vcc
	v_cmp_u_f64_e64 s[26:27], v[22:23], v[22:23]
	v_cndmask_b32_e32 v24, v24, v54, vcc
	v_cndmask_b32_e32 v25, v25, v55, vcc
	v_cndmask_b32_e64 v27, v27, v23, s[26:27]
	v_cndmask_b32_e64 v26, v26, v22, s[26:27]
	;; [unrolled: 1-line block ×4, first 2 shown]
	s_movk_i32 s26, 0x1f8
	v_cmp_neq_f64_e32 vcc, v[26:27], v[24:25]
	v_cmp_class_f64_e64 s[26:27], v[26:27], s26
	s_or_b64 s[26:27], vcc, s[26:27]
	v_pk_mov_b32 v[22:23], v[54:55], v[54:55] op_sel:[0,1]
	s_and_saveexec_b64 s[52:53], s[26:27]
	s_cbranch_execz .LBB30_155
; %bb.154:
	s_mov_b32 s26, 0x652b82fe
	v_add_f64 v[22:23], v[26:27], -v[24:25]
	s_mov_b32 s27, 0x3ff71547
	v_mul_f64 v[26:27], v[22:23], s[26:27]
	v_rndne_f64_e32 v[26:27], v[26:27]
	s_mov_b32 s55, 0xbfe62e42
	s_mov_b32 s54, 0xfefa39ef
	v_fma_f64 v[28:29], s[54:55], v[26:27], v[22:23]
	s_mov_b32 s57, 0xbc7abc9e
	s_mov_b32 s56, 0x3b39803f
	;; [unrolled: 1-line block ×3, first 2 shown]
	v_fmac_f64_e32 v[28:29], s[56:57], v[26:27]
	v_mov_b32_e32 v52, 0xfca7ab0c
	v_mov_b32_e32 v53, 0x3e928af3
	s_mov_b32 s27, 0x3e5ade15
	v_fmac_f64_e32 v[52:53], s[26:27], v[28:29]
	v_mov_b32_e32 v56, 0x623fde64
	v_mov_b32_e32 v57, 0x3ec71dee
	v_fmac_f64_e32 v[56:57], v[28:29], v[52:53]
	v_mov_b32_e32 v52, 0x7c89e6b0
	v_mov_b32_e32 v53, 0x3efa0199
	;; [unrolled: 3-line block ×8, first 2 shown]
	s_mov_b32 s26, 0
	v_fmac_f64_e32 v[52:53], v[28:29], v[56:57]
	s_mov_b32 s27, 0x40900000
	v_fma_f64 v[52:53], v[28:29], v[52:53], 1.0
	v_cmp_nlt_f64_e32 vcc, s[26:27], v[22:23]
	s_mov_b32 s26, 0
	v_fma_f64 v[28:29], v[28:29], v[52:53], 1.0
	v_cvt_i32_f64_e32 v26, v[26:27]
	s_mov_b32 s27, 0xc090cc00
	v_ldexp_f64 v[26:27], v[28:29], v26
	v_mov_b32_e32 v28, 0x7ff00000
	v_cmp_ngt_f64_e64 s[26:27], s[26:27], v[22:23]
	v_cndmask_b32_e32 v27, v28, v27, vcc
	s_and_b64 vcc, s[26:27], vcc
	v_cndmask_b32_e64 v23, 0, v27, s[26:27]
	v_cndmask_b32_e32 v22, 0, v26, vcc
	v_add_f64 v[26:27], v[22:23], 1.0
	v_add_f64 v[28:29], v[26:27], -1.0
	v_add_f64 v[52:53], v[28:29], -v[26:27]
	v_add_f64 v[52:53], v[52:53], 1.0
	v_add_f64 v[28:29], v[22:23], -v[28:29]
	s_mov_b32 s26, 0x55555555
	v_add_f64 v[28:29], v[28:29], v[52:53]
	v_frexp_mant_f64_e32 v[52:53], v[26:27]
	s_mov_b32 s27, 0x3fe55555
	v_frexp_exp_i32_f64_e32 v56, v[26:27]
	v_cmp_gt_f64_e32 vcc, s[26:27], v[52:53]
	v_subbrev_co_u32_e32 v70, vcc, 0, v56, vcc
	v_sub_u32_e32 v52, 0, v70
	v_ldexp_f64 v[26:27], v[26:27], v52
	v_ldexp_f64 v[28:29], v[28:29], v52
	v_add_f64 v[52:53], v[26:27], -1.0
	v_add_f64 v[60:61], v[26:27], 1.0
	v_add_f64 v[56:57], v[52:53], 1.0
	v_add_f64 v[62:63], v[60:61], -1.0
	v_add_f64 v[56:57], v[26:27], -v[56:57]
	v_add_f64 v[26:27], v[26:27], -v[62:63]
	v_add_f64 v[26:27], v[28:29], v[26:27]
	v_add_f64 v[56:57], v[28:29], v[56:57]
	;; [unrolled: 1-line block ×3, first 2 shown]
	v_rcp_f64_e32 v[62:63], v[28:29]
	v_add_f64 v[58:59], v[52:53], v[56:57]
	v_add_f64 v[52:53], v[58:59], -v[52:53]
	v_add_f64 v[52:53], v[56:57], -v[52:53]
	;; [unrolled: 1-line block ×4, first 2 shown]
	v_fma_f64 v[56:57], -v[28:29], v[62:63], 1.0
	v_fmac_f64_e32 v[62:63], v[56:57], v[62:63]
	v_fma_f64 v[56:57], -v[28:29], v[62:63], 1.0
	v_fmac_f64_e32 v[62:63], v[56:57], v[62:63]
	v_mul_f64 v[56:57], v[58:59], v[62:63]
	v_mul_f64 v[60:61], v[28:29], v[56:57]
	v_fma_f64 v[64:65], v[56:57], v[28:29], -v[60:61]
	v_fmac_f64_e32 v[64:65], v[56:57], v[26:27]
	v_add_f64 v[66:67], v[60:61], v[64:65]
	v_add_f64 v[68:69], v[58:59], -v[66:67]
	v_add_f64 v[58:59], v[58:59], -v[68:69]
	;; [unrolled: 1-line block ×4, first 2 shown]
	v_add_f64 v[52:53], v[52:53], v[58:59]
	v_add_f64 v[58:59], v[60:61], -v[64:65]
	v_add_f64 v[52:53], v[58:59], v[52:53]
	v_add_f64 v[58:59], v[68:69], v[52:53]
	v_add_f64 v[60:61], v[68:69], -v[58:59]
	v_add_f64 v[52:53], v[52:53], v[60:61]
	v_mul_f64 v[60:61], v[62:63], v[58:59]
	v_mul_f64 v[64:65], v[28:29], v[60:61]
	v_fma_f64 v[28:29], v[60:61], v[28:29], -v[64:65]
	v_fmac_f64_e32 v[28:29], v[60:61], v[26:27]
	v_add_f64 v[26:27], v[64:65], v[28:29]
	v_add_f64 v[66:67], v[58:59], -v[26:27]
	v_add_f64 v[58:59], v[58:59], -v[66:67]
	;; [unrolled: 1-line block ×4, first 2 shown]
	v_add_f64 v[26:27], v[52:53], v[26:27]
	v_add_f64 v[28:29], v[64:65], -v[28:29]
	v_add_f64 v[26:27], v[28:29], v[26:27]
	v_add_f64 v[28:29], v[56:57], v[60:61]
	v_add_f64 v[26:27], v[66:67], v[26:27]
	v_add_f64 v[52:53], v[28:29], -v[56:57]
	v_mul_f64 v[26:27], v[62:63], v[26:27]
	v_add_f64 v[52:53], v[60:61], -v[52:53]
	v_add_f64 v[26:27], v[52:53], v[26:27]
	v_add_f64 v[52:53], v[28:29], v[26:27]
	v_add_f64 v[28:29], v[52:53], -v[28:29]
	s_mov_b32 s26, 0xbf559e2b
	v_add_f64 v[26:27], v[26:27], -v[28:29]
	v_mul_f64 v[28:29], v[52:53], v[52:53]
	v_mov_b32_e32 v56, 0x6b47b09a
	v_mov_b32_e32 v57, 0x3fc38538
	s_mov_b32 s27, 0x3fc3ab76
	v_fmac_f64_e32 v[56:57], s[26:27], v[28:29]
	v_mov_b32_e32 v58, 0xd7f4df2e
	v_mov_b32_e32 v59, 0x3fc7474d
	v_fmac_f64_e32 v[58:59], v[28:29], v[56:57]
	v_mov_b32_e32 v56, 0x16291751
	v_mov_b32_e32 v57, 0x3fcc71c0
	;; [unrolled: 3-line block ×5, first 2 shown]
	v_fmac_f64_e32 v[58:59], v[28:29], v[56:57]
	v_cvt_f64_i32_e32 v[56:57], v70
	s_mov_b32 s55, 0x3fe62e42
	v_mul_f64 v[60:61], v[56:57], s[54:55]
	v_fma_f64 v[62:63], v[56:57], s[54:55], -v[60:61]
	s_mov_b32 s57, 0x3c7abc9e
	v_fmac_f64_e32 v[62:63], s[56:57], v[56:57]
	v_add_f64 v[56:57], v[60:61], v[62:63]
	v_add_f64 v[60:61], v[56:57], -v[60:61]
	v_mul_f64 v[28:29], v[52:53], v[28:29]
	v_add_f64 v[60:61], v[62:63], -v[60:61]
	v_ldexp_f64 v[62:63], v[52:53], 1
	v_mul_f64 v[28:29], v[28:29], v[58:59]
	v_add_f64 v[52:53], v[62:63], v[28:29]
	v_add_f64 v[58:59], v[52:53], -v[62:63]
	v_ldexp_f64 v[26:27], v[26:27], 1
	v_add_f64 v[28:29], v[28:29], -v[58:59]
	v_add_f64 v[26:27], v[26:27], v[28:29]
	v_add_f64 v[28:29], v[52:53], v[26:27]
	v_add_f64 v[52:53], v[28:29], -v[52:53]
	v_add_f64 v[26:27], v[26:27], -v[52:53]
	v_add_f64 v[52:53], v[56:57], v[28:29]
	v_add_f64 v[58:59], v[52:53], -v[56:57]
	v_add_f64 v[62:63], v[52:53], -v[58:59]
	;; [unrolled: 1-line block ×4, first 2 shown]
	v_add_f64 v[28:29], v[28:29], v[56:57]
	v_add_f64 v[56:57], v[60:61], v[26:27]
	v_add_f64 v[58:59], v[56:57], -v[60:61]
	v_add_f64 v[28:29], v[56:57], v[28:29]
	v_add_f64 v[62:63], v[56:57], -v[58:59]
	;; [unrolled: 2-line block ×3, first 2 shown]
	v_add_f64 v[26:27], v[26:27], -v[58:59]
	v_add_f64 v[52:53], v[56:57], -v[52:53]
	v_add_f64 v[26:27], v[26:27], v[60:61]
	v_add_f64 v[28:29], v[28:29], -v[52:53]
	s_mov_b32 s26, 0
	v_add_f64 v[26:27], v[26:27], v[28:29]
	s_mov_b32 s27, 0x7ff00000
	v_add_f64 v[26:27], v[56:57], v[26:27]
	v_cmp_eq_f64_e32 vcc, s[26:27], v[22:23]
	v_cndmask_b32_e32 v26, v26, v22, vcc
	v_cndmask_b32_e32 v27, v27, v23, vcc
	v_mov_b32_e32 v28, 0x7ff80000
	v_cmp_ngt_f64_e32 vcc, -1.0, v[22:23]
	v_cndmask_b32_e32 v27, v28, v27, vcc
	v_cmp_nge_f64_e32 vcc, -1.0, v[22:23]
	v_cndmask_b32_e32 v26, 0, v26, vcc
	v_mov_b32_e32 v28, 0xfff00000
	v_cmp_neq_f64_e32 vcc, -1.0, v[22:23]
	v_cndmask_b32_e32 v27, v28, v27, vcc
	v_add_f64 v[22:23], v[24:25], v[26:27]
.LBB30_155:
	s_or_b64 exec, exec, s[52:53]
	s_add_i32 s26, s77, 64
	s_mov_b32 s27, 0
	s_lshl_b64 s[26:27], s[26:27], 4
	s_add_u32 s26, s34, s26
	s_addc_u32 s27, s35, s27
	v_mov_b32_e32 v24, 2
	v_mov_b32_e32 v25, 0
	v_pk_mov_b32 v[26:27], s[26:27], s[26:27] op_sel:[0,1]
	;;#ASMSTART
	global_store_dwordx4 v[26:27], v[22:25] off	
s_waitcnt vmcnt(0)
	;;#ASMEND
.LBB30_156:
	s_or_b64 exec, exec, s[50:51]
	s_and_b64 exec, exec, s[2:3]
	s_cbranch_execz .LBB30_158
; %bb.157:
	v_mov_b32_e32 v22, 0
	ds_write_b64 v22, v[54:55] offset:8
.LBB30_158:
	s_or_b64 exec, exec, s[48:49]
	v_mov_b32_e32 v22, 0
	s_waitcnt lgkmcnt(0)
	s_barrier
	ds_read_b64 v[22:23], v22 offset:8
	v_pk_mov_b32 v[26:27], v[2:3], v[2:3] op_sel:[0,1]
	s_and_saveexec_b64 s[26:27], s[0:1]
	s_cbranch_execz .LBB30_162
; %bb.159:
	v_cndmask_b32_e64 v27, v95, v51, s[24:25]
	v_cndmask_b32_e64 v26, v94, v50, s[24:25]
	v_max_f64 v[24:25], v[26:27], v[26:27]
	v_min_f64 v[28:29], v[24:25], v[48:49]
	v_cmp_u_f64_e32 vcc, v[26:27], v[26:27]
	v_max_f64 v[24:25], v[24:25], v[48:49]
	v_cndmask_b32_e32 v28, v28, v26, vcc
	v_cndmask_b32_e32 v29, v29, v27, vcc
	;; [unrolled: 1-line block ×4, first 2 shown]
	v_cndmask_b32_e64 v29, v29, v3, s[22:23]
	v_cndmask_b32_e64 v28, v28, v2, s[22:23]
	;; [unrolled: 1-line block ×4, first 2 shown]
	s_movk_i32 s22, 0x1f8
	v_cmp_neq_f64_e32 vcc, v[28:29], v[24:25]
	v_cmp_class_f64_e64 s[22:23], v[28:29], s22
	s_or_b64 s[22:23], vcc, s[22:23]
	s_and_saveexec_b64 s[24:25], s[22:23]
	s_cbranch_execz .LBB30_161
; %bb.160:
	s_mov_b32 s22, 0x652b82fe
	v_add_f64 v[26:27], v[28:29], -v[24:25]
	s_mov_b32 s23, 0x3ff71547
	v_mul_f64 v[28:29], v[26:27], s[22:23]
	v_rndne_f64_e32 v[28:29], v[28:29]
	s_mov_b32 s49, 0xbfe62e42
	s_mov_b32 s48, 0xfefa39ef
	v_fma_f64 v[48:49], s[48:49], v[28:29], v[26:27]
	s_mov_b32 s51, 0xbc7abc9e
	s_mov_b32 s50, 0x3b39803f
	;; [unrolled: 1-line block ×3, first 2 shown]
	v_fmac_f64_e32 v[48:49], s[50:51], v[28:29]
	v_mov_b32_e32 v50, 0xfca7ab0c
	v_mov_b32_e32 v51, 0x3e928af3
	s_mov_b32 s23, 0x3e5ade15
	v_fmac_f64_e32 v[50:51], s[22:23], v[48:49]
	v_mov_b32_e32 v52, 0x623fde64
	v_mov_b32_e32 v53, 0x3ec71dee
	v_fmac_f64_e32 v[52:53], v[48:49], v[50:51]
	v_mov_b32_e32 v50, 0x7c89e6b0
	v_mov_b32_e32 v51, 0x3efa0199
	;; [unrolled: 3-line block ×8, first 2 shown]
	s_mov_b32 s22, 0
	v_fmac_f64_e32 v[50:51], v[48:49], v[52:53]
	s_mov_b32 s23, 0x40900000
	v_fma_f64 v[50:51], v[48:49], v[50:51], 1.0
	v_cmp_nlt_f64_e32 vcc, s[22:23], v[26:27]
	s_mov_b32 s22, 0
	v_fma_f64 v[48:49], v[48:49], v[50:51], 1.0
	v_cvt_i32_f64_e32 v28, v[28:29]
	s_mov_b32 s23, 0xc090cc00
	v_ldexp_f64 v[28:29], v[48:49], v28
	v_mov_b32_e32 v48, 0x7ff00000
	v_cmp_ngt_f64_e64 s[22:23], s[22:23], v[26:27]
	v_cndmask_b32_e32 v29, v48, v29, vcc
	s_and_b64 vcc, s[22:23], vcc
	v_cndmask_b32_e64 v27, 0, v29, s[22:23]
	v_cndmask_b32_e32 v26, 0, v28, vcc
	v_add_f64 v[28:29], v[26:27], 1.0
	v_add_f64 v[48:49], v[28:29], -1.0
	v_add_f64 v[50:51], v[48:49], -v[28:29]
	v_add_f64 v[50:51], v[50:51], 1.0
	v_add_f64 v[48:49], v[26:27], -v[48:49]
	s_mov_b32 s22, 0x55555555
	v_add_f64 v[48:49], v[48:49], v[50:51]
	v_frexp_mant_f64_e32 v[50:51], v[28:29]
	s_mov_b32 s23, 0x3fe55555
	v_frexp_exp_i32_f64_e32 v52, v[28:29]
	v_cmp_gt_f64_e32 vcc, s[22:23], v[50:51]
	v_subbrev_co_u32_e32 v66, vcc, 0, v52, vcc
	v_sub_u32_e32 v50, 0, v66
	v_ldexp_f64 v[28:29], v[28:29], v50
	v_ldexp_f64 v[48:49], v[48:49], v50
	v_add_f64 v[50:51], v[28:29], -1.0
	v_add_f64 v[56:57], v[28:29], 1.0
	v_add_f64 v[52:53], v[50:51], 1.0
	v_add_f64 v[58:59], v[56:57], -1.0
	v_add_f64 v[52:53], v[28:29], -v[52:53]
	v_add_f64 v[28:29], v[28:29], -v[58:59]
	v_add_f64 v[28:29], v[48:49], v[28:29]
	v_add_f64 v[52:53], v[48:49], v[52:53]
	;; [unrolled: 1-line block ×3, first 2 shown]
	v_rcp_f64_e32 v[58:59], v[48:49]
	v_add_f64 v[54:55], v[50:51], v[52:53]
	v_add_f64 v[50:51], v[54:55], -v[50:51]
	v_add_f64 v[50:51], v[52:53], -v[50:51]
	;; [unrolled: 1-line block ×4, first 2 shown]
	v_fma_f64 v[52:53], -v[48:49], v[58:59], 1.0
	v_fmac_f64_e32 v[58:59], v[52:53], v[58:59]
	v_fma_f64 v[52:53], -v[48:49], v[58:59], 1.0
	v_fmac_f64_e32 v[58:59], v[52:53], v[58:59]
	v_mul_f64 v[52:53], v[54:55], v[58:59]
	v_mul_f64 v[56:57], v[48:49], v[52:53]
	v_fma_f64 v[60:61], v[52:53], v[48:49], -v[56:57]
	v_fmac_f64_e32 v[60:61], v[52:53], v[28:29]
	v_add_f64 v[62:63], v[56:57], v[60:61]
	v_add_f64 v[64:65], v[54:55], -v[62:63]
	v_add_f64 v[54:55], v[54:55], -v[64:65]
	;; [unrolled: 1-line block ×4, first 2 shown]
	v_add_f64 v[50:51], v[50:51], v[54:55]
	v_add_f64 v[54:55], v[56:57], -v[60:61]
	v_add_f64 v[50:51], v[54:55], v[50:51]
	v_add_f64 v[54:55], v[64:65], v[50:51]
	v_add_f64 v[56:57], v[64:65], -v[54:55]
	v_add_f64 v[50:51], v[50:51], v[56:57]
	v_mul_f64 v[56:57], v[58:59], v[54:55]
	v_mul_f64 v[60:61], v[48:49], v[56:57]
	v_fma_f64 v[48:49], v[56:57], v[48:49], -v[60:61]
	v_fmac_f64_e32 v[48:49], v[56:57], v[28:29]
	v_add_f64 v[28:29], v[60:61], v[48:49]
	v_add_f64 v[62:63], v[54:55], -v[28:29]
	v_add_f64 v[54:55], v[54:55], -v[62:63]
	;; [unrolled: 1-line block ×4, first 2 shown]
	v_add_f64 v[28:29], v[50:51], v[28:29]
	v_add_f64 v[48:49], v[60:61], -v[48:49]
	v_add_f64 v[28:29], v[48:49], v[28:29]
	v_add_f64 v[48:49], v[52:53], v[56:57]
	;; [unrolled: 1-line block ×3, first 2 shown]
	v_add_f64 v[50:51], v[48:49], -v[52:53]
	v_mul_f64 v[28:29], v[58:59], v[28:29]
	v_add_f64 v[50:51], v[56:57], -v[50:51]
	v_add_f64 v[28:29], v[50:51], v[28:29]
	v_add_f64 v[50:51], v[48:49], v[28:29]
	v_add_f64 v[48:49], v[50:51], -v[48:49]
	s_mov_b32 s22, 0xbf559e2b
	v_add_f64 v[28:29], v[28:29], -v[48:49]
	v_mul_f64 v[48:49], v[50:51], v[50:51]
	v_mov_b32_e32 v52, 0x6b47b09a
	v_mov_b32_e32 v53, 0x3fc38538
	s_mov_b32 s23, 0x3fc3ab76
	v_fmac_f64_e32 v[52:53], s[22:23], v[48:49]
	v_mov_b32_e32 v54, 0xd7f4df2e
	v_mov_b32_e32 v55, 0x3fc7474d
	v_fmac_f64_e32 v[54:55], v[48:49], v[52:53]
	v_mov_b32_e32 v52, 0x16291751
	v_mov_b32_e32 v53, 0x3fcc71c0
	;; [unrolled: 3-line block ×5, first 2 shown]
	v_fmac_f64_e32 v[54:55], v[48:49], v[52:53]
	v_cvt_f64_i32_e32 v[52:53], v66
	s_mov_b32 s49, 0x3fe62e42
	v_mul_f64 v[56:57], v[52:53], s[48:49]
	v_fma_f64 v[58:59], v[52:53], s[48:49], -v[56:57]
	s_mov_b32 s51, 0x3c7abc9e
	v_fmac_f64_e32 v[58:59], s[50:51], v[52:53]
	v_add_f64 v[52:53], v[56:57], v[58:59]
	v_add_f64 v[56:57], v[52:53], -v[56:57]
	v_mul_f64 v[48:49], v[50:51], v[48:49]
	v_add_f64 v[56:57], v[58:59], -v[56:57]
	v_ldexp_f64 v[58:59], v[50:51], 1
	v_mul_f64 v[48:49], v[48:49], v[54:55]
	v_add_f64 v[50:51], v[58:59], v[48:49]
	v_add_f64 v[54:55], v[50:51], -v[58:59]
	v_ldexp_f64 v[28:29], v[28:29], 1
	v_add_f64 v[48:49], v[48:49], -v[54:55]
	v_add_f64 v[28:29], v[28:29], v[48:49]
	v_add_f64 v[48:49], v[50:51], v[28:29]
	v_add_f64 v[50:51], v[48:49], -v[50:51]
	v_add_f64 v[28:29], v[28:29], -v[50:51]
	v_add_f64 v[50:51], v[52:53], v[48:49]
	v_add_f64 v[54:55], v[50:51], -v[52:53]
	v_add_f64 v[58:59], v[50:51], -v[54:55]
	;; [unrolled: 1-line block ×4, first 2 shown]
	v_add_f64 v[48:49], v[48:49], v[52:53]
	v_add_f64 v[52:53], v[56:57], v[28:29]
	v_add_f64 v[54:55], v[52:53], -v[56:57]
	v_add_f64 v[48:49], v[52:53], v[48:49]
	v_add_f64 v[58:59], v[52:53], -v[54:55]
	v_add_f64 v[52:53], v[50:51], v[48:49]
	v_add_f64 v[56:57], v[56:57], -v[58:59]
	v_add_f64 v[28:29], v[28:29], -v[54:55]
	v_add_f64 v[50:51], v[52:53], -v[50:51]
	v_add_f64 v[28:29], v[28:29], v[56:57]
	v_add_f64 v[48:49], v[48:49], -v[50:51]
	s_mov_b32 s22, 0
	v_add_f64 v[28:29], v[28:29], v[48:49]
	s_mov_b32 s23, 0x7ff00000
	v_add_f64 v[28:29], v[52:53], v[28:29]
	v_cmp_eq_f64_e32 vcc, s[22:23], v[26:27]
	v_cndmask_b32_e32 v28, v28, v26, vcc
	v_cndmask_b32_e32 v29, v29, v27, vcc
	v_mov_b32_e32 v48, 0x7ff80000
	v_cmp_ngt_f64_e32 vcc, -1.0, v[26:27]
	v_cndmask_b32_e32 v29, v48, v29, vcc
	v_cmp_nge_f64_e32 vcc, -1.0, v[26:27]
	v_cndmask_b32_e32 v28, 0, v28, vcc
	v_mov_b32_e32 v48, 0xfff00000
	v_cmp_neq_f64_e32 vcc, -1.0, v[26:27]
	v_cndmask_b32_e32 v29, v48, v29, vcc
	v_add_f64 v[26:27], v[24:25], v[28:29]
.LBB30_161:
	s_or_b64 exec, exec, s[24:25]
.LBB30_162:
	s_or_b64 exec, exec, s[26:27]
	v_max_f64 v[24:25], v[26:27], v[26:27]
	s_waitcnt lgkmcnt(0)
	v_max_f64 v[48:49], v[22:23], v[22:23]
	v_min_f64 v[28:29], v[48:49], v[24:25]
	v_cmp_u_f64_e32 vcc, v[22:23], v[22:23]
	v_max_f64 v[24:25], v[48:49], v[24:25]
	v_cndmask_b32_e32 v28, v28, v22, vcc
	v_cndmask_b32_e32 v29, v29, v23, vcc
	v_cmp_u_f64_e64 s[22:23], v[26:27], v[26:27]
	v_cndmask_b32_e32 v24, v24, v22, vcc
	v_cndmask_b32_e32 v25, v25, v23, vcc
	v_cndmask_b32_e64 v29, v29, v27, s[22:23]
	v_cndmask_b32_e64 v28, v28, v26, s[22:23]
	;; [unrolled: 1-line block ×4, first 2 shown]
	s_movk_i32 s50, 0x1f8
	v_cmp_neq_f64_e32 vcc, v[28:29], v[24:25]
	v_cmp_class_f64_e64 s[22:23], v[28:29], s50
	s_or_b64 s[22:23], vcc, s[22:23]
	s_and_saveexec_b64 s[24:25], s[22:23]
	s_cbranch_execz .LBB30_164
; %bb.163:
	s_mov_b32 s22, 0x652b82fe
	v_add_f64 v[22:23], v[28:29], -v[24:25]
	s_mov_b32 s23, 0x3ff71547
	v_mul_f64 v[26:27], v[22:23], s[22:23]
	v_rndne_f64_e32 v[26:27], v[26:27]
	s_mov_b32 s27, 0xbfe62e42
	s_mov_b32 s26, 0xfefa39ef
	v_fma_f64 v[28:29], s[26:27], v[26:27], v[22:23]
	s_mov_b32 s49, 0xbc7abc9e
	s_mov_b32 s48, 0x3b39803f
	;; [unrolled: 1-line block ×3, first 2 shown]
	v_fmac_f64_e32 v[28:29], s[48:49], v[26:27]
	v_mov_b32_e32 v48, 0xfca7ab0c
	v_mov_b32_e32 v49, 0x3e928af3
	s_mov_b32 s23, 0x3e5ade15
	v_fmac_f64_e32 v[48:49], s[22:23], v[28:29]
	v_mov_b32_e32 v50, 0x623fde64
	v_mov_b32_e32 v51, 0x3ec71dee
	v_fmac_f64_e32 v[50:51], v[28:29], v[48:49]
	v_mov_b32_e32 v48, 0x7c89e6b0
	v_mov_b32_e32 v49, 0x3efa0199
	;; [unrolled: 3-line block ×8, first 2 shown]
	s_mov_b32 s22, 0
	v_fmac_f64_e32 v[48:49], v[28:29], v[50:51]
	s_mov_b32 s23, 0x40900000
	v_fma_f64 v[48:49], v[28:29], v[48:49], 1.0
	v_cmp_nlt_f64_e32 vcc, s[22:23], v[22:23]
	s_mov_b32 s22, 0
	v_fma_f64 v[28:29], v[28:29], v[48:49], 1.0
	v_cvt_i32_f64_e32 v26, v[26:27]
	s_mov_b32 s23, 0xc090cc00
	v_ldexp_f64 v[26:27], v[28:29], v26
	v_mov_b32_e32 v28, 0x7ff00000
	v_cmp_ngt_f64_e64 s[22:23], s[22:23], v[22:23]
	v_cndmask_b32_e32 v27, v28, v27, vcc
	s_and_b64 vcc, s[22:23], vcc
	v_cndmask_b32_e64 v23, 0, v27, s[22:23]
	v_cndmask_b32_e32 v22, 0, v26, vcc
	v_add_f64 v[26:27], v[22:23], 1.0
	v_add_f64 v[28:29], v[26:27], -1.0
	v_add_f64 v[48:49], v[28:29], -v[26:27]
	v_add_f64 v[48:49], v[48:49], 1.0
	v_add_f64 v[28:29], v[22:23], -v[28:29]
	s_mov_b32 s22, 0x55555555
	v_add_f64 v[28:29], v[28:29], v[48:49]
	v_frexp_mant_f64_e32 v[48:49], v[26:27]
	s_mov_b32 s23, 0x3fe55555
	v_frexp_exp_i32_f64_e32 v50, v[26:27]
	v_cmp_gt_f64_e32 vcc, s[22:23], v[48:49]
	v_subbrev_co_u32_e32 v64, vcc, 0, v50, vcc
	v_sub_u32_e32 v48, 0, v64
	v_ldexp_f64 v[26:27], v[26:27], v48
	v_ldexp_f64 v[28:29], v[28:29], v48
	v_add_f64 v[48:49], v[26:27], -1.0
	v_add_f64 v[54:55], v[26:27], 1.0
	v_add_f64 v[50:51], v[48:49], 1.0
	v_add_f64 v[56:57], v[54:55], -1.0
	v_add_f64 v[50:51], v[26:27], -v[50:51]
	v_add_f64 v[26:27], v[26:27], -v[56:57]
	v_add_f64 v[26:27], v[28:29], v[26:27]
	v_add_f64 v[50:51], v[28:29], v[50:51]
	v_add_f64 v[28:29], v[54:55], v[26:27]
	v_rcp_f64_e32 v[56:57], v[28:29]
	v_add_f64 v[52:53], v[48:49], v[50:51]
	v_add_f64 v[48:49], v[52:53], -v[48:49]
	v_add_f64 v[48:49], v[50:51], -v[48:49]
	;; [unrolled: 1-line block ×4, first 2 shown]
	v_fma_f64 v[50:51], -v[28:29], v[56:57], 1.0
	v_fmac_f64_e32 v[56:57], v[50:51], v[56:57]
	v_fma_f64 v[50:51], -v[28:29], v[56:57], 1.0
	v_fmac_f64_e32 v[56:57], v[50:51], v[56:57]
	v_mul_f64 v[50:51], v[52:53], v[56:57]
	v_mul_f64 v[54:55], v[28:29], v[50:51]
	v_fma_f64 v[58:59], v[50:51], v[28:29], -v[54:55]
	v_fmac_f64_e32 v[58:59], v[50:51], v[26:27]
	v_add_f64 v[60:61], v[54:55], v[58:59]
	v_add_f64 v[62:63], v[52:53], -v[60:61]
	v_add_f64 v[52:53], v[52:53], -v[62:63]
	;; [unrolled: 1-line block ×4, first 2 shown]
	v_add_f64 v[48:49], v[48:49], v[52:53]
	v_add_f64 v[52:53], v[54:55], -v[58:59]
	v_add_f64 v[48:49], v[52:53], v[48:49]
	v_add_f64 v[52:53], v[62:63], v[48:49]
	v_add_f64 v[54:55], v[62:63], -v[52:53]
	v_add_f64 v[48:49], v[48:49], v[54:55]
	v_mul_f64 v[54:55], v[56:57], v[52:53]
	v_mul_f64 v[58:59], v[28:29], v[54:55]
	v_fma_f64 v[28:29], v[54:55], v[28:29], -v[58:59]
	v_fmac_f64_e32 v[28:29], v[54:55], v[26:27]
	v_add_f64 v[26:27], v[58:59], v[28:29]
	v_add_f64 v[60:61], v[52:53], -v[26:27]
	v_add_f64 v[52:53], v[52:53], -v[60:61]
	;; [unrolled: 1-line block ×4, first 2 shown]
	v_add_f64 v[26:27], v[48:49], v[26:27]
	v_add_f64 v[28:29], v[58:59], -v[28:29]
	v_add_f64 v[26:27], v[28:29], v[26:27]
	v_add_f64 v[28:29], v[50:51], v[54:55]
	;; [unrolled: 1-line block ×3, first 2 shown]
	v_add_f64 v[48:49], v[28:29], -v[50:51]
	v_mul_f64 v[26:27], v[56:57], v[26:27]
	v_add_f64 v[48:49], v[54:55], -v[48:49]
	v_add_f64 v[26:27], v[48:49], v[26:27]
	v_add_f64 v[48:49], v[28:29], v[26:27]
	v_add_f64 v[28:29], v[48:49], -v[28:29]
	s_mov_b32 s22, 0xbf559e2b
	v_add_f64 v[26:27], v[26:27], -v[28:29]
	v_mul_f64 v[28:29], v[48:49], v[48:49]
	v_mov_b32_e32 v50, 0x6b47b09a
	v_mov_b32_e32 v51, 0x3fc38538
	s_mov_b32 s23, 0x3fc3ab76
	v_fmac_f64_e32 v[50:51], s[22:23], v[28:29]
	v_mov_b32_e32 v52, 0xd7f4df2e
	v_mov_b32_e32 v53, 0x3fc7474d
	v_fmac_f64_e32 v[52:53], v[28:29], v[50:51]
	v_mov_b32_e32 v50, 0x16291751
	v_mov_b32_e32 v51, 0x3fcc71c0
	;; [unrolled: 3-line block ×5, first 2 shown]
	v_fmac_f64_e32 v[52:53], v[28:29], v[50:51]
	v_cvt_f64_i32_e32 v[50:51], v64
	s_mov_b32 s27, 0x3fe62e42
	v_mul_f64 v[54:55], v[50:51], s[26:27]
	v_fma_f64 v[56:57], v[50:51], s[26:27], -v[54:55]
	s_mov_b32 s49, 0x3c7abc9e
	v_fmac_f64_e32 v[56:57], s[48:49], v[50:51]
	v_add_f64 v[50:51], v[54:55], v[56:57]
	v_add_f64 v[54:55], v[50:51], -v[54:55]
	v_mul_f64 v[28:29], v[48:49], v[28:29]
	v_add_f64 v[54:55], v[56:57], -v[54:55]
	v_ldexp_f64 v[56:57], v[48:49], 1
	v_mul_f64 v[28:29], v[28:29], v[52:53]
	v_add_f64 v[48:49], v[56:57], v[28:29]
	v_add_f64 v[52:53], v[48:49], -v[56:57]
	v_ldexp_f64 v[26:27], v[26:27], 1
	v_add_f64 v[28:29], v[28:29], -v[52:53]
	v_add_f64 v[26:27], v[26:27], v[28:29]
	v_add_f64 v[28:29], v[48:49], v[26:27]
	v_add_f64 v[48:49], v[28:29], -v[48:49]
	v_add_f64 v[26:27], v[26:27], -v[48:49]
	v_add_f64 v[48:49], v[50:51], v[28:29]
	v_add_f64 v[52:53], v[48:49], -v[50:51]
	v_add_f64 v[56:57], v[48:49], -v[52:53]
	;; [unrolled: 1-line block ×4, first 2 shown]
	v_add_f64 v[28:29], v[28:29], v[50:51]
	v_add_f64 v[50:51], v[54:55], v[26:27]
	v_add_f64 v[52:53], v[50:51], -v[54:55]
	v_add_f64 v[28:29], v[50:51], v[28:29]
	v_add_f64 v[56:57], v[50:51], -v[52:53]
	;; [unrolled: 2-line block ×3, first 2 shown]
	v_add_f64 v[26:27], v[26:27], -v[52:53]
	v_add_f64 v[48:49], v[50:51], -v[48:49]
	v_add_f64 v[26:27], v[26:27], v[54:55]
	v_add_f64 v[28:29], v[28:29], -v[48:49]
	s_mov_b32 s22, 0
	v_add_f64 v[26:27], v[26:27], v[28:29]
	s_mov_b32 s23, 0x7ff00000
	v_add_f64 v[26:27], v[50:51], v[26:27]
	v_cmp_eq_f64_e32 vcc, s[22:23], v[22:23]
	v_cndmask_b32_e32 v26, v26, v22, vcc
	v_cndmask_b32_e32 v27, v27, v23, vcc
	v_mov_b32_e32 v28, 0x7ff80000
	v_cmp_ngt_f64_e32 vcc, -1.0, v[22:23]
	v_cndmask_b32_e32 v27, v28, v27, vcc
	v_cmp_nge_f64_e32 vcc, -1.0, v[22:23]
	v_cndmask_b32_e32 v26, 0, v26, vcc
	v_mov_b32_e32 v28, 0xfff00000
	v_cmp_neq_f64_e32 vcc, -1.0, v[22:23]
	v_cndmask_b32_e32 v27, v28, v27, vcc
	v_add_f64 v[22:23], v[24:25], v[26:27]
.LBB30_164:
	s_or_b64 exec, exec, s[24:25]
	v_max_f64 v[24:25], v[22:23], v[22:23]
	v_min_f64 v[26:27], v[24:25], v[42:43]
	v_cmp_u_f64_e32 vcc, v[22:23], v[22:23]
	v_max_f64 v[24:25], v[24:25], v[42:43]
	v_cndmask_b32_e32 v26, v26, v22, vcc
	v_cndmask_b32_e32 v27, v27, v23, vcc
	;; [unrolled: 1-line block ×4, first 2 shown]
	v_cndmask_b32_e64 v29, v27, v5, s[4:5]
	v_cndmask_b32_e64 v28, v26, v4, s[4:5]
	;; [unrolled: 1-line block ×4, first 2 shown]
	v_cmp_neq_f64_e32 vcc, v[28:29], v[26:27]
	v_cmp_class_f64_e64 s[4:5], v[28:29], s50
	s_or_b64 s[4:5], vcc, s[4:5]
	v_pk_mov_b32 v[24:25], v[22:23], v[22:23] op_sel:[0,1]
	s_and_saveexec_b64 s[22:23], s[4:5]
	s_cbranch_execz .LBB30_166
; %bb.165:
	s_mov_b32 s4, 0x652b82fe
	v_add_f64 v[24:25], v[28:29], -v[26:27]
	s_mov_b32 s5, 0x3ff71547
	v_mul_f64 v[28:29], v[24:25], s[4:5]
	v_rndne_f64_e32 v[28:29], v[28:29]
	s_mov_b32 s25, 0xbfe62e42
	s_mov_b32 s24, 0xfefa39ef
	v_fma_f64 v[48:49], s[24:25], v[28:29], v[24:25]
	s_mov_b32 s27, 0xbc7abc9e
	s_mov_b32 s26, 0x3b39803f
	;; [unrolled: 1-line block ×3, first 2 shown]
	v_fmac_f64_e32 v[48:49], s[26:27], v[28:29]
	v_mov_b32_e32 v50, 0xfca7ab0c
	v_mov_b32_e32 v51, 0x3e928af3
	s_mov_b32 s5, 0x3e5ade15
	v_fmac_f64_e32 v[50:51], s[4:5], v[48:49]
	v_mov_b32_e32 v52, 0x623fde64
	v_mov_b32_e32 v53, 0x3ec71dee
	v_fmac_f64_e32 v[52:53], v[48:49], v[50:51]
	v_mov_b32_e32 v50, 0x7c89e6b0
	v_mov_b32_e32 v51, 0x3efa0199
	;; [unrolled: 3-line block ×8, first 2 shown]
	s_mov_b32 s4, 0
	v_fmac_f64_e32 v[50:51], v[48:49], v[52:53]
	s_mov_b32 s5, 0x40900000
	v_fma_f64 v[50:51], v[48:49], v[50:51], 1.0
	v_cmp_nlt_f64_e32 vcc, s[4:5], v[24:25]
	s_mov_b32 s4, 0
	v_fma_f64 v[48:49], v[48:49], v[50:51], 1.0
	v_cvt_i32_f64_e32 v28, v[28:29]
	s_mov_b32 s5, 0xc090cc00
	v_ldexp_f64 v[28:29], v[48:49], v28
	v_mov_b32_e32 v48, 0x7ff00000
	v_cmp_ngt_f64_e64 s[4:5], s[4:5], v[24:25]
	v_cndmask_b32_e32 v29, v48, v29, vcc
	s_and_b64 vcc, s[4:5], vcc
	v_cndmask_b32_e64 v25, 0, v29, s[4:5]
	v_cndmask_b32_e32 v24, 0, v28, vcc
	v_add_f64 v[28:29], v[24:25], 1.0
	v_add_f64 v[48:49], v[28:29], -1.0
	v_add_f64 v[50:51], v[48:49], -v[28:29]
	v_add_f64 v[50:51], v[50:51], 1.0
	v_add_f64 v[48:49], v[24:25], -v[48:49]
	s_mov_b32 s4, 0x55555555
	v_add_f64 v[48:49], v[48:49], v[50:51]
	v_frexp_mant_f64_e32 v[50:51], v[28:29]
	s_mov_b32 s5, 0x3fe55555
	v_frexp_exp_i32_f64_e32 v52, v[28:29]
	v_cmp_gt_f64_e32 vcc, s[4:5], v[50:51]
	v_subbrev_co_u32_e32 v66, vcc, 0, v52, vcc
	v_sub_u32_e32 v50, 0, v66
	v_ldexp_f64 v[28:29], v[28:29], v50
	v_ldexp_f64 v[48:49], v[48:49], v50
	v_add_f64 v[50:51], v[28:29], -1.0
	v_add_f64 v[56:57], v[28:29], 1.0
	v_add_f64 v[52:53], v[50:51], 1.0
	v_add_f64 v[58:59], v[56:57], -1.0
	v_add_f64 v[52:53], v[28:29], -v[52:53]
	v_add_f64 v[28:29], v[28:29], -v[58:59]
	v_add_f64 v[28:29], v[48:49], v[28:29]
	v_add_f64 v[52:53], v[48:49], v[52:53]
	;; [unrolled: 1-line block ×3, first 2 shown]
	v_rcp_f64_e32 v[58:59], v[48:49]
	v_add_f64 v[54:55], v[50:51], v[52:53]
	v_add_f64 v[50:51], v[54:55], -v[50:51]
	v_add_f64 v[50:51], v[52:53], -v[50:51]
	;; [unrolled: 1-line block ×4, first 2 shown]
	v_fma_f64 v[52:53], -v[48:49], v[58:59], 1.0
	v_fmac_f64_e32 v[58:59], v[52:53], v[58:59]
	v_fma_f64 v[52:53], -v[48:49], v[58:59], 1.0
	v_fmac_f64_e32 v[58:59], v[52:53], v[58:59]
	v_mul_f64 v[52:53], v[54:55], v[58:59]
	v_mul_f64 v[56:57], v[48:49], v[52:53]
	v_fma_f64 v[60:61], v[52:53], v[48:49], -v[56:57]
	v_fmac_f64_e32 v[60:61], v[52:53], v[28:29]
	v_add_f64 v[62:63], v[56:57], v[60:61]
	v_add_f64 v[64:65], v[54:55], -v[62:63]
	v_add_f64 v[54:55], v[54:55], -v[64:65]
	;; [unrolled: 1-line block ×4, first 2 shown]
	v_add_f64 v[50:51], v[50:51], v[54:55]
	v_add_f64 v[54:55], v[56:57], -v[60:61]
	v_add_f64 v[50:51], v[54:55], v[50:51]
	v_add_f64 v[54:55], v[64:65], v[50:51]
	v_add_f64 v[56:57], v[64:65], -v[54:55]
	v_add_f64 v[50:51], v[50:51], v[56:57]
	v_mul_f64 v[56:57], v[58:59], v[54:55]
	v_mul_f64 v[60:61], v[48:49], v[56:57]
	v_fma_f64 v[48:49], v[56:57], v[48:49], -v[60:61]
	v_fmac_f64_e32 v[48:49], v[56:57], v[28:29]
	v_add_f64 v[28:29], v[60:61], v[48:49]
	v_add_f64 v[62:63], v[54:55], -v[28:29]
	v_add_f64 v[54:55], v[54:55], -v[62:63]
	;; [unrolled: 1-line block ×4, first 2 shown]
	v_add_f64 v[28:29], v[50:51], v[28:29]
	v_add_f64 v[48:49], v[60:61], -v[48:49]
	v_add_f64 v[28:29], v[48:49], v[28:29]
	v_add_f64 v[48:49], v[52:53], v[56:57]
	;; [unrolled: 1-line block ×3, first 2 shown]
	v_add_f64 v[50:51], v[48:49], -v[52:53]
	v_mul_f64 v[28:29], v[58:59], v[28:29]
	v_add_f64 v[50:51], v[56:57], -v[50:51]
	v_add_f64 v[28:29], v[50:51], v[28:29]
	v_add_f64 v[50:51], v[48:49], v[28:29]
	v_add_f64 v[48:49], v[50:51], -v[48:49]
	s_mov_b32 s4, 0xbf559e2b
	v_add_f64 v[28:29], v[28:29], -v[48:49]
	v_mul_f64 v[48:49], v[50:51], v[50:51]
	v_mov_b32_e32 v52, 0x6b47b09a
	v_mov_b32_e32 v53, 0x3fc38538
	s_mov_b32 s5, 0x3fc3ab76
	v_fmac_f64_e32 v[52:53], s[4:5], v[48:49]
	v_mov_b32_e32 v54, 0xd7f4df2e
	v_mov_b32_e32 v55, 0x3fc7474d
	v_fmac_f64_e32 v[54:55], v[48:49], v[52:53]
	v_mov_b32_e32 v52, 0x16291751
	v_mov_b32_e32 v53, 0x3fcc71c0
	;; [unrolled: 3-line block ×5, first 2 shown]
	v_fmac_f64_e32 v[54:55], v[48:49], v[52:53]
	v_cvt_f64_i32_e32 v[52:53], v66
	s_mov_b32 s25, 0x3fe62e42
	v_mul_f64 v[56:57], v[52:53], s[24:25]
	v_fma_f64 v[58:59], v[52:53], s[24:25], -v[56:57]
	s_mov_b32 s27, 0x3c7abc9e
	v_fmac_f64_e32 v[58:59], s[26:27], v[52:53]
	v_add_f64 v[52:53], v[56:57], v[58:59]
	v_add_f64 v[56:57], v[52:53], -v[56:57]
	v_mul_f64 v[48:49], v[50:51], v[48:49]
	v_add_f64 v[56:57], v[58:59], -v[56:57]
	v_ldexp_f64 v[58:59], v[50:51], 1
	v_mul_f64 v[48:49], v[48:49], v[54:55]
	v_add_f64 v[50:51], v[58:59], v[48:49]
	v_add_f64 v[54:55], v[50:51], -v[58:59]
	v_ldexp_f64 v[28:29], v[28:29], 1
	v_add_f64 v[48:49], v[48:49], -v[54:55]
	v_add_f64 v[28:29], v[28:29], v[48:49]
	v_add_f64 v[48:49], v[50:51], v[28:29]
	v_add_f64 v[50:51], v[48:49], -v[50:51]
	v_add_f64 v[28:29], v[28:29], -v[50:51]
	v_add_f64 v[50:51], v[52:53], v[48:49]
	v_add_f64 v[54:55], v[50:51], -v[52:53]
	v_add_f64 v[58:59], v[50:51], -v[54:55]
	;; [unrolled: 1-line block ×4, first 2 shown]
	v_add_f64 v[48:49], v[48:49], v[52:53]
	v_add_f64 v[52:53], v[56:57], v[28:29]
	v_add_f64 v[54:55], v[52:53], -v[56:57]
	v_add_f64 v[48:49], v[52:53], v[48:49]
	v_add_f64 v[58:59], v[52:53], -v[54:55]
	;; [unrolled: 2-line block ×3, first 2 shown]
	v_add_f64 v[28:29], v[28:29], -v[54:55]
	v_add_f64 v[50:51], v[52:53], -v[50:51]
	v_add_f64 v[28:29], v[28:29], v[56:57]
	v_add_f64 v[48:49], v[48:49], -v[50:51]
	s_mov_b32 s4, 0
	v_add_f64 v[28:29], v[28:29], v[48:49]
	s_mov_b32 s5, 0x7ff00000
	v_add_f64 v[28:29], v[52:53], v[28:29]
	v_cmp_eq_f64_e32 vcc, s[4:5], v[24:25]
	v_cndmask_b32_e32 v28, v28, v24, vcc
	v_cndmask_b32_e32 v29, v29, v25, vcc
	v_mov_b32_e32 v48, 0x7ff80000
	v_cmp_ngt_f64_e32 vcc, -1.0, v[24:25]
	v_cndmask_b32_e32 v29, v48, v29, vcc
	v_cmp_nge_f64_e32 vcc, -1.0, v[24:25]
	v_cndmask_b32_e32 v28, 0, v28, vcc
	v_mov_b32_e32 v48, 0xfff00000
	v_cmp_neq_f64_e32 vcc, -1.0, v[24:25]
	v_cndmask_b32_e32 v29, v48, v29, vcc
	v_add_f64 v[24:25], v[26:27], v[28:29]
.LBB30_166:
	s_or_b64 exec, exec, s[22:23]
	v_max_f64 v[26:27], v[24:25], v[24:25]
	v_min_f64 v[28:29], v[26:27], v[30:31]
	v_cmp_u_f64_e32 vcc, v[24:25], v[24:25]
	v_max_f64 v[26:27], v[26:27], v[30:31]
	v_cndmask_b32_e32 v28, v28, v24, vcc
	v_cndmask_b32_e32 v29, v29, v25, vcc
	v_cndmask_b32_e32 v26, v26, v24, vcc
	v_cndmask_b32_e32 v27, v27, v25, vcc
	v_cndmask_b32_e64 v49, v29, v19, s[6:7]
	v_cndmask_b32_e64 v48, v28, v18, s[6:7]
	;; [unrolled: 1-line block ×4, first 2 shown]
	s_movk_i32 s26, 0x1f8
	v_cmp_neq_f64_e32 vcc, v[48:49], v[28:29]
	v_cmp_class_f64_e64 s[4:5], v[48:49], s26
	s_or_b64 s[4:5], vcc, s[4:5]
	v_pk_mov_b32 v[26:27], v[24:25], v[24:25] op_sel:[0,1]
	s_and_saveexec_b64 s[6:7], s[4:5]
	s_cbranch_execz .LBB30_168
; %bb.167:
	s_mov_b32 s4, 0x652b82fe
	v_add_f64 v[26:27], v[48:49], -v[28:29]
	s_mov_b32 s5, 0x3ff71547
	v_mul_f64 v[30:31], v[26:27], s[4:5]
	v_rndne_f64_e32 v[30:31], v[30:31]
	s_mov_b32 s23, 0xbfe62e42
	s_mov_b32 s22, 0xfefa39ef
	v_fma_f64 v[48:49], s[22:23], v[30:31], v[26:27]
	s_mov_b32 s25, 0xbc7abc9e
	s_mov_b32 s24, 0x3b39803f
	;; [unrolled: 1-line block ×3, first 2 shown]
	v_fmac_f64_e32 v[48:49], s[24:25], v[30:31]
	v_mov_b32_e32 v50, 0xfca7ab0c
	v_mov_b32_e32 v51, 0x3e928af3
	s_mov_b32 s5, 0x3e5ade15
	v_fmac_f64_e32 v[50:51], s[4:5], v[48:49]
	v_mov_b32_e32 v52, 0x623fde64
	v_mov_b32_e32 v53, 0x3ec71dee
	v_fmac_f64_e32 v[52:53], v[48:49], v[50:51]
	v_mov_b32_e32 v50, 0x7c89e6b0
	v_mov_b32_e32 v51, 0x3efa0199
	;; [unrolled: 3-line block ×8, first 2 shown]
	s_mov_b32 s4, 0
	v_fmac_f64_e32 v[50:51], v[48:49], v[52:53]
	s_mov_b32 s5, 0x40900000
	v_fma_f64 v[50:51], v[48:49], v[50:51], 1.0
	v_cmp_nlt_f64_e32 vcc, s[4:5], v[26:27]
	s_mov_b32 s4, 0
	v_fma_f64 v[48:49], v[48:49], v[50:51], 1.0
	v_cvt_i32_f64_e32 v30, v[30:31]
	s_mov_b32 s5, 0xc090cc00
	v_ldexp_f64 v[30:31], v[48:49], v30
	v_mov_b32_e32 v48, 0x7ff00000
	v_cmp_ngt_f64_e64 s[4:5], s[4:5], v[26:27]
	v_cndmask_b32_e32 v31, v48, v31, vcc
	s_and_b64 vcc, s[4:5], vcc
	v_cndmask_b32_e64 v27, 0, v31, s[4:5]
	v_cndmask_b32_e32 v26, 0, v30, vcc
	v_add_f64 v[30:31], v[26:27], 1.0
	v_add_f64 v[48:49], v[30:31], -1.0
	v_add_f64 v[50:51], v[48:49], -v[30:31]
	v_add_f64 v[50:51], v[50:51], 1.0
	v_add_f64 v[48:49], v[26:27], -v[48:49]
	s_mov_b32 s4, 0x55555555
	v_add_f64 v[48:49], v[48:49], v[50:51]
	v_frexp_mant_f64_e32 v[50:51], v[30:31]
	s_mov_b32 s5, 0x3fe55555
	v_frexp_exp_i32_f64_e32 v52, v[30:31]
	v_cmp_gt_f64_e32 vcc, s[4:5], v[50:51]
	v_subbrev_co_u32_e32 v66, vcc, 0, v52, vcc
	v_sub_u32_e32 v50, 0, v66
	v_ldexp_f64 v[30:31], v[30:31], v50
	v_ldexp_f64 v[48:49], v[48:49], v50
	v_add_f64 v[50:51], v[30:31], -1.0
	v_add_f64 v[56:57], v[30:31], 1.0
	v_add_f64 v[52:53], v[50:51], 1.0
	v_add_f64 v[58:59], v[56:57], -1.0
	v_add_f64 v[52:53], v[30:31], -v[52:53]
	v_add_f64 v[30:31], v[30:31], -v[58:59]
	v_add_f64 v[30:31], v[48:49], v[30:31]
	v_add_f64 v[52:53], v[48:49], v[52:53]
	;; [unrolled: 1-line block ×3, first 2 shown]
	v_rcp_f64_e32 v[58:59], v[48:49]
	v_add_f64 v[54:55], v[50:51], v[52:53]
	v_add_f64 v[50:51], v[54:55], -v[50:51]
	v_add_f64 v[50:51], v[52:53], -v[50:51]
	;; [unrolled: 1-line block ×4, first 2 shown]
	v_fma_f64 v[52:53], -v[48:49], v[58:59], 1.0
	v_fmac_f64_e32 v[58:59], v[52:53], v[58:59]
	v_fma_f64 v[52:53], -v[48:49], v[58:59], 1.0
	v_fmac_f64_e32 v[58:59], v[52:53], v[58:59]
	v_mul_f64 v[52:53], v[54:55], v[58:59]
	v_mul_f64 v[56:57], v[48:49], v[52:53]
	v_fma_f64 v[60:61], v[52:53], v[48:49], -v[56:57]
	v_fmac_f64_e32 v[60:61], v[52:53], v[30:31]
	v_add_f64 v[62:63], v[56:57], v[60:61]
	v_add_f64 v[64:65], v[54:55], -v[62:63]
	v_add_f64 v[54:55], v[54:55], -v[64:65]
	;; [unrolled: 1-line block ×4, first 2 shown]
	v_add_f64 v[50:51], v[50:51], v[54:55]
	v_add_f64 v[54:55], v[56:57], -v[60:61]
	v_add_f64 v[50:51], v[54:55], v[50:51]
	v_add_f64 v[54:55], v[64:65], v[50:51]
	v_add_f64 v[56:57], v[64:65], -v[54:55]
	v_add_f64 v[50:51], v[50:51], v[56:57]
	v_mul_f64 v[56:57], v[58:59], v[54:55]
	v_mul_f64 v[60:61], v[48:49], v[56:57]
	v_fma_f64 v[48:49], v[56:57], v[48:49], -v[60:61]
	v_fmac_f64_e32 v[48:49], v[56:57], v[30:31]
	v_add_f64 v[30:31], v[60:61], v[48:49]
	v_add_f64 v[62:63], v[54:55], -v[30:31]
	v_add_f64 v[54:55], v[54:55], -v[62:63]
	;; [unrolled: 1-line block ×4, first 2 shown]
	v_add_f64 v[30:31], v[50:51], v[30:31]
	v_add_f64 v[48:49], v[60:61], -v[48:49]
	v_add_f64 v[30:31], v[48:49], v[30:31]
	v_add_f64 v[48:49], v[52:53], v[56:57]
	v_add_f64 v[30:31], v[62:63], v[30:31]
	v_add_f64 v[50:51], v[48:49], -v[52:53]
	v_mul_f64 v[30:31], v[58:59], v[30:31]
	v_add_f64 v[50:51], v[56:57], -v[50:51]
	v_add_f64 v[30:31], v[50:51], v[30:31]
	v_add_f64 v[50:51], v[48:49], v[30:31]
	v_add_f64 v[48:49], v[50:51], -v[48:49]
	s_mov_b32 s4, 0xbf559e2b
	v_add_f64 v[30:31], v[30:31], -v[48:49]
	v_mul_f64 v[48:49], v[50:51], v[50:51]
	v_mov_b32_e32 v52, 0x6b47b09a
	v_mov_b32_e32 v53, 0x3fc38538
	s_mov_b32 s5, 0x3fc3ab76
	v_fmac_f64_e32 v[52:53], s[4:5], v[48:49]
	v_mov_b32_e32 v54, 0xd7f4df2e
	v_mov_b32_e32 v55, 0x3fc7474d
	v_fmac_f64_e32 v[54:55], v[48:49], v[52:53]
	v_mov_b32_e32 v52, 0x16291751
	v_mov_b32_e32 v53, 0x3fcc71c0
	;; [unrolled: 3-line block ×5, first 2 shown]
	v_fmac_f64_e32 v[54:55], v[48:49], v[52:53]
	v_cvt_f64_i32_e32 v[52:53], v66
	s_mov_b32 s23, 0x3fe62e42
	v_mul_f64 v[56:57], v[52:53], s[22:23]
	v_fma_f64 v[58:59], v[52:53], s[22:23], -v[56:57]
	s_mov_b32 s25, 0x3c7abc9e
	v_fmac_f64_e32 v[58:59], s[24:25], v[52:53]
	v_add_f64 v[52:53], v[56:57], v[58:59]
	v_add_f64 v[56:57], v[52:53], -v[56:57]
	v_mul_f64 v[48:49], v[50:51], v[48:49]
	v_add_f64 v[56:57], v[58:59], -v[56:57]
	v_ldexp_f64 v[58:59], v[50:51], 1
	v_mul_f64 v[48:49], v[48:49], v[54:55]
	v_add_f64 v[50:51], v[58:59], v[48:49]
	v_add_f64 v[54:55], v[50:51], -v[58:59]
	v_ldexp_f64 v[30:31], v[30:31], 1
	v_add_f64 v[48:49], v[48:49], -v[54:55]
	v_add_f64 v[30:31], v[30:31], v[48:49]
	v_add_f64 v[48:49], v[50:51], v[30:31]
	v_add_f64 v[50:51], v[48:49], -v[50:51]
	v_add_f64 v[30:31], v[30:31], -v[50:51]
	v_add_f64 v[50:51], v[52:53], v[48:49]
	v_add_f64 v[54:55], v[50:51], -v[52:53]
	v_add_f64 v[58:59], v[50:51], -v[54:55]
	;; [unrolled: 1-line block ×4, first 2 shown]
	v_add_f64 v[48:49], v[48:49], v[52:53]
	v_add_f64 v[52:53], v[56:57], v[30:31]
	v_add_f64 v[54:55], v[52:53], -v[56:57]
	v_add_f64 v[48:49], v[52:53], v[48:49]
	v_add_f64 v[58:59], v[52:53], -v[54:55]
	;; [unrolled: 2-line block ×3, first 2 shown]
	v_add_f64 v[30:31], v[30:31], -v[54:55]
	v_add_f64 v[50:51], v[52:53], -v[50:51]
	v_add_f64 v[30:31], v[30:31], v[56:57]
	v_add_f64 v[48:49], v[48:49], -v[50:51]
	s_mov_b32 s4, 0
	v_add_f64 v[30:31], v[30:31], v[48:49]
	s_mov_b32 s5, 0x7ff00000
	v_add_f64 v[30:31], v[52:53], v[30:31]
	v_cmp_eq_f64_e32 vcc, s[4:5], v[26:27]
	v_cndmask_b32_e32 v30, v30, v26, vcc
	v_cndmask_b32_e32 v31, v31, v27, vcc
	v_mov_b32_e32 v48, 0x7ff80000
	v_cmp_ngt_f64_e32 vcc, -1.0, v[26:27]
	v_cndmask_b32_e32 v31, v48, v31, vcc
	v_cmp_nge_f64_e32 vcc, -1.0, v[26:27]
	v_cndmask_b32_e32 v30, 0, v30, vcc
	v_mov_b32_e32 v48, 0xfff00000
	v_cmp_neq_f64_e32 vcc, -1.0, v[26:27]
	v_cndmask_b32_e32 v31, v48, v31, vcc
	v_add_f64 v[26:27], v[28:29], v[30:31]
.LBB30_168:
	s_or_b64 exec, exec, s[6:7]
	v_max_f64 v[28:29], v[26:27], v[26:27]
	v_min_f64 v[30:31], v[28:29], v[32:33]
	v_cmp_u_f64_e32 vcc, v[26:27], v[26:27]
	v_max_f64 v[28:29], v[28:29], v[32:33]
	v_cndmask_b32_e32 v30, v30, v26, vcc
	v_cndmask_b32_e32 v31, v31, v27, vcc
	;; [unrolled: 1-line block ×4, first 2 shown]
	v_cndmask_b32_e64 v49, v31, v21, s[8:9]
	v_cndmask_b32_e64 v48, v30, v20, s[8:9]
	;; [unrolled: 1-line block ×4, first 2 shown]
	v_cmp_neq_f64_e32 vcc, v[48:49], v[30:31]
	v_cmp_class_f64_e64 s[4:5], v[48:49], s26
	s_or_b64 s[4:5], vcc, s[4:5]
	v_pk_mov_b32 v[28:29], v[26:27], v[26:27] op_sel:[0,1]
	s_and_saveexec_b64 s[6:7], s[4:5]
	s_cbranch_execz .LBB30_170
; %bb.169:
	s_mov_b32 s4, 0x652b82fe
	v_add_f64 v[28:29], v[48:49], -v[30:31]
	s_mov_b32 s5, 0x3ff71547
	v_mul_f64 v[32:33], v[28:29], s[4:5]
	v_rndne_f64_e32 v[32:33], v[32:33]
	s_mov_b32 s9, 0xbfe62e42
	s_mov_b32 s8, 0xfefa39ef
	v_fma_f64 v[48:49], s[8:9], v[32:33], v[28:29]
	s_mov_b32 s23, 0xbc7abc9e
	s_mov_b32 s22, 0x3b39803f
	;; [unrolled: 1-line block ×3, first 2 shown]
	v_fmac_f64_e32 v[48:49], s[22:23], v[32:33]
	v_mov_b32_e32 v50, 0xfca7ab0c
	v_mov_b32_e32 v51, 0x3e928af3
	s_mov_b32 s5, 0x3e5ade15
	v_fmac_f64_e32 v[50:51], s[4:5], v[48:49]
	v_mov_b32_e32 v52, 0x623fde64
	v_mov_b32_e32 v53, 0x3ec71dee
	v_fmac_f64_e32 v[52:53], v[48:49], v[50:51]
	v_mov_b32_e32 v50, 0x7c89e6b0
	v_mov_b32_e32 v51, 0x3efa0199
	;; [unrolled: 3-line block ×8, first 2 shown]
	s_mov_b32 s4, 0
	v_fmac_f64_e32 v[50:51], v[48:49], v[52:53]
	s_mov_b32 s5, 0x40900000
	v_fma_f64 v[50:51], v[48:49], v[50:51], 1.0
	v_cmp_nlt_f64_e32 vcc, s[4:5], v[28:29]
	s_mov_b32 s4, 0
	v_fma_f64 v[48:49], v[48:49], v[50:51], 1.0
	v_cvt_i32_f64_e32 v32, v[32:33]
	s_mov_b32 s5, 0xc090cc00
	v_ldexp_f64 v[32:33], v[48:49], v32
	v_mov_b32_e32 v48, 0x7ff00000
	v_cmp_ngt_f64_e64 s[4:5], s[4:5], v[28:29]
	v_cndmask_b32_e32 v33, v48, v33, vcc
	s_and_b64 vcc, s[4:5], vcc
	v_cndmask_b32_e64 v29, 0, v33, s[4:5]
	v_cndmask_b32_e32 v28, 0, v32, vcc
	v_add_f64 v[32:33], v[28:29], 1.0
	v_add_f64 v[48:49], v[32:33], -1.0
	v_add_f64 v[50:51], v[48:49], -v[32:33]
	v_add_f64 v[50:51], v[50:51], 1.0
	v_add_f64 v[48:49], v[28:29], -v[48:49]
	s_mov_b32 s4, 0x55555555
	v_add_f64 v[48:49], v[48:49], v[50:51]
	v_frexp_mant_f64_e32 v[50:51], v[32:33]
	s_mov_b32 s5, 0x3fe55555
	v_frexp_exp_i32_f64_e32 v52, v[32:33]
	v_cmp_gt_f64_e32 vcc, s[4:5], v[50:51]
	v_subbrev_co_u32_e32 v66, vcc, 0, v52, vcc
	v_sub_u32_e32 v50, 0, v66
	v_ldexp_f64 v[32:33], v[32:33], v50
	v_ldexp_f64 v[48:49], v[48:49], v50
	v_add_f64 v[50:51], v[32:33], -1.0
	v_add_f64 v[56:57], v[32:33], 1.0
	v_add_f64 v[52:53], v[50:51], 1.0
	v_add_f64 v[58:59], v[56:57], -1.0
	v_add_f64 v[52:53], v[32:33], -v[52:53]
	v_add_f64 v[32:33], v[32:33], -v[58:59]
	v_add_f64 v[32:33], v[48:49], v[32:33]
	v_add_f64 v[52:53], v[48:49], v[52:53]
	;; [unrolled: 1-line block ×3, first 2 shown]
	v_rcp_f64_e32 v[58:59], v[48:49]
	v_add_f64 v[54:55], v[50:51], v[52:53]
	v_add_f64 v[50:51], v[54:55], -v[50:51]
	v_add_f64 v[50:51], v[52:53], -v[50:51]
	v_add_f64 v[52:53], v[48:49], -v[56:57]
	v_add_f64 v[32:33], v[32:33], -v[52:53]
	v_fma_f64 v[52:53], -v[48:49], v[58:59], 1.0
	v_fmac_f64_e32 v[58:59], v[52:53], v[58:59]
	v_fma_f64 v[52:53], -v[48:49], v[58:59], 1.0
	v_fmac_f64_e32 v[58:59], v[52:53], v[58:59]
	v_mul_f64 v[52:53], v[54:55], v[58:59]
	v_mul_f64 v[56:57], v[48:49], v[52:53]
	v_fma_f64 v[60:61], v[52:53], v[48:49], -v[56:57]
	v_fmac_f64_e32 v[60:61], v[52:53], v[32:33]
	v_add_f64 v[62:63], v[56:57], v[60:61]
	v_add_f64 v[64:65], v[54:55], -v[62:63]
	v_add_f64 v[54:55], v[54:55], -v[64:65]
	;; [unrolled: 1-line block ×4, first 2 shown]
	v_add_f64 v[50:51], v[50:51], v[54:55]
	v_add_f64 v[54:55], v[56:57], -v[60:61]
	v_add_f64 v[50:51], v[54:55], v[50:51]
	v_add_f64 v[54:55], v[64:65], v[50:51]
	v_add_f64 v[56:57], v[64:65], -v[54:55]
	v_add_f64 v[50:51], v[50:51], v[56:57]
	v_mul_f64 v[56:57], v[58:59], v[54:55]
	v_mul_f64 v[60:61], v[48:49], v[56:57]
	v_fma_f64 v[48:49], v[56:57], v[48:49], -v[60:61]
	v_fmac_f64_e32 v[48:49], v[56:57], v[32:33]
	v_add_f64 v[32:33], v[60:61], v[48:49]
	v_add_f64 v[62:63], v[54:55], -v[32:33]
	v_add_f64 v[54:55], v[54:55], -v[62:63]
	;; [unrolled: 1-line block ×4, first 2 shown]
	v_add_f64 v[32:33], v[50:51], v[32:33]
	v_add_f64 v[48:49], v[60:61], -v[48:49]
	v_add_f64 v[32:33], v[48:49], v[32:33]
	v_add_f64 v[48:49], v[52:53], v[56:57]
	;; [unrolled: 1-line block ×3, first 2 shown]
	v_add_f64 v[50:51], v[48:49], -v[52:53]
	v_mul_f64 v[32:33], v[58:59], v[32:33]
	v_add_f64 v[50:51], v[56:57], -v[50:51]
	v_add_f64 v[32:33], v[50:51], v[32:33]
	v_add_f64 v[50:51], v[48:49], v[32:33]
	v_add_f64 v[48:49], v[50:51], -v[48:49]
	s_mov_b32 s4, 0xbf559e2b
	v_add_f64 v[32:33], v[32:33], -v[48:49]
	v_mul_f64 v[48:49], v[50:51], v[50:51]
	v_mov_b32_e32 v52, 0x6b47b09a
	v_mov_b32_e32 v53, 0x3fc38538
	s_mov_b32 s5, 0x3fc3ab76
	v_fmac_f64_e32 v[52:53], s[4:5], v[48:49]
	v_mov_b32_e32 v54, 0xd7f4df2e
	v_mov_b32_e32 v55, 0x3fc7474d
	v_fmac_f64_e32 v[54:55], v[48:49], v[52:53]
	v_mov_b32_e32 v52, 0x16291751
	v_mov_b32_e32 v53, 0x3fcc71c0
	;; [unrolled: 3-line block ×5, first 2 shown]
	v_fmac_f64_e32 v[54:55], v[48:49], v[52:53]
	v_cvt_f64_i32_e32 v[52:53], v66
	s_mov_b32 s9, 0x3fe62e42
	v_mul_f64 v[56:57], v[52:53], s[8:9]
	v_fma_f64 v[58:59], v[52:53], s[8:9], -v[56:57]
	s_mov_b32 s23, 0x3c7abc9e
	v_fmac_f64_e32 v[58:59], s[22:23], v[52:53]
	v_add_f64 v[52:53], v[56:57], v[58:59]
	v_add_f64 v[56:57], v[52:53], -v[56:57]
	v_mul_f64 v[48:49], v[50:51], v[48:49]
	v_add_f64 v[56:57], v[58:59], -v[56:57]
	v_ldexp_f64 v[58:59], v[50:51], 1
	v_mul_f64 v[48:49], v[48:49], v[54:55]
	v_add_f64 v[50:51], v[58:59], v[48:49]
	v_add_f64 v[54:55], v[50:51], -v[58:59]
	v_ldexp_f64 v[32:33], v[32:33], 1
	v_add_f64 v[48:49], v[48:49], -v[54:55]
	v_add_f64 v[32:33], v[32:33], v[48:49]
	v_add_f64 v[48:49], v[50:51], v[32:33]
	v_add_f64 v[50:51], v[48:49], -v[50:51]
	v_add_f64 v[32:33], v[32:33], -v[50:51]
	v_add_f64 v[50:51], v[52:53], v[48:49]
	v_add_f64 v[54:55], v[50:51], -v[52:53]
	v_add_f64 v[58:59], v[50:51], -v[54:55]
	;; [unrolled: 1-line block ×4, first 2 shown]
	v_add_f64 v[48:49], v[48:49], v[52:53]
	v_add_f64 v[52:53], v[56:57], v[32:33]
	v_add_f64 v[54:55], v[52:53], -v[56:57]
	v_add_f64 v[48:49], v[52:53], v[48:49]
	v_add_f64 v[58:59], v[52:53], -v[54:55]
	;; [unrolled: 2-line block ×3, first 2 shown]
	v_add_f64 v[32:33], v[32:33], -v[54:55]
	v_add_f64 v[50:51], v[52:53], -v[50:51]
	v_add_f64 v[32:33], v[32:33], v[56:57]
	v_add_f64 v[48:49], v[48:49], -v[50:51]
	s_mov_b32 s4, 0
	v_add_f64 v[32:33], v[32:33], v[48:49]
	s_mov_b32 s5, 0x7ff00000
	v_add_f64 v[32:33], v[52:53], v[32:33]
	v_cmp_eq_f64_e32 vcc, s[4:5], v[28:29]
	v_cndmask_b32_e32 v32, v32, v28, vcc
	v_cndmask_b32_e32 v33, v33, v29, vcc
	v_mov_b32_e32 v48, 0x7ff80000
	v_cmp_ngt_f64_e32 vcc, -1.0, v[28:29]
	v_cndmask_b32_e32 v33, v48, v33, vcc
	v_cmp_nge_f64_e32 vcc, -1.0, v[28:29]
	v_cndmask_b32_e32 v32, 0, v32, vcc
	v_mov_b32_e32 v48, 0xfff00000
	v_cmp_neq_f64_e32 vcc, -1.0, v[28:29]
	v_cndmask_b32_e32 v33, v48, v33, vcc
	v_add_f64 v[28:29], v[30:31], v[32:33]
.LBB30_170:
	s_or_b64 exec, exec, s[6:7]
	v_max_f64 v[30:31], v[28:29], v[28:29]
	v_min_f64 v[32:33], v[30:31], v[34:35]
	v_cmp_u_f64_e32 vcc, v[28:29], v[28:29]
	v_max_f64 v[30:31], v[30:31], v[34:35]
	v_cndmask_b32_e32 v32, v32, v28, vcc
	v_cndmask_b32_e32 v33, v33, v29, vcc
	;; [unrolled: 1-line block ×4, first 2 shown]
	v_cndmask_b32_e64 v49, v33, v15, s[10:11]
	v_cndmask_b32_e64 v48, v32, v14, s[10:11]
	;; [unrolled: 1-line block ×4, first 2 shown]
	s_movk_i32 s22, 0x1f8
	v_cmp_neq_f64_e32 vcc, v[48:49], v[32:33]
	v_cmp_class_f64_e64 s[4:5], v[48:49], s22
	s_or_b64 s[4:5], vcc, s[4:5]
	v_pk_mov_b32 v[30:31], v[28:29], v[28:29] op_sel:[0,1]
	s_and_saveexec_b64 s[6:7], s[4:5]
	s_cbranch_execz .LBB30_172
; %bb.171:
	s_mov_b32 s4, 0x652b82fe
	v_add_f64 v[30:31], v[48:49], -v[32:33]
	s_mov_b32 s5, 0x3ff71547
	v_mul_f64 v[34:35], v[30:31], s[4:5]
	v_rndne_f64_e32 v[34:35], v[34:35]
	s_mov_b32 s9, 0xbfe62e42
	s_mov_b32 s8, 0xfefa39ef
	v_fma_f64 v[48:49], s[8:9], v[34:35], v[30:31]
	s_mov_b32 s11, 0xbc7abc9e
	s_mov_b32 s10, 0x3b39803f
	;; [unrolled: 1-line block ×3, first 2 shown]
	v_fmac_f64_e32 v[48:49], s[10:11], v[34:35]
	v_mov_b32_e32 v50, 0xfca7ab0c
	v_mov_b32_e32 v51, 0x3e928af3
	s_mov_b32 s5, 0x3e5ade15
	v_fmac_f64_e32 v[50:51], s[4:5], v[48:49]
	v_mov_b32_e32 v52, 0x623fde64
	v_mov_b32_e32 v53, 0x3ec71dee
	v_fmac_f64_e32 v[52:53], v[48:49], v[50:51]
	v_mov_b32_e32 v50, 0x7c89e6b0
	v_mov_b32_e32 v51, 0x3efa0199
	;; [unrolled: 3-line block ×8, first 2 shown]
	s_mov_b32 s4, 0
	v_fmac_f64_e32 v[50:51], v[48:49], v[52:53]
	s_mov_b32 s5, 0x40900000
	v_fma_f64 v[50:51], v[48:49], v[50:51], 1.0
	v_cmp_nlt_f64_e32 vcc, s[4:5], v[30:31]
	s_mov_b32 s4, 0
	v_fma_f64 v[48:49], v[48:49], v[50:51], 1.0
	v_cvt_i32_f64_e32 v34, v[34:35]
	s_mov_b32 s5, 0xc090cc00
	v_ldexp_f64 v[34:35], v[48:49], v34
	v_mov_b32_e32 v48, 0x7ff00000
	v_cmp_ngt_f64_e64 s[4:5], s[4:5], v[30:31]
	v_cndmask_b32_e32 v35, v48, v35, vcc
	s_and_b64 vcc, s[4:5], vcc
	v_cndmask_b32_e64 v31, 0, v35, s[4:5]
	v_cndmask_b32_e32 v30, 0, v34, vcc
	v_add_f64 v[34:35], v[30:31], 1.0
	v_add_f64 v[48:49], v[34:35], -1.0
	v_add_f64 v[50:51], v[48:49], -v[34:35]
	v_add_f64 v[50:51], v[50:51], 1.0
	v_add_f64 v[48:49], v[30:31], -v[48:49]
	s_mov_b32 s4, 0x55555555
	v_add_f64 v[48:49], v[48:49], v[50:51]
	v_frexp_mant_f64_e32 v[50:51], v[34:35]
	s_mov_b32 s5, 0x3fe55555
	v_frexp_exp_i32_f64_e32 v52, v[34:35]
	v_cmp_gt_f64_e32 vcc, s[4:5], v[50:51]
	v_subbrev_co_u32_e32 v66, vcc, 0, v52, vcc
	v_sub_u32_e32 v50, 0, v66
	v_ldexp_f64 v[34:35], v[34:35], v50
	v_ldexp_f64 v[48:49], v[48:49], v50
	v_add_f64 v[50:51], v[34:35], -1.0
	v_add_f64 v[56:57], v[34:35], 1.0
	v_add_f64 v[52:53], v[50:51], 1.0
	v_add_f64 v[58:59], v[56:57], -1.0
	v_add_f64 v[52:53], v[34:35], -v[52:53]
	v_add_f64 v[34:35], v[34:35], -v[58:59]
	v_add_f64 v[34:35], v[48:49], v[34:35]
	v_add_f64 v[52:53], v[48:49], v[52:53]
	;; [unrolled: 1-line block ×3, first 2 shown]
	v_rcp_f64_e32 v[58:59], v[48:49]
	v_add_f64 v[54:55], v[50:51], v[52:53]
	v_add_f64 v[50:51], v[54:55], -v[50:51]
	v_add_f64 v[50:51], v[52:53], -v[50:51]
	;; [unrolled: 1-line block ×4, first 2 shown]
	v_fma_f64 v[52:53], -v[48:49], v[58:59], 1.0
	v_fmac_f64_e32 v[58:59], v[52:53], v[58:59]
	v_fma_f64 v[52:53], -v[48:49], v[58:59], 1.0
	v_fmac_f64_e32 v[58:59], v[52:53], v[58:59]
	v_mul_f64 v[52:53], v[54:55], v[58:59]
	v_mul_f64 v[56:57], v[48:49], v[52:53]
	v_fma_f64 v[60:61], v[52:53], v[48:49], -v[56:57]
	v_fmac_f64_e32 v[60:61], v[52:53], v[34:35]
	v_add_f64 v[62:63], v[56:57], v[60:61]
	v_add_f64 v[64:65], v[54:55], -v[62:63]
	v_add_f64 v[54:55], v[54:55], -v[64:65]
	;; [unrolled: 1-line block ×4, first 2 shown]
	v_add_f64 v[50:51], v[50:51], v[54:55]
	v_add_f64 v[54:55], v[56:57], -v[60:61]
	v_add_f64 v[50:51], v[54:55], v[50:51]
	v_add_f64 v[54:55], v[64:65], v[50:51]
	v_add_f64 v[56:57], v[64:65], -v[54:55]
	v_add_f64 v[50:51], v[50:51], v[56:57]
	v_mul_f64 v[56:57], v[58:59], v[54:55]
	v_mul_f64 v[60:61], v[48:49], v[56:57]
	v_fma_f64 v[48:49], v[56:57], v[48:49], -v[60:61]
	v_fmac_f64_e32 v[48:49], v[56:57], v[34:35]
	v_add_f64 v[34:35], v[60:61], v[48:49]
	v_add_f64 v[62:63], v[54:55], -v[34:35]
	v_add_f64 v[54:55], v[54:55], -v[62:63]
	;; [unrolled: 1-line block ×4, first 2 shown]
	v_add_f64 v[34:35], v[50:51], v[34:35]
	v_add_f64 v[48:49], v[60:61], -v[48:49]
	v_add_f64 v[34:35], v[48:49], v[34:35]
	v_add_f64 v[48:49], v[52:53], v[56:57]
	;; [unrolled: 1-line block ×3, first 2 shown]
	v_add_f64 v[50:51], v[48:49], -v[52:53]
	v_mul_f64 v[34:35], v[58:59], v[34:35]
	v_add_f64 v[50:51], v[56:57], -v[50:51]
	v_add_f64 v[34:35], v[50:51], v[34:35]
	v_add_f64 v[50:51], v[48:49], v[34:35]
	v_add_f64 v[48:49], v[50:51], -v[48:49]
	s_mov_b32 s4, 0xbf559e2b
	v_add_f64 v[34:35], v[34:35], -v[48:49]
	v_mul_f64 v[48:49], v[50:51], v[50:51]
	v_mov_b32_e32 v52, 0x6b47b09a
	v_mov_b32_e32 v53, 0x3fc38538
	s_mov_b32 s5, 0x3fc3ab76
	v_fmac_f64_e32 v[52:53], s[4:5], v[48:49]
	v_mov_b32_e32 v54, 0xd7f4df2e
	v_mov_b32_e32 v55, 0x3fc7474d
	v_fmac_f64_e32 v[54:55], v[48:49], v[52:53]
	v_mov_b32_e32 v52, 0x16291751
	v_mov_b32_e32 v53, 0x3fcc71c0
	v_fmac_f64_e32 v[52:53], v[48:49], v[54:55]
	v_mov_b32_e32 v54, 0x9b27acf1
	v_mov_b32_e32 v55, 0x3fd24924
	v_fmac_f64_e32 v[54:55], v[48:49], v[52:53]
	v_mov_b32_e32 v52, 0x998ef7b6
	v_mov_b32_e32 v53, 0x3fd99999
	v_fmac_f64_e32 v[52:53], v[48:49], v[54:55]
	v_mov_b32_e32 v54, 0x55555780
	v_mov_b32_e32 v55, 0x3fe55555
	v_fmac_f64_e32 v[54:55], v[48:49], v[52:53]
	v_cvt_f64_i32_e32 v[52:53], v66
	s_mov_b32 s9, 0x3fe62e42
	v_mul_f64 v[56:57], v[52:53], s[8:9]
	v_fma_f64 v[58:59], v[52:53], s[8:9], -v[56:57]
	s_mov_b32 s11, 0x3c7abc9e
	v_fmac_f64_e32 v[58:59], s[10:11], v[52:53]
	v_add_f64 v[52:53], v[56:57], v[58:59]
	v_add_f64 v[56:57], v[52:53], -v[56:57]
	v_mul_f64 v[48:49], v[50:51], v[48:49]
	v_add_f64 v[56:57], v[58:59], -v[56:57]
	v_ldexp_f64 v[58:59], v[50:51], 1
	v_mul_f64 v[48:49], v[48:49], v[54:55]
	v_add_f64 v[50:51], v[58:59], v[48:49]
	v_add_f64 v[54:55], v[50:51], -v[58:59]
	v_ldexp_f64 v[34:35], v[34:35], 1
	v_add_f64 v[48:49], v[48:49], -v[54:55]
	v_add_f64 v[34:35], v[34:35], v[48:49]
	v_add_f64 v[48:49], v[50:51], v[34:35]
	v_add_f64 v[50:51], v[48:49], -v[50:51]
	v_add_f64 v[34:35], v[34:35], -v[50:51]
	v_add_f64 v[50:51], v[52:53], v[48:49]
	v_add_f64 v[54:55], v[50:51], -v[52:53]
	v_add_f64 v[58:59], v[50:51], -v[54:55]
	;; [unrolled: 1-line block ×4, first 2 shown]
	v_add_f64 v[48:49], v[48:49], v[52:53]
	v_add_f64 v[52:53], v[56:57], v[34:35]
	v_add_f64 v[54:55], v[52:53], -v[56:57]
	v_add_f64 v[48:49], v[52:53], v[48:49]
	v_add_f64 v[58:59], v[52:53], -v[54:55]
	;; [unrolled: 2-line block ×3, first 2 shown]
	v_add_f64 v[34:35], v[34:35], -v[54:55]
	v_add_f64 v[50:51], v[52:53], -v[50:51]
	v_add_f64 v[34:35], v[34:35], v[56:57]
	v_add_f64 v[48:49], v[48:49], -v[50:51]
	s_mov_b32 s4, 0
	v_add_f64 v[34:35], v[34:35], v[48:49]
	s_mov_b32 s5, 0x7ff00000
	v_add_f64 v[34:35], v[52:53], v[34:35]
	v_cmp_eq_f64_e32 vcc, s[4:5], v[30:31]
	v_cndmask_b32_e32 v34, v34, v30, vcc
	v_cndmask_b32_e32 v35, v35, v31, vcc
	v_mov_b32_e32 v48, 0x7ff80000
	v_cmp_ngt_f64_e32 vcc, -1.0, v[30:31]
	v_cndmask_b32_e32 v35, v48, v35, vcc
	v_cmp_nge_f64_e32 vcc, -1.0, v[30:31]
	v_cndmask_b32_e32 v34, 0, v34, vcc
	v_mov_b32_e32 v48, 0xfff00000
	v_cmp_neq_f64_e32 vcc, -1.0, v[30:31]
	v_cndmask_b32_e32 v35, v48, v35, vcc
	v_add_f64 v[30:31], v[32:33], v[34:35]
.LBB30_172:
	s_or_b64 exec, exec, s[6:7]
	v_max_f64 v[32:33], v[30:31], v[30:31]
	v_min_f64 v[34:35], v[32:33], v[36:37]
	v_cmp_u_f64_e32 vcc, v[30:31], v[30:31]
	v_max_f64 v[32:33], v[32:33], v[36:37]
	v_cndmask_b32_e32 v34, v34, v30, vcc
	v_cndmask_b32_e32 v35, v35, v31, vcc
	;; [unrolled: 1-line block ×4, first 2 shown]
	v_cndmask_b32_e64 v49, v35, v17, s[12:13]
	v_cndmask_b32_e64 v48, v34, v16, s[12:13]
	;; [unrolled: 1-line block ×4, first 2 shown]
	v_cmp_neq_f64_e32 vcc, v[48:49], v[34:35]
	v_cmp_class_f64_e64 s[4:5], v[48:49], s22
	s_or_b64 s[4:5], vcc, s[4:5]
	v_pk_mov_b32 v[32:33], v[30:31], v[30:31] op_sel:[0,1]
	s_and_saveexec_b64 s[6:7], s[4:5]
	s_cbranch_execz .LBB30_174
; %bb.173:
	s_mov_b32 s4, 0x652b82fe
	v_add_f64 v[32:33], v[48:49], -v[34:35]
	s_mov_b32 s5, 0x3ff71547
	v_mul_f64 v[36:37], v[32:33], s[4:5]
	v_rndne_f64_e32 v[36:37], v[36:37]
	s_mov_b32 s9, 0xbfe62e42
	s_mov_b32 s8, 0xfefa39ef
	v_fma_f64 v[48:49], s[8:9], v[36:37], v[32:33]
	s_mov_b32 s11, 0xbc7abc9e
	s_mov_b32 s10, 0x3b39803f
	;; [unrolled: 1-line block ×3, first 2 shown]
	v_fmac_f64_e32 v[48:49], s[10:11], v[36:37]
	v_mov_b32_e32 v50, 0xfca7ab0c
	v_mov_b32_e32 v51, 0x3e928af3
	s_mov_b32 s5, 0x3e5ade15
	v_fmac_f64_e32 v[50:51], s[4:5], v[48:49]
	v_mov_b32_e32 v52, 0x623fde64
	v_mov_b32_e32 v53, 0x3ec71dee
	v_fmac_f64_e32 v[52:53], v[48:49], v[50:51]
	v_mov_b32_e32 v50, 0x7c89e6b0
	v_mov_b32_e32 v51, 0x3efa0199
	;; [unrolled: 3-line block ×8, first 2 shown]
	s_mov_b32 s4, 0
	v_fmac_f64_e32 v[50:51], v[48:49], v[52:53]
	s_mov_b32 s5, 0x40900000
	v_fma_f64 v[50:51], v[48:49], v[50:51], 1.0
	v_cmp_nlt_f64_e32 vcc, s[4:5], v[32:33]
	s_mov_b32 s4, 0
	v_fma_f64 v[48:49], v[48:49], v[50:51], 1.0
	v_cvt_i32_f64_e32 v36, v[36:37]
	s_mov_b32 s5, 0xc090cc00
	v_ldexp_f64 v[36:37], v[48:49], v36
	v_mov_b32_e32 v48, 0x7ff00000
	v_cmp_ngt_f64_e64 s[4:5], s[4:5], v[32:33]
	v_cndmask_b32_e32 v37, v48, v37, vcc
	s_and_b64 vcc, s[4:5], vcc
	v_cndmask_b32_e64 v33, 0, v37, s[4:5]
	v_cndmask_b32_e32 v32, 0, v36, vcc
	v_add_f64 v[36:37], v[32:33], 1.0
	v_add_f64 v[48:49], v[36:37], -1.0
	v_add_f64 v[50:51], v[48:49], -v[36:37]
	v_add_f64 v[50:51], v[50:51], 1.0
	v_add_f64 v[48:49], v[32:33], -v[48:49]
	s_mov_b32 s4, 0x55555555
	v_add_f64 v[48:49], v[48:49], v[50:51]
	v_frexp_mant_f64_e32 v[50:51], v[36:37]
	s_mov_b32 s5, 0x3fe55555
	v_frexp_exp_i32_f64_e32 v52, v[36:37]
	v_cmp_gt_f64_e32 vcc, s[4:5], v[50:51]
	v_subbrev_co_u32_e32 v66, vcc, 0, v52, vcc
	v_sub_u32_e32 v50, 0, v66
	v_ldexp_f64 v[36:37], v[36:37], v50
	v_ldexp_f64 v[48:49], v[48:49], v50
	v_add_f64 v[50:51], v[36:37], -1.0
	v_add_f64 v[56:57], v[36:37], 1.0
	v_add_f64 v[52:53], v[50:51], 1.0
	v_add_f64 v[58:59], v[56:57], -1.0
	v_add_f64 v[52:53], v[36:37], -v[52:53]
	v_add_f64 v[36:37], v[36:37], -v[58:59]
	v_add_f64 v[36:37], v[48:49], v[36:37]
	v_add_f64 v[52:53], v[48:49], v[52:53]
	;; [unrolled: 1-line block ×3, first 2 shown]
	v_rcp_f64_e32 v[58:59], v[48:49]
	v_add_f64 v[54:55], v[50:51], v[52:53]
	v_add_f64 v[50:51], v[54:55], -v[50:51]
	v_add_f64 v[50:51], v[52:53], -v[50:51]
	;; [unrolled: 1-line block ×4, first 2 shown]
	v_fma_f64 v[52:53], -v[48:49], v[58:59], 1.0
	v_fmac_f64_e32 v[58:59], v[52:53], v[58:59]
	v_fma_f64 v[52:53], -v[48:49], v[58:59], 1.0
	v_fmac_f64_e32 v[58:59], v[52:53], v[58:59]
	v_mul_f64 v[52:53], v[54:55], v[58:59]
	v_mul_f64 v[56:57], v[48:49], v[52:53]
	v_fma_f64 v[60:61], v[52:53], v[48:49], -v[56:57]
	v_fmac_f64_e32 v[60:61], v[52:53], v[36:37]
	v_add_f64 v[62:63], v[56:57], v[60:61]
	v_add_f64 v[64:65], v[54:55], -v[62:63]
	v_add_f64 v[54:55], v[54:55], -v[64:65]
	;; [unrolled: 1-line block ×4, first 2 shown]
	v_add_f64 v[50:51], v[50:51], v[54:55]
	v_add_f64 v[54:55], v[56:57], -v[60:61]
	v_add_f64 v[50:51], v[54:55], v[50:51]
	v_add_f64 v[54:55], v[64:65], v[50:51]
	v_add_f64 v[56:57], v[64:65], -v[54:55]
	v_add_f64 v[50:51], v[50:51], v[56:57]
	v_mul_f64 v[56:57], v[58:59], v[54:55]
	v_mul_f64 v[60:61], v[48:49], v[56:57]
	v_fma_f64 v[48:49], v[56:57], v[48:49], -v[60:61]
	v_fmac_f64_e32 v[48:49], v[56:57], v[36:37]
	v_add_f64 v[36:37], v[60:61], v[48:49]
	v_add_f64 v[62:63], v[54:55], -v[36:37]
	v_add_f64 v[54:55], v[54:55], -v[62:63]
	;; [unrolled: 1-line block ×4, first 2 shown]
	v_add_f64 v[36:37], v[50:51], v[36:37]
	v_add_f64 v[48:49], v[60:61], -v[48:49]
	v_add_f64 v[36:37], v[48:49], v[36:37]
	v_add_f64 v[48:49], v[52:53], v[56:57]
	;; [unrolled: 1-line block ×3, first 2 shown]
	v_add_f64 v[50:51], v[48:49], -v[52:53]
	v_mul_f64 v[36:37], v[58:59], v[36:37]
	v_add_f64 v[50:51], v[56:57], -v[50:51]
	v_add_f64 v[36:37], v[50:51], v[36:37]
	v_add_f64 v[50:51], v[48:49], v[36:37]
	v_add_f64 v[48:49], v[50:51], -v[48:49]
	s_mov_b32 s4, 0xbf559e2b
	v_add_f64 v[36:37], v[36:37], -v[48:49]
	v_mul_f64 v[48:49], v[50:51], v[50:51]
	v_mov_b32_e32 v52, 0x6b47b09a
	v_mov_b32_e32 v53, 0x3fc38538
	s_mov_b32 s5, 0x3fc3ab76
	v_fmac_f64_e32 v[52:53], s[4:5], v[48:49]
	v_mov_b32_e32 v54, 0xd7f4df2e
	v_mov_b32_e32 v55, 0x3fc7474d
	v_fmac_f64_e32 v[54:55], v[48:49], v[52:53]
	v_mov_b32_e32 v52, 0x16291751
	v_mov_b32_e32 v53, 0x3fcc71c0
	v_fmac_f64_e32 v[52:53], v[48:49], v[54:55]
	v_mov_b32_e32 v54, 0x9b27acf1
	v_mov_b32_e32 v55, 0x3fd24924
	v_fmac_f64_e32 v[54:55], v[48:49], v[52:53]
	v_mov_b32_e32 v52, 0x998ef7b6
	v_mov_b32_e32 v53, 0x3fd99999
	v_fmac_f64_e32 v[52:53], v[48:49], v[54:55]
	v_mov_b32_e32 v54, 0x55555780
	v_mov_b32_e32 v55, 0x3fe55555
	v_fmac_f64_e32 v[54:55], v[48:49], v[52:53]
	v_cvt_f64_i32_e32 v[52:53], v66
	s_mov_b32 s9, 0x3fe62e42
	v_mul_f64 v[56:57], v[52:53], s[8:9]
	v_fma_f64 v[58:59], v[52:53], s[8:9], -v[56:57]
	s_mov_b32 s11, 0x3c7abc9e
	v_fmac_f64_e32 v[58:59], s[10:11], v[52:53]
	v_add_f64 v[52:53], v[56:57], v[58:59]
	v_add_f64 v[56:57], v[52:53], -v[56:57]
	v_mul_f64 v[48:49], v[50:51], v[48:49]
	v_add_f64 v[56:57], v[58:59], -v[56:57]
	v_ldexp_f64 v[58:59], v[50:51], 1
	v_mul_f64 v[48:49], v[48:49], v[54:55]
	v_add_f64 v[50:51], v[58:59], v[48:49]
	v_add_f64 v[54:55], v[50:51], -v[58:59]
	v_ldexp_f64 v[36:37], v[36:37], 1
	v_add_f64 v[48:49], v[48:49], -v[54:55]
	v_add_f64 v[36:37], v[36:37], v[48:49]
	v_add_f64 v[48:49], v[50:51], v[36:37]
	v_add_f64 v[50:51], v[48:49], -v[50:51]
	v_add_f64 v[36:37], v[36:37], -v[50:51]
	v_add_f64 v[50:51], v[52:53], v[48:49]
	v_add_f64 v[54:55], v[50:51], -v[52:53]
	v_add_f64 v[58:59], v[50:51], -v[54:55]
	;; [unrolled: 1-line block ×4, first 2 shown]
	v_add_f64 v[48:49], v[48:49], v[52:53]
	v_add_f64 v[52:53], v[56:57], v[36:37]
	v_add_f64 v[54:55], v[52:53], -v[56:57]
	v_add_f64 v[48:49], v[52:53], v[48:49]
	v_add_f64 v[58:59], v[52:53], -v[54:55]
	;; [unrolled: 2-line block ×3, first 2 shown]
	v_add_f64 v[36:37], v[36:37], -v[54:55]
	v_add_f64 v[50:51], v[52:53], -v[50:51]
	v_add_f64 v[36:37], v[36:37], v[56:57]
	v_add_f64 v[48:49], v[48:49], -v[50:51]
	s_mov_b32 s4, 0
	v_add_f64 v[36:37], v[36:37], v[48:49]
	s_mov_b32 s5, 0x7ff00000
	v_add_f64 v[36:37], v[52:53], v[36:37]
	v_cmp_eq_f64_e32 vcc, s[4:5], v[32:33]
	v_cndmask_b32_e32 v36, v36, v32, vcc
	v_cndmask_b32_e32 v37, v37, v33, vcc
	v_mov_b32_e32 v48, 0x7ff80000
	v_cmp_ngt_f64_e32 vcc, -1.0, v[32:33]
	v_cndmask_b32_e32 v37, v48, v37, vcc
	v_cmp_nge_f64_e32 vcc, -1.0, v[32:33]
	v_cndmask_b32_e32 v36, 0, v36, vcc
	v_mov_b32_e32 v48, 0xfff00000
	v_cmp_neq_f64_e32 vcc, -1.0, v[32:33]
	v_cndmask_b32_e32 v37, v48, v37, vcc
	v_add_f64 v[32:33], v[34:35], v[36:37]
.LBB30_174:
	s_or_b64 exec, exec, s[6:7]
	v_max_f64 v[34:35], v[32:33], v[32:33]
	v_min_f64 v[36:37], v[34:35], v[38:39]
	v_cmp_u_f64_e32 vcc, v[32:33], v[32:33]
	v_max_f64 v[34:35], v[34:35], v[38:39]
	v_cndmask_b32_e32 v36, v36, v32, vcc
	v_cndmask_b32_e32 v37, v37, v33, vcc
	;; [unrolled: 1-line block ×4, first 2 shown]
	v_cndmask_b32_e64 v49, v37, v11, s[14:15]
	v_cndmask_b32_e64 v48, v36, v10, s[14:15]
	;; [unrolled: 1-line block ×4, first 2 shown]
	s_movk_i32 s12, 0x1f8
	v_cmp_neq_f64_e32 vcc, v[48:49], v[36:37]
	v_cmp_class_f64_e64 s[4:5], v[48:49], s12
	s_or_b64 s[4:5], vcc, s[4:5]
	v_pk_mov_b32 v[34:35], v[32:33], v[32:33] op_sel:[0,1]
	s_and_saveexec_b64 s[6:7], s[4:5]
	s_cbranch_execz .LBB30_176
; %bb.175:
	s_mov_b32 s4, 0x652b82fe
	v_add_f64 v[34:35], v[48:49], -v[36:37]
	s_mov_b32 s5, 0x3ff71547
	v_mul_f64 v[38:39], v[34:35], s[4:5]
	v_rndne_f64_e32 v[38:39], v[38:39]
	s_mov_b32 s9, 0xbfe62e42
	s_mov_b32 s8, 0xfefa39ef
	v_fma_f64 v[48:49], s[8:9], v[38:39], v[34:35]
	s_mov_b32 s11, 0xbc7abc9e
	s_mov_b32 s10, 0x3b39803f
	;; [unrolled: 1-line block ×3, first 2 shown]
	v_fmac_f64_e32 v[48:49], s[10:11], v[38:39]
	v_mov_b32_e32 v50, 0xfca7ab0c
	v_mov_b32_e32 v51, 0x3e928af3
	s_mov_b32 s5, 0x3e5ade15
	v_fmac_f64_e32 v[50:51], s[4:5], v[48:49]
	v_mov_b32_e32 v52, 0x623fde64
	v_mov_b32_e32 v53, 0x3ec71dee
	v_fmac_f64_e32 v[52:53], v[48:49], v[50:51]
	v_mov_b32_e32 v50, 0x7c89e6b0
	v_mov_b32_e32 v51, 0x3efa0199
	;; [unrolled: 3-line block ×8, first 2 shown]
	s_mov_b32 s4, 0
	v_fmac_f64_e32 v[50:51], v[48:49], v[52:53]
	s_mov_b32 s5, 0x40900000
	v_fma_f64 v[50:51], v[48:49], v[50:51], 1.0
	v_cmp_nlt_f64_e32 vcc, s[4:5], v[34:35]
	s_mov_b32 s4, 0
	v_fma_f64 v[48:49], v[48:49], v[50:51], 1.0
	v_cvt_i32_f64_e32 v38, v[38:39]
	s_mov_b32 s5, 0xc090cc00
	v_ldexp_f64 v[38:39], v[48:49], v38
	v_mov_b32_e32 v48, 0x7ff00000
	v_cmp_ngt_f64_e64 s[4:5], s[4:5], v[34:35]
	v_cndmask_b32_e32 v39, v48, v39, vcc
	s_and_b64 vcc, s[4:5], vcc
	v_cndmask_b32_e64 v35, 0, v39, s[4:5]
	v_cndmask_b32_e32 v34, 0, v38, vcc
	v_add_f64 v[38:39], v[34:35], 1.0
	v_add_f64 v[48:49], v[38:39], -1.0
	v_add_f64 v[50:51], v[48:49], -v[38:39]
	v_add_f64 v[50:51], v[50:51], 1.0
	v_add_f64 v[48:49], v[34:35], -v[48:49]
	s_mov_b32 s4, 0x55555555
	v_add_f64 v[48:49], v[48:49], v[50:51]
	v_frexp_mant_f64_e32 v[50:51], v[38:39]
	s_mov_b32 s5, 0x3fe55555
	v_frexp_exp_i32_f64_e32 v52, v[38:39]
	v_cmp_gt_f64_e32 vcc, s[4:5], v[50:51]
	v_subbrev_co_u32_e32 v66, vcc, 0, v52, vcc
	v_sub_u32_e32 v50, 0, v66
	v_ldexp_f64 v[38:39], v[38:39], v50
	v_ldexp_f64 v[48:49], v[48:49], v50
	v_add_f64 v[50:51], v[38:39], -1.0
	v_add_f64 v[56:57], v[38:39], 1.0
	v_add_f64 v[52:53], v[50:51], 1.0
	v_add_f64 v[58:59], v[56:57], -1.0
	v_add_f64 v[52:53], v[38:39], -v[52:53]
	v_add_f64 v[38:39], v[38:39], -v[58:59]
	v_add_f64 v[38:39], v[48:49], v[38:39]
	v_add_f64 v[52:53], v[48:49], v[52:53]
	;; [unrolled: 1-line block ×3, first 2 shown]
	v_rcp_f64_e32 v[58:59], v[48:49]
	v_add_f64 v[54:55], v[50:51], v[52:53]
	v_add_f64 v[50:51], v[54:55], -v[50:51]
	v_add_f64 v[50:51], v[52:53], -v[50:51]
	;; [unrolled: 1-line block ×4, first 2 shown]
	v_fma_f64 v[52:53], -v[48:49], v[58:59], 1.0
	v_fmac_f64_e32 v[58:59], v[52:53], v[58:59]
	v_fma_f64 v[52:53], -v[48:49], v[58:59], 1.0
	v_fmac_f64_e32 v[58:59], v[52:53], v[58:59]
	v_mul_f64 v[52:53], v[54:55], v[58:59]
	v_mul_f64 v[56:57], v[48:49], v[52:53]
	v_fma_f64 v[60:61], v[52:53], v[48:49], -v[56:57]
	v_fmac_f64_e32 v[60:61], v[52:53], v[38:39]
	v_add_f64 v[62:63], v[56:57], v[60:61]
	v_add_f64 v[64:65], v[54:55], -v[62:63]
	v_add_f64 v[54:55], v[54:55], -v[64:65]
	;; [unrolled: 1-line block ×4, first 2 shown]
	v_add_f64 v[50:51], v[50:51], v[54:55]
	v_add_f64 v[54:55], v[56:57], -v[60:61]
	v_add_f64 v[50:51], v[54:55], v[50:51]
	v_add_f64 v[54:55], v[64:65], v[50:51]
	v_add_f64 v[56:57], v[64:65], -v[54:55]
	v_add_f64 v[50:51], v[50:51], v[56:57]
	v_mul_f64 v[56:57], v[58:59], v[54:55]
	v_mul_f64 v[60:61], v[48:49], v[56:57]
	v_fma_f64 v[48:49], v[56:57], v[48:49], -v[60:61]
	v_fmac_f64_e32 v[48:49], v[56:57], v[38:39]
	v_add_f64 v[38:39], v[60:61], v[48:49]
	v_add_f64 v[62:63], v[54:55], -v[38:39]
	v_add_f64 v[54:55], v[54:55], -v[62:63]
	;; [unrolled: 1-line block ×4, first 2 shown]
	v_add_f64 v[38:39], v[50:51], v[38:39]
	v_add_f64 v[48:49], v[60:61], -v[48:49]
	v_add_f64 v[38:39], v[48:49], v[38:39]
	v_add_f64 v[48:49], v[52:53], v[56:57]
	;; [unrolled: 1-line block ×3, first 2 shown]
	v_add_f64 v[50:51], v[48:49], -v[52:53]
	v_mul_f64 v[38:39], v[58:59], v[38:39]
	v_add_f64 v[50:51], v[56:57], -v[50:51]
	v_add_f64 v[38:39], v[50:51], v[38:39]
	v_add_f64 v[50:51], v[48:49], v[38:39]
	v_add_f64 v[48:49], v[50:51], -v[48:49]
	s_mov_b32 s4, 0xbf559e2b
	v_add_f64 v[38:39], v[38:39], -v[48:49]
	v_mul_f64 v[48:49], v[50:51], v[50:51]
	v_mov_b32_e32 v52, 0x6b47b09a
	v_mov_b32_e32 v53, 0x3fc38538
	s_mov_b32 s5, 0x3fc3ab76
	v_fmac_f64_e32 v[52:53], s[4:5], v[48:49]
	v_mov_b32_e32 v54, 0xd7f4df2e
	v_mov_b32_e32 v55, 0x3fc7474d
	v_fmac_f64_e32 v[54:55], v[48:49], v[52:53]
	v_mov_b32_e32 v52, 0x16291751
	v_mov_b32_e32 v53, 0x3fcc71c0
	;; [unrolled: 3-line block ×5, first 2 shown]
	v_fmac_f64_e32 v[54:55], v[48:49], v[52:53]
	v_cvt_f64_i32_e32 v[52:53], v66
	s_mov_b32 s9, 0x3fe62e42
	v_mul_f64 v[56:57], v[52:53], s[8:9]
	v_fma_f64 v[58:59], v[52:53], s[8:9], -v[56:57]
	s_mov_b32 s11, 0x3c7abc9e
	v_fmac_f64_e32 v[58:59], s[10:11], v[52:53]
	v_add_f64 v[52:53], v[56:57], v[58:59]
	v_add_f64 v[56:57], v[52:53], -v[56:57]
	v_mul_f64 v[48:49], v[50:51], v[48:49]
	v_add_f64 v[56:57], v[58:59], -v[56:57]
	v_ldexp_f64 v[58:59], v[50:51], 1
	v_mul_f64 v[48:49], v[48:49], v[54:55]
	v_add_f64 v[50:51], v[58:59], v[48:49]
	v_add_f64 v[54:55], v[50:51], -v[58:59]
	v_ldexp_f64 v[38:39], v[38:39], 1
	v_add_f64 v[48:49], v[48:49], -v[54:55]
	v_add_f64 v[38:39], v[38:39], v[48:49]
	v_add_f64 v[48:49], v[50:51], v[38:39]
	v_add_f64 v[50:51], v[48:49], -v[50:51]
	v_add_f64 v[38:39], v[38:39], -v[50:51]
	v_add_f64 v[50:51], v[52:53], v[48:49]
	v_add_f64 v[54:55], v[50:51], -v[52:53]
	v_add_f64 v[58:59], v[50:51], -v[54:55]
	;; [unrolled: 1-line block ×4, first 2 shown]
	v_add_f64 v[48:49], v[48:49], v[52:53]
	v_add_f64 v[52:53], v[56:57], v[38:39]
	v_add_f64 v[54:55], v[52:53], -v[56:57]
	v_add_f64 v[48:49], v[52:53], v[48:49]
	v_add_f64 v[58:59], v[52:53], -v[54:55]
	;; [unrolled: 2-line block ×3, first 2 shown]
	v_add_f64 v[38:39], v[38:39], -v[54:55]
	v_add_f64 v[50:51], v[52:53], -v[50:51]
	v_add_f64 v[38:39], v[38:39], v[56:57]
	v_add_f64 v[48:49], v[48:49], -v[50:51]
	s_mov_b32 s4, 0
	v_add_f64 v[38:39], v[38:39], v[48:49]
	s_mov_b32 s5, 0x7ff00000
	v_add_f64 v[38:39], v[52:53], v[38:39]
	v_cmp_eq_f64_e32 vcc, s[4:5], v[34:35]
	v_cndmask_b32_e32 v38, v38, v34, vcc
	v_cndmask_b32_e32 v39, v39, v35, vcc
	v_mov_b32_e32 v48, 0x7ff80000
	v_cmp_ngt_f64_e32 vcc, -1.0, v[34:35]
	v_cndmask_b32_e32 v39, v48, v39, vcc
	v_cmp_nge_f64_e32 vcc, -1.0, v[34:35]
	v_cndmask_b32_e32 v38, 0, v38, vcc
	v_mov_b32_e32 v48, 0xfff00000
	v_cmp_neq_f64_e32 vcc, -1.0, v[34:35]
	v_cndmask_b32_e32 v39, v48, v39, vcc
	v_add_f64 v[34:35], v[36:37], v[38:39]
.LBB30_176:
	s_or_b64 exec, exec, s[6:7]
	v_max_f64 v[36:37], v[34:35], v[34:35]
	v_min_f64 v[38:39], v[36:37], v[40:41]
	v_cmp_u_f64_e32 vcc, v[34:35], v[34:35]
	v_max_f64 v[36:37], v[36:37], v[40:41]
	v_cndmask_b32_e32 v38, v38, v34, vcc
	v_cndmask_b32_e32 v39, v39, v35, vcc
	;; [unrolled: 1-line block ×4, first 2 shown]
	v_cndmask_b32_e64 v49, v39, v13, s[16:17]
	v_cndmask_b32_e64 v48, v38, v12, s[16:17]
	v_cndmask_b32_e64 v39, v37, v13, s[16:17]
	v_cndmask_b32_e64 v38, v36, v12, s[16:17]
	v_cmp_neq_f64_e32 vcc, v[48:49], v[38:39]
	v_cmp_class_f64_e64 s[4:5], v[48:49], s12
	s_or_b64 s[4:5], vcc, s[4:5]
	v_pk_mov_b32 v[36:37], v[34:35], v[34:35] op_sel:[0,1]
	s_and_saveexec_b64 s[6:7], s[4:5]
	s_cbranch_execz .LBB30_178
; %bb.177:
	s_mov_b32 s4, 0x652b82fe
	v_add_f64 v[36:37], v[48:49], -v[38:39]
	s_mov_b32 s5, 0x3ff71547
	v_mul_f64 v[40:41], v[36:37], s[4:5]
	v_rndne_f64_e32 v[40:41], v[40:41]
	s_mov_b32 s9, 0xbfe62e42
	s_mov_b32 s8, 0xfefa39ef
	v_fma_f64 v[48:49], s[8:9], v[40:41], v[36:37]
	s_mov_b32 s11, 0xbc7abc9e
	s_mov_b32 s10, 0x3b39803f
	;; [unrolled: 1-line block ×3, first 2 shown]
	v_fmac_f64_e32 v[48:49], s[10:11], v[40:41]
	v_mov_b32_e32 v50, 0xfca7ab0c
	v_mov_b32_e32 v51, 0x3e928af3
	s_mov_b32 s5, 0x3e5ade15
	v_fmac_f64_e32 v[50:51], s[4:5], v[48:49]
	v_mov_b32_e32 v52, 0x623fde64
	v_mov_b32_e32 v53, 0x3ec71dee
	v_fmac_f64_e32 v[52:53], v[48:49], v[50:51]
	v_mov_b32_e32 v50, 0x7c89e6b0
	v_mov_b32_e32 v51, 0x3efa0199
	v_fmac_f64_e32 v[50:51], v[48:49], v[52:53]
	v_mov_b32_e32 v52, 0x14761f6e
	v_mov_b32_e32 v53, 0x3f2a01a0
	v_fmac_f64_e32 v[52:53], v[48:49], v[50:51]
	v_mov_b32_e32 v50, 0x1852b7b0
	v_mov_b32_e32 v51, 0x3f56c16c
	v_fmac_f64_e32 v[50:51], v[48:49], v[52:53]
	v_mov_b32_e32 v52, 0x11122322
	v_mov_b32_e32 v53, 0x3f811111
	v_fmac_f64_e32 v[52:53], v[48:49], v[50:51]
	v_mov_b32_e32 v50, 0x555502a1
	v_mov_b32_e32 v51, 0x3fa55555
	v_fmac_f64_e32 v[50:51], v[48:49], v[52:53]
	v_mov_b32_e32 v52, 0x55555511
	v_mov_b32_e32 v53, 0x3fc55555
	v_fmac_f64_e32 v[52:53], v[48:49], v[50:51]
	v_mov_b32_e32 v50, 11
	v_mov_b32_e32 v51, 0x3fe00000
	s_mov_b32 s4, 0
	v_fmac_f64_e32 v[50:51], v[48:49], v[52:53]
	s_mov_b32 s5, 0x40900000
	v_fma_f64 v[50:51], v[48:49], v[50:51], 1.0
	v_cmp_nlt_f64_e32 vcc, s[4:5], v[36:37]
	s_mov_b32 s4, 0
	v_fma_f64 v[48:49], v[48:49], v[50:51], 1.0
	v_cvt_i32_f64_e32 v40, v[40:41]
	s_mov_b32 s5, 0xc090cc00
	v_ldexp_f64 v[40:41], v[48:49], v40
	v_mov_b32_e32 v48, 0x7ff00000
	v_cmp_ngt_f64_e64 s[4:5], s[4:5], v[36:37]
	v_cndmask_b32_e32 v41, v48, v41, vcc
	s_and_b64 vcc, s[4:5], vcc
	v_cndmask_b32_e64 v37, 0, v41, s[4:5]
	v_cndmask_b32_e32 v36, 0, v40, vcc
	v_add_f64 v[40:41], v[36:37], 1.0
	v_add_f64 v[48:49], v[40:41], -1.0
	v_add_f64 v[50:51], v[48:49], -v[40:41]
	v_add_f64 v[50:51], v[50:51], 1.0
	v_add_f64 v[48:49], v[36:37], -v[48:49]
	s_mov_b32 s4, 0x55555555
	v_add_f64 v[48:49], v[48:49], v[50:51]
	v_frexp_mant_f64_e32 v[50:51], v[40:41]
	s_mov_b32 s5, 0x3fe55555
	v_frexp_exp_i32_f64_e32 v52, v[40:41]
	v_cmp_gt_f64_e32 vcc, s[4:5], v[50:51]
	v_subbrev_co_u32_e32 v66, vcc, 0, v52, vcc
	v_sub_u32_e32 v50, 0, v66
	v_ldexp_f64 v[40:41], v[40:41], v50
	v_ldexp_f64 v[48:49], v[48:49], v50
	v_add_f64 v[50:51], v[40:41], -1.0
	v_add_f64 v[56:57], v[40:41], 1.0
	v_add_f64 v[52:53], v[50:51], 1.0
	v_add_f64 v[58:59], v[56:57], -1.0
	v_add_f64 v[52:53], v[40:41], -v[52:53]
	v_add_f64 v[40:41], v[40:41], -v[58:59]
	v_add_f64 v[40:41], v[48:49], v[40:41]
	v_add_f64 v[52:53], v[48:49], v[52:53]
	;; [unrolled: 1-line block ×3, first 2 shown]
	v_rcp_f64_e32 v[58:59], v[48:49]
	v_add_f64 v[54:55], v[50:51], v[52:53]
	v_add_f64 v[50:51], v[54:55], -v[50:51]
	v_add_f64 v[50:51], v[52:53], -v[50:51]
	;; [unrolled: 1-line block ×4, first 2 shown]
	v_fma_f64 v[52:53], -v[48:49], v[58:59], 1.0
	v_fmac_f64_e32 v[58:59], v[52:53], v[58:59]
	v_fma_f64 v[52:53], -v[48:49], v[58:59], 1.0
	v_fmac_f64_e32 v[58:59], v[52:53], v[58:59]
	v_mul_f64 v[52:53], v[54:55], v[58:59]
	v_mul_f64 v[56:57], v[48:49], v[52:53]
	v_fma_f64 v[60:61], v[52:53], v[48:49], -v[56:57]
	v_fmac_f64_e32 v[60:61], v[52:53], v[40:41]
	v_add_f64 v[62:63], v[56:57], v[60:61]
	v_add_f64 v[64:65], v[54:55], -v[62:63]
	v_add_f64 v[54:55], v[54:55], -v[64:65]
	;; [unrolled: 1-line block ×4, first 2 shown]
	v_add_f64 v[50:51], v[50:51], v[54:55]
	v_add_f64 v[54:55], v[56:57], -v[60:61]
	v_add_f64 v[50:51], v[54:55], v[50:51]
	v_add_f64 v[54:55], v[64:65], v[50:51]
	v_add_f64 v[56:57], v[64:65], -v[54:55]
	v_add_f64 v[50:51], v[50:51], v[56:57]
	v_mul_f64 v[56:57], v[58:59], v[54:55]
	v_mul_f64 v[60:61], v[48:49], v[56:57]
	v_fma_f64 v[48:49], v[56:57], v[48:49], -v[60:61]
	v_fmac_f64_e32 v[48:49], v[56:57], v[40:41]
	v_add_f64 v[40:41], v[60:61], v[48:49]
	v_add_f64 v[62:63], v[54:55], -v[40:41]
	v_add_f64 v[54:55], v[54:55], -v[62:63]
	;; [unrolled: 1-line block ×4, first 2 shown]
	v_add_f64 v[40:41], v[50:51], v[40:41]
	v_add_f64 v[48:49], v[60:61], -v[48:49]
	v_add_f64 v[40:41], v[48:49], v[40:41]
	v_add_f64 v[48:49], v[52:53], v[56:57]
	;; [unrolled: 1-line block ×3, first 2 shown]
	v_add_f64 v[50:51], v[48:49], -v[52:53]
	v_mul_f64 v[40:41], v[58:59], v[40:41]
	v_add_f64 v[50:51], v[56:57], -v[50:51]
	v_add_f64 v[40:41], v[50:51], v[40:41]
	v_add_f64 v[50:51], v[48:49], v[40:41]
	v_add_f64 v[48:49], v[50:51], -v[48:49]
	s_mov_b32 s4, 0xbf559e2b
	v_add_f64 v[40:41], v[40:41], -v[48:49]
	v_mul_f64 v[48:49], v[50:51], v[50:51]
	v_mov_b32_e32 v52, 0x6b47b09a
	v_mov_b32_e32 v53, 0x3fc38538
	s_mov_b32 s5, 0x3fc3ab76
	v_fmac_f64_e32 v[52:53], s[4:5], v[48:49]
	v_mov_b32_e32 v54, 0xd7f4df2e
	v_mov_b32_e32 v55, 0x3fc7474d
	v_fmac_f64_e32 v[54:55], v[48:49], v[52:53]
	v_mov_b32_e32 v52, 0x16291751
	v_mov_b32_e32 v53, 0x3fcc71c0
	;; [unrolled: 3-line block ×5, first 2 shown]
	v_fmac_f64_e32 v[54:55], v[48:49], v[52:53]
	v_cvt_f64_i32_e32 v[52:53], v66
	s_mov_b32 s9, 0x3fe62e42
	v_mul_f64 v[56:57], v[52:53], s[8:9]
	v_fma_f64 v[58:59], v[52:53], s[8:9], -v[56:57]
	s_mov_b32 s11, 0x3c7abc9e
	v_fmac_f64_e32 v[58:59], s[10:11], v[52:53]
	v_add_f64 v[52:53], v[56:57], v[58:59]
	v_add_f64 v[56:57], v[52:53], -v[56:57]
	v_mul_f64 v[48:49], v[50:51], v[48:49]
	v_add_f64 v[56:57], v[58:59], -v[56:57]
	v_ldexp_f64 v[58:59], v[50:51], 1
	v_mul_f64 v[48:49], v[48:49], v[54:55]
	v_add_f64 v[50:51], v[58:59], v[48:49]
	v_add_f64 v[54:55], v[50:51], -v[58:59]
	v_ldexp_f64 v[40:41], v[40:41], 1
	v_add_f64 v[48:49], v[48:49], -v[54:55]
	v_add_f64 v[40:41], v[40:41], v[48:49]
	v_add_f64 v[48:49], v[50:51], v[40:41]
	v_add_f64 v[50:51], v[48:49], -v[50:51]
	v_add_f64 v[40:41], v[40:41], -v[50:51]
	v_add_f64 v[50:51], v[52:53], v[48:49]
	v_add_f64 v[54:55], v[50:51], -v[52:53]
	v_add_f64 v[58:59], v[50:51], -v[54:55]
	;; [unrolled: 1-line block ×4, first 2 shown]
	v_add_f64 v[48:49], v[48:49], v[52:53]
	v_add_f64 v[52:53], v[56:57], v[40:41]
	v_add_f64 v[54:55], v[52:53], -v[56:57]
	v_add_f64 v[48:49], v[52:53], v[48:49]
	v_add_f64 v[58:59], v[52:53], -v[54:55]
	;; [unrolled: 2-line block ×3, first 2 shown]
	v_add_f64 v[40:41], v[40:41], -v[54:55]
	v_add_f64 v[50:51], v[52:53], -v[50:51]
	v_add_f64 v[40:41], v[40:41], v[56:57]
	v_add_f64 v[48:49], v[48:49], -v[50:51]
	s_mov_b32 s4, 0
	v_add_f64 v[40:41], v[40:41], v[48:49]
	s_mov_b32 s5, 0x7ff00000
	v_add_f64 v[40:41], v[52:53], v[40:41]
	v_cmp_eq_f64_e32 vcc, s[4:5], v[36:37]
	v_cndmask_b32_e32 v40, v40, v36, vcc
	v_cndmask_b32_e32 v41, v41, v37, vcc
	v_mov_b32_e32 v48, 0x7ff80000
	v_cmp_ngt_f64_e32 vcc, -1.0, v[36:37]
	v_cndmask_b32_e32 v41, v48, v41, vcc
	v_cmp_nge_f64_e32 vcc, -1.0, v[36:37]
	v_cndmask_b32_e32 v40, 0, v40, vcc
	v_mov_b32_e32 v48, 0xfff00000
	v_cmp_neq_f64_e32 vcc, -1.0, v[36:37]
	v_cndmask_b32_e32 v41, v48, v41, vcc
	v_add_f64 v[36:37], v[38:39], v[40:41]
.LBB30_178:
	s_or_b64 exec, exec, s[6:7]
	v_max_f64 v[38:39], v[36:37], v[36:37]
	v_min_f64 v[40:41], v[38:39], v[44:45]
	v_cmp_u_f64_e32 vcc, v[36:37], v[36:37]
	v_max_f64 v[38:39], v[38:39], v[44:45]
	v_cndmask_b32_e32 v40, v40, v36, vcc
	v_cndmask_b32_e32 v41, v41, v37, vcc
	;; [unrolled: 1-line block ×4, first 2 shown]
	v_cndmask_b32_e64 v49, v41, v7, s[18:19]
	v_cndmask_b32_e64 v48, v40, v6, s[18:19]
	;; [unrolled: 1-line block ×4, first 2 shown]
	v_cmp_neq_f64_e32 vcc, v[48:49], v[40:41]
	v_cmp_class_f64_e64 s[4:5], v[48:49], s12
	s_or_b64 s[4:5], vcc, s[4:5]
	v_pk_mov_b32 v[38:39], v[36:37], v[36:37] op_sel:[0,1]
	s_and_saveexec_b64 s[6:7], s[4:5]
	s_cbranch_execz .LBB30_180
; %bb.179:
	s_mov_b32 s4, 0x652b82fe
	v_add_f64 v[38:39], v[48:49], -v[40:41]
	s_mov_b32 s5, 0x3ff71547
	v_mul_f64 v[44:45], v[38:39], s[4:5]
	v_rndne_f64_e32 v[44:45], v[44:45]
	s_mov_b32 s9, 0xbfe62e42
	s_mov_b32 s8, 0xfefa39ef
	v_fma_f64 v[48:49], s[8:9], v[44:45], v[38:39]
	s_mov_b32 s11, 0xbc7abc9e
	s_mov_b32 s10, 0x3b39803f
	;; [unrolled: 1-line block ×3, first 2 shown]
	v_fmac_f64_e32 v[48:49], s[10:11], v[44:45]
	v_mov_b32_e32 v50, 0xfca7ab0c
	v_mov_b32_e32 v51, 0x3e928af3
	s_mov_b32 s5, 0x3e5ade15
	v_fmac_f64_e32 v[50:51], s[4:5], v[48:49]
	v_mov_b32_e32 v52, 0x623fde64
	v_mov_b32_e32 v53, 0x3ec71dee
	v_fmac_f64_e32 v[52:53], v[48:49], v[50:51]
	v_mov_b32_e32 v50, 0x7c89e6b0
	v_mov_b32_e32 v51, 0x3efa0199
	;; [unrolled: 3-line block ×8, first 2 shown]
	s_mov_b32 s4, 0
	v_fmac_f64_e32 v[50:51], v[48:49], v[52:53]
	s_mov_b32 s5, 0x40900000
	v_fma_f64 v[50:51], v[48:49], v[50:51], 1.0
	v_cmp_nlt_f64_e32 vcc, s[4:5], v[38:39]
	s_mov_b32 s4, 0
	v_fma_f64 v[48:49], v[48:49], v[50:51], 1.0
	v_cvt_i32_f64_e32 v44, v[44:45]
	s_mov_b32 s5, 0xc090cc00
	v_ldexp_f64 v[44:45], v[48:49], v44
	v_mov_b32_e32 v48, 0x7ff00000
	v_cmp_ngt_f64_e64 s[4:5], s[4:5], v[38:39]
	v_cndmask_b32_e32 v45, v48, v45, vcc
	s_and_b64 vcc, s[4:5], vcc
	v_cndmask_b32_e64 v39, 0, v45, s[4:5]
	v_cndmask_b32_e32 v38, 0, v44, vcc
	v_add_f64 v[44:45], v[38:39], 1.0
	v_add_f64 v[48:49], v[44:45], -1.0
	v_add_f64 v[50:51], v[48:49], -v[44:45]
	v_add_f64 v[50:51], v[50:51], 1.0
	v_add_f64 v[48:49], v[38:39], -v[48:49]
	s_mov_b32 s4, 0x55555555
	v_add_f64 v[48:49], v[48:49], v[50:51]
	v_frexp_mant_f64_e32 v[50:51], v[44:45]
	s_mov_b32 s5, 0x3fe55555
	v_frexp_exp_i32_f64_e32 v52, v[44:45]
	v_cmp_gt_f64_e32 vcc, s[4:5], v[50:51]
	v_subbrev_co_u32_e32 v66, vcc, 0, v52, vcc
	v_sub_u32_e32 v50, 0, v66
	v_ldexp_f64 v[44:45], v[44:45], v50
	v_ldexp_f64 v[48:49], v[48:49], v50
	v_add_f64 v[50:51], v[44:45], -1.0
	v_add_f64 v[56:57], v[44:45], 1.0
	v_add_f64 v[52:53], v[50:51], 1.0
	v_add_f64 v[58:59], v[56:57], -1.0
	v_add_f64 v[52:53], v[44:45], -v[52:53]
	v_add_f64 v[44:45], v[44:45], -v[58:59]
	v_add_f64 v[44:45], v[48:49], v[44:45]
	v_add_f64 v[52:53], v[48:49], v[52:53]
	;; [unrolled: 1-line block ×3, first 2 shown]
	v_rcp_f64_e32 v[58:59], v[48:49]
	v_add_f64 v[54:55], v[50:51], v[52:53]
	v_add_f64 v[50:51], v[54:55], -v[50:51]
	v_add_f64 v[50:51], v[52:53], -v[50:51]
	;; [unrolled: 1-line block ×4, first 2 shown]
	v_fma_f64 v[52:53], -v[48:49], v[58:59], 1.0
	v_fmac_f64_e32 v[58:59], v[52:53], v[58:59]
	v_fma_f64 v[52:53], -v[48:49], v[58:59], 1.0
	v_fmac_f64_e32 v[58:59], v[52:53], v[58:59]
	v_mul_f64 v[52:53], v[54:55], v[58:59]
	v_mul_f64 v[56:57], v[48:49], v[52:53]
	v_fma_f64 v[60:61], v[52:53], v[48:49], -v[56:57]
	v_fmac_f64_e32 v[60:61], v[52:53], v[44:45]
	v_add_f64 v[62:63], v[56:57], v[60:61]
	v_add_f64 v[64:65], v[54:55], -v[62:63]
	v_add_f64 v[54:55], v[54:55], -v[64:65]
	;; [unrolled: 1-line block ×4, first 2 shown]
	v_add_f64 v[50:51], v[50:51], v[54:55]
	v_add_f64 v[54:55], v[56:57], -v[60:61]
	v_add_f64 v[50:51], v[54:55], v[50:51]
	v_add_f64 v[54:55], v[64:65], v[50:51]
	v_add_f64 v[56:57], v[64:65], -v[54:55]
	v_add_f64 v[50:51], v[50:51], v[56:57]
	v_mul_f64 v[56:57], v[58:59], v[54:55]
	v_mul_f64 v[60:61], v[48:49], v[56:57]
	v_fma_f64 v[48:49], v[56:57], v[48:49], -v[60:61]
	v_fmac_f64_e32 v[48:49], v[56:57], v[44:45]
	v_add_f64 v[44:45], v[60:61], v[48:49]
	v_add_f64 v[62:63], v[54:55], -v[44:45]
	v_add_f64 v[54:55], v[54:55], -v[62:63]
	;; [unrolled: 1-line block ×4, first 2 shown]
	v_add_f64 v[44:45], v[50:51], v[44:45]
	v_add_f64 v[48:49], v[60:61], -v[48:49]
	v_add_f64 v[44:45], v[48:49], v[44:45]
	v_add_f64 v[48:49], v[52:53], v[56:57]
	;; [unrolled: 1-line block ×3, first 2 shown]
	v_add_f64 v[50:51], v[48:49], -v[52:53]
	v_mul_f64 v[44:45], v[58:59], v[44:45]
	v_add_f64 v[50:51], v[56:57], -v[50:51]
	v_add_f64 v[44:45], v[50:51], v[44:45]
	v_add_f64 v[50:51], v[48:49], v[44:45]
	v_add_f64 v[48:49], v[50:51], -v[48:49]
	s_mov_b32 s4, 0xbf559e2b
	v_add_f64 v[44:45], v[44:45], -v[48:49]
	v_mul_f64 v[48:49], v[50:51], v[50:51]
	v_mov_b32_e32 v52, 0x6b47b09a
	v_mov_b32_e32 v53, 0x3fc38538
	s_mov_b32 s5, 0x3fc3ab76
	v_fmac_f64_e32 v[52:53], s[4:5], v[48:49]
	v_mov_b32_e32 v54, 0xd7f4df2e
	v_mov_b32_e32 v55, 0x3fc7474d
	v_fmac_f64_e32 v[54:55], v[48:49], v[52:53]
	v_mov_b32_e32 v52, 0x16291751
	v_mov_b32_e32 v53, 0x3fcc71c0
	;; [unrolled: 3-line block ×5, first 2 shown]
	v_fmac_f64_e32 v[54:55], v[48:49], v[52:53]
	v_cvt_f64_i32_e32 v[52:53], v66
	s_mov_b32 s9, 0x3fe62e42
	v_mul_f64 v[56:57], v[52:53], s[8:9]
	v_fma_f64 v[58:59], v[52:53], s[8:9], -v[56:57]
	s_mov_b32 s11, 0x3c7abc9e
	v_fmac_f64_e32 v[58:59], s[10:11], v[52:53]
	v_add_f64 v[52:53], v[56:57], v[58:59]
	v_add_f64 v[56:57], v[52:53], -v[56:57]
	v_mul_f64 v[48:49], v[50:51], v[48:49]
	v_add_f64 v[56:57], v[58:59], -v[56:57]
	v_ldexp_f64 v[58:59], v[50:51], 1
	v_mul_f64 v[48:49], v[48:49], v[54:55]
	v_add_f64 v[50:51], v[58:59], v[48:49]
	v_add_f64 v[54:55], v[50:51], -v[58:59]
	v_ldexp_f64 v[44:45], v[44:45], 1
	v_add_f64 v[48:49], v[48:49], -v[54:55]
	v_add_f64 v[44:45], v[44:45], v[48:49]
	v_add_f64 v[48:49], v[50:51], v[44:45]
	v_add_f64 v[50:51], v[48:49], -v[50:51]
	v_add_f64 v[44:45], v[44:45], -v[50:51]
	v_add_f64 v[50:51], v[52:53], v[48:49]
	v_add_f64 v[54:55], v[50:51], -v[52:53]
	v_add_f64 v[58:59], v[50:51], -v[54:55]
	;; [unrolled: 1-line block ×4, first 2 shown]
	v_add_f64 v[48:49], v[48:49], v[52:53]
	v_add_f64 v[52:53], v[56:57], v[44:45]
	v_add_f64 v[54:55], v[52:53], -v[56:57]
	v_add_f64 v[48:49], v[52:53], v[48:49]
	v_add_f64 v[58:59], v[52:53], -v[54:55]
	;; [unrolled: 2-line block ×3, first 2 shown]
	v_add_f64 v[44:45], v[44:45], -v[54:55]
	v_add_f64 v[50:51], v[52:53], -v[50:51]
	v_add_f64 v[44:45], v[44:45], v[56:57]
	v_add_f64 v[48:49], v[48:49], -v[50:51]
	s_mov_b32 s4, 0
	v_add_f64 v[44:45], v[44:45], v[48:49]
	s_mov_b32 s5, 0x7ff00000
	v_add_f64 v[44:45], v[52:53], v[44:45]
	v_cmp_eq_f64_e32 vcc, s[4:5], v[38:39]
	v_cndmask_b32_e32 v44, v44, v38, vcc
	v_cndmask_b32_e32 v45, v45, v39, vcc
	v_mov_b32_e32 v48, 0x7ff80000
	v_cmp_ngt_f64_e32 vcc, -1.0, v[38:39]
	v_cndmask_b32_e32 v45, v48, v45, vcc
	v_cmp_nge_f64_e32 vcc, -1.0, v[38:39]
	v_cndmask_b32_e32 v44, 0, v44, vcc
	v_mov_b32_e32 v48, 0xfff00000
	v_cmp_neq_f64_e32 vcc, -1.0, v[38:39]
	v_cndmask_b32_e32 v45, v48, v45, vcc
	v_add_f64 v[38:39], v[40:41], v[44:45]
.LBB30_180:
	s_or_b64 exec, exec, s[6:7]
	v_max_f64 v[40:41], v[38:39], v[38:39]
	v_min_f64 v[44:45], v[40:41], v[46:47]
	v_cmp_u_f64_e32 vcc, v[38:39], v[38:39]
	v_max_f64 v[40:41], v[40:41], v[46:47]
	v_cndmask_b32_e32 v44, v44, v38, vcc
	v_cndmask_b32_e32 v45, v45, v39, vcc
	;; [unrolled: 1-line block ×4, first 2 shown]
	v_cndmask_b32_e64 v49, v45, v9, s[20:21]
	v_cndmask_b32_e64 v48, v44, v8, s[20:21]
	;; [unrolled: 1-line block ×4, first 2 shown]
	v_cmp_neq_f64_e32 vcc, v[48:49], v[44:45]
	v_cmp_class_f64_e64 s[4:5], v[48:49], s12
	s_or_b64 s[4:5], vcc, s[4:5]
	v_pk_mov_b32 v[40:41], v[38:39], v[38:39] op_sel:[0,1]
	s_and_saveexec_b64 s[6:7], s[4:5]
	s_cbranch_execz .LBB30_182
; %bb.181:
	s_mov_b32 s4, 0x652b82fe
	v_add_f64 v[40:41], v[48:49], -v[44:45]
	s_mov_b32 s5, 0x3ff71547
	v_mul_f64 v[46:47], v[40:41], s[4:5]
	v_rndne_f64_e32 v[46:47], v[46:47]
	s_mov_b32 s9, 0xbfe62e42
	s_mov_b32 s8, 0xfefa39ef
	v_fma_f64 v[48:49], s[8:9], v[46:47], v[40:41]
	s_mov_b32 s11, 0xbc7abc9e
	s_mov_b32 s10, 0x3b39803f
	;; [unrolled: 1-line block ×3, first 2 shown]
	v_fmac_f64_e32 v[48:49], s[10:11], v[46:47]
	v_mov_b32_e32 v50, 0xfca7ab0c
	v_mov_b32_e32 v51, 0x3e928af3
	s_mov_b32 s5, 0x3e5ade15
	v_fmac_f64_e32 v[50:51], s[4:5], v[48:49]
	v_mov_b32_e32 v52, 0x623fde64
	v_mov_b32_e32 v53, 0x3ec71dee
	v_fmac_f64_e32 v[52:53], v[48:49], v[50:51]
	v_mov_b32_e32 v50, 0x7c89e6b0
	v_mov_b32_e32 v51, 0x3efa0199
	;; [unrolled: 3-line block ×8, first 2 shown]
	s_mov_b32 s4, 0
	v_fmac_f64_e32 v[50:51], v[48:49], v[52:53]
	s_mov_b32 s5, 0x40900000
	v_fma_f64 v[50:51], v[48:49], v[50:51], 1.0
	v_cmp_nlt_f64_e32 vcc, s[4:5], v[40:41]
	s_mov_b32 s4, 0
	v_fma_f64 v[48:49], v[48:49], v[50:51], 1.0
	v_cvt_i32_f64_e32 v46, v[46:47]
	s_mov_b32 s5, 0xc090cc00
	v_ldexp_f64 v[46:47], v[48:49], v46
	v_mov_b32_e32 v48, 0x7ff00000
	v_cmp_ngt_f64_e64 s[4:5], s[4:5], v[40:41]
	v_cndmask_b32_e32 v47, v48, v47, vcc
	s_and_b64 vcc, s[4:5], vcc
	v_cndmask_b32_e64 v41, 0, v47, s[4:5]
	v_cndmask_b32_e32 v40, 0, v46, vcc
	v_add_f64 v[46:47], v[40:41], 1.0
	v_add_f64 v[48:49], v[46:47], -1.0
	v_add_f64 v[50:51], v[48:49], -v[46:47]
	v_add_f64 v[50:51], v[50:51], 1.0
	v_add_f64 v[48:49], v[40:41], -v[48:49]
	s_mov_b32 s4, 0x55555555
	v_add_f64 v[48:49], v[48:49], v[50:51]
	v_frexp_mant_f64_e32 v[50:51], v[46:47]
	s_mov_b32 s5, 0x3fe55555
	v_frexp_exp_i32_f64_e32 v52, v[46:47]
	v_cmp_gt_f64_e32 vcc, s[4:5], v[50:51]
	v_subbrev_co_u32_e32 v66, vcc, 0, v52, vcc
	v_sub_u32_e32 v50, 0, v66
	v_ldexp_f64 v[46:47], v[46:47], v50
	v_ldexp_f64 v[48:49], v[48:49], v50
	v_add_f64 v[50:51], v[46:47], -1.0
	v_add_f64 v[56:57], v[46:47], 1.0
	v_add_f64 v[52:53], v[50:51], 1.0
	v_add_f64 v[58:59], v[56:57], -1.0
	v_add_f64 v[52:53], v[46:47], -v[52:53]
	v_add_f64 v[46:47], v[46:47], -v[58:59]
	v_add_f64 v[46:47], v[48:49], v[46:47]
	v_add_f64 v[52:53], v[48:49], v[52:53]
	;; [unrolled: 1-line block ×3, first 2 shown]
	v_rcp_f64_e32 v[58:59], v[48:49]
	v_add_f64 v[54:55], v[50:51], v[52:53]
	v_add_f64 v[50:51], v[54:55], -v[50:51]
	v_add_f64 v[50:51], v[52:53], -v[50:51]
	;; [unrolled: 1-line block ×4, first 2 shown]
	v_fma_f64 v[52:53], -v[48:49], v[58:59], 1.0
	v_fmac_f64_e32 v[58:59], v[52:53], v[58:59]
	v_fma_f64 v[52:53], -v[48:49], v[58:59], 1.0
	v_fmac_f64_e32 v[58:59], v[52:53], v[58:59]
	v_mul_f64 v[52:53], v[54:55], v[58:59]
	v_mul_f64 v[56:57], v[48:49], v[52:53]
	v_fma_f64 v[60:61], v[52:53], v[48:49], -v[56:57]
	v_fmac_f64_e32 v[60:61], v[52:53], v[46:47]
	v_add_f64 v[62:63], v[56:57], v[60:61]
	v_add_f64 v[64:65], v[54:55], -v[62:63]
	v_add_f64 v[54:55], v[54:55], -v[64:65]
	;; [unrolled: 1-line block ×4, first 2 shown]
	v_add_f64 v[50:51], v[50:51], v[54:55]
	v_add_f64 v[54:55], v[56:57], -v[60:61]
	v_add_f64 v[50:51], v[54:55], v[50:51]
	v_add_f64 v[54:55], v[64:65], v[50:51]
	v_add_f64 v[56:57], v[64:65], -v[54:55]
	v_add_f64 v[50:51], v[50:51], v[56:57]
	v_mul_f64 v[56:57], v[58:59], v[54:55]
	v_mul_f64 v[60:61], v[48:49], v[56:57]
	v_fma_f64 v[48:49], v[56:57], v[48:49], -v[60:61]
	v_fmac_f64_e32 v[48:49], v[56:57], v[46:47]
	v_add_f64 v[46:47], v[60:61], v[48:49]
	v_add_f64 v[62:63], v[54:55], -v[46:47]
	v_add_f64 v[54:55], v[54:55], -v[62:63]
	;; [unrolled: 1-line block ×4, first 2 shown]
	v_add_f64 v[46:47], v[50:51], v[46:47]
	v_add_f64 v[48:49], v[60:61], -v[48:49]
	v_add_f64 v[46:47], v[48:49], v[46:47]
	v_add_f64 v[48:49], v[52:53], v[56:57]
	;; [unrolled: 1-line block ×3, first 2 shown]
	v_add_f64 v[50:51], v[48:49], -v[52:53]
	v_mul_f64 v[46:47], v[58:59], v[46:47]
	v_add_f64 v[50:51], v[56:57], -v[50:51]
	v_add_f64 v[46:47], v[50:51], v[46:47]
	v_add_f64 v[50:51], v[48:49], v[46:47]
	v_add_f64 v[48:49], v[50:51], -v[48:49]
	s_mov_b32 s4, 0xbf559e2b
	v_add_f64 v[46:47], v[46:47], -v[48:49]
	v_mul_f64 v[48:49], v[50:51], v[50:51]
	v_mov_b32_e32 v52, 0x6b47b09a
	v_mov_b32_e32 v53, 0x3fc38538
	s_mov_b32 s5, 0x3fc3ab76
	v_fmac_f64_e32 v[52:53], s[4:5], v[48:49]
	v_mov_b32_e32 v54, 0xd7f4df2e
	v_mov_b32_e32 v55, 0x3fc7474d
	v_fmac_f64_e32 v[54:55], v[48:49], v[52:53]
	v_mov_b32_e32 v52, 0x16291751
	v_mov_b32_e32 v53, 0x3fcc71c0
	v_fmac_f64_e32 v[52:53], v[48:49], v[54:55]
	v_mov_b32_e32 v54, 0x9b27acf1
	v_mov_b32_e32 v55, 0x3fd24924
	v_fmac_f64_e32 v[54:55], v[48:49], v[52:53]
	v_mov_b32_e32 v52, 0x998ef7b6
	v_mov_b32_e32 v53, 0x3fd99999
	v_fmac_f64_e32 v[52:53], v[48:49], v[54:55]
	v_mov_b32_e32 v54, 0x55555780
	v_mov_b32_e32 v55, 0x3fe55555
	v_fmac_f64_e32 v[54:55], v[48:49], v[52:53]
	v_cvt_f64_i32_e32 v[52:53], v66
	s_mov_b32 s9, 0x3fe62e42
	v_mul_f64 v[56:57], v[52:53], s[8:9]
	v_fma_f64 v[58:59], v[52:53], s[8:9], -v[56:57]
	s_mov_b32 s11, 0x3c7abc9e
	v_fmac_f64_e32 v[58:59], s[10:11], v[52:53]
	v_add_f64 v[52:53], v[56:57], v[58:59]
	v_add_f64 v[56:57], v[52:53], -v[56:57]
	v_mul_f64 v[48:49], v[50:51], v[48:49]
	v_add_f64 v[56:57], v[58:59], -v[56:57]
	v_ldexp_f64 v[58:59], v[50:51], 1
	v_mul_f64 v[48:49], v[48:49], v[54:55]
	v_add_f64 v[50:51], v[58:59], v[48:49]
	v_add_f64 v[54:55], v[50:51], -v[58:59]
	v_ldexp_f64 v[46:47], v[46:47], 1
	v_add_f64 v[48:49], v[48:49], -v[54:55]
	v_add_f64 v[46:47], v[46:47], v[48:49]
	v_add_f64 v[48:49], v[50:51], v[46:47]
	v_add_f64 v[50:51], v[48:49], -v[50:51]
	v_add_f64 v[46:47], v[46:47], -v[50:51]
	v_add_f64 v[50:51], v[52:53], v[48:49]
	v_add_f64 v[54:55], v[50:51], -v[52:53]
	v_add_f64 v[58:59], v[50:51], -v[54:55]
	;; [unrolled: 1-line block ×4, first 2 shown]
	v_add_f64 v[48:49], v[48:49], v[52:53]
	v_add_f64 v[52:53], v[56:57], v[46:47]
	v_add_f64 v[54:55], v[52:53], -v[56:57]
	v_add_f64 v[48:49], v[52:53], v[48:49]
	v_add_f64 v[58:59], v[52:53], -v[54:55]
	;; [unrolled: 2-line block ×3, first 2 shown]
	v_add_f64 v[46:47], v[46:47], -v[54:55]
	v_add_f64 v[50:51], v[52:53], -v[50:51]
	v_add_f64 v[46:47], v[46:47], v[56:57]
	v_add_f64 v[48:49], v[48:49], -v[50:51]
	s_mov_b32 s4, 0
	v_add_f64 v[46:47], v[46:47], v[48:49]
	s_mov_b32 s5, 0x7ff00000
	v_add_f64 v[46:47], v[52:53], v[46:47]
	v_cmp_eq_f64_e32 vcc, s[4:5], v[40:41]
	v_cndmask_b32_e32 v46, v46, v40, vcc
	v_cndmask_b32_e32 v47, v47, v41, vcc
	v_mov_b32_e32 v48, 0x7ff80000
	v_cmp_ngt_f64_e32 vcc, -1.0, v[40:41]
	v_cndmask_b32_e32 v47, v48, v47, vcc
	v_cmp_nge_f64_e32 vcc, -1.0, v[40:41]
	v_cndmask_b32_e32 v46, 0, v46, vcc
	v_mov_b32_e32 v48, 0xfff00000
	v_cmp_neq_f64_e32 vcc, -1.0, v[40:41]
	v_cndmask_b32_e32 v47, v48, v47, vcc
	v_add_f64 v[40:41], v[44:45], v[46:47]
.LBB30_182:
	s_or_b64 exec, exec, s[6:7]
	s_branch .LBB30_267
.LBB30_183:
                                        ; implicit-def: $vgpr40_vgpr41
                                        ; implicit-def: $vgpr36_vgpr37
                                        ; implicit-def: $vgpr32_vgpr33
                                        ; implicit-def: $vgpr28_vgpr29
                                        ; implicit-def: $vgpr24_vgpr25
	s_cbranch_execz .LBB30_267
; %bb.184:
	s_cmp_lg_u64 s[40:41], 0
	s_cselect_b64 s[4:5], -1, 0
	s_and_b64 s[2:3], s[2:3], s[4:5]
	s_and_saveexec_b64 s[4:5], s[2:3]
	s_cbranch_execz .LBB30_188
; %bb.185:
	v_mov_b32_e32 v22, 0
	global_load_dwordx2 v[22:23], v22, s[36:37]
	v_max_f64 v[24:25], v[2:3], v[2:3]
	s_movk_i32 s2, 0x1f8
	s_waitcnt vmcnt(0)
	v_max_f64 v[26:27], v[22:23], v[22:23]
	v_min_f64 v[28:29], v[26:27], v[24:25]
	v_max_f64 v[24:25], v[26:27], v[24:25]
	v_cmp_u_f64_e32 vcc, v[22:23], v[22:23]
	v_cndmask_b32_e32 v26, v28, v22, vcc
	v_cndmask_b32_e32 v27, v29, v23, vcc
	;; [unrolled: 1-line block ×4, first 2 shown]
	v_cmp_u_f64_e32 vcc, v[2:3], v[2:3]
	v_cndmask_b32_e32 v25, v27, v3, vcc
	v_cndmask_b32_e32 v24, v26, v2, vcc
	;; [unrolled: 1-line block ×4, first 2 shown]
	v_cmp_neq_f64_e32 vcc, v[24:25], v[2:3]
	v_cmp_class_f64_e64 s[2:3], v[24:25], s2
	s_or_b64 s[2:3], vcc, s[2:3]
	s_and_saveexec_b64 s[6:7], s[2:3]
	s_cbranch_execz .LBB30_187
; %bb.186:
	s_mov_b32 s2, 0x652b82fe
	v_add_f64 v[22:23], v[24:25], -v[2:3]
	s_mov_b32 s3, 0x3ff71547
	v_mul_f64 v[24:25], v[22:23], s[2:3]
	v_rndne_f64_e32 v[24:25], v[24:25]
	s_mov_b32 s9, 0xbfe62e42
	s_mov_b32 s8, 0xfefa39ef
	v_fma_f64 v[26:27], s[8:9], v[24:25], v[22:23]
	s_mov_b32 s11, 0xbc7abc9e
	s_mov_b32 s10, 0x3b39803f
	;; [unrolled: 1-line block ×3, first 2 shown]
	v_fmac_f64_e32 v[26:27], s[10:11], v[24:25]
	v_mov_b32_e32 v28, 0xfca7ab0c
	v_mov_b32_e32 v29, 0x3e928af3
	s_mov_b32 s3, 0x3e5ade15
	v_fmac_f64_e32 v[28:29], s[2:3], v[26:27]
	v_mov_b32_e32 v30, 0x623fde64
	v_mov_b32_e32 v31, 0x3ec71dee
	v_fmac_f64_e32 v[30:31], v[26:27], v[28:29]
	v_mov_b32_e32 v28, 0x7c89e6b0
	v_mov_b32_e32 v29, 0x3efa0199
	;; [unrolled: 3-line block ×8, first 2 shown]
	s_mov_b32 s2, 0
	v_fmac_f64_e32 v[28:29], v[26:27], v[30:31]
	s_mov_b32 s3, 0x40900000
	v_fma_f64 v[28:29], v[26:27], v[28:29], 1.0
	v_cmp_nlt_f64_e32 vcc, s[2:3], v[22:23]
	s_mov_b32 s2, 0
	v_fma_f64 v[26:27], v[26:27], v[28:29], 1.0
	v_cvt_i32_f64_e32 v24, v[24:25]
	s_mov_b32 s3, 0xc090cc00
	v_ldexp_f64 v[24:25], v[26:27], v24
	v_mov_b32_e32 v26, 0x7ff00000
	v_cmp_ngt_f64_e64 s[2:3], s[2:3], v[22:23]
	v_cndmask_b32_e32 v25, v26, v25, vcc
	s_and_b64 vcc, s[2:3], vcc
	v_cndmask_b32_e64 v23, 0, v25, s[2:3]
	v_cndmask_b32_e32 v22, 0, v24, vcc
	v_add_f64 v[24:25], v[22:23], 1.0
	v_add_f64 v[26:27], v[24:25], -1.0
	v_add_f64 v[28:29], v[26:27], -v[24:25]
	v_add_f64 v[28:29], v[28:29], 1.0
	v_add_f64 v[26:27], v[22:23], -v[26:27]
	s_mov_b32 s2, 0x55555555
	v_add_f64 v[26:27], v[26:27], v[28:29]
	v_frexp_mant_f64_e32 v[28:29], v[24:25]
	s_mov_b32 s3, 0x3fe55555
	v_frexp_exp_i32_f64_e32 v30, v[24:25]
	v_cmp_gt_f64_e32 vcc, s[2:3], v[28:29]
	v_subbrev_co_u32_e32 v46, vcc, 0, v30, vcc
	v_sub_u32_e32 v28, 0, v46
	v_ldexp_f64 v[24:25], v[24:25], v28
	v_ldexp_f64 v[26:27], v[26:27], v28
	v_add_f64 v[28:29], v[24:25], -1.0
	v_add_f64 v[34:35], v[24:25], 1.0
	v_add_f64 v[30:31], v[28:29], 1.0
	v_add_f64 v[36:37], v[34:35], -1.0
	v_add_f64 v[30:31], v[24:25], -v[30:31]
	v_add_f64 v[24:25], v[24:25], -v[36:37]
	v_add_f64 v[24:25], v[26:27], v[24:25]
	v_add_f64 v[30:31], v[26:27], v[30:31]
	;; [unrolled: 1-line block ×3, first 2 shown]
	v_rcp_f64_e32 v[36:37], v[26:27]
	v_add_f64 v[32:33], v[28:29], v[30:31]
	v_add_f64 v[28:29], v[32:33], -v[28:29]
	v_add_f64 v[28:29], v[30:31], -v[28:29]
	;; [unrolled: 1-line block ×4, first 2 shown]
	v_fma_f64 v[30:31], -v[26:27], v[36:37], 1.0
	v_fmac_f64_e32 v[36:37], v[30:31], v[36:37]
	v_fma_f64 v[30:31], -v[26:27], v[36:37], 1.0
	v_fmac_f64_e32 v[36:37], v[30:31], v[36:37]
	v_mul_f64 v[30:31], v[32:33], v[36:37]
	v_mul_f64 v[34:35], v[26:27], v[30:31]
	v_fma_f64 v[38:39], v[30:31], v[26:27], -v[34:35]
	v_fmac_f64_e32 v[38:39], v[30:31], v[24:25]
	v_add_f64 v[40:41], v[34:35], v[38:39]
	v_add_f64 v[44:45], v[32:33], -v[40:41]
	v_add_f64 v[32:33], v[32:33], -v[44:45]
	;; [unrolled: 1-line block ×4, first 2 shown]
	v_add_f64 v[28:29], v[28:29], v[32:33]
	v_add_f64 v[32:33], v[34:35], -v[38:39]
	v_add_f64 v[28:29], v[32:33], v[28:29]
	v_add_f64 v[32:33], v[44:45], v[28:29]
	v_add_f64 v[34:35], v[44:45], -v[32:33]
	v_add_f64 v[28:29], v[28:29], v[34:35]
	v_mul_f64 v[34:35], v[36:37], v[32:33]
	v_mul_f64 v[38:39], v[26:27], v[34:35]
	v_fma_f64 v[26:27], v[34:35], v[26:27], -v[38:39]
	v_fmac_f64_e32 v[26:27], v[34:35], v[24:25]
	v_add_f64 v[24:25], v[38:39], v[26:27]
	v_add_f64 v[40:41], v[32:33], -v[24:25]
	v_add_f64 v[32:33], v[32:33], -v[40:41]
	;; [unrolled: 1-line block ×4, first 2 shown]
	v_add_f64 v[24:25], v[28:29], v[24:25]
	v_add_f64 v[26:27], v[38:39], -v[26:27]
	v_add_f64 v[24:25], v[26:27], v[24:25]
	v_add_f64 v[26:27], v[30:31], v[34:35]
	;; [unrolled: 1-line block ×3, first 2 shown]
	v_add_f64 v[28:29], v[26:27], -v[30:31]
	v_mul_f64 v[24:25], v[36:37], v[24:25]
	v_add_f64 v[28:29], v[34:35], -v[28:29]
	v_add_f64 v[24:25], v[28:29], v[24:25]
	v_add_f64 v[28:29], v[26:27], v[24:25]
	v_add_f64 v[26:27], v[28:29], -v[26:27]
	s_mov_b32 s2, 0xbf559e2b
	v_add_f64 v[24:25], v[24:25], -v[26:27]
	v_mul_f64 v[26:27], v[28:29], v[28:29]
	v_mov_b32_e32 v30, 0x6b47b09a
	v_mov_b32_e32 v31, 0x3fc38538
	s_mov_b32 s3, 0x3fc3ab76
	v_fmac_f64_e32 v[30:31], s[2:3], v[26:27]
	v_mov_b32_e32 v32, 0xd7f4df2e
	v_mov_b32_e32 v33, 0x3fc7474d
	v_fmac_f64_e32 v[32:33], v[26:27], v[30:31]
	v_mov_b32_e32 v30, 0x16291751
	v_mov_b32_e32 v31, 0x3fcc71c0
	;; [unrolled: 3-line block ×5, first 2 shown]
	v_fmac_f64_e32 v[32:33], v[26:27], v[30:31]
	v_cvt_f64_i32_e32 v[30:31], v46
	s_mov_b32 s9, 0x3fe62e42
	v_mul_f64 v[34:35], v[30:31], s[8:9]
	v_fma_f64 v[36:37], v[30:31], s[8:9], -v[34:35]
	s_mov_b32 s11, 0x3c7abc9e
	v_fmac_f64_e32 v[36:37], s[10:11], v[30:31]
	v_add_f64 v[30:31], v[34:35], v[36:37]
	v_add_f64 v[34:35], v[30:31], -v[34:35]
	v_mul_f64 v[26:27], v[28:29], v[26:27]
	v_add_f64 v[34:35], v[36:37], -v[34:35]
	v_ldexp_f64 v[36:37], v[28:29], 1
	v_mul_f64 v[26:27], v[26:27], v[32:33]
	v_add_f64 v[28:29], v[36:37], v[26:27]
	v_add_f64 v[32:33], v[28:29], -v[36:37]
	v_ldexp_f64 v[24:25], v[24:25], 1
	v_add_f64 v[26:27], v[26:27], -v[32:33]
	v_add_f64 v[24:25], v[24:25], v[26:27]
	v_add_f64 v[26:27], v[28:29], v[24:25]
	v_add_f64 v[28:29], v[26:27], -v[28:29]
	v_add_f64 v[24:25], v[24:25], -v[28:29]
	v_add_f64 v[28:29], v[30:31], v[26:27]
	v_add_f64 v[32:33], v[28:29], -v[30:31]
	v_add_f64 v[36:37], v[28:29], -v[32:33]
	;; [unrolled: 1-line block ×4, first 2 shown]
	v_add_f64 v[26:27], v[26:27], v[30:31]
	v_add_f64 v[30:31], v[34:35], v[24:25]
	v_add_f64 v[32:33], v[30:31], -v[34:35]
	v_add_f64 v[26:27], v[30:31], v[26:27]
	v_add_f64 v[36:37], v[30:31], -v[32:33]
	;; [unrolled: 2-line block ×3, first 2 shown]
	v_add_f64 v[24:25], v[24:25], -v[32:33]
	v_add_f64 v[28:29], v[30:31], -v[28:29]
	v_add_f64 v[24:25], v[24:25], v[34:35]
	v_add_f64 v[26:27], v[26:27], -v[28:29]
	s_mov_b32 s2, 0
	v_add_f64 v[24:25], v[24:25], v[26:27]
	s_mov_b32 s3, 0x7ff00000
	v_add_f64 v[24:25], v[30:31], v[24:25]
	v_cmp_eq_f64_e32 vcc, s[2:3], v[22:23]
	v_cndmask_b32_e32 v24, v24, v22, vcc
	v_cndmask_b32_e32 v25, v25, v23, vcc
	v_mov_b32_e32 v26, 0x7ff80000
	v_cmp_ngt_f64_e32 vcc, -1.0, v[22:23]
	v_cndmask_b32_e32 v25, v26, v25, vcc
	v_cmp_nge_f64_e32 vcc, -1.0, v[22:23]
	v_cndmask_b32_e32 v24, 0, v24, vcc
	v_mov_b32_e32 v26, 0xfff00000
	v_cmp_neq_f64_e32 vcc, -1.0, v[22:23]
	v_cndmask_b32_e32 v25, v26, v25, vcc
	v_add_f64 v[22:23], v[2:3], v[24:25]
.LBB30_187:
	s_or_b64 exec, exec, s[6:7]
	v_pk_mov_b32 v[2:3], v[22:23], v[22:23] op_sel:[0,1]
.LBB30_188:
	s_or_b64 exec, exec, s[4:5]
	v_max_f64 v[24:25], v[2:3], v[2:3]
	v_min_f64 v[26:27], v[24:25], v[42:43]
	v_cmp_u_f64_e64 s[18:19], v[2:3], v[2:3]
	v_cndmask_b32_e64 v22, v26, v2, s[18:19]
	v_cndmask_b32_e64 v23, v27, v3, s[18:19]
	v_cmp_u_f64_e32 vcc, v[4:5], v[4:5]
	v_max_f64 v[44:45], v[24:25], v[42:43]
	v_cndmask_b32_e32 v29, v23, v5, vcc
	v_cndmask_b32_e32 v28, v22, v4, vcc
	v_cndmask_b32_e64 v22, v44, v2, s[18:19]
	v_cndmask_b32_e64 v23, v45, v3, s[18:19]
	v_cndmask_b32_e32 v23, v23, v5, vcc
	v_cndmask_b32_e32 v22, v22, v4, vcc
	s_movk_i32 s12, 0x1f8
	v_cmp_neq_f64_e64 s[2:3], v[28:29], v[22:23]
	v_cmp_class_f64_e64 s[4:5], v[28:29], s12
	s_or_b64 s[2:3], s[2:3], s[4:5]
	v_pk_mov_b32 v[46:47], v[2:3], v[2:3] op_sel:[0,1]
	s_and_saveexec_b64 s[6:7], s[2:3]
	s_cbranch_execz .LBB30_190
; %bb.189:
	s_mov_b32 s2, 0x652b82fe
	v_add_f64 v[28:29], v[28:29], -v[22:23]
	s_mov_b32 s3, 0x3ff71547
	v_mul_f64 v[30:31], v[28:29], s[2:3]
	v_rndne_f64_e32 v[30:31], v[30:31]
	s_mov_b32 s9, 0xbfe62e42
	s_mov_b32 s8, 0xfefa39ef
	v_fma_f64 v[32:33], s[8:9], v[30:31], v[28:29]
	s_mov_b32 s11, 0xbc7abc9e
	s_mov_b32 s10, 0x3b39803f
	;; [unrolled: 1-line block ×3, first 2 shown]
	v_fmac_f64_e32 v[32:33], s[10:11], v[30:31]
	v_mov_b32_e32 v34, 0xfca7ab0c
	v_mov_b32_e32 v35, 0x3e928af3
	s_mov_b32 s3, 0x3e5ade15
	v_fmac_f64_e32 v[34:35], s[2:3], v[32:33]
	v_mov_b32_e32 v36, 0x623fde64
	v_mov_b32_e32 v37, 0x3ec71dee
	v_fmac_f64_e32 v[36:37], v[32:33], v[34:35]
	v_mov_b32_e32 v34, 0x7c89e6b0
	v_mov_b32_e32 v35, 0x3efa0199
	;; [unrolled: 3-line block ×8, first 2 shown]
	v_fmac_f64_e32 v[34:35], v[32:33], v[36:37]
	v_fma_f64 v[34:35], v[32:33], v[34:35], 1.0
	s_mov_b32 s2, 0
	s_mov_b32 s4, 0
	v_fma_f64 v[32:33], v[32:33], v[34:35], 1.0
	v_cvt_i32_f64_e32 v30, v[30:31]
	s_mov_b32 s3, 0x40900000
	s_mov_b32 s5, 0xc090cc00
	v_ldexp_f64 v[30:31], v[32:33], v30
	v_mov_b32_e32 v32, 0x7ff00000
	v_cmp_nlt_f64_e64 s[2:3], s[2:3], v[28:29]
	v_cmp_ngt_f64_e64 s[4:5], s[4:5], v[28:29]
	v_cndmask_b32_e64 v31, v32, v31, s[2:3]
	s_and_b64 s[2:3], s[4:5], s[2:3]
	v_cndmask_b32_e64 v29, 0, v31, s[4:5]
	v_cndmask_b32_e64 v28, 0, v30, s[2:3]
	v_add_f64 v[30:31], v[28:29], 1.0
	v_add_f64 v[32:33], v[30:31], -1.0
	v_add_f64 v[34:35], v[32:33], -v[30:31]
	v_add_f64 v[34:35], v[34:35], 1.0
	v_add_f64 v[32:33], v[28:29], -v[32:33]
	s_mov_b32 s2, 0x55555555
	v_add_f64 v[32:33], v[32:33], v[34:35]
	v_frexp_mant_f64_e32 v[34:35], v[30:31]
	s_mov_b32 s3, 0x3fe55555
	v_frexp_exp_i32_f64_e32 v36, v[30:31]
	v_cmp_gt_f64_e64 s[2:3], s[2:3], v[34:35]
	v_subbrev_co_u32_e64 v54, s[2:3], 0, v36, s[2:3]
	v_sub_u32_e32 v34, 0, v54
	v_ldexp_f64 v[30:31], v[30:31], v34
	v_ldexp_f64 v[32:33], v[32:33], v34
	v_add_f64 v[34:35], v[30:31], -1.0
	v_add_f64 v[40:41], v[30:31], 1.0
	v_add_f64 v[36:37], v[34:35], 1.0
	v_add_f64 v[46:47], v[40:41], -1.0
	v_add_f64 v[36:37], v[30:31], -v[36:37]
	v_add_f64 v[30:31], v[30:31], -v[46:47]
	v_add_f64 v[30:31], v[32:33], v[30:31]
	v_add_f64 v[36:37], v[32:33], v[36:37]
	;; [unrolled: 1-line block ×3, first 2 shown]
	v_rcp_f64_e32 v[46:47], v[32:33]
	v_add_f64 v[38:39], v[34:35], v[36:37]
	v_add_f64 v[34:35], v[38:39], -v[34:35]
	v_add_f64 v[34:35], v[36:37], -v[34:35]
	v_add_f64 v[36:37], v[32:33], -v[40:41]
	v_add_f64 v[30:31], v[30:31], -v[36:37]
	v_fma_f64 v[36:37], -v[32:33], v[46:47], 1.0
	v_fmac_f64_e32 v[46:47], v[36:37], v[46:47]
	v_fma_f64 v[36:37], -v[32:33], v[46:47], 1.0
	v_fmac_f64_e32 v[46:47], v[36:37], v[46:47]
	v_mul_f64 v[36:37], v[38:39], v[46:47]
	v_mul_f64 v[40:41], v[32:33], v[36:37]
	v_fma_f64 v[48:49], v[36:37], v[32:33], -v[40:41]
	v_fmac_f64_e32 v[48:49], v[36:37], v[30:31]
	v_add_f64 v[50:51], v[40:41], v[48:49]
	v_add_f64 v[52:53], v[38:39], -v[50:51]
	v_add_f64 v[38:39], v[38:39], -v[52:53]
	;; [unrolled: 1-line block ×4, first 2 shown]
	v_add_f64 v[34:35], v[34:35], v[38:39]
	v_add_f64 v[38:39], v[40:41], -v[48:49]
	v_add_f64 v[34:35], v[38:39], v[34:35]
	v_add_f64 v[38:39], v[52:53], v[34:35]
	v_add_f64 v[40:41], v[52:53], -v[38:39]
	v_add_f64 v[34:35], v[34:35], v[40:41]
	v_mul_f64 v[40:41], v[46:47], v[38:39]
	v_mul_f64 v[48:49], v[32:33], v[40:41]
	v_fma_f64 v[32:33], v[40:41], v[32:33], -v[48:49]
	v_fmac_f64_e32 v[32:33], v[40:41], v[30:31]
	v_add_f64 v[30:31], v[48:49], v[32:33]
	v_add_f64 v[50:51], v[38:39], -v[30:31]
	v_add_f64 v[38:39], v[38:39], -v[50:51]
	v_add_f64 v[48:49], v[30:31], -v[48:49]
	v_add_f64 v[30:31], v[38:39], -v[30:31]
	v_add_f64 v[30:31], v[34:35], v[30:31]
	v_add_f64 v[32:33], v[48:49], -v[32:33]
	v_add_f64 v[30:31], v[32:33], v[30:31]
	v_add_f64 v[32:33], v[36:37], v[40:41]
	;; [unrolled: 1-line block ×3, first 2 shown]
	v_add_f64 v[34:35], v[32:33], -v[36:37]
	v_mul_f64 v[30:31], v[46:47], v[30:31]
	v_add_f64 v[34:35], v[40:41], -v[34:35]
	v_add_f64 v[30:31], v[34:35], v[30:31]
	v_add_f64 v[34:35], v[32:33], v[30:31]
	v_add_f64 v[32:33], v[34:35], -v[32:33]
	s_mov_b32 s2, 0xbf559e2b
	v_add_f64 v[30:31], v[30:31], -v[32:33]
	v_mul_f64 v[32:33], v[34:35], v[34:35]
	v_mov_b32_e32 v36, 0x6b47b09a
	v_mov_b32_e32 v37, 0x3fc38538
	s_mov_b32 s3, 0x3fc3ab76
	v_fmac_f64_e32 v[36:37], s[2:3], v[32:33]
	v_mov_b32_e32 v38, 0xd7f4df2e
	v_mov_b32_e32 v39, 0x3fc7474d
	v_fmac_f64_e32 v[38:39], v[32:33], v[36:37]
	v_mov_b32_e32 v36, 0x16291751
	v_mov_b32_e32 v37, 0x3fcc71c0
	v_fmac_f64_e32 v[36:37], v[32:33], v[38:39]
	v_mov_b32_e32 v38, 0x9b27acf1
	v_mov_b32_e32 v39, 0x3fd24924
	v_fmac_f64_e32 v[38:39], v[32:33], v[36:37]
	v_mov_b32_e32 v36, 0x998ef7b6
	v_mov_b32_e32 v37, 0x3fd99999
	v_fmac_f64_e32 v[36:37], v[32:33], v[38:39]
	v_mov_b32_e32 v38, 0x55555780
	v_mov_b32_e32 v39, 0x3fe55555
	v_fmac_f64_e32 v[38:39], v[32:33], v[36:37]
	v_cvt_f64_i32_e32 v[36:37], v54
	s_mov_b32 s9, 0x3fe62e42
	v_mul_f64 v[40:41], v[36:37], s[8:9]
	v_fma_f64 v[46:47], v[36:37], s[8:9], -v[40:41]
	s_mov_b32 s11, 0x3c7abc9e
	v_fmac_f64_e32 v[46:47], s[10:11], v[36:37]
	v_add_f64 v[36:37], v[40:41], v[46:47]
	v_add_f64 v[40:41], v[36:37], -v[40:41]
	v_mul_f64 v[32:33], v[34:35], v[32:33]
	v_add_f64 v[40:41], v[46:47], -v[40:41]
	v_ldexp_f64 v[46:47], v[34:35], 1
	v_mul_f64 v[32:33], v[32:33], v[38:39]
	v_add_f64 v[34:35], v[46:47], v[32:33]
	v_add_f64 v[38:39], v[34:35], -v[46:47]
	v_ldexp_f64 v[30:31], v[30:31], 1
	v_add_f64 v[32:33], v[32:33], -v[38:39]
	v_add_f64 v[30:31], v[30:31], v[32:33]
	v_add_f64 v[32:33], v[34:35], v[30:31]
	v_add_f64 v[34:35], v[32:33], -v[34:35]
	v_add_f64 v[30:31], v[30:31], -v[34:35]
	v_add_f64 v[34:35], v[36:37], v[32:33]
	v_add_f64 v[38:39], v[34:35], -v[36:37]
	v_add_f64 v[46:47], v[34:35], -v[38:39]
	;; [unrolled: 1-line block ×4, first 2 shown]
	v_add_f64 v[32:33], v[32:33], v[36:37]
	v_add_f64 v[36:37], v[40:41], v[30:31]
	v_add_f64 v[38:39], v[36:37], -v[40:41]
	v_add_f64 v[32:33], v[36:37], v[32:33]
	v_add_f64 v[46:47], v[36:37], -v[38:39]
	;; [unrolled: 2-line block ×3, first 2 shown]
	v_add_f64 v[30:31], v[30:31], -v[38:39]
	v_add_f64 v[34:35], v[36:37], -v[34:35]
	v_add_f64 v[30:31], v[30:31], v[40:41]
	v_add_f64 v[32:33], v[32:33], -v[34:35]
	s_mov_b32 s2, 0
	v_add_f64 v[30:31], v[30:31], v[32:33]
	s_mov_b32 s3, 0x7ff00000
	v_add_f64 v[30:31], v[36:37], v[30:31]
	v_cmp_eq_f64_e64 s[2:3], s[2:3], v[28:29]
	v_cndmask_b32_e64 v30, v30, v28, s[2:3]
	v_cndmask_b32_e64 v31, v31, v29, s[2:3]
	v_mov_b32_e32 v32, 0x7ff80000
	v_cmp_ngt_f64_e64 s[2:3], -1.0, v[28:29]
	v_cndmask_b32_e64 v31, v32, v31, s[2:3]
	v_cmp_nge_f64_e64 s[2:3], -1.0, v[28:29]
	v_cndmask_b32_e64 v30, 0, v30, s[2:3]
	v_mov_b32_e32 v32, 0xfff00000
	v_cmp_neq_f64_e64 s[2:3], -1.0, v[28:29]
	v_cndmask_b32_e64 v31, v32, v31, s[2:3]
	v_add_f64 v[46:47], v[22:23], v[30:31]
.LBB30_190:
	s_or_b64 exec, exec, s[6:7]
	v_max_f64 v[22:23], v[18:19], v[18:19]
	v_max_f64 v[28:29], v[46:47], v[46:47]
	v_min_f64 v[30:31], v[28:29], v[22:23]
	v_cmp_u_f64_e64 s[4:5], v[46:47], v[46:47]
	v_max_f64 v[28:29], v[28:29], v[22:23]
	v_cndmask_b32_e64 v30, v30, v46, s[4:5]
	v_cndmask_b32_e64 v31, v31, v47, s[4:5]
	v_cmp_u_f64_e64 s[2:3], v[18:19], v[18:19]
	v_cndmask_b32_e64 v28, v28, v46, s[4:5]
	v_cndmask_b32_e64 v29, v29, v47, s[4:5]
	;; [unrolled: 1-line block ×6, first 2 shown]
	v_cmp_neq_f64_e64 s[4:5], v[30:31], v[28:29]
	v_cmp_class_f64_e64 s[6:7], v[30:31], s12
	s_or_b64 s[4:5], s[4:5], s[6:7]
	s_and_saveexec_b64 s[8:9], s[4:5]
	s_cbranch_execz .LBB30_192
; %bb.191:
	s_mov_b32 s4, 0x652b82fe
	v_add_f64 v[30:31], v[30:31], -v[28:29]
	s_mov_b32 s5, 0x3ff71547
	v_mul_f64 v[32:33], v[30:31], s[4:5]
	v_rndne_f64_e32 v[32:33], v[32:33]
	s_mov_b32 s11, 0xbfe62e42
	s_mov_b32 s10, 0xfefa39ef
	v_fma_f64 v[34:35], s[10:11], v[32:33], v[30:31]
	s_mov_b32 s13, 0xbc7abc9e
	s_mov_b32 s12, 0x3b39803f
	s_mov_b32 s4, 0x6a5dcb37
	v_fmac_f64_e32 v[34:35], s[12:13], v[32:33]
	v_mov_b32_e32 v36, 0xfca7ab0c
	v_mov_b32_e32 v37, 0x3e928af3
	s_mov_b32 s5, 0x3e5ade15
	v_fmac_f64_e32 v[36:37], s[4:5], v[34:35]
	v_mov_b32_e32 v38, 0x623fde64
	v_mov_b32_e32 v39, 0x3ec71dee
	v_fmac_f64_e32 v[38:39], v[34:35], v[36:37]
	v_mov_b32_e32 v36, 0x7c89e6b0
	v_mov_b32_e32 v37, 0x3efa0199
	v_fmac_f64_e32 v[36:37], v[34:35], v[38:39]
	v_mov_b32_e32 v38, 0x14761f6e
	v_mov_b32_e32 v39, 0x3f2a01a0
	v_fmac_f64_e32 v[38:39], v[34:35], v[36:37]
	v_mov_b32_e32 v36, 0x1852b7b0
	v_mov_b32_e32 v37, 0x3f56c16c
	v_fmac_f64_e32 v[36:37], v[34:35], v[38:39]
	v_mov_b32_e32 v38, 0x11122322
	v_mov_b32_e32 v39, 0x3f811111
	v_fmac_f64_e32 v[38:39], v[34:35], v[36:37]
	v_mov_b32_e32 v36, 0x555502a1
	v_mov_b32_e32 v37, 0x3fa55555
	v_fmac_f64_e32 v[36:37], v[34:35], v[38:39]
	v_mov_b32_e32 v38, 0x55555511
	v_mov_b32_e32 v39, 0x3fc55555
	v_fmac_f64_e32 v[38:39], v[34:35], v[36:37]
	v_mov_b32_e32 v36, 11
	v_mov_b32_e32 v37, 0x3fe00000
	v_fmac_f64_e32 v[36:37], v[34:35], v[38:39]
	v_fma_f64 v[36:37], v[34:35], v[36:37], 1.0
	s_mov_b32 s4, 0
	s_mov_b32 s6, 0
	v_fma_f64 v[34:35], v[34:35], v[36:37], 1.0
	v_cvt_i32_f64_e32 v32, v[32:33]
	s_mov_b32 s5, 0x40900000
	s_mov_b32 s7, 0xc090cc00
	v_ldexp_f64 v[32:33], v[34:35], v32
	v_mov_b32_e32 v34, 0x7ff00000
	v_cmp_nlt_f64_e64 s[4:5], s[4:5], v[30:31]
	v_cmp_ngt_f64_e64 s[6:7], s[6:7], v[30:31]
	v_cndmask_b32_e64 v33, v34, v33, s[4:5]
	s_and_b64 s[4:5], s[6:7], s[4:5]
	v_cndmask_b32_e64 v31, 0, v33, s[6:7]
	v_cndmask_b32_e64 v30, 0, v32, s[4:5]
	v_add_f64 v[32:33], v[30:31], 1.0
	v_add_f64 v[34:35], v[32:33], -1.0
	v_add_f64 v[36:37], v[34:35], -v[32:33]
	v_add_f64 v[36:37], v[36:37], 1.0
	v_add_f64 v[34:35], v[30:31], -v[34:35]
	s_mov_b32 s4, 0x55555555
	v_add_f64 v[34:35], v[34:35], v[36:37]
	v_frexp_mant_f64_e32 v[36:37], v[32:33]
	s_mov_b32 s5, 0x3fe55555
	v_frexp_exp_i32_f64_e32 v38, v[32:33]
	v_cmp_gt_f64_e64 s[4:5], s[4:5], v[36:37]
	v_subbrev_co_u32_e64 v56, s[4:5], 0, v38, s[4:5]
	v_sub_u32_e32 v36, 0, v56
	v_ldexp_f64 v[32:33], v[32:33], v36
	v_ldexp_f64 v[34:35], v[34:35], v36
	v_add_f64 v[36:37], v[32:33], -1.0
	v_add_f64 v[46:47], v[32:33], 1.0
	v_add_f64 v[38:39], v[36:37], 1.0
	v_add_f64 v[48:49], v[46:47], -1.0
	v_add_f64 v[38:39], v[32:33], -v[38:39]
	v_add_f64 v[32:33], v[32:33], -v[48:49]
	v_add_f64 v[32:33], v[34:35], v[32:33]
	v_add_f64 v[38:39], v[34:35], v[38:39]
	;; [unrolled: 1-line block ×3, first 2 shown]
	v_rcp_f64_e32 v[48:49], v[34:35]
	v_add_f64 v[40:41], v[36:37], v[38:39]
	v_add_f64 v[36:37], v[40:41], -v[36:37]
	v_add_f64 v[36:37], v[38:39], -v[36:37]
	;; [unrolled: 1-line block ×4, first 2 shown]
	v_fma_f64 v[38:39], -v[34:35], v[48:49], 1.0
	v_fmac_f64_e32 v[48:49], v[38:39], v[48:49]
	v_fma_f64 v[38:39], -v[34:35], v[48:49], 1.0
	v_fmac_f64_e32 v[48:49], v[38:39], v[48:49]
	v_mul_f64 v[38:39], v[40:41], v[48:49]
	v_mul_f64 v[46:47], v[34:35], v[38:39]
	v_fma_f64 v[50:51], v[38:39], v[34:35], -v[46:47]
	v_fmac_f64_e32 v[50:51], v[38:39], v[32:33]
	v_add_f64 v[52:53], v[46:47], v[50:51]
	v_add_f64 v[54:55], v[40:41], -v[52:53]
	v_add_f64 v[40:41], v[40:41], -v[54:55]
	;; [unrolled: 1-line block ×4, first 2 shown]
	v_add_f64 v[36:37], v[36:37], v[40:41]
	v_add_f64 v[40:41], v[46:47], -v[50:51]
	v_add_f64 v[36:37], v[40:41], v[36:37]
	v_add_f64 v[40:41], v[54:55], v[36:37]
	v_add_f64 v[46:47], v[54:55], -v[40:41]
	v_add_f64 v[36:37], v[36:37], v[46:47]
	v_mul_f64 v[46:47], v[48:49], v[40:41]
	v_mul_f64 v[50:51], v[34:35], v[46:47]
	v_fma_f64 v[34:35], v[46:47], v[34:35], -v[50:51]
	v_fmac_f64_e32 v[34:35], v[46:47], v[32:33]
	v_add_f64 v[32:33], v[50:51], v[34:35]
	v_add_f64 v[52:53], v[40:41], -v[32:33]
	v_add_f64 v[40:41], v[40:41], -v[52:53]
	;; [unrolled: 1-line block ×4, first 2 shown]
	v_add_f64 v[32:33], v[36:37], v[32:33]
	v_add_f64 v[34:35], v[50:51], -v[34:35]
	v_add_f64 v[32:33], v[34:35], v[32:33]
	v_add_f64 v[34:35], v[38:39], v[46:47]
	v_add_f64 v[32:33], v[52:53], v[32:33]
	v_add_f64 v[36:37], v[34:35], -v[38:39]
	v_mul_f64 v[32:33], v[48:49], v[32:33]
	v_add_f64 v[36:37], v[46:47], -v[36:37]
	v_add_f64 v[32:33], v[36:37], v[32:33]
	v_add_f64 v[36:37], v[34:35], v[32:33]
	v_add_f64 v[34:35], v[36:37], -v[34:35]
	s_mov_b32 s4, 0xbf559e2b
	v_add_f64 v[32:33], v[32:33], -v[34:35]
	v_mul_f64 v[34:35], v[36:37], v[36:37]
	v_mov_b32_e32 v38, 0x6b47b09a
	v_mov_b32_e32 v39, 0x3fc38538
	s_mov_b32 s5, 0x3fc3ab76
	v_fmac_f64_e32 v[38:39], s[4:5], v[34:35]
	v_mov_b32_e32 v40, 0xd7f4df2e
	v_mov_b32_e32 v41, 0x3fc7474d
	v_fmac_f64_e32 v[40:41], v[34:35], v[38:39]
	v_mov_b32_e32 v38, 0x16291751
	v_mov_b32_e32 v39, 0x3fcc71c0
	;; [unrolled: 3-line block ×5, first 2 shown]
	v_fmac_f64_e32 v[40:41], v[34:35], v[38:39]
	v_cvt_f64_i32_e32 v[38:39], v56
	s_mov_b32 s11, 0x3fe62e42
	v_mul_f64 v[46:47], v[38:39], s[10:11]
	v_fma_f64 v[48:49], v[38:39], s[10:11], -v[46:47]
	s_mov_b32 s13, 0x3c7abc9e
	v_fmac_f64_e32 v[48:49], s[12:13], v[38:39]
	v_add_f64 v[38:39], v[46:47], v[48:49]
	v_add_f64 v[46:47], v[38:39], -v[46:47]
	v_mul_f64 v[34:35], v[36:37], v[34:35]
	v_add_f64 v[46:47], v[48:49], -v[46:47]
	v_ldexp_f64 v[48:49], v[36:37], 1
	v_mul_f64 v[34:35], v[34:35], v[40:41]
	v_add_f64 v[36:37], v[48:49], v[34:35]
	v_add_f64 v[40:41], v[36:37], -v[48:49]
	v_ldexp_f64 v[32:33], v[32:33], 1
	v_add_f64 v[34:35], v[34:35], -v[40:41]
	v_add_f64 v[32:33], v[32:33], v[34:35]
	v_add_f64 v[34:35], v[36:37], v[32:33]
	v_add_f64 v[36:37], v[34:35], -v[36:37]
	v_add_f64 v[32:33], v[32:33], -v[36:37]
	v_add_f64 v[36:37], v[38:39], v[34:35]
	v_add_f64 v[40:41], v[36:37], -v[38:39]
	v_add_f64 v[48:49], v[36:37], -v[40:41]
	;; [unrolled: 1-line block ×4, first 2 shown]
	v_add_f64 v[34:35], v[34:35], v[38:39]
	v_add_f64 v[38:39], v[46:47], v[32:33]
	v_add_f64 v[40:41], v[38:39], -v[46:47]
	v_add_f64 v[34:35], v[38:39], v[34:35]
	v_add_f64 v[48:49], v[38:39], -v[40:41]
	;; [unrolled: 2-line block ×3, first 2 shown]
	v_add_f64 v[32:33], v[32:33], -v[40:41]
	v_add_f64 v[36:37], v[38:39], -v[36:37]
	v_add_f64 v[32:33], v[32:33], v[46:47]
	v_add_f64 v[34:35], v[34:35], -v[36:37]
	s_mov_b32 s4, 0
	v_add_f64 v[32:33], v[32:33], v[34:35]
	s_mov_b32 s5, 0x7ff00000
	v_add_f64 v[32:33], v[38:39], v[32:33]
	v_cmp_eq_f64_e64 s[4:5], s[4:5], v[30:31]
	v_cndmask_b32_e64 v32, v32, v30, s[4:5]
	v_cndmask_b32_e64 v33, v33, v31, s[4:5]
	v_mov_b32_e32 v34, 0x7ff80000
	v_cmp_ngt_f64_e64 s[4:5], -1.0, v[30:31]
	v_cndmask_b32_e64 v33, v34, v33, s[4:5]
	v_cmp_nge_f64_e64 s[4:5], -1.0, v[30:31]
	v_cndmask_b32_e64 v32, 0, v32, s[4:5]
	v_mov_b32_e32 v34, 0xfff00000
	v_cmp_neq_f64_e64 s[4:5], -1.0, v[30:31]
	v_cndmask_b32_e64 v33, v34, v33, s[4:5]
	v_add_f64 v[46:47], v[28:29], v[32:33]
.LBB30_192:
	s_or_b64 exec, exec, s[8:9]
	v_max_f64 v[28:29], v[20:21], v[20:21]
	v_max_f64 v[30:31], v[46:47], v[46:47]
	v_min_f64 v[32:33], v[30:31], v[28:29]
	v_cmp_u_f64_e64 s[6:7], v[46:47], v[46:47]
	v_max_f64 v[30:31], v[30:31], v[28:29]
	v_cndmask_b32_e64 v32, v32, v46, s[6:7]
	v_cndmask_b32_e64 v33, v33, v47, s[6:7]
	v_cmp_u_f64_e64 s[4:5], v[20:21], v[20:21]
	v_cndmask_b32_e64 v30, v30, v46, s[6:7]
	v_cndmask_b32_e64 v31, v31, v47, s[6:7]
	;; [unrolled: 1-line block ×6, first 2 shown]
	s_movk_i32 s16, 0x1f8
	v_cmp_neq_f64_e64 s[6:7], v[32:33], v[30:31]
	v_cmp_class_f64_e64 s[8:9], v[32:33], s16
	s_or_b64 s[6:7], s[6:7], s[8:9]
	s_and_saveexec_b64 s[10:11], s[6:7]
	s_cbranch_execz .LBB30_194
; %bb.193:
	s_mov_b32 s6, 0x652b82fe
	v_add_f64 v[32:33], v[32:33], -v[30:31]
	s_mov_b32 s7, 0x3ff71547
	v_mul_f64 v[34:35], v[32:33], s[6:7]
	v_rndne_f64_e32 v[34:35], v[34:35]
	s_mov_b32 s13, 0xbfe62e42
	s_mov_b32 s12, 0xfefa39ef
	v_fma_f64 v[36:37], s[12:13], v[34:35], v[32:33]
	s_mov_b32 s15, 0xbc7abc9e
	s_mov_b32 s14, 0x3b39803f
	;; [unrolled: 1-line block ×3, first 2 shown]
	v_fmac_f64_e32 v[36:37], s[14:15], v[34:35]
	v_mov_b32_e32 v38, 0xfca7ab0c
	v_mov_b32_e32 v39, 0x3e928af3
	s_mov_b32 s7, 0x3e5ade15
	v_fmac_f64_e32 v[38:39], s[6:7], v[36:37]
	v_mov_b32_e32 v40, 0x623fde64
	v_mov_b32_e32 v41, 0x3ec71dee
	v_fmac_f64_e32 v[40:41], v[36:37], v[38:39]
	v_mov_b32_e32 v38, 0x7c89e6b0
	v_mov_b32_e32 v39, 0x3efa0199
	;; [unrolled: 3-line block ×8, first 2 shown]
	v_fmac_f64_e32 v[38:39], v[36:37], v[40:41]
	v_fma_f64 v[38:39], v[36:37], v[38:39], 1.0
	s_mov_b32 s6, 0
	s_mov_b32 s8, 0
	v_fma_f64 v[36:37], v[36:37], v[38:39], 1.0
	v_cvt_i32_f64_e32 v34, v[34:35]
	s_mov_b32 s7, 0x40900000
	s_mov_b32 s9, 0xc090cc00
	v_ldexp_f64 v[34:35], v[36:37], v34
	v_mov_b32_e32 v36, 0x7ff00000
	v_cmp_nlt_f64_e64 s[6:7], s[6:7], v[32:33]
	v_cmp_ngt_f64_e64 s[8:9], s[8:9], v[32:33]
	v_cndmask_b32_e64 v35, v36, v35, s[6:7]
	s_and_b64 s[6:7], s[8:9], s[6:7]
	v_cndmask_b32_e64 v33, 0, v35, s[8:9]
	v_cndmask_b32_e64 v32, 0, v34, s[6:7]
	v_add_f64 v[34:35], v[32:33], 1.0
	v_add_f64 v[36:37], v[34:35], -1.0
	v_add_f64 v[38:39], v[36:37], -v[34:35]
	v_add_f64 v[38:39], v[38:39], 1.0
	v_add_f64 v[36:37], v[32:33], -v[36:37]
	s_mov_b32 s6, 0x55555555
	v_add_f64 v[36:37], v[36:37], v[38:39]
	v_frexp_mant_f64_e32 v[38:39], v[34:35]
	s_mov_b32 s7, 0x3fe55555
	v_frexp_exp_i32_f64_e32 v40, v[34:35]
	v_cmp_gt_f64_e64 s[6:7], s[6:7], v[38:39]
	v_subbrev_co_u32_e64 v58, s[6:7], 0, v40, s[6:7]
	v_sub_u32_e32 v38, 0, v58
	v_ldexp_f64 v[34:35], v[34:35], v38
	v_ldexp_f64 v[36:37], v[36:37], v38
	v_add_f64 v[38:39], v[34:35], -1.0
	v_add_f64 v[48:49], v[34:35], 1.0
	v_add_f64 v[40:41], v[38:39], 1.0
	v_add_f64 v[50:51], v[48:49], -1.0
	v_add_f64 v[40:41], v[34:35], -v[40:41]
	v_add_f64 v[34:35], v[34:35], -v[50:51]
	v_add_f64 v[34:35], v[36:37], v[34:35]
	v_add_f64 v[40:41], v[36:37], v[40:41]
	v_add_f64 v[36:37], v[48:49], v[34:35]
	v_rcp_f64_e32 v[50:51], v[36:37]
	v_add_f64 v[46:47], v[38:39], v[40:41]
	v_add_f64 v[38:39], v[46:47], -v[38:39]
	v_add_f64 v[38:39], v[40:41], -v[38:39]
	;; [unrolled: 1-line block ×4, first 2 shown]
	v_fma_f64 v[40:41], -v[36:37], v[50:51], 1.0
	v_fmac_f64_e32 v[50:51], v[40:41], v[50:51]
	v_fma_f64 v[40:41], -v[36:37], v[50:51], 1.0
	v_fmac_f64_e32 v[50:51], v[40:41], v[50:51]
	v_mul_f64 v[40:41], v[46:47], v[50:51]
	v_mul_f64 v[48:49], v[36:37], v[40:41]
	v_fma_f64 v[52:53], v[40:41], v[36:37], -v[48:49]
	v_fmac_f64_e32 v[52:53], v[40:41], v[34:35]
	v_add_f64 v[54:55], v[48:49], v[52:53]
	v_add_f64 v[56:57], v[46:47], -v[54:55]
	v_add_f64 v[46:47], v[46:47], -v[56:57]
	;; [unrolled: 1-line block ×4, first 2 shown]
	v_add_f64 v[38:39], v[38:39], v[46:47]
	v_add_f64 v[46:47], v[48:49], -v[52:53]
	v_add_f64 v[38:39], v[46:47], v[38:39]
	v_add_f64 v[46:47], v[56:57], v[38:39]
	v_add_f64 v[48:49], v[56:57], -v[46:47]
	v_add_f64 v[38:39], v[38:39], v[48:49]
	v_mul_f64 v[48:49], v[50:51], v[46:47]
	v_mul_f64 v[52:53], v[36:37], v[48:49]
	v_fma_f64 v[36:37], v[48:49], v[36:37], -v[52:53]
	v_fmac_f64_e32 v[36:37], v[48:49], v[34:35]
	v_add_f64 v[34:35], v[52:53], v[36:37]
	v_add_f64 v[54:55], v[46:47], -v[34:35]
	v_add_f64 v[46:47], v[46:47], -v[54:55]
	;; [unrolled: 1-line block ×4, first 2 shown]
	v_add_f64 v[34:35], v[38:39], v[34:35]
	v_add_f64 v[36:37], v[52:53], -v[36:37]
	v_add_f64 v[34:35], v[36:37], v[34:35]
	v_add_f64 v[36:37], v[40:41], v[48:49]
	v_add_f64 v[34:35], v[54:55], v[34:35]
	v_add_f64 v[38:39], v[36:37], -v[40:41]
	v_mul_f64 v[34:35], v[50:51], v[34:35]
	v_add_f64 v[38:39], v[48:49], -v[38:39]
	v_add_f64 v[34:35], v[38:39], v[34:35]
	v_add_f64 v[38:39], v[36:37], v[34:35]
	v_add_f64 v[36:37], v[38:39], -v[36:37]
	s_mov_b32 s6, 0xbf559e2b
	v_add_f64 v[34:35], v[34:35], -v[36:37]
	v_mul_f64 v[36:37], v[38:39], v[38:39]
	v_mov_b32_e32 v40, 0x6b47b09a
	v_mov_b32_e32 v41, 0x3fc38538
	s_mov_b32 s7, 0x3fc3ab76
	v_fmac_f64_e32 v[40:41], s[6:7], v[36:37]
	v_mov_b32_e32 v46, 0xd7f4df2e
	v_mov_b32_e32 v47, 0x3fc7474d
	v_fmac_f64_e32 v[46:47], v[36:37], v[40:41]
	v_mov_b32_e32 v40, 0x16291751
	v_mov_b32_e32 v41, 0x3fcc71c0
	v_fmac_f64_e32 v[40:41], v[36:37], v[46:47]
	v_mov_b32_e32 v46, 0x9b27acf1
	v_mov_b32_e32 v47, 0x3fd24924
	v_fmac_f64_e32 v[46:47], v[36:37], v[40:41]
	v_mov_b32_e32 v40, 0x998ef7b6
	v_mov_b32_e32 v41, 0x3fd99999
	v_fmac_f64_e32 v[40:41], v[36:37], v[46:47]
	v_mov_b32_e32 v46, 0x55555780
	v_mov_b32_e32 v47, 0x3fe55555
	v_fmac_f64_e32 v[46:47], v[36:37], v[40:41]
	v_cvt_f64_i32_e32 v[40:41], v58
	s_mov_b32 s13, 0x3fe62e42
	v_mul_f64 v[48:49], v[40:41], s[12:13]
	v_fma_f64 v[50:51], v[40:41], s[12:13], -v[48:49]
	s_mov_b32 s15, 0x3c7abc9e
	v_fmac_f64_e32 v[50:51], s[14:15], v[40:41]
	v_add_f64 v[40:41], v[48:49], v[50:51]
	v_add_f64 v[48:49], v[40:41], -v[48:49]
	v_mul_f64 v[36:37], v[38:39], v[36:37]
	v_add_f64 v[48:49], v[50:51], -v[48:49]
	v_ldexp_f64 v[50:51], v[38:39], 1
	v_mul_f64 v[36:37], v[36:37], v[46:47]
	v_add_f64 v[38:39], v[50:51], v[36:37]
	v_add_f64 v[46:47], v[38:39], -v[50:51]
	v_ldexp_f64 v[34:35], v[34:35], 1
	v_add_f64 v[36:37], v[36:37], -v[46:47]
	v_add_f64 v[34:35], v[34:35], v[36:37]
	v_add_f64 v[36:37], v[38:39], v[34:35]
	v_add_f64 v[38:39], v[36:37], -v[38:39]
	v_add_f64 v[34:35], v[34:35], -v[38:39]
	v_add_f64 v[38:39], v[40:41], v[36:37]
	v_add_f64 v[46:47], v[38:39], -v[40:41]
	v_add_f64 v[50:51], v[38:39], -v[46:47]
	;; [unrolled: 1-line block ×4, first 2 shown]
	v_add_f64 v[36:37], v[36:37], v[40:41]
	v_add_f64 v[40:41], v[48:49], v[34:35]
	v_add_f64 v[46:47], v[40:41], -v[48:49]
	v_add_f64 v[36:37], v[40:41], v[36:37]
	v_add_f64 v[50:51], v[40:41], -v[46:47]
	;; [unrolled: 2-line block ×3, first 2 shown]
	v_add_f64 v[34:35], v[34:35], -v[46:47]
	v_add_f64 v[38:39], v[40:41], -v[38:39]
	v_add_f64 v[34:35], v[34:35], v[48:49]
	v_add_f64 v[36:37], v[36:37], -v[38:39]
	s_mov_b32 s6, 0
	v_add_f64 v[34:35], v[34:35], v[36:37]
	s_mov_b32 s7, 0x7ff00000
	v_add_f64 v[34:35], v[40:41], v[34:35]
	v_cmp_eq_f64_e64 s[6:7], s[6:7], v[32:33]
	v_cndmask_b32_e64 v34, v34, v32, s[6:7]
	v_cndmask_b32_e64 v35, v35, v33, s[6:7]
	v_mov_b32_e32 v36, 0x7ff80000
	v_cmp_ngt_f64_e64 s[6:7], -1.0, v[32:33]
	v_cndmask_b32_e64 v35, v36, v35, s[6:7]
	v_cmp_nge_f64_e64 s[6:7], -1.0, v[32:33]
	v_cndmask_b32_e64 v34, 0, v34, s[6:7]
	v_mov_b32_e32 v36, 0xfff00000
	v_cmp_neq_f64_e64 s[6:7], -1.0, v[32:33]
	v_cndmask_b32_e64 v35, v36, v35, s[6:7]
	v_add_f64 v[46:47], v[30:31], v[34:35]
.LBB30_194:
	s_or_b64 exec, exec, s[10:11]
	v_max_f64 v[30:31], v[14:15], v[14:15]
	v_max_f64 v[32:33], v[46:47], v[46:47]
	v_min_f64 v[34:35], v[32:33], v[30:31]
	v_cmp_u_f64_e64 s[8:9], v[46:47], v[46:47]
	v_max_f64 v[32:33], v[32:33], v[30:31]
	v_cndmask_b32_e64 v34, v34, v46, s[8:9]
	v_cndmask_b32_e64 v35, v35, v47, s[8:9]
	v_cmp_u_f64_e64 s[6:7], v[14:15], v[14:15]
	v_cndmask_b32_e64 v32, v32, v46, s[8:9]
	v_cndmask_b32_e64 v33, v33, v47, s[8:9]
	;; [unrolled: 1-line block ×6, first 2 shown]
	v_cmp_neq_f64_e64 s[8:9], v[34:35], v[32:33]
	v_cmp_class_f64_e64 s[10:11], v[34:35], s16
	s_or_b64 s[8:9], s[8:9], s[10:11]
	s_and_saveexec_b64 s[12:13], s[8:9]
	s_cbranch_execz .LBB30_196
; %bb.195:
	s_mov_b32 s8, 0x652b82fe
	v_add_f64 v[34:35], v[34:35], -v[32:33]
	s_mov_b32 s9, 0x3ff71547
	v_mul_f64 v[36:37], v[34:35], s[8:9]
	v_rndne_f64_e32 v[36:37], v[36:37]
	s_mov_b32 s15, 0xbfe62e42
	s_mov_b32 s14, 0xfefa39ef
	v_fma_f64 v[38:39], s[14:15], v[36:37], v[34:35]
	s_mov_b32 s17, 0xbc7abc9e
	s_mov_b32 s16, 0x3b39803f
	;; [unrolled: 1-line block ×3, first 2 shown]
	v_fmac_f64_e32 v[38:39], s[16:17], v[36:37]
	v_mov_b32_e32 v40, 0xfca7ab0c
	v_mov_b32_e32 v41, 0x3e928af3
	s_mov_b32 s9, 0x3e5ade15
	v_fmac_f64_e32 v[40:41], s[8:9], v[38:39]
	v_mov_b32_e32 v46, 0x623fde64
	v_mov_b32_e32 v47, 0x3ec71dee
	v_fmac_f64_e32 v[46:47], v[38:39], v[40:41]
	v_mov_b32_e32 v40, 0x7c89e6b0
	v_mov_b32_e32 v41, 0x3efa0199
	;; [unrolled: 3-line block ×8, first 2 shown]
	v_fmac_f64_e32 v[40:41], v[38:39], v[46:47]
	v_fma_f64 v[40:41], v[38:39], v[40:41], 1.0
	s_mov_b32 s8, 0
	s_mov_b32 s10, 0
	v_fma_f64 v[38:39], v[38:39], v[40:41], 1.0
	v_cvt_i32_f64_e32 v36, v[36:37]
	s_mov_b32 s9, 0x40900000
	s_mov_b32 s11, 0xc090cc00
	v_ldexp_f64 v[36:37], v[38:39], v36
	v_mov_b32_e32 v38, 0x7ff00000
	v_cmp_nlt_f64_e64 s[8:9], s[8:9], v[34:35]
	v_cmp_ngt_f64_e64 s[10:11], s[10:11], v[34:35]
	v_cndmask_b32_e64 v37, v38, v37, s[8:9]
	s_and_b64 s[8:9], s[10:11], s[8:9]
	v_cndmask_b32_e64 v35, 0, v37, s[10:11]
	v_cndmask_b32_e64 v34, 0, v36, s[8:9]
	v_add_f64 v[36:37], v[34:35], 1.0
	v_add_f64 v[38:39], v[36:37], -1.0
	v_add_f64 v[40:41], v[38:39], -v[36:37]
	v_add_f64 v[40:41], v[40:41], 1.0
	v_add_f64 v[38:39], v[34:35], -v[38:39]
	s_mov_b32 s8, 0x55555555
	v_add_f64 v[38:39], v[38:39], v[40:41]
	v_frexp_mant_f64_e32 v[40:41], v[36:37]
	s_mov_b32 s9, 0x3fe55555
	v_frexp_exp_i32_f64_e32 v46, v[36:37]
	v_cmp_gt_f64_e64 s[8:9], s[8:9], v[40:41]
	v_subbrev_co_u32_e64 v60, s[8:9], 0, v46, s[8:9]
	v_sub_u32_e32 v40, 0, v60
	v_ldexp_f64 v[36:37], v[36:37], v40
	v_ldexp_f64 v[38:39], v[38:39], v40
	v_add_f64 v[40:41], v[36:37], -1.0
	v_add_f64 v[50:51], v[36:37], 1.0
	v_add_f64 v[46:47], v[40:41], 1.0
	v_add_f64 v[52:53], v[50:51], -1.0
	v_add_f64 v[46:47], v[36:37], -v[46:47]
	v_add_f64 v[36:37], v[36:37], -v[52:53]
	v_add_f64 v[36:37], v[38:39], v[36:37]
	v_add_f64 v[46:47], v[38:39], v[46:47]
	;; [unrolled: 1-line block ×3, first 2 shown]
	v_rcp_f64_e32 v[52:53], v[38:39]
	v_add_f64 v[48:49], v[40:41], v[46:47]
	v_add_f64 v[40:41], v[48:49], -v[40:41]
	v_add_f64 v[40:41], v[46:47], -v[40:41]
	;; [unrolled: 1-line block ×4, first 2 shown]
	v_fma_f64 v[46:47], -v[38:39], v[52:53], 1.0
	v_fmac_f64_e32 v[52:53], v[46:47], v[52:53]
	v_fma_f64 v[46:47], -v[38:39], v[52:53], 1.0
	v_fmac_f64_e32 v[52:53], v[46:47], v[52:53]
	v_mul_f64 v[46:47], v[48:49], v[52:53]
	v_mul_f64 v[50:51], v[38:39], v[46:47]
	v_fma_f64 v[54:55], v[46:47], v[38:39], -v[50:51]
	v_fmac_f64_e32 v[54:55], v[46:47], v[36:37]
	v_add_f64 v[56:57], v[50:51], v[54:55]
	v_add_f64 v[58:59], v[48:49], -v[56:57]
	v_add_f64 v[48:49], v[48:49], -v[58:59]
	;; [unrolled: 1-line block ×4, first 2 shown]
	v_add_f64 v[40:41], v[40:41], v[48:49]
	v_add_f64 v[48:49], v[50:51], -v[54:55]
	v_add_f64 v[40:41], v[48:49], v[40:41]
	v_add_f64 v[48:49], v[58:59], v[40:41]
	v_add_f64 v[50:51], v[58:59], -v[48:49]
	v_add_f64 v[40:41], v[40:41], v[50:51]
	v_mul_f64 v[50:51], v[52:53], v[48:49]
	v_mul_f64 v[54:55], v[38:39], v[50:51]
	v_fma_f64 v[38:39], v[50:51], v[38:39], -v[54:55]
	v_fmac_f64_e32 v[38:39], v[50:51], v[36:37]
	v_add_f64 v[36:37], v[54:55], v[38:39]
	v_add_f64 v[56:57], v[48:49], -v[36:37]
	v_add_f64 v[48:49], v[48:49], -v[56:57]
	;; [unrolled: 1-line block ×4, first 2 shown]
	v_add_f64 v[36:37], v[40:41], v[36:37]
	v_add_f64 v[38:39], v[54:55], -v[38:39]
	v_add_f64 v[36:37], v[38:39], v[36:37]
	v_add_f64 v[38:39], v[46:47], v[50:51]
	;; [unrolled: 1-line block ×3, first 2 shown]
	v_add_f64 v[40:41], v[38:39], -v[46:47]
	v_mul_f64 v[36:37], v[52:53], v[36:37]
	v_add_f64 v[40:41], v[50:51], -v[40:41]
	v_add_f64 v[36:37], v[40:41], v[36:37]
	v_add_f64 v[40:41], v[38:39], v[36:37]
	v_add_f64 v[38:39], v[40:41], -v[38:39]
	s_mov_b32 s8, 0xbf559e2b
	v_add_f64 v[36:37], v[36:37], -v[38:39]
	v_mul_f64 v[38:39], v[40:41], v[40:41]
	v_mov_b32_e32 v46, 0x6b47b09a
	v_mov_b32_e32 v47, 0x3fc38538
	s_mov_b32 s9, 0x3fc3ab76
	v_fmac_f64_e32 v[46:47], s[8:9], v[38:39]
	v_mov_b32_e32 v48, 0xd7f4df2e
	v_mov_b32_e32 v49, 0x3fc7474d
	v_fmac_f64_e32 v[48:49], v[38:39], v[46:47]
	v_mov_b32_e32 v46, 0x16291751
	v_mov_b32_e32 v47, 0x3fcc71c0
	v_fmac_f64_e32 v[46:47], v[38:39], v[48:49]
	v_mov_b32_e32 v48, 0x9b27acf1
	v_mov_b32_e32 v49, 0x3fd24924
	v_fmac_f64_e32 v[48:49], v[38:39], v[46:47]
	v_mov_b32_e32 v46, 0x998ef7b6
	v_mov_b32_e32 v47, 0x3fd99999
	v_fmac_f64_e32 v[46:47], v[38:39], v[48:49]
	v_mov_b32_e32 v48, 0x55555780
	v_mov_b32_e32 v49, 0x3fe55555
	v_fmac_f64_e32 v[48:49], v[38:39], v[46:47]
	v_cvt_f64_i32_e32 v[46:47], v60
	s_mov_b32 s15, 0x3fe62e42
	v_mul_f64 v[50:51], v[46:47], s[14:15]
	v_fma_f64 v[52:53], v[46:47], s[14:15], -v[50:51]
	s_mov_b32 s17, 0x3c7abc9e
	v_fmac_f64_e32 v[52:53], s[16:17], v[46:47]
	v_add_f64 v[46:47], v[50:51], v[52:53]
	v_add_f64 v[50:51], v[46:47], -v[50:51]
	v_mul_f64 v[38:39], v[40:41], v[38:39]
	v_add_f64 v[50:51], v[52:53], -v[50:51]
	v_ldexp_f64 v[52:53], v[40:41], 1
	v_mul_f64 v[38:39], v[38:39], v[48:49]
	v_add_f64 v[40:41], v[52:53], v[38:39]
	v_add_f64 v[48:49], v[40:41], -v[52:53]
	v_ldexp_f64 v[36:37], v[36:37], 1
	v_add_f64 v[38:39], v[38:39], -v[48:49]
	v_add_f64 v[36:37], v[36:37], v[38:39]
	v_add_f64 v[38:39], v[40:41], v[36:37]
	v_add_f64 v[40:41], v[38:39], -v[40:41]
	v_add_f64 v[36:37], v[36:37], -v[40:41]
	v_add_f64 v[40:41], v[46:47], v[38:39]
	v_add_f64 v[48:49], v[40:41], -v[46:47]
	v_add_f64 v[52:53], v[40:41], -v[48:49]
	;; [unrolled: 1-line block ×4, first 2 shown]
	v_add_f64 v[38:39], v[38:39], v[46:47]
	v_add_f64 v[46:47], v[50:51], v[36:37]
	v_add_f64 v[48:49], v[46:47], -v[50:51]
	v_add_f64 v[38:39], v[46:47], v[38:39]
	v_add_f64 v[52:53], v[46:47], -v[48:49]
	;; [unrolled: 2-line block ×3, first 2 shown]
	v_add_f64 v[36:37], v[36:37], -v[48:49]
	v_add_f64 v[40:41], v[46:47], -v[40:41]
	v_add_f64 v[36:37], v[36:37], v[50:51]
	v_add_f64 v[38:39], v[38:39], -v[40:41]
	s_mov_b32 s8, 0
	v_add_f64 v[36:37], v[36:37], v[38:39]
	s_mov_b32 s9, 0x7ff00000
	v_add_f64 v[36:37], v[46:47], v[36:37]
	v_cmp_eq_f64_e64 s[8:9], s[8:9], v[34:35]
	v_cndmask_b32_e64 v36, v36, v34, s[8:9]
	v_cndmask_b32_e64 v37, v37, v35, s[8:9]
	v_mov_b32_e32 v38, 0x7ff80000
	v_cmp_ngt_f64_e64 s[8:9], -1.0, v[34:35]
	v_cndmask_b32_e64 v37, v38, v37, s[8:9]
	v_cmp_nge_f64_e64 s[8:9], -1.0, v[34:35]
	v_cndmask_b32_e64 v36, 0, v36, s[8:9]
	v_mov_b32_e32 v38, 0xfff00000
	v_cmp_neq_f64_e64 s[8:9], -1.0, v[34:35]
	v_cndmask_b32_e64 v37, v38, v37, s[8:9]
	v_add_f64 v[46:47], v[32:33], v[36:37]
.LBB30_196:
	s_or_b64 exec, exec, s[12:13]
	v_max_f64 v[32:33], v[16:17], v[16:17]
	v_max_f64 v[34:35], v[46:47], v[46:47]
	v_min_f64 v[36:37], v[34:35], v[32:33]
	v_cmp_u_f64_e64 s[10:11], v[46:47], v[46:47]
	v_max_f64 v[34:35], v[34:35], v[32:33]
	v_cndmask_b32_e64 v36, v36, v46, s[10:11]
	v_cndmask_b32_e64 v37, v37, v47, s[10:11]
	v_cmp_u_f64_e64 s[8:9], v[16:17], v[16:17]
	v_cndmask_b32_e64 v34, v34, v46, s[10:11]
	v_cndmask_b32_e64 v35, v35, v47, s[10:11]
	;; [unrolled: 1-line block ×6, first 2 shown]
	s_movk_i32 s22, 0x1f8
	v_cmp_neq_f64_e64 s[10:11], v[36:37], v[34:35]
	v_cmp_class_f64_e64 s[12:13], v[36:37], s22
	s_or_b64 s[10:11], s[10:11], s[12:13]
	s_and_saveexec_b64 s[14:15], s[10:11]
	s_cbranch_execz .LBB30_198
; %bb.197:
	s_mov_b32 s10, 0x652b82fe
	v_add_f64 v[36:37], v[36:37], -v[34:35]
	s_mov_b32 s11, 0x3ff71547
	v_mul_f64 v[38:39], v[36:37], s[10:11]
	v_rndne_f64_e32 v[38:39], v[38:39]
	s_mov_b32 s17, 0xbfe62e42
	s_mov_b32 s16, 0xfefa39ef
	v_fma_f64 v[40:41], s[16:17], v[38:39], v[36:37]
	s_mov_b32 s21, 0xbc7abc9e
	s_mov_b32 s20, 0x3b39803f
	;; [unrolled: 1-line block ×3, first 2 shown]
	v_fmac_f64_e32 v[40:41], s[20:21], v[38:39]
	v_mov_b32_e32 v46, 0xfca7ab0c
	v_mov_b32_e32 v47, 0x3e928af3
	s_mov_b32 s11, 0x3e5ade15
	v_fmac_f64_e32 v[46:47], s[10:11], v[40:41]
	v_mov_b32_e32 v48, 0x623fde64
	v_mov_b32_e32 v49, 0x3ec71dee
	v_fmac_f64_e32 v[48:49], v[40:41], v[46:47]
	v_mov_b32_e32 v46, 0x7c89e6b0
	v_mov_b32_e32 v47, 0x3efa0199
	;; [unrolled: 3-line block ×8, first 2 shown]
	v_fmac_f64_e32 v[46:47], v[40:41], v[48:49]
	v_fma_f64 v[46:47], v[40:41], v[46:47], 1.0
	s_mov_b32 s10, 0
	s_mov_b32 s12, 0
	v_fma_f64 v[40:41], v[40:41], v[46:47], 1.0
	v_cvt_i32_f64_e32 v38, v[38:39]
	s_mov_b32 s11, 0x40900000
	s_mov_b32 s13, 0xc090cc00
	v_ldexp_f64 v[38:39], v[40:41], v38
	v_mov_b32_e32 v40, 0x7ff00000
	v_cmp_nlt_f64_e64 s[10:11], s[10:11], v[36:37]
	v_cmp_ngt_f64_e64 s[12:13], s[12:13], v[36:37]
	v_cndmask_b32_e64 v39, v40, v39, s[10:11]
	s_and_b64 s[10:11], s[12:13], s[10:11]
	v_cndmask_b32_e64 v37, 0, v39, s[12:13]
	v_cndmask_b32_e64 v36, 0, v38, s[10:11]
	v_add_f64 v[38:39], v[36:37], 1.0
	v_add_f64 v[40:41], v[38:39], -1.0
	v_add_f64 v[46:47], v[40:41], -v[38:39]
	v_add_f64 v[46:47], v[46:47], 1.0
	v_add_f64 v[40:41], v[36:37], -v[40:41]
	s_mov_b32 s10, 0x55555555
	v_add_f64 v[40:41], v[40:41], v[46:47]
	v_frexp_mant_f64_e32 v[46:47], v[38:39]
	s_mov_b32 s11, 0x3fe55555
	v_frexp_exp_i32_f64_e32 v48, v[38:39]
	v_cmp_gt_f64_e64 s[10:11], s[10:11], v[46:47]
	v_subbrev_co_u32_e64 v62, s[10:11], 0, v48, s[10:11]
	v_sub_u32_e32 v46, 0, v62
	v_ldexp_f64 v[38:39], v[38:39], v46
	v_ldexp_f64 v[40:41], v[40:41], v46
	v_add_f64 v[46:47], v[38:39], -1.0
	v_add_f64 v[52:53], v[38:39], 1.0
	v_add_f64 v[48:49], v[46:47], 1.0
	v_add_f64 v[54:55], v[52:53], -1.0
	v_add_f64 v[48:49], v[38:39], -v[48:49]
	v_add_f64 v[38:39], v[38:39], -v[54:55]
	v_add_f64 v[38:39], v[40:41], v[38:39]
	v_add_f64 v[48:49], v[40:41], v[48:49]
	;; [unrolled: 1-line block ×3, first 2 shown]
	v_rcp_f64_e32 v[54:55], v[40:41]
	v_add_f64 v[50:51], v[46:47], v[48:49]
	v_add_f64 v[46:47], v[50:51], -v[46:47]
	v_add_f64 v[46:47], v[48:49], -v[46:47]
	;; [unrolled: 1-line block ×4, first 2 shown]
	v_fma_f64 v[48:49], -v[40:41], v[54:55], 1.0
	v_fmac_f64_e32 v[54:55], v[48:49], v[54:55]
	v_fma_f64 v[48:49], -v[40:41], v[54:55], 1.0
	v_fmac_f64_e32 v[54:55], v[48:49], v[54:55]
	v_mul_f64 v[48:49], v[50:51], v[54:55]
	v_mul_f64 v[52:53], v[40:41], v[48:49]
	v_fma_f64 v[56:57], v[48:49], v[40:41], -v[52:53]
	v_fmac_f64_e32 v[56:57], v[48:49], v[38:39]
	v_add_f64 v[58:59], v[52:53], v[56:57]
	v_add_f64 v[60:61], v[50:51], -v[58:59]
	v_add_f64 v[50:51], v[50:51], -v[60:61]
	;; [unrolled: 1-line block ×4, first 2 shown]
	v_add_f64 v[46:47], v[46:47], v[50:51]
	v_add_f64 v[50:51], v[52:53], -v[56:57]
	v_add_f64 v[46:47], v[50:51], v[46:47]
	v_add_f64 v[50:51], v[60:61], v[46:47]
	v_add_f64 v[52:53], v[60:61], -v[50:51]
	v_add_f64 v[46:47], v[46:47], v[52:53]
	v_mul_f64 v[52:53], v[54:55], v[50:51]
	v_mul_f64 v[56:57], v[40:41], v[52:53]
	v_fma_f64 v[40:41], v[52:53], v[40:41], -v[56:57]
	v_fmac_f64_e32 v[40:41], v[52:53], v[38:39]
	v_add_f64 v[38:39], v[56:57], v[40:41]
	v_add_f64 v[58:59], v[50:51], -v[38:39]
	v_add_f64 v[50:51], v[50:51], -v[58:59]
	;; [unrolled: 1-line block ×4, first 2 shown]
	v_add_f64 v[38:39], v[46:47], v[38:39]
	v_add_f64 v[40:41], v[56:57], -v[40:41]
	v_add_f64 v[38:39], v[40:41], v[38:39]
	v_add_f64 v[40:41], v[48:49], v[52:53]
	;; [unrolled: 1-line block ×3, first 2 shown]
	v_add_f64 v[46:47], v[40:41], -v[48:49]
	v_mul_f64 v[38:39], v[54:55], v[38:39]
	v_add_f64 v[46:47], v[52:53], -v[46:47]
	v_add_f64 v[38:39], v[46:47], v[38:39]
	v_add_f64 v[46:47], v[40:41], v[38:39]
	v_add_f64 v[40:41], v[46:47], -v[40:41]
	s_mov_b32 s10, 0xbf559e2b
	v_add_f64 v[38:39], v[38:39], -v[40:41]
	v_mul_f64 v[40:41], v[46:47], v[46:47]
	v_mov_b32_e32 v48, 0x6b47b09a
	v_mov_b32_e32 v49, 0x3fc38538
	s_mov_b32 s11, 0x3fc3ab76
	v_fmac_f64_e32 v[48:49], s[10:11], v[40:41]
	v_mov_b32_e32 v50, 0xd7f4df2e
	v_mov_b32_e32 v51, 0x3fc7474d
	v_fmac_f64_e32 v[50:51], v[40:41], v[48:49]
	v_mov_b32_e32 v48, 0x16291751
	v_mov_b32_e32 v49, 0x3fcc71c0
	;; [unrolled: 3-line block ×5, first 2 shown]
	v_fmac_f64_e32 v[50:51], v[40:41], v[48:49]
	v_cvt_f64_i32_e32 v[48:49], v62
	s_mov_b32 s17, 0x3fe62e42
	v_mul_f64 v[52:53], v[48:49], s[16:17]
	v_fma_f64 v[54:55], v[48:49], s[16:17], -v[52:53]
	s_mov_b32 s21, 0x3c7abc9e
	v_fmac_f64_e32 v[54:55], s[20:21], v[48:49]
	v_add_f64 v[48:49], v[52:53], v[54:55]
	v_add_f64 v[52:53], v[48:49], -v[52:53]
	v_mul_f64 v[40:41], v[46:47], v[40:41]
	v_add_f64 v[52:53], v[54:55], -v[52:53]
	v_ldexp_f64 v[54:55], v[46:47], 1
	v_mul_f64 v[40:41], v[40:41], v[50:51]
	v_add_f64 v[46:47], v[54:55], v[40:41]
	v_add_f64 v[50:51], v[46:47], -v[54:55]
	v_ldexp_f64 v[38:39], v[38:39], 1
	v_add_f64 v[40:41], v[40:41], -v[50:51]
	v_add_f64 v[38:39], v[38:39], v[40:41]
	v_add_f64 v[40:41], v[46:47], v[38:39]
	v_add_f64 v[46:47], v[40:41], -v[46:47]
	v_add_f64 v[38:39], v[38:39], -v[46:47]
	v_add_f64 v[46:47], v[48:49], v[40:41]
	v_add_f64 v[50:51], v[46:47], -v[48:49]
	v_add_f64 v[54:55], v[46:47], -v[50:51]
	v_add_f64 v[48:49], v[48:49], -v[54:55]
	v_add_f64 v[40:41], v[40:41], -v[50:51]
	v_add_f64 v[40:41], v[40:41], v[48:49]
	v_add_f64 v[48:49], v[52:53], v[38:39]
	v_add_f64 v[50:51], v[48:49], -v[52:53]
	v_add_f64 v[40:41], v[48:49], v[40:41]
	v_add_f64 v[54:55], v[48:49], -v[50:51]
	;; [unrolled: 2-line block ×3, first 2 shown]
	v_add_f64 v[38:39], v[38:39], -v[50:51]
	v_add_f64 v[46:47], v[48:49], -v[46:47]
	v_add_f64 v[38:39], v[38:39], v[52:53]
	v_add_f64 v[40:41], v[40:41], -v[46:47]
	s_mov_b32 s10, 0
	v_add_f64 v[38:39], v[38:39], v[40:41]
	s_mov_b32 s11, 0x7ff00000
	v_add_f64 v[38:39], v[48:49], v[38:39]
	v_cmp_eq_f64_e64 s[10:11], s[10:11], v[36:37]
	v_cndmask_b32_e64 v38, v38, v36, s[10:11]
	v_cndmask_b32_e64 v39, v39, v37, s[10:11]
	v_mov_b32_e32 v40, 0x7ff80000
	v_cmp_ngt_f64_e64 s[10:11], -1.0, v[36:37]
	v_cndmask_b32_e64 v39, v40, v39, s[10:11]
	v_cmp_nge_f64_e64 s[10:11], -1.0, v[36:37]
	v_cndmask_b32_e64 v38, 0, v38, s[10:11]
	v_mov_b32_e32 v40, 0xfff00000
	v_cmp_neq_f64_e64 s[10:11], -1.0, v[36:37]
	v_cndmask_b32_e64 v39, v40, v39, s[10:11]
	v_add_f64 v[46:47], v[34:35], v[38:39]
.LBB30_198:
	s_or_b64 exec, exec, s[14:15]
	v_max_f64 v[34:35], v[10:11], v[10:11]
	v_max_f64 v[36:37], v[46:47], v[46:47]
	v_min_f64 v[38:39], v[36:37], v[34:35]
	v_cmp_u_f64_e64 s[12:13], v[46:47], v[46:47]
	v_max_f64 v[36:37], v[36:37], v[34:35]
	v_cndmask_b32_e64 v38, v38, v46, s[12:13]
	v_cndmask_b32_e64 v39, v39, v47, s[12:13]
	v_cmp_u_f64_e64 s[10:11], v[10:11], v[10:11]
	v_cndmask_b32_e64 v36, v36, v46, s[12:13]
	v_cndmask_b32_e64 v37, v37, v47, s[12:13]
	v_cndmask_b32_e64 v39, v39, v11, s[10:11]
	v_cndmask_b32_e64 v38, v38, v10, s[10:11]
	v_cndmask_b32_e64 v37, v37, v11, s[10:11]
	v_cndmask_b32_e64 v36, v36, v10, s[10:11]
	v_cmp_neq_f64_e64 s[12:13], v[38:39], v[36:37]
	v_cmp_class_f64_e64 s[14:15], v[38:39], s22
	s_or_b64 s[12:13], s[12:13], s[14:15]
	s_and_saveexec_b64 s[16:17], s[12:13]
	s_cbranch_execz .LBB30_200
; %bb.199:
	s_mov_b32 s12, 0x652b82fe
	v_add_f64 v[38:39], v[38:39], -v[36:37]
	s_mov_b32 s13, 0x3ff71547
	v_mul_f64 v[40:41], v[38:39], s[12:13]
	v_rndne_f64_e32 v[40:41], v[40:41]
	s_mov_b32 s21, 0xbfe62e42
	s_mov_b32 s20, 0xfefa39ef
	v_fma_f64 v[46:47], s[20:21], v[40:41], v[38:39]
	s_mov_b32 s23, 0xbc7abc9e
	s_mov_b32 s22, 0x3b39803f
	;; [unrolled: 1-line block ×3, first 2 shown]
	v_fmac_f64_e32 v[46:47], s[22:23], v[40:41]
	v_mov_b32_e32 v48, 0xfca7ab0c
	v_mov_b32_e32 v49, 0x3e928af3
	s_mov_b32 s13, 0x3e5ade15
	v_fmac_f64_e32 v[48:49], s[12:13], v[46:47]
	v_mov_b32_e32 v50, 0x623fde64
	v_mov_b32_e32 v51, 0x3ec71dee
	v_fmac_f64_e32 v[50:51], v[46:47], v[48:49]
	v_mov_b32_e32 v48, 0x7c89e6b0
	v_mov_b32_e32 v49, 0x3efa0199
	;; [unrolled: 3-line block ×8, first 2 shown]
	v_fmac_f64_e32 v[48:49], v[46:47], v[50:51]
	v_fma_f64 v[48:49], v[46:47], v[48:49], 1.0
	s_mov_b32 s12, 0
	s_mov_b32 s14, 0
	v_fma_f64 v[46:47], v[46:47], v[48:49], 1.0
	v_cvt_i32_f64_e32 v40, v[40:41]
	s_mov_b32 s13, 0x40900000
	s_mov_b32 s15, 0xc090cc00
	v_ldexp_f64 v[40:41], v[46:47], v40
	v_mov_b32_e32 v46, 0x7ff00000
	v_cmp_nlt_f64_e64 s[12:13], s[12:13], v[38:39]
	v_cmp_ngt_f64_e64 s[14:15], s[14:15], v[38:39]
	v_cndmask_b32_e64 v41, v46, v41, s[12:13]
	s_and_b64 s[12:13], s[14:15], s[12:13]
	v_cndmask_b32_e64 v39, 0, v41, s[14:15]
	v_cndmask_b32_e64 v38, 0, v40, s[12:13]
	v_add_f64 v[40:41], v[38:39], 1.0
	v_add_f64 v[46:47], v[40:41], -1.0
	v_add_f64 v[48:49], v[46:47], -v[40:41]
	v_add_f64 v[48:49], v[48:49], 1.0
	v_add_f64 v[46:47], v[38:39], -v[46:47]
	s_mov_b32 s12, 0x55555555
	v_add_f64 v[46:47], v[46:47], v[48:49]
	v_frexp_mant_f64_e32 v[48:49], v[40:41]
	s_mov_b32 s13, 0x3fe55555
	v_frexp_exp_i32_f64_e32 v50, v[40:41]
	v_cmp_gt_f64_e64 s[12:13], s[12:13], v[48:49]
	v_subbrev_co_u32_e64 v64, s[12:13], 0, v50, s[12:13]
	v_sub_u32_e32 v48, 0, v64
	v_ldexp_f64 v[40:41], v[40:41], v48
	v_ldexp_f64 v[46:47], v[46:47], v48
	v_add_f64 v[48:49], v[40:41], -1.0
	v_add_f64 v[54:55], v[40:41], 1.0
	v_add_f64 v[50:51], v[48:49], 1.0
	v_add_f64 v[56:57], v[54:55], -1.0
	v_add_f64 v[50:51], v[40:41], -v[50:51]
	v_add_f64 v[40:41], v[40:41], -v[56:57]
	v_add_f64 v[40:41], v[46:47], v[40:41]
	v_add_f64 v[50:51], v[46:47], v[50:51]
	;; [unrolled: 1-line block ×3, first 2 shown]
	v_rcp_f64_e32 v[56:57], v[46:47]
	v_add_f64 v[52:53], v[48:49], v[50:51]
	v_add_f64 v[48:49], v[52:53], -v[48:49]
	v_add_f64 v[48:49], v[50:51], -v[48:49]
	;; [unrolled: 1-line block ×4, first 2 shown]
	v_fma_f64 v[50:51], -v[46:47], v[56:57], 1.0
	v_fmac_f64_e32 v[56:57], v[50:51], v[56:57]
	v_fma_f64 v[50:51], -v[46:47], v[56:57], 1.0
	v_fmac_f64_e32 v[56:57], v[50:51], v[56:57]
	v_mul_f64 v[50:51], v[52:53], v[56:57]
	v_mul_f64 v[54:55], v[46:47], v[50:51]
	v_fma_f64 v[58:59], v[50:51], v[46:47], -v[54:55]
	v_fmac_f64_e32 v[58:59], v[50:51], v[40:41]
	v_add_f64 v[60:61], v[54:55], v[58:59]
	v_add_f64 v[62:63], v[52:53], -v[60:61]
	v_add_f64 v[52:53], v[52:53], -v[62:63]
	v_add_f64 v[54:55], v[60:61], -v[54:55]
	v_add_f64 v[52:53], v[52:53], -v[60:61]
	v_add_f64 v[48:49], v[48:49], v[52:53]
	v_add_f64 v[52:53], v[54:55], -v[58:59]
	v_add_f64 v[48:49], v[52:53], v[48:49]
	v_add_f64 v[52:53], v[62:63], v[48:49]
	v_add_f64 v[54:55], v[62:63], -v[52:53]
	v_add_f64 v[48:49], v[48:49], v[54:55]
	v_mul_f64 v[54:55], v[56:57], v[52:53]
	v_mul_f64 v[58:59], v[46:47], v[54:55]
	v_fma_f64 v[46:47], v[54:55], v[46:47], -v[58:59]
	v_fmac_f64_e32 v[46:47], v[54:55], v[40:41]
	v_add_f64 v[40:41], v[58:59], v[46:47]
	v_add_f64 v[60:61], v[52:53], -v[40:41]
	v_add_f64 v[52:53], v[52:53], -v[60:61]
	;; [unrolled: 1-line block ×4, first 2 shown]
	v_add_f64 v[40:41], v[48:49], v[40:41]
	v_add_f64 v[46:47], v[58:59], -v[46:47]
	v_add_f64 v[40:41], v[46:47], v[40:41]
	v_add_f64 v[46:47], v[50:51], v[54:55]
	;; [unrolled: 1-line block ×3, first 2 shown]
	v_add_f64 v[48:49], v[46:47], -v[50:51]
	v_mul_f64 v[40:41], v[56:57], v[40:41]
	v_add_f64 v[48:49], v[54:55], -v[48:49]
	v_add_f64 v[40:41], v[48:49], v[40:41]
	v_add_f64 v[48:49], v[46:47], v[40:41]
	v_add_f64 v[46:47], v[48:49], -v[46:47]
	s_mov_b32 s12, 0xbf559e2b
	v_add_f64 v[40:41], v[40:41], -v[46:47]
	v_mul_f64 v[46:47], v[48:49], v[48:49]
	v_mov_b32_e32 v50, 0x6b47b09a
	v_mov_b32_e32 v51, 0x3fc38538
	s_mov_b32 s13, 0x3fc3ab76
	v_fmac_f64_e32 v[50:51], s[12:13], v[46:47]
	v_mov_b32_e32 v52, 0xd7f4df2e
	v_mov_b32_e32 v53, 0x3fc7474d
	v_fmac_f64_e32 v[52:53], v[46:47], v[50:51]
	v_mov_b32_e32 v50, 0x16291751
	v_mov_b32_e32 v51, 0x3fcc71c0
	;; [unrolled: 3-line block ×5, first 2 shown]
	v_fmac_f64_e32 v[52:53], v[46:47], v[50:51]
	v_cvt_f64_i32_e32 v[50:51], v64
	s_mov_b32 s21, 0x3fe62e42
	v_mul_f64 v[54:55], v[50:51], s[20:21]
	v_fma_f64 v[56:57], v[50:51], s[20:21], -v[54:55]
	s_mov_b32 s23, 0x3c7abc9e
	v_fmac_f64_e32 v[56:57], s[22:23], v[50:51]
	v_add_f64 v[50:51], v[54:55], v[56:57]
	v_add_f64 v[54:55], v[50:51], -v[54:55]
	v_mul_f64 v[46:47], v[48:49], v[46:47]
	v_add_f64 v[54:55], v[56:57], -v[54:55]
	v_ldexp_f64 v[56:57], v[48:49], 1
	v_mul_f64 v[46:47], v[46:47], v[52:53]
	v_add_f64 v[48:49], v[56:57], v[46:47]
	v_add_f64 v[52:53], v[48:49], -v[56:57]
	v_ldexp_f64 v[40:41], v[40:41], 1
	v_add_f64 v[46:47], v[46:47], -v[52:53]
	v_add_f64 v[40:41], v[40:41], v[46:47]
	v_add_f64 v[46:47], v[48:49], v[40:41]
	v_add_f64 v[48:49], v[46:47], -v[48:49]
	v_add_f64 v[40:41], v[40:41], -v[48:49]
	v_add_f64 v[48:49], v[50:51], v[46:47]
	v_add_f64 v[52:53], v[48:49], -v[50:51]
	v_add_f64 v[56:57], v[48:49], -v[52:53]
	;; [unrolled: 1-line block ×4, first 2 shown]
	v_add_f64 v[46:47], v[46:47], v[50:51]
	v_add_f64 v[50:51], v[54:55], v[40:41]
	v_add_f64 v[52:53], v[50:51], -v[54:55]
	v_add_f64 v[46:47], v[50:51], v[46:47]
	v_add_f64 v[56:57], v[50:51], -v[52:53]
	;; [unrolled: 2-line block ×3, first 2 shown]
	v_add_f64 v[40:41], v[40:41], -v[52:53]
	v_add_f64 v[48:49], v[50:51], -v[48:49]
	v_add_f64 v[40:41], v[40:41], v[54:55]
	v_add_f64 v[46:47], v[46:47], -v[48:49]
	s_mov_b32 s12, 0
	v_add_f64 v[40:41], v[40:41], v[46:47]
	s_mov_b32 s13, 0x7ff00000
	v_add_f64 v[40:41], v[50:51], v[40:41]
	v_cmp_eq_f64_e64 s[12:13], s[12:13], v[38:39]
	v_cndmask_b32_e64 v40, v40, v38, s[12:13]
	v_cndmask_b32_e64 v41, v41, v39, s[12:13]
	v_mov_b32_e32 v46, 0x7ff80000
	v_cmp_ngt_f64_e64 s[12:13], -1.0, v[38:39]
	v_cndmask_b32_e64 v41, v46, v41, s[12:13]
	v_cmp_nge_f64_e64 s[12:13], -1.0, v[38:39]
	v_cndmask_b32_e64 v40, 0, v40, s[12:13]
	v_mov_b32_e32 v46, 0xfff00000
	v_cmp_neq_f64_e64 s[12:13], -1.0, v[38:39]
	v_cndmask_b32_e64 v41, v46, v41, s[12:13]
	v_add_f64 v[46:47], v[36:37], v[40:41]
.LBB30_200:
	s_or_b64 exec, exec, s[16:17]
	v_max_f64 v[36:37], v[12:13], v[12:13]
	v_max_f64 v[38:39], v[46:47], v[46:47]
	v_min_f64 v[40:41], v[38:39], v[36:37]
	v_cmp_u_f64_e64 s[14:15], v[46:47], v[46:47]
	v_max_f64 v[38:39], v[38:39], v[36:37]
	v_cndmask_b32_e64 v40, v40, v46, s[14:15]
	v_cndmask_b32_e64 v41, v41, v47, s[14:15]
	v_cmp_u_f64_e64 s[12:13], v[12:13], v[12:13]
	v_cndmask_b32_e64 v38, v38, v46, s[14:15]
	v_cndmask_b32_e64 v39, v39, v47, s[14:15]
	;; [unrolled: 1-line block ×6, first 2 shown]
	s_movk_i32 s26, 0x1f8
	v_cmp_neq_f64_e64 s[14:15], v[40:41], v[38:39]
	v_cmp_class_f64_e64 s[16:17], v[40:41], s26
	s_or_b64 s[14:15], s[14:15], s[16:17]
	s_and_saveexec_b64 s[20:21], s[14:15]
	s_cbranch_execz .LBB30_202
; %bb.201:
	s_mov_b32 s14, 0x652b82fe
	v_add_f64 v[40:41], v[40:41], -v[38:39]
	s_mov_b32 s15, 0x3ff71547
	v_mul_f64 v[46:47], v[40:41], s[14:15]
	v_rndne_f64_e32 v[46:47], v[46:47]
	s_mov_b32 s23, 0xbfe62e42
	s_mov_b32 s22, 0xfefa39ef
	v_fma_f64 v[48:49], s[22:23], v[46:47], v[40:41]
	s_mov_b32 s25, 0xbc7abc9e
	s_mov_b32 s24, 0x3b39803f
	s_mov_b32 s14, 0x6a5dcb37
	v_fmac_f64_e32 v[48:49], s[24:25], v[46:47]
	v_mov_b32_e32 v50, 0xfca7ab0c
	v_mov_b32_e32 v51, 0x3e928af3
	s_mov_b32 s15, 0x3e5ade15
	v_fmac_f64_e32 v[50:51], s[14:15], v[48:49]
	v_mov_b32_e32 v52, 0x623fde64
	v_mov_b32_e32 v53, 0x3ec71dee
	v_fmac_f64_e32 v[52:53], v[48:49], v[50:51]
	v_mov_b32_e32 v50, 0x7c89e6b0
	v_mov_b32_e32 v51, 0x3efa0199
	v_fmac_f64_e32 v[50:51], v[48:49], v[52:53]
	v_mov_b32_e32 v52, 0x14761f6e
	v_mov_b32_e32 v53, 0x3f2a01a0
	v_fmac_f64_e32 v[52:53], v[48:49], v[50:51]
	v_mov_b32_e32 v50, 0x1852b7b0
	v_mov_b32_e32 v51, 0x3f56c16c
	v_fmac_f64_e32 v[50:51], v[48:49], v[52:53]
	v_mov_b32_e32 v52, 0x11122322
	v_mov_b32_e32 v53, 0x3f811111
	v_fmac_f64_e32 v[52:53], v[48:49], v[50:51]
	v_mov_b32_e32 v50, 0x555502a1
	v_mov_b32_e32 v51, 0x3fa55555
	v_fmac_f64_e32 v[50:51], v[48:49], v[52:53]
	v_mov_b32_e32 v52, 0x55555511
	v_mov_b32_e32 v53, 0x3fc55555
	v_fmac_f64_e32 v[52:53], v[48:49], v[50:51]
	v_mov_b32_e32 v50, 11
	v_mov_b32_e32 v51, 0x3fe00000
	v_fmac_f64_e32 v[50:51], v[48:49], v[52:53]
	v_fma_f64 v[50:51], v[48:49], v[50:51], 1.0
	s_mov_b32 s14, 0
	s_mov_b32 s16, 0
	v_fma_f64 v[48:49], v[48:49], v[50:51], 1.0
	v_cvt_i32_f64_e32 v46, v[46:47]
	s_mov_b32 s15, 0x40900000
	s_mov_b32 s17, 0xc090cc00
	v_ldexp_f64 v[46:47], v[48:49], v46
	v_mov_b32_e32 v48, 0x7ff00000
	v_cmp_nlt_f64_e64 s[14:15], s[14:15], v[40:41]
	v_cmp_ngt_f64_e64 s[16:17], s[16:17], v[40:41]
	v_cndmask_b32_e64 v47, v48, v47, s[14:15]
	s_and_b64 s[14:15], s[16:17], s[14:15]
	v_cndmask_b32_e64 v41, 0, v47, s[16:17]
	v_cndmask_b32_e64 v40, 0, v46, s[14:15]
	v_add_f64 v[46:47], v[40:41], 1.0
	v_add_f64 v[48:49], v[46:47], -1.0
	v_add_f64 v[50:51], v[48:49], -v[46:47]
	v_add_f64 v[50:51], v[50:51], 1.0
	v_add_f64 v[48:49], v[40:41], -v[48:49]
	s_mov_b32 s14, 0x55555555
	v_add_f64 v[48:49], v[48:49], v[50:51]
	v_frexp_mant_f64_e32 v[50:51], v[46:47]
	s_mov_b32 s15, 0x3fe55555
	v_frexp_exp_i32_f64_e32 v52, v[46:47]
	v_cmp_gt_f64_e64 s[14:15], s[14:15], v[50:51]
	v_subbrev_co_u32_e64 v66, s[14:15], 0, v52, s[14:15]
	v_sub_u32_e32 v50, 0, v66
	v_ldexp_f64 v[46:47], v[46:47], v50
	v_ldexp_f64 v[48:49], v[48:49], v50
	v_add_f64 v[50:51], v[46:47], -1.0
	v_add_f64 v[56:57], v[46:47], 1.0
	v_add_f64 v[52:53], v[50:51], 1.0
	v_add_f64 v[58:59], v[56:57], -1.0
	v_add_f64 v[52:53], v[46:47], -v[52:53]
	v_add_f64 v[46:47], v[46:47], -v[58:59]
	v_add_f64 v[46:47], v[48:49], v[46:47]
	v_add_f64 v[52:53], v[48:49], v[52:53]
	;; [unrolled: 1-line block ×3, first 2 shown]
	v_rcp_f64_e32 v[58:59], v[48:49]
	v_add_f64 v[54:55], v[50:51], v[52:53]
	v_add_f64 v[50:51], v[54:55], -v[50:51]
	v_add_f64 v[50:51], v[52:53], -v[50:51]
	;; [unrolled: 1-line block ×4, first 2 shown]
	v_fma_f64 v[52:53], -v[48:49], v[58:59], 1.0
	v_fmac_f64_e32 v[58:59], v[52:53], v[58:59]
	v_fma_f64 v[52:53], -v[48:49], v[58:59], 1.0
	v_fmac_f64_e32 v[58:59], v[52:53], v[58:59]
	v_mul_f64 v[52:53], v[54:55], v[58:59]
	v_mul_f64 v[56:57], v[48:49], v[52:53]
	v_fma_f64 v[60:61], v[52:53], v[48:49], -v[56:57]
	v_fmac_f64_e32 v[60:61], v[52:53], v[46:47]
	v_add_f64 v[62:63], v[56:57], v[60:61]
	v_add_f64 v[64:65], v[54:55], -v[62:63]
	v_add_f64 v[54:55], v[54:55], -v[64:65]
	;; [unrolled: 1-line block ×4, first 2 shown]
	v_add_f64 v[50:51], v[50:51], v[54:55]
	v_add_f64 v[54:55], v[56:57], -v[60:61]
	v_add_f64 v[50:51], v[54:55], v[50:51]
	v_add_f64 v[54:55], v[64:65], v[50:51]
	v_add_f64 v[56:57], v[64:65], -v[54:55]
	v_add_f64 v[50:51], v[50:51], v[56:57]
	v_mul_f64 v[56:57], v[58:59], v[54:55]
	v_mul_f64 v[60:61], v[48:49], v[56:57]
	v_fma_f64 v[48:49], v[56:57], v[48:49], -v[60:61]
	v_fmac_f64_e32 v[48:49], v[56:57], v[46:47]
	v_add_f64 v[46:47], v[60:61], v[48:49]
	v_add_f64 v[62:63], v[54:55], -v[46:47]
	v_add_f64 v[54:55], v[54:55], -v[62:63]
	;; [unrolled: 1-line block ×4, first 2 shown]
	v_add_f64 v[46:47], v[50:51], v[46:47]
	v_add_f64 v[48:49], v[60:61], -v[48:49]
	v_add_f64 v[46:47], v[48:49], v[46:47]
	v_add_f64 v[48:49], v[52:53], v[56:57]
	;; [unrolled: 1-line block ×3, first 2 shown]
	v_add_f64 v[50:51], v[48:49], -v[52:53]
	v_mul_f64 v[46:47], v[58:59], v[46:47]
	v_add_f64 v[50:51], v[56:57], -v[50:51]
	v_add_f64 v[46:47], v[50:51], v[46:47]
	v_add_f64 v[50:51], v[48:49], v[46:47]
	v_add_f64 v[48:49], v[50:51], -v[48:49]
	s_mov_b32 s14, 0xbf559e2b
	v_add_f64 v[46:47], v[46:47], -v[48:49]
	v_mul_f64 v[48:49], v[50:51], v[50:51]
	v_mov_b32_e32 v52, 0x6b47b09a
	v_mov_b32_e32 v53, 0x3fc38538
	s_mov_b32 s15, 0x3fc3ab76
	v_fmac_f64_e32 v[52:53], s[14:15], v[48:49]
	v_mov_b32_e32 v54, 0xd7f4df2e
	v_mov_b32_e32 v55, 0x3fc7474d
	v_fmac_f64_e32 v[54:55], v[48:49], v[52:53]
	v_mov_b32_e32 v52, 0x16291751
	v_mov_b32_e32 v53, 0x3fcc71c0
	;; [unrolled: 3-line block ×5, first 2 shown]
	v_fmac_f64_e32 v[54:55], v[48:49], v[52:53]
	v_cvt_f64_i32_e32 v[52:53], v66
	s_mov_b32 s23, 0x3fe62e42
	v_mul_f64 v[56:57], v[52:53], s[22:23]
	v_fma_f64 v[58:59], v[52:53], s[22:23], -v[56:57]
	s_mov_b32 s25, 0x3c7abc9e
	v_fmac_f64_e32 v[58:59], s[24:25], v[52:53]
	v_add_f64 v[52:53], v[56:57], v[58:59]
	v_add_f64 v[56:57], v[52:53], -v[56:57]
	v_mul_f64 v[48:49], v[50:51], v[48:49]
	v_add_f64 v[56:57], v[58:59], -v[56:57]
	v_ldexp_f64 v[58:59], v[50:51], 1
	v_mul_f64 v[48:49], v[48:49], v[54:55]
	v_add_f64 v[50:51], v[58:59], v[48:49]
	v_add_f64 v[54:55], v[50:51], -v[58:59]
	v_ldexp_f64 v[46:47], v[46:47], 1
	v_add_f64 v[48:49], v[48:49], -v[54:55]
	v_add_f64 v[46:47], v[46:47], v[48:49]
	v_add_f64 v[48:49], v[50:51], v[46:47]
	v_add_f64 v[50:51], v[48:49], -v[50:51]
	v_add_f64 v[46:47], v[46:47], -v[50:51]
	v_add_f64 v[50:51], v[52:53], v[48:49]
	v_add_f64 v[54:55], v[50:51], -v[52:53]
	v_add_f64 v[58:59], v[50:51], -v[54:55]
	;; [unrolled: 1-line block ×4, first 2 shown]
	v_add_f64 v[48:49], v[48:49], v[52:53]
	v_add_f64 v[52:53], v[56:57], v[46:47]
	v_add_f64 v[54:55], v[52:53], -v[56:57]
	v_add_f64 v[48:49], v[52:53], v[48:49]
	v_add_f64 v[58:59], v[52:53], -v[54:55]
	;; [unrolled: 2-line block ×3, first 2 shown]
	v_add_f64 v[46:47], v[46:47], -v[54:55]
	v_add_f64 v[50:51], v[52:53], -v[50:51]
	v_add_f64 v[46:47], v[46:47], v[56:57]
	v_add_f64 v[48:49], v[48:49], -v[50:51]
	s_mov_b32 s14, 0
	v_add_f64 v[46:47], v[46:47], v[48:49]
	s_mov_b32 s15, 0x7ff00000
	v_add_f64 v[46:47], v[52:53], v[46:47]
	v_cmp_eq_f64_e64 s[14:15], s[14:15], v[40:41]
	v_cndmask_b32_e64 v46, v46, v40, s[14:15]
	v_cndmask_b32_e64 v47, v47, v41, s[14:15]
	v_mov_b32_e32 v48, 0x7ff80000
	v_cmp_ngt_f64_e64 s[14:15], -1.0, v[40:41]
	v_cndmask_b32_e64 v47, v48, v47, s[14:15]
	v_cmp_nge_f64_e64 s[14:15], -1.0, v[40:41]
	v_cndmask_b32_e64 v46, 0, v46, s[14:15]
	v_mov_b32_e32 v48, 0xfff00000
	v_cmp_neq_f64_e64 s[14:15], -1.0, v[40:41]
	v_cndmask_b32_e64 v47, v48, v47, s[14:15]
	v_add_f64 v[46:47], v[38:39], v[46:47]
.LBB30_202:
	s_or_b64 exec, exec, s[20:21]
	v_max_f64 v[38:39], v[6:7], v[6:7]
	v_max_f64 v[40:41], v[46:47], v[46:47]
	v_min_f64 v[48:49], v[40:41], v[38:39]
	v_cmp_u_f64_e64 s[16:17], v[46:47], v[46:47]
	v_max_f64 v[40:41], v[40:41], v[38:39]
	v_cndmask_b32_e64 v48, v48, v46, s[16:17]
	v_cndmask_b32_e64 v49, v49, v47, s[16:17]
	v_cmp_u_f64_e64 s[14:15], v[6:7], v[6:7]
	v_cndmask_b32_e64 v40, v40, v46, s[16:17]
	v_cndmask_b32_e64 v41, v41, v47, s[16:17]
	v_cndmask_b32_e64 v49, v49, v7, s[14:15]
	v_cndmask_b32_e64 v48, v48, v6, s[14:15]
	v_cndmask_b32_e64 v41, v41, v7, s[14:15]
	v_cndmask_b32_e64 v40, v40, v6, s[14:15]
	v_cmp_neq_f64_e64 s[16:17], v[48:49], v[40:41]
	v_cmp_class_f64_e64 s[20:21], v[48:49], s26
	s_or_b64 s[16:17], s[16:17], s[20:21]
	s_and_saveexec_b64 s[22:23], s[16:17]
	s_cbranch_execz .LBB30_204
; %bb.203:
	s_mov_b32 s16, 0x652b82fe
	v_add_f64 v[46:47], v[48:49], -v[40:41]
	s_mov_b32 s17, 0x3ff71547
	v_mul_f64 v[48:49], v[46:47], s[16:17]
	v_rndne_f64_e32 v[48:49], v[48:49]
	s_mov_b32 s25, 0xbfe62e42
	s_mov_b32 s24, 0xfefa39ef
	v_fma_f64 v[50:51], s[24:25], v[48:49], v[46:47]
	s_mov_b32 s27, 0xbc7abc9e
	s_mov_b32 s26, 0x3b39803f
	;; [unrolled: 1-line block ×3, first 2 shown]
	v_fmac_f64_e32 v[50:51], s[26:27], v[48:49]
	v_mov_b32_e32 v52, 0xfca7ab0c
	v_mov_b32_e32 v53, 0x3e928af3
	s_mov_b32 s17, 0x3e5ade15
	v_fmac_f64_e32 v[52:53], s[16:17], v[50:51]
	v_mov_b32_e32 v54, 0x623fde64
	v_mov_b32_e32 v55, 0x3ec71dee
	v_fmac_f64_e32 v[54:55], v[50:51], v[52:53]
	v_mov_b32_e32 v52, 0x7c89e6b0
	v_mov_b32_e32 v53, 0x3efa0199
	v_fmac_f64_e32 v[52:53], v[50:51], v[54:55]
	v_mov_b32_e32 v54, 0x14761f6e
	v_mov_b32_e32 v55, 0x3f2a01a0
	v_fmac_f64_e32 v[54:55], v[50:51], v[52:53]
	v_mov_b32_e32 v52, 0x1852b7b0
	v_mov_b32_e32 v53, 0x3f56c16c
	v_fmac_f64_e32 v[52:53], v[50:51], v[54:55]
	v_mov_b32_e32 v54, 0x11122322
	v_mov_b32_e32 v55, 0x3f811111
	v_fmac_f64_e32 v[54:55], v[50:51], v[52:53]
	v_mov_b32_e32 v52, 0x555502a1
	v_mov_b32_e32 v53, 0x3fa55555
	v_fmac_f64_e32 v[52:53], v[50:51], v[54:55]
	v_mov_b32_e32 v54, 0x55555511
	v_mov_b32_e32 v55, 0x3fc55555
	v_fmac_f64_e32 v[54:55], v[50:51], v[52:53]
	v_mov_b32_e32 v52, 11
	v_mov_b32_e32 v53, 0x3fe00000
	v_fmac_f64_e32 v[52:53], v[50:51], v[54:55]
	v_fma_f64 v[52:53], v[50:51], v[52:53], 1.0
	s_mov_b32 s16, 0
	s_mov_b32 s20, 0
	v_fma_f64 v[50:51], v[50:51], v[52:53], 1.0
	v_cvt_i32_f64_e32 v48, v[48:49]
	s_mov_b32 s17, 0x40900000
	s_mov_b32 s21, 0xc090cc00
	v_ldexp_f64 v[48:49], v[50:51], v48
	v_mov_b32_e32 v50, 0x7ff00000
	v_cmp_nlt_f64_e64 s[16:17], s[16:17], v[46:47]
	v_cmp_ngt_f64_e64 s[20:21], s[20:21], v[46:47]
	v_cndmask_b32_e64 v49, v50, v49, s[16:17]
	s_and_b64 s[16:17], s[20:21], s[16:17]
	v_cndmask_b32_e64 v47, 0, v49, s[20:21]
	v_cndmask_b32_e64 v46, 0, v48, s[16:17]
	v_add_f64 v[48:49], v[46:47], 1.0
	v_add_f64 v[50:51], v[48:49], -1.0
	v_add_f64 v[52:53], v[50:51], -v[48:49]
	v_add_f64 v[52:53], v[52:53], 1.0
	v_add_f64 v[50:51], v[46:47], -v[50:51]
	s_mov_b32 s16, 0x55555555
	v_add_f64 v[50:51], v[50:51], v[52:53]
	v_frexp_mant_f64_e32 v[52:53], v[48:49]
	s_mov_b32 s17, 0x3fe55555
	v_frexp_exp_i32_f64_e32 v54, v[48:49]
	v_cmp_gt_f64_e64 s[16:17], s[16:17], v[52:53]
	v_subbrev_co_u32_e64 v68, s[16:17], 0, v54, s[16:17]
	v_sub_u32_e32 v52, 0, v68
	v_ldexp_f64 v[48:49], v[48:49], v52
	v_ldexp_f64 v[50:51], v[50:51], v52
	v_add_f64 v[52:53], v[48:49], -1.0
	v_add_f64 v[58:59], v[48:49], 1.0
	v_add_f64 v[54:55], v[52:53], 1.0
	v_add_f64 v[60:61], v[58:59], -1.0
	v_add_f64 v[54:55], v[48:49], -v[54:55]
	v_add_f64 v[48:49], v[48:49], -v[60:61]
	v_add_f64 v[48:49], v[50:51], v[48:49]
	v_add_f64 v[54:55], v[50:51], v[54:55]
	;; [unrolled: 1-line block ×3, first 2 shown]
	v_rcp_f64_e32 v[60:61], v[50:51]
	v_add_f64 v[56:57], v[52:53], v[54:55]
	v_add_f64 v[52:53], v[56:57], -v[52:53]
	v_add_f64 v[52:53], v[54:55], -v[52:53]
	v_add_f64 v[54:55], v[50:51], -v[58:59]
	v_add_f64 v[48:49], v[48:49], -v[54:55]
	v_fma_f64 v[54:55], -v[50:51], v[60:61], 1.0
	v_fmac_f64_e32 v[60:61], v[54:55], v[60:61]
	v_fma_f64 v[54:55], -v[50:51], v[60:61], 1.0
	v_fmac_f64_e32 v[60:61], v[54:55], v[60:61]
	v_mul_f64 v[54:55], v[56:57], v[60:61]
	v_mul_f64 v[58:59], v[50:51], v[54:55]
	v_fma_f64 v[62:63], v[54:55], v[50:51], -v[58:59]
	v_fmac_f64_e32 v[62:63], v[54:55], v[48:49]
	v_add_f64 v[64:65], v[58:59], v[62:63]
	v_add_f64 v[66:67], v[56:57], -v[64:65]
	v_add_f64 v[56:57], v[56:57], -v[66:67]
	;; [unrolled: 1-line block ×4, first 2 shown]
	v_add_f64 v[52:53], v[52:53], v[56:57]
	v_add_f64 v[56:57], v[58:59], -v[62:63]
	v_add_f64 v[52:53], v[56:57], v[52:53]
	v_add_f64 v[56:57], v[66:67], v[52:53]
	v_add_f64 v[58:59], v[66:67], -v[56:57]
	v_add_f64 v[52:53], v[52:53], v[58:59]
	v_mul_f64 v[58:59], v[60:61], v[56:57]
	v_mul_f64 v[62:63], v[50:51], v[58:59]
	v_fma_f64 v[50:51], v[58:59], v[50:51], -v[62:63]
	v_fmac_f64_e32 v[50:51], v[58:59], v[48:49]
	v_add_f64 v[48:49], v[62:63], v[50:51]
	v_add_f64 v[64:65], v[56:57], -v[48:49]
	v_add_f64 v[56:57], v[56:57], -v[64:65]
	;; [unrolled: 1-line block ×4, first 2 shown]
	v_add_f64 v[48:49], v[52:53], v[48:49]
	v_add_f64 v[50:51], v[62:63], -v[50:51]
	v_add_f64 v[48:49], v[50:51], v[48:49]
	v_add_f64 v[50:51], v[54:55], v[58:59]
	v_add_f64 v[48:49], v[64:65], v[48:49]
	v_add_f64 v[52:53], v[50:51], -v[54:55]
	v_mul_f64 v[48:49], v[60:61], v[48:49]
	v_add_f64 v[52:53], v[58:59], -v[52:53]
	v_add_f64 v[48:49], v[52:53], v[48:49]
	v_add_f64 v[52:53], v[50:51], v[48:49]
	v_add_f64 v[50:51], v[52:53], -v[50:51]
	s_mov_b32 s16, 0xbf559e2b
	v_add_f64 v[48:49], v[48:49], -v[50:51]
	v_mul_f64 v[50:51], v[52:53], v[52:53]
	v_mov_b32_e32 v54, 0x6b47b09a
	v_mov_b32_e32 v55, 0x3fc38538
	s_mov_b32 s17, 0x3fc3ab76
	v_fmac_f64_e32 v[54:55], s[16:17], v[50:51]
	v_mov_b32_e32 v56, 0xd7f4df2e
	v_mov_b32_e32 v57, 0x3fc7474d
	v_fmac_f64_e32 v[56:57], v[50:51], v[54:55]
	v_mov_b32_e32 v54, 0x16291751
	v_mov_b32_e32 v55, 0x3fcc71c0
	;; [unrolled: 3-line block ×5, first 2 shown]
	v_fmac_f64_e32 v[56:57], v[50:51], v[54:55]
	v_cvt_f64_i32_e32 v[54:55], v68
	s_mov_b32 s25, 0x3fe62e42
	v_mul_f64 v[58:59], v[54:55], s[24:25]
	v_fma_f64 v[60:61], v[54:55], s[24:25], -v[58:59]
	s_mov_b32 s27, 0x3c7abc9e
	v_fmac_f64_e32 v[60:61], s[26:27], v[54:55]
	v_add_f64 v[54:55], v[58:59], v[60:61]
	v_add_f64 v[58:59], v[54:55], -v[58:59]
	v_mul_f64 v[50:51], v[52:53], v[50:51]
	v_add_f64 v[58:59], v[60:61], -v[58:59]
	v_ldexp_f64 v[60:61], v[52:53], 1
	v_mul_f64 v[50:51], v[50:51], v[56:57]
	v_add_f64 v[52:53], v[60:61], v[50:51]
	v_add_f64 v[56:57], v[52:53], -v[60:61]
	v_ldexp_f64 v[48:49], v[48:49], 1
	v_add_f64 v[50:51], v[50:51], -v[56:57]
	v_add_f64 v[48:49], v[48:49], v[50:51]
	v_add_f64 v[50:51], v[52:53], v[48:49]
	v_add_f64 v[52:53], v[50:51], -v[52:53]
	v_add_f64 v[48:49], v[48:49], -v[52:53]
	v_add_f64 v[52:53], v[54:55], v[50:51]
	v_add_f64 v[56:57], v[52:53], -v[54:55]
	v_add_f64 v[60:61], v[52:53], -v[56:57]
	v_add_f64 v[54:55], v[54:55], -v[60:61]
	v_add_f64 v[50:51], v[50:51], -v[56:57]
	v_add_f64 v[50:51], v[50:51], v[54:55]
	v_add_f64 v[54:55], v[58:59], v[48:49]
	v_add_f64 v[56:57], v[54:55], -v[58:59]
	v_add_f64 v[50:51], v[54:55], v[50:51]
	v_add_f64 v[60:61], v[54:55], -v[56:57]
	;; [unrolled: 2-line block ×3, first 2 shown]
	v_add_f64 v[48:49], v[48:49], -v[56:57]
	v_add_f64 v[52:53], v[54:55], -v[52:53]
	v_add_f64 v[48:49], v[48:49], v[58:59]
	v_add_f64 v[50:51], v[50:51], -v[52:53]
	s_mov_b32 s16, 0
	v_add_f64 v[48:49], v[48:49], v[50:51]
	s_mov_b32 s17, 0x7ff00000
	v_add_f64 v[48:49], v[54:55], v[48:49]
	v_cmp_eq_f64_e64 s[16:17], s[16:17], v[46:47]
	v_cndmask_b32_e64 v48, v48, v46, s[16:17]
	v_cndmask_b32_e64 v49, v49, v47, s[16:17]
	v_mov_b32_e32 v50, 0x7ff80000
	v_cmp_ngt_f64_e64 s[16:17], -1.0, v[46:47]
	v_cndmask_b32_e64 v49, v50, v49, s[16:17]
	v_cmp_nge_f64_e64 s[16:17], -1.0, v[46:47]
	v_cndmask_b32_e64 v48, 0, v48, s[16:17]
	v_mov_b32_e32 v50, 0xfff00000
	v_cmp_neq_f64_e64 s[16:17], -1.0, v[46:47]
	v_cndmask_b32_e64 v49, v50, v49, s[16:17]
	v_add_f64 v[46:47], v[40:41], v[48:49]
.LBB30_204:
	s_or_b64 exec, exec, s[22:23]
	v_max_f64 v[40:41], v[8:9], v[8:9]
	v_max_f64 v[48:49], v[46:47], v[46:47]
	v_min_f64 v[50:51], v[48:49], v[40:41]
	v_cmp_u_f64_e64 s[20:21], v[46:47], v[46:47]
	v_max_f64 v[48:49], v[48:49], v[40:41]
	v_cndmask_b32_e64 v50, v50, v46, s[20:21]
	v_cndmask_b32_e64 v51, v51, v47, s[20:21]
	v_cmp_u_f64_e64 s[16:17], v[8:9], v[8:9]
	v_cndmask_b32_e64 v48, v48, v46, s[20:21]
	v_cndmask_b32_e64 v49, v49, v47, s[20:21]
	;; [unrolled: 1-line block ×6, first 2 shown]
	s_movk_i32 s22, 0x1f8
	v_cmp_neq_f64_e64 s[20:21], v[50:51], v[48:49]
	v_cmp_class_f64_e64 s[22:23], v[50:51], s22
	s_or_b64 s[20:21], s[20:21], s[22:23]
	s_and_saveexec_b64 s[24:25], s[20:21]
	s_cbranch_execz .LBB30_206
; %bb.205:
	s_mov_b32 s20, 0x652b82fe
	v_add_f64 v[46:47], v[50:51], -v[48:49]
	s_mov_b32 s21, 0x3ff71547
	v_mul_f64 v[50:51], v[46:47], s[20:21]
	v_rndne_f64_e32 v[50:51], v[50:51]
	s_mov_b32 s27, 0xbfe62e42
	s_mov_b32 s26, 0xfefa39ef
	v_fma_f64 v[52:53], s[26:27], v[50:51], v[46:47]
	s_mov_b32 s37, 0xbc7abc9e
	s_mov_b32 s36, 0x3b39803f
	;; [unrolled: 1-line block ×3, first 2 shown]
	v_fmac_f64_e32 v[52:53], s[36:37], v[50:51]
	v_mov_b32_e32 v54, 0xfca7ab0c
	v_mov_b32_e32 v55, 0x3e928af3
	s_mov_b32 s21, 0x3e5ade15
	v_fmac_f64_e32 v[54:55], s[20:21], v[52:53]
	v_mov_b32_e32 v56, 0x623fde64
	v_mov_b32_e32 v57, 0x3ec71dee
	v_fmac_f64_e32 v[56:57], v[52:53], v[54:55]
	v_mov_b32_e32 v54, 0x7c89e6b0
	v_mov_b32_e32 v55, 0x3efa0199
	;; [unrolled: 3-line block ×8, first 2 shown]
	v_fmac_f64_e32 v[54:55], v[52:53], v[56:57]
	v_fma_f64 v[54:55], v[52:53], v[54:55], 1.0
	s_mov_b32 s20, 0
	s_mov_b32 s22, 0
	v_fma_f64 v[52:53], v[52:53], v[54:55], 1.0
	v_cvt_i32_f64_e32 v50, v[50:51]
	s_mov_b32 s21, 0x40900000
	s_mov_b32 s23, 0xc090cc00
	v_ldexp_f64 v[50:51], v[52:53], v50
	v_mov_b32_e32 v52, 0x7ff00000
	v_cmp_nlt_f64_e64 s[20:21], s[20:21], v[46:47]
	v_cmp_ngt_f64_e64 s[22:23], s[22:23], v[46:47]
	v_cndmask_b32_e64 v51, v52, v51, s[20:21]
	s_and_b64 s[20:21], s[22:23], s[20:21]
	v_cndmask_b32_e64 v47, 0, v51, s[22:23]
	v_cndmask_b32_e64 v46, 0, v50, s[20:21]
	v_add_f64 v[50:51], v[46:47], 1.0
	v_add_f64 v[52:53], v[50:51], -1.0
	v_add_f64 v[54:55], v[52:53], -v[50:51]
	v_add_f64 v[54:55], v[54:55], 1.0
	v_add_f64 v[52:53], v[46:47], -v[52:53]
	s_mov_b32 s20, 0x55555555
	v_add_f64 v[52:53], v[52:53], v[54:55]
	v_frexp_mant_f64_e32 v[54:55], v[50:51]
	s_mov_b32 s21, 0x3fe55555
	v_frexp_exp_i32_f64_e32 v56, v[50:51]
	v_cmp_gt_f64_e64 s[20:21], s[20:21], v[54:55]
	v_subbrev_co_u32_e64 v70, s[20:21], 0, v56, s[20:21]
	v_sub_u32_e32 v54, 0, v70
	v_ldexp_f64 v[50:51], v[50:51], v54
	v_ldexp_f64 v[52:53], v[52:53], v54
	v_add_f64 v[54:55], v[50:51], -1.0
	v_add_f64 v[60:61], v[50:51], 1.0
	v_add_f64 v[56:57], v[54:55], 1.0
	v_add_f64 v[62:63], v[60:61], -1.0
	v_add_f64 v[56:57], v[50:51], -v[56:57]
	v_add_f64 v[50:51], v[50:51], -v[62:63]
	v_add_f64 v[50:51], v[52:53], v[50:51]
	v_add_f64 v[56:57], v[52:53], v[56:57]
	;; [unrolled: 1-line block ×3, first 2 shown]
	v_rcp_f64_e32 v[62:63], v[52:53]
	v_add_f64 v[58:59], v[54:55], v[56:57]
	v_add_f64 v[54:55], v[58:59], -v[54:55]
	v_add_f64 v[54:55], v[56:57], -v[54:55]
	;; [unrolled: 1-line block ×4, first 2 shown]
	v_fma_f64 v[56:57], -v[52:53], v[62:63], 1.0
	v_fmac_f64_e32 v[62:63], v[56:57], v[62:63]
	v_fma_f64 v[56:57], -v[52:53], v[62:63], 1.0
	v_fmac_f64_e32 v[62:63], v[56:57], v[62:63]
	v_mul_f64 v[56:57], v[58:59], v[62:63]
	v_mul_f64 v[60:61], v[52:53], v[56:57]
	v_fma_f64 v[64:65], v[56:57], v[52:53], -v[60:61]
	v_fmac_f64_e32 v[64:65], v[56:57], v[50:51]
	v_add_f64 v[66:67], v[60:61], v[64:65]
	v_add_f64 v[68:69], v[58:59], -v[66:67]
	v_add_f64 v[58:59], v[58:59], -v[68:69]
	;; [unrolled: 1-line block ×4, first 2 shown]
	v_add_f64 v[54:55], v[54:55], v[58:59]
	v_add_f64 v[58:59], v[60:61], -v[64:65]
	v_add_f64 v[54:55], v[58:59], v[54:55]
	v_add_f64 v[58:59], v[68:69], v[54:55]
	v_add_f64 v[60:61], v[68:69], -v[58:59]
	v_add_f64 v[54:55], v[54:55], v[60:61]
	v_mul_f64 v[60:61], v[62:63], v[58:59]
	v_mul_f64 v[64:65], v[52:53], v[60:61]
	v_fma_f64 v[52:53], v[60:61], v[52:53], -v[64:65]
	v_fmac_f64_e32 v[52:53], v[60:61], v[50:51]
	v_add_f64 v[50:51], v[64:65], v[52:53]
	v_add_f64 v[66:67], v[58:59], -v[50:51]
	v_add_f64 v[58:59], v[58:59], -v[66:67]
	;; [unrolled: 1-line block ×4, first 2 shown]
	v_add_f64 v[50:51], v[54:55], v[50:51]
	v_add_f64 v[52:53], v[64:65], -v[52:53]
	v_add_f64 v[50:51], v[52:53], v[50:51]
	v_add_f64 v[52:53], v[56:57], v[60:61]
	;; [unrolled: 1-line block ×3, first 2 shown]
	v_add_f64 v[54:55], v[52:53], -v[56:57]
	v_mul_f64 v[50:51], v[62:63], v[50:51]
	v_add_f64 v[54:55], v[60:61], -v[54:55]
	v_add_f64 v[50:51], v[54:55], v[50:51]
	v_add_f64 v[54:55], v[52:53], v[50:51]
	v_add_f64 v[52:53], v[54:55], -v[52:53]
	s_mov_b32 s20, 0xbf559e2b
	v_add_f64 v[50:51], v[50:51], -v[52:53]
	v_mul_f64 v[52:53], v[54:55], v[54:55]
	v_mov_b32_e32 v56, 0x6b47b09a
	v_mov_b32_e32 v57, 0x3fc38538
	s_mov_b32 s21, 0x3fc3ab76
	v_fmac_f64_e32 v[56:57], s[20:21], v[52:53]
	v_mov_b32_e32 v58, 0xd7f4df2e
	v_mov_b32_e32 v59, 0x3fc7474d
	v_fmac_f64_e32 v[58:59], v[52:53], v[56:57]
	v_mov_b32_e32 v56, 0x16291751
	v_mov_b32_e32 v57, 0x3fcc71c0
	;; [unrolled: 3-line block ×5, first 2 shown]
	v_fmac_f64_e32 v[58:59], v[52:53], v[56:57]
	v_cvt_f64_i32_e32 v[56:57], v70
	s_mov_b32 s27, 0x3fe62e42
	v_mul_f64 v[60:61], v[56:57], s[26:27]
	v_fma_f64 v[62:63], v[56:57], s[26:27], -v[60:61]
	s_mov_b32 s37, 0x3c7abc9e
	v_fmac_f64_e32 v[62:63], s[36:37], v[56:57]
	v_add_f64 v[56:57], v[60:61], v[62:63]
	v_add_f64 v[60:61], v[56:57], -v[60:61]
	v_mul_f64 v[52:53], v[54:55], v[52:53]
	v_add_f64 v[60:61], v[62:63], -v[60:61]
	v_ldexp_f64 v[62:63], v[54:55], 1
	v_mul_f64 v[52:53], v[52:53], v[58:59]
	v_add_f64 v[54:55], v[62:63], v[52:53]
	v_add_f64 v[58:59], v[54:55], -v[62:63]
	v_ldexp_f64 v[50:51], v[50:51], 1
	v_add_f64 v[52:53], v[52:53], -v[58:59]
	v_add_f64 v[50:51], v[50:51], v[52:53]
	v_add_f64 v[52:53], v[54:55], v[50:51]
	v_add_f64 v[54:55], v[52:53], -v[54:55]
	v_add_f64 v[50:51], v[50:51], -v[54:55]
	v_add_f64 v[54:55], v[56:57], v[52:53]
	v_add_f64 v[58:59], v[54:55], -v[56:57]
	v_add_f64 v[62:63], v[54:55], -v[58:59]
	v_add_f64 v[56:57], v[56:57], -v[62:63]
	v_add_f64 v[52:53], v[52:53], -v[58:59]
	v_add_f64 v[52:53], v[52:53], v[56:57]
	v_add_f64 v[56:57], v[60:61], v[50:51]
	v_add_f64 v[58:59], v[56:57], -v[60:61]
	v_add_f64 v[52:53], v[56:57], v[52:53]
	v_add_f64 v[62:63], v[56:57], -v[58:59]
	;; [unrolled: 2-line block ×3, first 2 shown]
	v_add_f64 v[50:51], v[50:51], -v[58:59]
	v_add_f64 v[54:55], v[56:57], -v[54:55]
	v_add_f64 v[50:51], v[50:51], v[60:61]
	v_add_f64 v[52:53], v[52:53], -v[54:55]
	s_mov_b32 s20, 0
	v_add_f64 v[50:51], v[50:51], v[52:53]
	s_mov_b32 s21, 0x7ff00000
	v_add_f64 v[50:51], v[56:57], v[50:51]
	v_cmp_eq_f64_e64 s[20:21], s[20:21], v[46:47]
	v_cndmask_b32_e64 v50, v50, v46, s[20:21]
	v_cndmask_b32_e64 v51, v51, v47, s[20:21]
	v_mov_b32_e32 v52, 0x7ff80000
	v_cmp_ngt_f64_e64 s[20:21], -1.0, v[46:47]
	v_cndmask_b32_e64 v51, v52, v51, s[20:21]
	v_cmp_nge_f64_e64 s[20:21], -1.0, v[46:47]
	v_cndmask_b32_e64 v50, 0, v50, s[20:21]
	v_mov_b32_e32 v52, 0xfff00000
	v_cmp_neq_f64_e64 s[20:21], -1.0, v[46:47]
	v_cndmask_b32_e64 v51, v52, v51, s[20:21]
	v_add_f64 v[46:47], v[48:49], v[50:51]
.LBB30_206:
	s_or_b64 exec, exec, s[24:25]
	v_mbcnt_lo_u32_b32 v48, -1, 0
	v_mbcnt_hi_u32_b32 v54, -1, v48
	v_and_b32_e32 v52, 15, v54
	v_mov_b32_dpp v48, v46 row_shr:1 row_mask:0xf bank_mask:0xf
	v_mov_b32_dpp v49, v47 row_shr:1 row_mask:0xf bank_mask:0xf
	v_cmp_ne_u32_e64 s[20:21], 0, v52
	v_mov_b32_e32 v50, v46
	v_mov_b32_e32 v51, v47
	s_and_saveexec_b64 s[24:25], s[20:21]
	s_cbranch_execz .LBB30_210
; %bb.207:
	v_max_f64 v[56:57], v[48:49], v[48:49]
	v_max_f64 v[58:59], v[46:47], v[46:47]
	v_min_f64 v[50:51], v[56:57], v[58:59]
	v_cmp_u_f64_e64 s[20:21], v[48:49], v[48:49]
	v_max_f64 v[56:57], v[56:57], v[58:59]
	v_cndmask_b32_e64 v50, v50, v48, s[20:21]
	v_cndmask_b32_e64 v51, v51, v49, s[20:21]
	v_cmp_u_f64_e64 s[22:23], v[46:47], v[46:47]
	v_cndmask_b32_e64 v53, v56, v48, s[20:21]
	v_cndmask_b32_e64 v55, v57, v49, s[20:21]
	;; [unrolled: 1-line block ×6, first 2 shown]
	s_movk_i32 s22, 0x1f8
	v_cmp_neq_f64_e64 s[20:21], v[50:51], v[46:47]
	v_cmp_class_f64_e64 s[22:23], v[50:51], s22
	s_or_b64 s[20:21], s[20:21], s[22:23]
	s_and_saveexec_b64 s[26:27], s[20:21]
	s_cbranch_execz .LBB30_209
; %bb.208:
	s_mov_b32 s20, 0x652b82fe
	v_add_f64 v[48:49], v[50:51], -v[46:47]
	s_mov_b32 s21, 0x3ff71547
	v_mul_f64 v[50:51], v[48:49], s[20:21]
	v_rndne_f64_e32 v[50:51], v[50:51]
	s_mov_b32 s37, 0xbfe62e42
	s_mov_b32 s36, 0xfefa39ef
	v_fma_f64 v[56:57], s[36:37], v[50:51], v[48:49]
	s_mov_b32 s41, 0xbc7abc9e
	s_mov_b32 s40, 0x3b39803f
	;; [unrolled: 1-line block ×3, first 2 shown]
	v_fmac_f64_e32 v[56:57], s[40:41], v[50:51]
	v_mov_b32_e32 v58, 0xfca7ab0c
	v_mov_b32_e32 v59, 0x3e928af3
	s_mov_b32 s21, 0x3e5ade15
	v_fmac_f64_e32 v[58:59], s[20:21], v[56:57]
	v_mov_b32_e32 v60, 0x623fde64
	v_mov_b32_e32 v61, 0x3ec71dee
	v_fmac_f64_e32 v[60:61], v[56:57], v[58:59]
	v_mov_b32_e32 v58, 0x7c89e6b0
	v_mov_b32_e32 v59, 0x3efa0199
	;; [unrolled: 3-line block ×8, first 2 shown]
	v_fmac_f64_e32 v[58:59], v[56:57], v[60:61]
	v_fma_f64 v[58:59], v[56:57], v[58:59], 1.0
	s_mov_b32 s20, 0
	s_mov_b32 s22, 0
	v_fma_f64 v[56:57], v[56:57], v[58:59], 1.0
	v_cvt_i32_f64_e32 v50, v[50:51]
	s_mov_b32 s21, 0x40900000
	s_mov_b32 s23, 0xc090cc00
	v_ldexp_f64 v[50:51], v[56:57], v50
	v_mov_b32_e32 v53, 0x7ff00000
	v_cmp_nlt_f64_e64 s[20:21], s[20:21], v[48:49]
	v_cmp_ngt_f64_e64 s[22:23], s[22:23], v[48:49]
	v_cndmask_b32_e64 v51, v53, v51, s[20:21]
	s_and_b64 s[20:21], s[22:23], s[20:21]
	v_cndmask_b32_e64 v49, 0, v51, s[22:23]
	v_cndmask_b32_e64 v48, 0, v50, s[20:21]
	v_add_f64 v[50:51], v[48:49], 1.0
	v_add_f64 v[56:57], v[50:51], -1.0
	v_add_f64 v[58:59], v[56:57], -v[50:51]
	v_add_f64 v[58:59], v[58:59], 1.0
	v_add_f64 v[56:57], v[48:49], -v[56:57]
	s_mov_b32 s20, 0x55555555
	v_add_f64 v[56:57], v[56:57], v[58:59]
	v_frexp_mant_f64_e32 v[58:59], v[50:51]
	s_mov_b32 s21, 0x3fe55555
	v_frexp_exp_i32_f64_e32 v53, v[50:51]
	v_cmp_gt_f64_e64 s[20:21], s[20:21], v[58:59]
	v_subbrev_co_u32_e64 v53, s[20:21], 0, v53, s[20:21]
	v_sub_u32_e32 v55, 0, v53
	v_ldexp_f64 v[50:51], v[50:51], v55
	v_add_f64 v[58:59], v[50:51], -1.0
	v_add_f64 v[64:65], v[50:51], 1.0
	v_add_f64 v[60:61], v[58:59], 1.0
	v_add_f64 v[66:67], v[64:65], -1.0
	v_ldexp_f64 v[56:57], v[56:57], v55
	v_add_f64 v[60:61], v[50:51], -v[60:61]
	v_add_f64 v[50:51], v[50:51], -v[66:67]
	v_add_f64 v[50:51], v[56:57], v[50:51]
	v_add_f64 v[60:61], v[56:57], v[60:61]
	;; [unrolled: 1-line block ×3, first 2 shown]
	v_rcp_f64_e32 v[66:67], v[56:57]
	v_add_f64 v[62:63], v[58:59], v[60:61]
	v_add_f64 v[58:59], v[62:63], -v[58:59]
	v_add_f64 v[58:59], v[60:61], -v[58:59]
	;; [unrolled: 1-line block ×4, first 2 shown]
	v_fma_f64 v[60:61], -v[56:57], v[66:67], 1.0
	v_fmac_f64_e32 v[66:67], v[60:61], v[66:67]
	v_fma_f64 v[60:61], -v[56:57], v[66:67], 1.0
	v_fmac_f64_e32 v[66:67], v[60:61], v[66:67]
	v_mul_f64 v[60:61], v[62:63], v[66:67]
	v_mul_f64 v[64:65], v[56:57], v[60:61]
	v_fma_f64 v[68:69], v[60:61], v[56:57], -v[64:65]
	v_fmac_f64_e32 v[68:69], v[60:61], v[50:51]
	v_add_f64 v[70:71], v[64:65], v[68:69]
	v_add_f64 v[72:73], v[62:63], -v[70:71]
	v_add_f64 v[62:63], v[62:63], -v[72:73]
	;; [unrolled: 1-line block ×4, first 2 shown]
	v_add_f64 v[58:59], v[58:59], v[62:63]
	v_add_f64 v[62:63], v[64:65], -v[68:69]
	v_add_f64 v[58:59], v[62:63], v[58:59]
	v_add_f64 v[62:63], v[72:73], v[58:59]
	v_add_f64 v[64:65], v[72:73], -v[62:63]
	v_add_f64 v[58:59], v[58:59], v[64:65]
	v_mul_f64 v[64:65], v[66:67], v[62:63]
	v_mul_f64 v[68:69], v[56:57], v[64:65]
	v_fma_f64 v[56:57], v[64:65], v[56:57], -v[68:69]
	v_fmac_f64_e32 v[56:57], v[64:65], v[50:51]
	v_add_f64 v[50:51], v[68:69], v[56:57]
	v_add_f64 v[70:71], v[62:63], -v[50:51]
	v_add_f64 v[62:63], v[62:63], -v[70:71]
	;; [unrolled: 1-line block ×4, first 2 shown]
	v_add_f64 v[50:51], v[58:59], v[50:51]
	v_add_f64 v[56:57], v[68:69], -v[56:57]
	v_add_f64 v[50:51], v[56:57], v[50:51]
	v_add_f64 v[56:57], v[60:61], v[64:65]
	;; [unrolled: 1-line block ×3, first 2 shown]
	v_add_f64 v[58:59], v[56:57], -v[60:61]
	v_mul_f64 v[50:51], v[66:67], v[50:51]
	v_add_f64 v[58:59], v[64:65], -v[58:59]
	v_add_f64 v[50:51], v[58:59], v[50:51]
	v_add_f64 v[58:59], v[56:57], v[50:51]
	v_add_f64 v[56:57], v[58:59], -v[56:57]
	s_mov_b32 s20, 0xbf559e2b
	v_add_f64 v[50:51], v[50:51], -v[56:57]
	v_mul_f64 v[56:57], v[58:59], v[58:59]
	v_mov_b32_e32 v60, 0x6b47b09a
	v_mov_b32_e32 v61, 0x3fc38538
	s_mov_b32 s21, 0x3fc3ab76
	v_fmac_f64_e32 v[60:61], s[20:21], v[56:57]
	v_mov_b32_e32 v62, 0xd7f4df2e
	v_mov_b32_e32 v63, 0x3fc7474d
	v_fmac_f64_e32 v[62:63], v[56:57], v[60:61]
	v_mov_b32_e32 v60, 0x16291751
	v_mov_b32_e32 v61, 0x3fcc71c0
	;; [unrolled: 3-line block ×5, first 2 shown]
	v_fmac_f64_e32 v[62:63], v[56:57], v[60:61]
	v_cvt_f64_i32_e32 v[60:61], v53
	s_mov_b32 s37, 0x3fe62e42
	v_mul_f64 v[64:65], v[60:61], s[36:37]
	v_fma_f64 v[66:67], v[60:61], s[36:37], -v[64:65]
	s_mov_b32 s41, 0x3c7abc9e
	v_fmac_f64_e32 v[66:67], s[40:41], v[60:61]
	v_add_f64 v[60:61], v[64:65], v[66:67]
	v_add_f64 v[64:65], v[60:61], -v[64:65]
	v_mul_f64 v[56:57], v[58:59], v[56:57]
	v_add_f64 v[64:65], v[66:67], -v[64:65]
	v_ldexp_f64 v[66:67], v[58:59], 1
	v_mul_f64 v[56:57], v[56:57], v[62:63]
	v_add_f64 v[58:59], v[66:67], v[56:57]
	v_add_f64 v[62:63], v[58:59], -v[66:67]
	v_ldexp_f64 v[50:51], v[50:51], 1
	v_add_f64 v[56:57], v[56:57], -v[62:63]
	v_add_f64 v[50:51], v[50:51], v[56:57]
	v_add_f64 v[56:57], v[58:59], v[50:51]
	v_add_f64 v[58:59], v[56:57], -v[58:59]
	v_add_f64 v[50:51], v[50:51], -v[58:59]
	v_add_f64 v[58:59], v[60:61], v[56:57]
	v_add_f64 v[62:63], v[58:59], -v[60:61]
	v_add_f64 v[66:67], v[58:59], -v[62:63]
	;; [unrolled: 1-line block ×4, first 2 shown]
	v_add_f64 v[56:57], v[56:57], v[60:61]
	v_add_f64 v[60:61], v[64:65], v[50:51]
	v_add_f64 v[62:63], v[60:61], -v[64:65]
	v_add_f64 v[56:57], v[60:61], v[56:57]
	v_add_f64 v[66:67], v[60:61], -v[62:63]
	;; [unrolled: 2-line block ×3, first 2 shown]
	v_add_f64 v[50:51], v[50:51], -v[62:63]
	v_add_f64 v[58:59], v[60:61], -v[58:59]
	v_add_f64 v[50:51], v[50:51], v[64:65]
	v_add_f64 v[56:57], v[56:57], -v[58:59]
	s_mov_b32 s20, 0
	v_add_f64 v[50:51], v[50:51], v[56:57]
	s_mov_b32 s21, 0x7ff00000
	v_add_f64 v[50:51], v[60:61], v[50:51]
	v_cmp_eq_f64_e64 s[20:21], s[20:21], v[48:49]
	v_cndmask_b32_e64 v50, v50, v48, s[20:21]
	v_cndmask_b32_e64 v51, v51, v49, s[20:21]
	v_mov_b32_e32 v53, 0x7ff80000
	v_cmp_ngt_f64_e64 s[20:21], -1.0, v[48:49]
	v_cndmask_b32_e64 v51, v53, v51, s[20:21]
	v_cmp_nge_f64_e64 s[20:21], -1.0, v[48:49]
	v_cndmask_b32_e64 v50, 0, v50, s[20:21]
	v_mov_b32_e32 v53, 0xfff00000
	v_cmp_neq_f64_e64 s[20:21], -1.0, v[48:49]
	v_cndmask_b32_e64 v51, v53, v51, s[20:21]
	v_add_f64 v[48:49], v[46:47], v[50:51]
.LBB30_209:
	s_or_b64 exec, exec, s[26:27]
	v_mov_b32_e32 v50, v48
	v_mov_b32_e32 v51, v49
	v_pk_mov_b32 v[46:47], v[48:49], v[48:49] op_sel:[0,1]
.LBB30_210:
	s_or_b64 exec, exec, s[24:25]
	v_mov_b32_dpp v48, v50 row_shr:2 row_mask:0xf bank_mask:0xf
	v_mov_b32_dpp v49, v51 row_shr:2 row_mask:0xf bank_mask:0xf
	v_cmp_lt_u32_e64 s[20:21], 1, v52
	s_and_saveexec_b64 s[24:25], s[20:21]
	s_cbranch_execz .LBB30_214
; %bb.211:
	v_max_f64 v[56:57], v[48:49], v[48:49]
	v_max_f64 v[58:59], v[46:47], v[46:47]
	v_min_f64 v[50:51], v[56:57], v[58:59]
	v_cmp_u_f64_e64 s[20:21], v[48:49], v[48:49]
	v_max_f64 v[56:57], v[56:57], v[58:59]
	v_cndmask_b32_e64 v50, v50, v48, s[20:21]
	v_cndmask_b32_e64 v51, v51, v49, s[20:21]
	v_cmp_u_f64_e64 s[22:23], v[46:47], v[46:47]
	v_cndmask_b32_e64 v53, v56, v48, s[20:21]
	v_cndmask_b32_e64 v55, v57, v49, s[20:21]
	;; [unrolled: 1-line block ×6, first 2 shown]
	s_movk_i32 s22, 0x1f8
	v_cmp_neq_f64_e64 s[20:21], v[50:51], v[46:47]
	v_cmp_class_f64_e64 s[22:23], v[50:51], s22
	s_or_b64 s[20:21], s[20:21], s[22:23]
	s_and_saveexec_b64 s[26:27], s[20:21]
	s_cbranch_execz .LBB30_213
; %bb.212:
	s_mov_b32 s20, 0x652b82fe
	v_add_f64 v[48:49], v[50:51], -v[46:47]
	s_mov_b32 s21, 0x3ff71547
	v_mul_f64 v[50:51], v[48:49], s[20:21]
	v_rndne_f64_e32 v[50:51], v[50:51]
	s_mov_b32 s37, 0xbfe62e42
	s_mov_b32 s36, 0xfefa39ef
	v_fma_f64 v[56:57], s[36:37], v[50:51], v[48:49]
	s_mov_b32 s41, 0xbc7abc9e
	s_mov_b32 s40, 0x3b39803f
	;; [unrolled: 1-line block ×3, first 2 shown]
	v_fmac_f64_e32 v[56:57], s[40:41], v[50:51]
	v_mov_b32_e32 v58, 0xfca7ab0c
	v_mov_b32_e32 v59, 0x3e928af3
	s_mov_b32 s21, 0x3e5ade15
	v_fmac_f64_e32 v[58:59], s[20:21], v[56:57]
	v_mov_b32_e32 v60, 0x623fde64
	v_mov_b32_e32 v61, 0x3ec71dee
	v_fmac_f64_e32 v[60:61], v[56:57], v[58:59]
	v_mov_b32_e32 v58, 0x7c89e6b0
	v_mov_b32_e32 v59, 0x3efa0199
	;; [unrolled: 3-line block ×8, first 2 shown]
	v_fmac_f64_e32 v[58:59], v[56:57], v[60:61]
	v_fma_f64 v[58:59], v[56:57], v[58:59], 1.0
	s_mov_b32 s20, 0
	s_mov_b32 s22, 0
	v_fma_f64 v[56:57], v[56:57], v[58:59], 1.0
	v_cvt_i32_f64_e32 v50, v[50:51]
	s_mov_b32 s21, 0x40900000
	s_mov_b32 s23, 0xc090cc00
	v_ldexp_f64 v[50:51], v[56:57], v50
	v_mov_b32_e32 v53, 0x7ff00000
	v_cmp_nlt_f64_e64 s[20:21], s[20:21], v[48:49]
	v_cmp_ngt_f64_e64 s[22:23], s[22:23], v[48:49]
	v_cndmask_b32_e64 v51, v53, v51, s[20:21]
	s_and_b64 s[20:21], s[22:23], s[20:21]
	v_cndmask_b32_e64 v49, 0, v51, s[22:23]
	v_cndmask_b32_e64 v48, 0, v50, s[20:21]
	v_add_f64 v[50:51], v[48:49], 1.0
	v_add_f64 v[56:57], v[50:51], -1.0
	v_add_f64 v[58:59], v[56:57], -v[50:51]
	v_add_f64 v[58:59], v[58:59], 1.0
	v_add_f64 v[56:57], v[48:49], -v[56:57]
	s_mov_b32 s20, 0x55555555
	v_add_f64 v[56:57], v[56:57], v[58:59]
	v_frexp_mant_f64_e32 v[58:59], v[50:51]
	s_mov_b32 s21, 0x3fe55555
	v_frexp_exp_i32_f64_e32 v53, v[50:51]
	v_cmp_gt_f64_e64 s[20:21], s[20:21], v[58:59]
	v_subbrev_co_u32_e64 v53, s[20:21], 0, v53, s[20:21]
	v_sub_u32_e32 v55, 0, v53
	v_ldexp_f64 v[50:51], v[50:51], v55
	v_add_f64 v[58:59], v[50:51], -1.0
	v_add_f64 v[64:65], v[50:51], 1.0
	v_add_f64 v[60:61], v[58:59], 1.0
	v_add_f64 v[66:67], v[64:65], -1.0
	v_ldexp_f64 v[56:57], v[56:57], v55
	v_add_f64 v[60:61], v[50:51], -v[60:61]
	v_add_f64 v[50:51], v[50:51], -v[66:67]
	v_add_f64 v[50:51], v[56:57], v[50:51]
	v_add_f64 v[60:61], v[56:57], v[60:61]
	;; [unrolled: 1-line block ×3, first 2 shown]
	v_rcp_f64_e32 v[66:67], v[56:57]
	v_add_f64 v[62:63], v[58:59], v[60:61]
	v_add_f64 v[58:59], v[62:63], -v[58:59]
	v_add_f64 v[58:59], v[60:61], -v[58:59]
	;; [unrolled: 1-line block ×4, first 2 shown]
	v_fma_f64 v[60:61], -v[56:57], v[66:67], 1.0
	v_fmac_f64_e32 v[66:67], v[60:61], v[66:67]
	v_fma_f64 v[60:61], -v[56:57], v[66:67], 1.0
	v_fmac_f64_e32 v[66:67], v[60:61], v[66:67]
	v_mul_f64 v[60:61], v[62:63], v[66:67]
	v_mul_f64 v[64:65], v[56:57], v[60:61]
	v_fma_f64 v[68:69], v[60:61], v[56:57], -v[64:65]
	v_fmac_f64_e32 v[68:69], v[60:61], v[50:51]
	v_add_f64 v[70:71], v[64:65], v[68:69]
	v_add_f64 v[72:73], v[62:63], -v[70:71]
	v_add_f64 v[62:63], v[62:63], -v[72:73]
	;; [unrolled: 1-line block ×4, first 2 shown]
	v_add_f64 v[58:59], v[58:59], v[62:63]
	v_add_f64 v[62:63], v[64:65], -v[68:69]
	v_add_f64 v[58:59], v[62:63], v[58:59]
	v_add_f64 v[62:63], v[72:73], v[58:59]
	v_add_f64 v[64:65], v[72:73], -v[62:63]
	v_add_f64 v[58:59], v[58:59], v[64:65]
	v_mul_f64 v[64:65], v[66:67], v[62:63]
	v_mul_f64 v[68:69], v[56:57], v[64:65]
	v_fma_f64 v[56:57], v[64:65], v[56:57], -v[68:69]
	v_fmac_f64_e32 v[56:57], v[64:65], v[50:51]
	v_add_f64 v[50:51], v[68:69], v[56:57]
	v_add_f64 v[70:71], v[62:63], -v[50:51]
	v_add_f64 v[62:63], v[62:63], -v[70:71]
	;; [unrolled: 1-line block ×4, first 2 shown]
	v_add_f64 v[50:51], v[58:59], v[50:51]
	v_add_f64 v[56:57], v[68:69], -v[56:57]
	v_add_f64 v[50:51], v[56:57], v[50:51]
	v_add_f64 v[56:57], v[60:61], v[64:65]
	v_add_f64 v[50:51], v[70:71], v[50:51]
	v_add_f64 v[58:59], v[56:57], -v[60:61]
	v_mul_f64 v[50:51], v[66:67], v[50:51]
	v_add_f64 v[58:59], v[64:65], -v[58:59]
	v_add_f64 v[50:51], v[58:59], v[50:51]
	v_add_f64 v[58:59], v[56:57], v[50:51]
	v_add_f64 v[56:57], v[58:59], -v[56:57]
	s_mov_b32 s20, 0xbf559e2b
	v_add_f64 v[50:51], v[50:51], -v[56:57]
	v_mul_f64 v[56:57], v[58:59], v[58:59]
	v_mov_b32_e32 v60, 0x6b47b09a
	v_mov_b32_e32 v61, 0x3fc38538
	s_mov_b32 s21, 0x3fc3ab76
	v_fmac_f64_e32 v[60:61], s[20:21], v[56:57]
	v_mov_b32_e32 v62, 0xd7f4df2e
	v_mov_b32_e32 v63, 0x3fc7474d
	v_fmac_f64_e32 v[62:63], v[56:57], v[60:61]
	v_mov_b32_e32 v60, 0x16291751
	v_mov_b32_e32 v61, 0x3fcc71c0
	;; [unrolled: 3-line block ×5, first 2 shown]
	v_fmac_f64_e32 v[62:63], v[56:57], v[60:61]
	v_cvt_f64_i32_e32 v[60:61], v53
	s_mov_b32 s37, 0x3fe62e42
	v_mul_f64 v[64:65], v[60:61], s[36:37]
	v_fma_f64 v[66:67], v[60:61], s[36:37], -v[64:65]
	s_mov_b32 s41, 0x3c7abc9e
	v_fmac_f64_e32 v[66:67], s[40:41], v[60:61]
	v_add_f64 v[60:61], v[64:65], v[66:67]
	v_add_f64 v[64:65], v[60:61], -v[64:65]
	v_mul_f64 v[56:57], v[58:59], v[56:57]
	v_add_f64 v[64:65], v[66:67], -v[64:65]
	v_ldexp_f64 v[66:67], v[58:59], 1
	v_mul_f64 v[56:57], v[56:57], v[62:63]
	v_add_f64 v[58:59], v[66:67], v[56:57]
	v_add_f64 v[62:63], v[58:59], -v[66:67]
	v_ldexp_f64 v[50:51], v[50:51], 1
	v_add_f64 v[56:57], v[56:57], -v[62:63]
	v_add_f64 v[50:51], v[50:51], v[56:57]
	v_add_f64 v[56:57], v[58:59], v[50:51]
	v_add_f64 v[58:59], v[56:57], -v[58:59]
	v_add_f64 v[50:51], v[50:51], -v[58:59]
	v_add_f64 v[58:59], v[60:61], v[56:57]
	v_add_f64 v[62:63], v[58:59], -v[60:61]
	v_add_f64 v[66:67], v[58:59], -v[62:63]
	;; [unrolled: 1-line block ×4, first 2 shown]
	v_add_f64 v[56:57], v[56:57], v[60:61]
	v_add_f64 v[60:61], v[64:65], v[50:51]
	v_add_f64 v[62:63], v[60:61], -v[64:65]
	v_add_f64 v[56:57], v[60:61], v[56:57]
	v_add_f64 v[66:67], v[60:61], -v[62:63]
	;; [unrolled: 2-line block ×3, first 2 shown]
	v_add_f64 v[50:51], v[50:51], -v[62:63]
	v_add_f64 v[58:59], v[60:61], -v[58:59]
	v_add_f64 v[50:51], v[50:51], v[64:65]
	v_add_f64 v[56:57], v[56:57], -v[58:59]
	s_mov_b32 s20, 0
	v_add_f64 v[50:51], v[50:51], v[56:57]
	s_mov_b32 s21, 0x7ff00000
	v_add_f64 v[50:51], v[60:61], v[50:51]
	v_cmp_eq_f64_e64 s[20:21], s[20:21], v[48:49]
	v_cndmask_b32_e64 v50, v50, v48, s[20:21]
	v_cndmask_b32_e64 v51, v51, v49, s[20:21]
	v_mov_b32_e32 v53, 0x7ff80000
	v_cmp_ngt_f64_e64 s[20:21], -1.0, v[48:49]
	v_cndmask_b32_e64 v51, v53, v51, s[20:21]
	v_cmp_nge_f64_e64 s[20:21], -1.0, v[48:49]
	v_cndmask_b32_e64 v50, 0, v50, s[20:21]
	v_mov_b32_e32 v53, 0xfff00000
	v_cmp_neq_f64_e64 s[20:21], -1.0, v[48:49]
	v_cndmask_b32_e64 v51, v53, v51, s[20:21]
	v_add_f64 v[48:49], v[46:47], v[50:51]
.LBB30_213:
	s_or_b64 exec, exec, s[26:27]
	v_pk_mov_b32 v[46:47], v[48:49], v[48:49] op_sel:[0,1]
	v_mov_b32_e32 v50, v48
	v_mov_b32_e32 v51, v49
.LBB30_214:
	s_or_b64 exec, exec, s[24:25]
	v_mov_b32_dpp v48, v50 row_shr:4 row_mask:0xf bank_mask:0xf
	v_mov_b32_dpp v49, v51 row_shr:4 row_mask:0xf bank_mask:0xf
	v_cmp_lt_u32_e64 s[20:21], 3, v52
	s_and_saveexec_b64 s[24:25], s[20:21]
	s_cbranch_execz .LBB30_218
; %bb.215:
	v_max_f64 v[56:57], v[48:49], v[48:49]
	v_max_f64 v[58:59], v[46:47], v[46:47]
	v_min_f64 v[50:51], v[56:57], v[58:59]
	v_cmp_u_f64_e64 s[20:21], v[48:49], v[48:49]
	v_max_f64 v[56:57], v[56:57], v[58:59]
	v_cndmask_b32_e64 v50, v50, v48, s[20:21]
	v_cndmask_b32_e64 v51, v51, v49, s[20:21]
	v_cmp_u_f64_e64 s[22:23], v[46:47], v[46:47]
	v_cndmask_b32_e64 v53, v56, v48, s[20:21]
	v_cndmask_b32_e64 v55, v57, v49, s[20:21]
	;; [unrolled: 1-line block ×6, first 2 shown]
	s_movk_i32 s22, 0x1f8
	v_cmp_neq_f64_e64 s[20:21], v[50:51], v[46:47]
	v_cmp_class_f64_e64 s[22:23], v[50:51], s22
	s_or_b64 s[20:21], s[20:21], s[22:23]
	s_and_saveexec_b64 s[26:27], s[20:21]
	s_cbranch_execz .LBB30_217
; %bb.216:
	s_mov_b32 s20, 0x652b82fe
	v_add_f64 v[48:49], v[50:51], -v[46:47]
	s_mov_b32 s21, 0x3ff71547
	v_mul_f64 v[50:51], v[48:49], s[20:21]
	v_rndne_f64_e32 v[50:51], v[50:51]
	s_mov_b32 s37, 0xbfe62e42
	s_mov_b32 s36, 0xfefa39ef
	v_fma_f64 v[56:57], s[36:37], v[50:51], v[48:49]
	s_mov_b32 s41, 0xbc7abc9e
	s_mov_b32 s40, 0x3b39803f
	;; [unrolled: 1-line block ×3, first 2 shown]
	v_fmac_f64_e32 v[56:57], s[40:41], v[50:51]
	v_mov_b32_e32 v58, 0xfca7ab0c
	v_mov_b32_e32 v59, 0x3e928af3
	s_mov_b32 s21, 0x3e5ade15
	v_fmac_f64_e32 v[58:59], s[20:21], v[56:57]
	v_mov_b32_e32 v60, 0x623fde64
	v_mov_b32_e32 v61, 0x3ec71dee
	v_fmac_f64_e32 v[60:61], v[56:57], v[58:59]
	v_mov_b32_e32 v58, 0x7c89e6b0
	v_mov_b32_e32 v59, 0x3efa0199
	;; [unrolled: 3-line block ×8, first 2 shown]
	v_fmac_f64_e32 v[58:59], v[56:57], v[60:61]
	v_fma_f64 v[58:59], v[56:57], v[58:59], 1.0
	s_mov_b32 s20, 0
	s_mov_b32 s22, 0
	v_fma_f64 v[56:57], v[56:57], v[58:59], 1.0
	v_cvt_i32_f64_e32 v50, v[50:51]
	s_mov_b32 s21, 0x40900000
	s_mov_b32 s23, 0xc090cc00
	v_ldexp_f64 v[50:51], v[56:57], v50
	v_mov_b32_e32 v53, 0x7ff00000
	v_cmp_nlt_f64_e64 s[20:21], s[20:21], v[48:49]
	v_cmp_ngt_f64_e64 s[22:23], s[22:23], v[48:49]
	v_cndmask_b32_e64 v51, v53, v51, s[20:21]
	s_and_b64 s[20:21], s[22:23], s[20:21]
	v_cndmask_b32_e64 v49, 0, v51, s[22:23]
	v_cndmask_b32_e64 v48, 0, v50, s[20:21]
	v_add_f64 v[50:51], v[48:49], 1.0
	v_add_f64 v[56:57], v[50:51], -1.0
	v_add_f64 v[58:59], v[56:57], -v[50:51]
	v_add_f64 v[58:59], v[58:59], 1.0
	v_add_f64 v[56:57], v[48:49], -v[56:57]
	s_mov_b32 s20, 0x55555555
	v_add_f64 v[56:57], v[56:57], v[58:59]
	v_frexp_mant_f64_e32 v[58:59], v[50:51]
	s_mov_b32 s21, 0x3fe55555
	v_frexp_exp_i32_f64_e32 v53, v[50:51]
	v_cmp_gt_f64_e64 s[20:21], s[20:21], v[58:59]
	v_subbrev_co_u32_e64 v53, s[20:21], 0, v53, s[20:21]
	v_sub_u32_e32 v55, 0, v53
	v_ldexp_f64 v[50:51], v[50:51], v55
	v_add_f64 v[58:59], v[50:51], -1.0
	v_add_f64 v[64:65], v[50:51], 1.0
	v_add_f64 v[60:61], v[58:59], 1.0
	v_add_f64 v[66:67], v[64:65], -1.0
	v_ldexp_f64 v[56:57], v[56:57], v55
	v_add_f64 v[60:61], v[50:51], -v[60:61]
	v_add_f64 v[50:51], v[50:51], -v[66:67]
	v_add_f64 v[50:51], v[56:57], v[50:51]
	v_add_f64 v[60:61], v[56:57], v[60:61]
	;; [unrolled: 1-line block ×3, first 2 shown]
	v_rcp_f64_e32 v[66:67], v[56:57]
	v_add_f64 v[62:63], v[58:59], v[60:61]
	v_add_f64 v[58:59], v[62:63], -v[58:59]
	v_add_f64 v[58:59], v[60:61], -v[58:59]
	;; [unrolled: 1-line block ×4, first 2 shown]
	v_fma_f64 v[60:61], -v[56:57], v[66:67], 1.0
	v_fmac_f64_e32 v[66:67], v[60:61], v[66:67]
	v_fma_f64 v[60:61], -v[56:57], v[66:67], 1.0
	v_fmac_f64_e32 v[66:67], v[60:61], v[66:67]
	v_mul_f64 v[60:61], v[62:63], v[66:67]
	v_mul_f64 v[64:65], v[56:57], v[60:61]
	v_fma_f64 v[68:69], v[60:61], v[56:57], -v[64:65]
	v_fmac_f64_e32 v[68:69], v[60:61], v[50:51]
	v_add_f64 v[70:71], v[64:65], v[68:69]
	v_add_f64 v[72:73], v[62:63], -v[70:71]
	v_add_f64 v[62:63], v[62:63], -v[72:73]
	;; [unrolled: 1-line block ×4, first 2 shown]
	v_add_f64 v[58:59], v[58:59], v[62:63]
	v_add_f64 v[62:63], v[64:65], -v[68:69]
	v_add_f64 v[58:59], v[62:63], v[58:59]
	v_add_f64 v[62:63], v[72:73], v[58:59]
	v_add_f64 v[64:65], v[72:73], -v[62:63]
	v_add_f64 v[58:59], v[58:59], v[64:65]
	v_mul_f64 v[64:65], v[66:67], v[62:63]
	v_mul_f64 v[68:69], v[56:57], v[64:65]
	v_fma_f64 v[56:57], v[64:65], v[56:57], -v[68:69]
	v_fmac_f64_e32 v[56:57], v[64:65], v[50:51]
	v_add_f64 v[50:51], v[68:69], v[56:57]
	v_add_f64 v[70:71], v[62:63], -v[50:51]
	v_add_f64 v[62:63], v[62:63], -v[70:71]
	;; [unrolled: 1-line block ×4, first 2 shown]
	v_add_f64 v[50:51], v[58:59], v[50:51]
	v_add_f64 v[56:57], v[68:69], -v[56:57]
	v_add_f64 v[50:51], v[56:57], v[50:51]
	v_add_f64 v[56:57], v[60:61], v[64:65]
	;; [unrolled: 1-line block ×3, first 2 shown]
	v_add_f64 v[58:59], v[56:57], -v[60:61]
	v_mul_f64 v[50:51], v[66:67], v[50:51]
	v_add_f64 v[58:59], v[64:65], -v[58:59]
	v_add_f64 v[50:51], v[58:59], v[50:51]
	v_add_f64 v[58:59], v[56:57], v[50:51]
	v_add_f64 v[56:57], v[58:59], -v[56:57]
	s_mov_b32 s20, 0xbf559e2b
	v_add_f64 v[50:51], v[50:51], -v[56:57]
	v_mul_f64 v[56:57], v[58:59], v[58:59]
	v_mov_b32_e32 v60, 0x6b47b09a
	v_mov_b32_e32 v61, 0x3fc38538
	s_mov_b32 s21, 0x3fc3ab76
	v_fmac_f64_e32 v[60:61], s[20:21], v[56:57]
	v_mov_b32_e32 v62, 0xd7f4df2e
	v_mov_b32_e32 v63, 0x3fc7474d
	v_fmac_f64_e32 v[62:63], v[56:57], v[60:61]
	v_mov_b32_e32 v60, 0x16291751
	v_mov_b32_e32 v61, 0x3fcc71c0
	;; [unrolled: 3-line block ×5, first 2 shown]
	v_fmac_f64_e32 v[62:63], v[56:57], v[60:61]
	v_cvt_f64_i32_e32 v[60:61], v53
	s_mov_b32 s37, 0x3fe62e42
	v_mul_f64 v[64:65], v[60:61], s[36:37]
	v_fma_f64 v[66:67], v[60:61], s[36:37], -v[64:65]
	s_mov_b32 s41, 0x3c7abc9e
	v_fmac_f64_e32 v[66:67], s[40:41], v[60:61]
	v_add_f64 v[60:61], v[64:65], v[66:67]
	v_add_f64 v[64:65], v[60:61], -v[64:65]
	v_mul_f64 v[56:57], v[58:59], v[56:57]
	v_add_f64 v[64:65], v[66:67], -v[64:65]
	v_ldexp_f64 v[66:67], v[58:59], 1
	v_mul_f64 v[56:57], v[56:57], v[62:63]
	v_add_f64 v[58:59], v[66:67], v[56:57]
	v_add_f64 v[62:63], v[58:59], -v[66:67]
	v_ldexp_f64 v[50:51], v[50:51], 1
	v_add_f64 v[56:57], v[56:57], -v[62:63]
	v_add_f64 v[50:51], v[50:51], v[56:57]
	v_add_f64 v[56:57], v[58:59], v[50:51]
	v_add_f64 v[58:59], v[56:57], -v[58:59]
	v_add_f64 v[50:51], v[50:51], -v[58:59]
	v_add_f64 v[58:59], v[60:61], v[56:57]
	v_add_f64 v[62:63], v[58:59], -v[60:61]
	v_add_f64 v[66:67], v[58:59], -v[62:63]
	;; [unrolled: 1-line block ×4, first 2 shown]
	v_add_f64 v[56:57], v[56:57], v[60:61]
	v_add_f64 v[60:61], v[64:65], v[50:51]
	v_add_f64 v[62:63], v[60:61], -v[64:65]
	v_add_f64 v[56:57], v[60:61], v[56:57]
	v_add_f64 v[66:67], v[60:61], -v[62:63]
	;; [unrolled: 2-line block ×3, first 2 shown]
	v_add_f64 v[50:51], v[50:51], -v[62:63]
	v_add_f64 v[58:59], v[60:61], -v[58:59]
	v_add_f64 v[50:51], v[50:51], v[64:65]
	v_add_f64 v[56:57], v[56:57], -v[58:59]
	s_mov_b32 s20, 0
	v_add_f64 v[50:51], v[50:51], v[56:57]
	s_mov_b32 s21, 0x7ff00000
	v_add_f64 v[50:51], v[60:61], v[50:51]
	v_cmp_eq_f64_e64 s[20:21], s[20:21], v[48:49]
	v_cndmask_b32_e64 v50, v50, v48, s[20:21]
	v_cndmask_b32_e64 v51, v51, v49, s[20:21]
	v_mov_b32_e32 v53, 0x7ff80000
	v_cmp_ngt_f64_e64 s[20:21], -1.0, v[48:49]
	v_cndmask_b32_e64 v51, v53, v51, s[20:21]
	v_cmp_nge_f64_e64 s[20:21], -1.0, v[48:49]
	v_cndmask_b32_e64 v50, 0, v50, s[20:21]
	v_mov_b32_e32 v53, 0xfff00000
	v_cmp_neq_f64_e64 s[20:21], -1.0, v[48:49]
	v_cndmask_b32_e64 v51, v53, v51, s[20:21]
	v_add_f64 v[48:49], v[46:47], v[50:51]
.LBB30_217:
	s_or_b64 exec, exec, s[26:27]
	v_pk_mov_b32 v[46:47], v[48:49], v[48:49] op_sel:[0,1]
	v_mov_b32_e32 v50, v48
	v_mov_b32_e32 v51, v49
.LBB30_218:
	s_or_b64 exec, exec, s[24:25]
	v_mov_b32_dpp v48, v50 row_shr:8 row_mask:0xf bank_mask:0xf
	v_mov_b32_dpp v49, v51 row_shr:8 row_mask:0xf bank_mask:0xf
	v_cmp_lt_u32_e64 s[20:21], 7, v52
	s_and_saveexec_b64 s[24:25], s[20:21]
	s_cbranch_execz .LBB30_222
; %bb.219:
	v_max_f64 v[52:53], v[48:49], v[48:49]
	v_max_f64 v[56:57], v[46:47], v[46:47]
	v_min_f64 v[50:51], v[52:53], v[56:57]
	v_cmp_u_f64_e64 s[20:21], v[48:49], v[48:49]
	v_max_f64 v[52:53], v[52:53], v[56:57]
	v_cndmask_b32_e64 v50, v50, v48, s[20:21]
	v_cndmask_b32_e64 v51, v51, v49, s[20:21]
	v_cmp_u_f64_e64 s[22:23], v[46:47], v[46:47]
	v_cndmask_b32_e64 v52, v52, v48, s[20:21]
	v_cndmask_b32_e64 v53, v53, v49, s[20:21]
	;; [unrolled: 1-line block ×6, first 2 shown]
	s_movk_i32 s22, 0x1f8
	v_cmp_neq_f64_e64 s[20:21], v[50:51], v[46:47]
	v_cmp_class_f64_e64 s[22:23], v[50:51], s22
	s_or_b64 s[20:21], s[20:21], s[22:23]
	s_and_saveexec_b64 s[26:27], s[20:21]
	s_cbranch_execz .LBB30_221
; %bb.220:
	s_mov_b32 s20, 0x652b82fe
	v_add_f64 v[48:49], v[50:51], -v[46:47]
	s_mov_b32 s21, 0x3ff71547
	v_mul_f64 v[50:51], v[48:49], s[20:21]
	v_rndne_f64_e32 v[50:51], v[50:51]
	s_mov_b32 s37, 0xbfe62e42
	s_mov_b32 s36, 0xfefa39ef
	v_fma_f64 v[52:53], s[36:37], v[50:51], v[48:49]
	s_mov_b32 s41, 0xbc7abc9e
	s_mov_b32 s40, 0x3b39803f
	;; [unrolled: 1-line block ×3, first 2 shown]
	v_fmac_f64_e32 v[52:53], s[40:41], v[50:51]
	v_mov_b32_e32 v56, 0xfca7ab0c
	v_mov_b32_e32 v57, 0x3e928af3
	s_mov_b32 s21, 0x3e5ade15
	v_fmac_f64_e32 v[56:57], s[20:21], v[52:53]
	v_mov_b32_e32 v58, 0x623fde64
	v_mov_b32_e32 v59, 0x3ec71dee
	v_fmac_f64_e32 v[58:59], v[52:53], v[56:57]
	v_mov_b32_e32 v56, 0x7c89e6b0
	v_mov_b32_e32 v57, 0x3efa0199
	;; [unrolled: 3-line block ×8, first 2 shown]
	v_fmac_f64_e32 v[56:57], v[52:53], v[58:59]
	v_fma_f64 v[56:57], v[52:53], v[56:57], 1.0
	s_mov_b32 s20, 0
	s_mov_b32 s22, 0
	v_fma_f64 v[52:53], v[52:53], v[56:57], 1.0
	v_cvt_i32_f64_e32 v50, v[50:51]
	s_mov_b32 s21, 0x40900000
	s_mov_b32 s23, 0xc090cc00
	v_ldexp_f64 v[50:51], v[52:53], v50
	v_mov_b32_e32 v52, 0x7ff00000
	v_cmp_nlt_f64_e64 s[20:21], s[20:21], v[48:49]
	v_cmp_ngt_f64_e64 s[22:23], s[22:23], v[48:49]
	v_cndmask_b32_e64 v51, v52, v51, s[20:21]
	s_and_b64 s[20:21], s[22:23], s[20:21]
	v_cndmask_b32_e64 v49, 0, v51, s[22:23]
	v_cndmask_b32_e64 v48, 0, v50, s[20:21]
	v_add_f64 v[50:51], v[48:49], 1.0
	v_add_f64 v[52:53], v[50:51], -1.0
	v_add_f64 v[56:57], v[52:53], -v[50:51]
	v_add_f64 v[56:57], v[56:57], 1.0
	v_add_f64 v[52:53], v[48:49], -v[52:53]
	s_mov_b32 s20, 0x55555555
	v_add_f64 v[52:53], v[52:53], v[56:57]
	v_frexp_mant_f64_e32 v[56:57], v[50:51]
	s_mov_b32 s21, 0x3fe55555
	v_frexp_exp_i32_f64_e32 v55, v[50:51]
	v_cmp_gt_f64_e64 s[20:21], s[20:21], v[56:57]
	v_subbrev_co_u32_e64 v55, s[20:21], 0, v55, s[20:21]
	v_sub_u32_e32 v56, 0, v55
	v_ldexp_f64 v[50:51], v[50:51], v56
	v_ldexp_f64 v[52:53], v[52:53], v56
	v_add_f64 v[56:57], v[50:51], -1.0
	v_add_f64 v[62:63], v[50:51], 1.0
	v_add_f64 v[58:59], v[56:57], 1.0
	v_add_f64 v[64:65], v[62:63], -1.0
	v_add_f64 v[58:59], v[50:51], -v[58:59]
	v_add_f64 v[50:51], v[50:51], -v[64:65]
	v_add_f64 v[50:51], v[52:53], v[50:51]
	v_add_f64 v[58:59], v[52:53], v[58:59]
	;; [unrolled: 1-line block ×3, first 2 shown]
	v_rcp_f64_e32 v[64:65], v[52:53]
	v_add_f64 v[60:61], v[56:57], v[58:59]
	v_add_f64 v[56:57], v[60:61], -v[56:57]
	v_add_f64 v[56:57], v[58:59], -v[56:57]
	;; [unrolled: 1-line block ×4, first 2 shown]
	v_fma_f64 v[58:59], -v[52:53], v[64:65], 1.0
	v_fmac_f64_e32 v[64:65], v[58:59], v[64:65]
	v_fma_f64 v[58:59], -v[52:53], v[64:65], 1.0
	v_fmac_f64_e32 v[64:65], v[58:59], v[64:65]
	v_mul_f64 v[58:59], v[60:61], v[64:65]
	v_mul_f64 v[62:63], v[52:53], v[58:59]
	v_fma_f64 v[66:67], v[58:59], v[52:53], -v[62:63]
	v_fmac_f64_e32 v[66:67], v[58:59], v[50:51]
	v_add_f64 v[68:69], v[62:63], v[66:67]
	v_add_f64 v[70:71], v[60:61], -v[68:69]
	v_add_f64 v[60:61], v[60:61], -v[70:71]
	;; [unrolled: 1-line block ×4, first 2 shown]
	v_add_f64 v[56:57], v[56:57], v[60:61]
	v_add_f64 v[60:61], v[62:63], -v[66:67]
	v_add_f64 v[56:57], v[60:61], v[56:57]
	v_add_f64 v[60:61], v[70:71], v[56:57]
	v_add_f64 v[62:63], v[70:71], -v[60:61]
	v_add_f64 v[56:57], v[56:57], v[62:63]
	v_mul_f64 v[62:63], v[64:65], v[60:61]
	v_mul_f64 v[66:67], v[52:53], v[62:63]
	v_fma_f64 v[52:53], v[62:63], v[52:53], -v[66:67]
	v_fmac_f64_e32 v[52:53], v[62:63], v[50:51]
	v_add_f64 v[50:51], v[66:67], v[52:53]
	v_add_f64 v[68:69], v[60:61], -v[50:51]
	v_add_f64 v[60:61], v[60:61], -v[68:69]
	;; [unrolled: 1-line block ×4, first 2 shown]
	v_add_f64 v[50:51], v[56:57], v[50:51]
	v_add_f64 v[52:53], v[66:67], -v[52:53]
	v_add_f64 v[50:51], v[52:53], v[50:51]
	v_add_f64 v[52:53], v[58:59], v[62:63]
	;; [unrolled: 1-line block ×3, first 2 shown]
	v_add_f64 v[56:57], v[52:53], -v[58:59]
	v_mul_f64 v[50:51], v[64:65], v[50:51]
	v_add_f64 v[56:57], v[62:63], -v[56:57]
	v_add_f64 v[50:51], v[56:57], v[50:51]
	v_add_f64 v[56:57], v[52:53], v[50:51]
	v_add_f64 v[52:53], v[56:57], -v[52:53]
	s_mov_b32 s20, 0xbf559e2b
	v_add_f64 v[50:51], v[50:51], -v[52:53]
	v_mul_f64 v[52:53], v[56:57], v[56:57]
	v_mov_b32_e32 v58, 0x6b47b09a
	v_mov_b32_e32 v59, 0x3fc38538
	s_mov_b32 s21, 0x3fc3ab76
	v_fmac_f64_e32 v[58:59], s[20:21], v[52:53]
	v_mov_b32_e32 v60, 0xd7f4df2e
	v_mov_b32_e32 v61, 0x3fc7474d
	v_fmac_f64_e32 v[60:61], v[52:53], v[58:59]
	v_mov_b32_e32 v58, 0x16291751
	v_mov_b32_e32 v59, 0x3fcc71c0
	;; [unrolled: 3-line block ×5, first 2 shown]
	v_fmac_f64_e32 v[60:61], v[52:53], v[58:59]
	v_cvt_f64_i32_e32 v[58:59], v55
	s_mov_b32 s37, 0x3fe62e42
	v_mul_f64 v[62:63], v[58:59], s[36:37]
	v_fma_f64 v[64:65], v[58:59], s[36:37], -v[62:63]
	s_mov_b32 s41, 0x3c7abc9e
	v_fmac_f64_e32 v[64:65], s[40:41], v[58:59]
	v_add_f64 v[58:59], v[62:63], v[64:65]
	v_add_f64 v[62:63], v[58:59], -v[62:63]
	v_mul_f64 v[52:53], v[56:57], v[52:53]
	v_add_f64 v[62:63], v[64:65], -v[62:63]
	v_ldexp_f64 v[64:65], v[56:57], 1
	v_mul_f64 v[52:53], v[52:53], v[60:61]
	v_add_f64 v[56:57], v[64:65], v[52:53]
	v_add_f64 v[60:61], v[56:57], -v[64:65]
	v_ldexp_f64 v[50:51], v[50:51], 1
	v_add_f64 v[52:53], v[52:53], -v[60:61]
	v_add_f64 v[50:51], v[50:51], v[52:53]
	v_add_f64 v[52:53], v[56:57], v[50:51]
	v_add_f64 v[56:57], v[52:53], -v[56:57]
	v_add_f64 v[50:51], v[50:51], -v[56:57]
	v_add_f64 v[56:57], v[58:59], v[52:53]
	v_add_f64 v[60:61], v[56:57], -v[58:59]
	v_add_f64 v[64:65], v[56:57], -v[60:61]
	;; [unrolled: 1-line block ×4, first 2 shown]
	v_add_f64 v[52:53], v[52:53], v[58:59]
	v_add_f64 v[58:59], v[62:63], v[50:51]
	v_add_f64 v[60:61], v[58:59], -v[62:63]
	v_add_f64 v[52:53], v[58:59], v[52:53]
	v_add_f64 v[64:65], v[58:59], -v[60:61]
	;; [unrolled: 2-line block ×3, first 2 shown]
	v_add_f64 v[50:51], v[50:51], -v[60:61]
	v_add_f64 v[56:57], v[58:59], -v[56:57]
	v_add_f64 v[50:51], v[50:51], v[62:63]
	v_add_f64 v[52:53], v[52:53], -v[56:57]
	s_mov_b32 s20, 0
	v_add_f64 v[50:51], v[50:51], v[52:53]
	s_mov_b32 s21, 0x7ff00000
	v_add_f64 v[50:51], v[58:59], v[50:51]
	v_cmp_eq_f64_e64 s[20:21], s[20:21], v[48:49]
	v_cndmask_b32_e64 v50, v50, v48, s[20:21]
	v_cndmask_b32_e64 v51, v51, v49, s[20:21]
	v_mov_b32_e32 v52, 0x7ff80000
	v_cmp_ngt_f64_e64 s[20:21], -1.0, v[48:49]
	v_cndmask_b32_e64 v51, v52, v51, s[20:21]
	v_cmp_nge_f64_e64 s[20:21], -1.0, v[48:49]
	v_cndmask_b32_e64 v50, 0, v50, s[20:21]
	v_mov_b32_e32 v52, 0xfff00000
	v_cmp_neq_f64_e64 s[20:21], -1.0, v[48:49]
	v_cndmask_b32_e64 v51, v52, v51, s[20:21]
	v_add_f64 v[48:49], v[46:47], v[50:51]
.LBB30_221:
	s_or_b64 exec, exec, s[26:27]
	v_pk_mov_b32 v[46:47], v[48:49], v[48:49] op_sel:[0,1]
	v_mov_b32_e32 v50, v48
	v_mov_b32_e32 v51, v49
.LBB30_222:
	s_or_b64 exec, exec, s[24:25]
	v_and_b32_e32 v52, 16, v54
	v_mov_b32_dpp v48, v50 row_bcast:15 row_mask:0xf bank_mask:0xf
	v_mov_b32_dpp v49, v51 row_bcast:15 row_mask:0xf bank_mask:0xf
	v_cmp_ne_u32_e64 s[20:21], 0, v52
	s_and_saveexec_b64 s[24:25], s[20:21]
	s_cbranch_execz .LBB30_226
; %bb.223:
	v_max_f64 v[52:53], v[48:49], v[48:49]
	v_max_f64 v[56:57], v[46:47], v[46:47]
	v_min_f64 v[50:51], v[52:53], v[56:57]
	v_cmp_u_f64_e64 s[20:21], v[48:49], v[48:49]
	v_max_f64 v[52:53], v[52:53], v[56:57]
	v_cndmask_b32_e64 v50, v50, v48, s[20:21]
	v_cndmask_b32_e64 v51, v51, v49, s[20:21]
	v_cmp_u_f64_e64 s[22:23], v[46:47], v[46:47]
	v_cndmask_b32_e64 v52, v52, v48, s[20:21]
	v_cndmask_b32_e64 v53, v53, v49, s[20:21]
	;; [unrolled: 1-line block ×6, first 2 shown]
	s_movk_i32 s22, 0x1f8
	v_cmp_neq_f64_e64 s[20:21], v[50:51], v[46:47]
	v_cmp_class_f64_e64 s[22:23], v[50:51], s22
	s_or_b64 s[20:21], s[20:21], s[22:23]
	s_and_saveexec_b64 s[26:27], s[20:21]
	s_cbranch_execz .LBB30_225
; %bb.224:
	s_mov_b32 s20, 0x652b82fe
	v_add_f64 v[48:49], v[50:51], -v[46:47]
	s_mov_b32 s21, 0x3ff71547
	v_mul_f64 v[50:51], v[48:49], s[20:21]
	v_rndne_f64_e32 v[50:51], v[50:51]
	s_mov_b32 s37, 0xbfe62e42
	s_mov_b32 s36, 0xfefa39ef
	v_fma_f64 v[52:53], s[36:37], v[50:51], v[48:49]
	s_mov_b32 s41, 0xbc7abc9e
	s_mov_b32 s40, 0x3b39803f
	;; [unrolled: 1-line block ×3, first 2 shown]
	v_fmac_f64_e32 v[52:53], s[40:41], v[50:51]
	v_mov_b32_e32 v56, 0xfca7ab0c
	v_mov_b32_e32 v57, 0x3e928af3
	s_mov_b32 s21, 0x3e5ade15
	v_fmac_f64_e32 v[56:57], s[20:21], v[52:53]
	v_mov_b32_e32 v58, 0x623fde64
	v_mov_b32_e32 v59, 0x3ec71dee
	v_fmac_f64_e32 v[58:59], v[52:53], v[56:57]
	v_mov_b32_e32 v56, 0x7c89e6b0
	v_mov_b32_e32 v57, 0x3efa0199
	;; [unrolled: 3-line block ×8, first 2 shown]
	v_fmac_f64_e32 v[56:57], v[52:53], v[58:59]
	v_fma_f64 v[56:57], v[52:53], v[56:57], 1.0
	s_mov_b32 s20, 0
	s_mov_b32 s22, 0
	v_fma_f64 v[52:53], v[52:53], v[56:57], 1.0
	v_cvt_i32_f64_e32 v50, v[50:51]
	s_mov_b32 s21, 0x40900000
	s_mov_b32 s23, 0xc090cc00
	v_ldexp_f64 v[50:51], v[52:53], v50
	v_mov_b32_e32 v52, 0x7ff00000
	v_cmp_nlt_f64_e64 s[20:21], s[20:21], v[48:49]
	v_cmp_ngt_f64_e64 s[22:23], s[22:23], v[48:49]
	v_cndmask_b32_e64 v51, v52, v51, s[20:21]
	s_and_b64 s[20:21], s[22:23], s[20:21]
	v_cndmask_b32_e64 v49, 0, v51, s[22:23]
	v_cndmask_b32_e64 v48, 0, v50, s[20:21]
	v_add_f64 v[50:51], v[48:49], 1.0
	v_add_f64 v[52:53], v[50:51], -1.0
	v_add_f64 v[56:57], v[52:53], -v[50:51]
	v_add_f64 v[56:57], v[56:57], 1.0
	v_add_f64 v[52:53], v[48:49], -v[52:53]
	s_mov_b32 s20, 0x55555555
	v_add_f64 v[52:53], v[52:53], v[56:57]
	v_frexp_mant_f64_e32 v[56:57], v[50:51]
	s_mov_b32 s21, 0x3fe55555
	v_frexp_exp_i32_f64_e32 v55, v[50:51]
	v_cmp_gt_f64_e64 s[20:21], s[20:21], v[56:57]
	v_subbrev_co_u32_e64 v55, s[20:21], 0, v55, s[20:21]
	v_sub_u32_e32 v56, 0, v55
	v_ldexp_f64 v[50:51], v[50:51], v56
	v_ldexp_f64 v[52:53], v[52:53], v56
	v_add_f64 v[56:57], v[50:51], -1.0
	v_add_f64 v[62:63], v[50:51], 1.0
	v_add_f64 v[58:59], v[56:57], 1.0
	v_add_f64 v[64:65], v[62:63], -1.0
	v_add_f64 v[58:59], v[50:51], -v[58:59]
	v_add_f64 v[50:51], v[50:51], -v[64:65]
	v_add_f64 v[50:51], v[52:53], v[50:51]
	v_add_f64 v[58:59], v[52:53], v[58:59]
	;; [unrolled: 1-line block ×3, first 2 shown]
	v_rcp_f64_e32 v[64:65], v[52:53]
	v_add_f64 v[60:61], v[56:57], v[58:59]
	v_add_f64 v[56:57], v[60:61], -v[56:57]
	v_add_f64 v[56:57], v[58:59], -v[56:57]
	;; [unrolled: 1-line block ×4, first 2 shown]
	v_fma_f64 v[58:59], -v[52:53], v[64:65], 1.0
	v_fmac_f64_e32 v[64:65], v[58:59], v[64:65]
	v_fma_f64 v[58:59], -v[52:53], v[64:65], 1.0
	v_fmac_f64_e32 v[64:65], v[58:59], v[64:65]
	v_mul_f64 v[58:59], v[60:61], v[64:65]
	v_mul_f64 v[62:63], v[52:53], v[58:59]
	v_fma_f64 v[66:67], v[58:59], v[52:53], -v[62:63]
	v_fmac_f64_e32 v[66:67], v[58:59], v[50:51]
	v_add_f64 v[68:69], v[62:63], v[66:67]
	v_add_f64 v[70:71], v[60:61], -v[68:69]
	v_add_f64 v[60:61], v[60:61], -v[70:71]
	;; [unrolled: 1-line block ×4, first 2 shown]
	v_add_f64 v[56:57], v[56:57], v[60:61]
	v_add_f64 v[60:61], v[62:63], -v[66:67]
	v_add_f64 v[56:57], v[60:61], v[56:57]
	v_add_f64 v[60:61], v[70:71], v[56:57]
	v_add_f64 v[62:63], v[70:71], -v[60:61]
	v_add_f64 v[56:57], v[56:57], v[62:63]
	v_mul_f64 v[62:63], v[64:65], v[60:61]
	v_mul_f64 v[66:67], v[52:53], v[62:63]
	v_fma_f64 v[52:53], v[62:63], v[52:53], -v[66:67]
	v_fmac_f64_e32 v[52:53], v[62:63], v[50:51]
	v_add_f64 v[50:51], v[66:67], v[52:53]
	v_add_f64 v[68:69], v[60:61], -v[50:51]
	v_add_f64 v[60:61], v[60:61], -v[68:69]
	;; [unrolled: 1-line block ×4, first 2 shown]
	v_add_f64 v[50:51], v[56:57], v[50:51]
	v_add_f64 v[52:53], v[66:67], -v[52:53]
	v_add_f64 v[50:51], v[52:53], v[50:51]
	v_add_f64 v[52:53], v[58:59], v[62:63]
	;; [unrolled: 1-line block ×3, first 2 shown]
	v_add_f64 v[56:57], v[52:53], -v[58:59]
	v_mul_f64 v[50:51], v[64:65], v[50:51]
	v_add_f64 v[56:57], v[62:63], -v[56:57]
	v_add_f64 v[50:51], v[56:57], v[50:51]
	v_add_f64 v[56:57], v[52:53], v[50:51]
	v_add_f64 v[52:53], v[56:57], -v[52:53]
	s_mov_b32 s20, 0xbf559e2b
	v_add_f64 v[50:51], v[50:51], -v[52:53]
	v_mul_f64 v[52:53], v[56:57], v[56:57]
	v_mov_b32_e32 v58, 0x6b47b09a
	v_mov_b32_e32 v59, 0x3fc38538
	s_mov_b32 s21, 0x3fc3ab76
	v_fmac_f64_e32 v[58:59], s[20:21], v[52:53]
	v_mov_b32_e32 v60, 0xd7f4df2e
	v_mov_b32_e32 v61, 0x3fc7474d
	v_fmac_f64_e32 v[60:61], v[52:53], v[58:59]
	v_mov_b32_e32 v58, 0x16291751
	v_mov_b32_e32 v59, 0x3fcc71c0
	;; [unrolled: 3-line block ×5, first 2 shown]
	v_fmac_f64_e32 v[60:61], v[52:53], v[58:59]
	v_cvt_f64_i32_e32 v[58:59], v55
	s_mov_b32 s37, 0x3fe62e42
	v_mul_f64 v[62:63], v[58:59], s[36:37]
	v_fma_f64 v[64:65], v[58:59], s[36:37], -v[62:63]
	s_mov_b32 s41, 0x3c7abc9e
	v_fmac_f64_e32 v[64:65], s[40:41], v[58:59]
	v_add_f64 v[58:59], v[62:63], v[64:65]
	v_add_f64 v[62:63], v[58:59], -v[62:63]
	v_mul_f64 v[52:53], v[56:57], v[52:53]
	v_add_f64 v[62:63], v[64:65], -v[62:63]
	v_ldexp_f64 v[64:65], v[56:57], 1
	v_mul_f64 v[52:53], v[52:53], v[60:61]
	v_add_f64 v[56:57], v[64:65], v[52:53]
	v_add_f64 v[60:61], v[56:57], -v[64:65]
	v_ldexp_f64 v[50:51], v[50:51], 1
	v_add_f64 v[52:53], v[52:53], -v[60:61]
	v_add_f64 v[50:51], v[50:51], v[52:53]
	v_add_f64 v[52:53], v[56:57], v[50:51]
	v_add_f64 v[56:57], v[52:53], -v[56:57]
	v_add_f64 v[50:51], v[50:51], -v[56:57]
	v_add_f64 v[56:57], v[58:59], v[52:53]
	v_add_f64 v[60:61], v[56:57], -v[58:59]
	v_add_f64 v[64:65], v[56:57], -v[60:61]
	;; [unrolled: 1-line block ×4, first 2 shown]
	v_add_f64 v[52:53], v[52:53], v[58:59]
	v_add_f64 v[58:59], v[62:63], v[50:51]
	v_add_f64 v[60:61], v[58:59], -v[62:63]
	v_add_f64 v[52:53], v[58:59], v[52:53]
	v_add_f64 v[64:65], v[58:59], -v[60:61]
	v_add_f64 v[58:59], v[56:57], v[52:53]
	v_add_f64 v[62:63], v[62:63], -v[64:65]
	v_add_f64 v[50:51], v[50:51], -v[60:61]
	v_add_f64 v[56:57], v[58:59], -v[56:57]
	v_add_f64 v[50:51], v[50:51], v[62:63]
	v_add_f64 v[52:53], v[52:53], -v[56:57]
	s_mov_b32 s20, 0
	v_add_f64 v[50:51], v[50:51], v[52:53]
	s_mov_b32 s21, 0x7ff00000
	v_add_f64 v[50:51], v[58:59], v[50:51]
	v_cmp_eq_f64_e64 s[20:21], s[20:21], v[48:49]
	v_cndmask_b32_e64 v50, v50, v48, s[20:21]
	v_cndmask_b32_e64 v51, v51, v49, s[20:21]
	v_mov_b32_e32 v52, 0x7ff80000
	v_cmp_ngt_f64_e64 s[20:21], -1.0, v[48:49]
	v_cndmask_b32_e64 v51, v52, v51, s[20:21]
	v_cmp_nge_f64_e64 s[20:21], -1.0, v[48:49]
	v_cndmask_b32_e64 v50, 0, v50, s[20:21]
	v_mov_b32_e32 v52, 0xfff00000
	v_cmp_neq_f64_e64 s[20:21], -1.0, v[48:49]
	v_cndmask_b32_e64 v51, v52, v51, s[20:21]
	v_add_f64 v[48:49], v[46:47], v[50:51]
.LBB30_225:
	s_or_b64 exec, exec, s[26:27]
	v_mov_b32_e32 v50, v48
	v_mov_b32_e32 v51, v49
	v_pk_mov_b32 v[46:47], v[48:49], v[48:49] op_sel:[0,1]
.LBB30_226:
	s_or_b64 exec, exec, s[24:25]
	v_mov_b32_dpp v48, v50 row_bcast:31 row_mask:0xf bank_mask:0xf
	v_mov_b32_dpp v49, v51 row_bcast:31 row_mask:0xf bank_mask:0xf
	v_cmp_lt_u32_e64 s[20:21], 31, v54
	s_and_saveexec_b64 s[24:25], s[20:21]
	s_cbranch_execz .LBB30_230
; %bb.227:
	v_max_f64 v[52:53], v[48:49], v[48:49]
	v_max_f64 v[56:57], v[46:47], v[46:47]
	v_min_f64 v[50:51], v[52:53], v[56:57]
	v_cmp_u_f64_e64 s[20:21], v[48:49], v[48:49]
	v_max_f64 v[52:53], v[52:53], v[56:57]
	v_cndmask_b32_e64 v50, v50, v48, s[20:21]
	v_cndmask_b32_e64 v51, v51, v49, s[20:21]
	v_cmp_u_f64_e64 s[22:23], v[46:47], v[46:47]
	v_cndmask_b32_e64 v52, v52, v48, s[20:21]
	v_cndmask_b32_e64 v53, v53, v49, s[20:21]
	;; [unrolled: 1-line block ×6, first 2 shown]
	s_movk_i32 s22, 0x1f8
	v_cmp_neq_f64_e64 s[20:21], v[50:51], v[46:47]
	v_cmp_class_f64_e64 s[22:23], v[50:51], s22
	s_or_b64 s[20:21], s[20:21], s[22:23]
	s_and_saveexec_b64 s[26:27], s[20:21]
	s_cbranch_execz .LBB30_229
; %bb.228:
	s_mov_b32 s20, 0x652b82fe
	v_add_f64 v[48:49], v[50:51], -v[46:47]
	s_mov_b32 s21, 0x3ff71547
	v_mul_f64 v[50:51], v[48:49], s[20:21]
	v_rndne_f64_e32 v[50:51], v[50:51]
	s_mov_b32 s37, 0xbfe62e42
	s_mov_b32 s36, 0xfefa39ef
	v_fma_f64 v[52:53], s[36:37], v[50:51], v[48:49]
	s_mov_b32 s41, 0xbc7abc9e
	s_mov_b32 s40, 0x3b39803f
	;; [unrolled: 1-line block ×3, first 2 shown]
	v_fmac_f64_e32 v[52:53], s[40:41], v[50:51]
	v_mov_b32_e32 v56, 0xfca7ab0c
	v_mov_b32_e32 v57, 0x3e928af3
	s_mov_b32 s21, 0x3e5ade15
	v_fmac_f64_e32 v[56:57], s[20:21], v[52:53]
	v_mov_b32_e32 v58, 0x623fde64
	v_mov_b32_e32 v59, 0x3ec71dee
	v_fmac_f64_e32 v[58:59], v[52:53], v[56:57]
	v_mov_b32_e32 v56, 0x7c89e6b0
	v_mov_b32_e32 v57, 0x3efa0199
	;; [unrolled: 3-line block ×8, first 2 shown]
	v_fmac_f64_e32 v[56:57], v[52:53], v[58:59]
	v_fma_f64 v[56:57], v[52:53], v[56:57], 1.0
	s_mov_b32 s20, 0
	s_mov_b32 s22, 0
	v_fma_f64 v[52:53], v[52:53], v[56:57], 1.0
	v_cvt_i32_f64_e32 v50, v[50:51]
	s_mov_b32 s21, 0x40900000
	s_mov_b32 s23, 0xc090cc00
	v_ldexp_f64 v[50:51], v[52:53], v50
	v_mov_b32_e32 v52, 0x7ff00000
	v_cmp_nlt_f64_e64 s[20:21], s[20:21], v[48:49]
	v_cmp_ngt_f64_e64 s[22:23], s[22:23], v[48:49]
	v_cndmask_b32_e64 v51, v52, v51, s[20:21]
	s_and_b64 s[20:21], s[22:23], s[20:21]
	v_cndmask_b32_e64 v49, 0, v51, s[22:23]
	v_cndmask_b32_e64 v48, 0, v50, s[20:21]
	v_add_f64 v[50:51], v[48:49], 1.0
	v_add_f64 v[52:53], v[50:51], -1.0
	v_add_f64 v[56:57], v[52:53], -v[50:51]
	v_add_f64 v[56:57], v[56:57], 1.0
	v_add_f64 v[52:53], v[48:49], -v[52:53]
	s_mov_b32 s20, 0x55555555
	v_add_f64 v[52:53], v[52:53], v[56:57]
	v_frexp_mant_f64_e32 v[56:57], v[50:51]
	s_mov_b32 s21, 0x3fe55555
	v_frexp_exp_i32_f64_e32 v55, v[50:51]
	v_cmp_gt_f64_e64 s[20:21], s[20:21], v[56:57]
	v_subbrev_co_u32_e64 v55, s[20:21], 0, v55, s[20:21]
	v_sub_u32_e32 v56, 0, v55
	v_ldexp_f64 v[50:51], v[50:51], v56
	v_ldexp_f64 v[52:53], v[52:53], v56
	v_add_f64 v[56:57], v[50:51], -1.0
	v_add_f64 v[62:63], v[50:51], 1.0
	v_add_f64 v[58:59], v[56:57], 1.0
	v_add_f64 v[64:65], v[62:63], -1.0
	v_add_f64 v[58:59], v[50:51], -v[58:59]
	v_add_f64 v[50:51], v[50:51], -v[64:65]
	v_add_f64 v[50:51], v[52:53], v[50:51]
	v_add_f64 v[58:59], v[52:53], v[58:59]
	;; [unrolled: 1-line block ×3, first 2 shown]
	v_rcp_f64_e32 v[64:65], v[52:53]
	v_add_f64 v[60:61], v[56:57], v[58:59]
	v_add_f64 v[56:57], v[60:61], -v[56:57]
	v_add_f64 v[56:57], v[58:59], -v[56:57]
	;; [unrolled: 1-line block ×4, first 2 shown]
	v_fma_f64 v[58:59], -v[52:53], v[64:65], 1.0
	v_fmac_f64_e32 v[64:65], v[58:59], v[64:65]
	v_fma_f64 v[58:59], -v[52:53], v[64:65], 1.0
	v_fmac_f64_e32 v[64:65], v[58:59], v[64:65]
	v_mul_f64 v[58:59], v[60:61], v[64:65]
	v_mul_f64 v[62:63], v[52:53], v[58:59]
	v_fma_f64 v[66:67], v[58:59], v[52:53], -v[62:63]
	v_fmac_f64_e32 v[66:67], v[58:59], v[50:51]
	v_add_f64 v[68:69], v[62:63], v[66:67]
	v_add_f64 v[70:71], v[60:61], -v[68:69]
	v_add_f64 v[60:61], v[60:61], -v[70:71]
	;; [unrolled: 1-line block ×4, first 2 shown]
	v_add_f64 v[56:57], v[56:57], v[60:61]
	v_add_f64 v[60:61], v[62:63], -v[66:67]
	v_add_f64 v[56:57], v[60:61], v[56:57]
	v_add_f64 v[60:61], v[70:71], v[56:57]
	v_add_f64 v[62:63], v[70:71], -v[60:61]
	v_add_f64 v[56:57], v[56:57], v[62:63]
	v_mul_f64 v[62:63], v[64:65], v[60:61]
	v_mul_f64 v[66:67], v[52:53], v[62:63]
	v_fma_f64 v[52:53], v[62:63], v[52:53], -v[66:67]
	v_fmac_f64_e32 v[52:53], v[62:63], v[50:51]
	v_add_f64 v[50:51], v[66:67], v[52:53]
	v_add_f64 v[68:69], v[60:61], -v[50:51]
	v_add_f64 v[60:61], v[60:61], -v[68:69]
	;; [unrolled: 1-line block ×4, first 2 shown]
	v_add_f64 v[50:51], v[56:57], v[50:51]
	v_add_f64 v[52:53], v[66:67], -v[52:53]
	v_add_f64 v[50:51], v[52:53], v[50:51]
	v_add_f64 v[52:53], v[58:59], v[62:63]
	;; [unrolled: 1-line block ×3, first 2 shown]
	v_add_f64 v[56:57], v[52:53], -v[58:59]
	v_mul_f64 v[50:51], v[64:65], v[50:51]
	v_add_f64 v[56:57], v[62:63], -v[56:57]
	v_add_f64 v[50:51], v[56:57], v[50:51]
	v_add_f64 v[56:57], v[52:53], v[50:51]
	v_add_f64 v[52:53], v[56:57], -v[52:53]
	s_mov_b32 s20, 0xbf559e2b
	v_add_f64 v[50:51], v[50:51], -v[52:53]
	v_mul_f64 v[52:53], v[56:57], v[56:57]
	v_mov_b32_e32 v58, 0x6b47b09a
	v_mov_b32_e32 v59, 0x3fc38538
	s_mov_b32 s21, 0x3fc3ab76
	v_fmac_f64_e32 v[58:59], s[20:21], v[52:53]
	v_mov_b32_e32 v60, 0xd7f4df2e
	v_mov_b32_e32 v61, 0x3fc7474d
	v_fmac_f64_e32 v[60:61], v[52:53], v[58:59]
	v_mov_b32_e32 v58, 0x16291751
	v_mov_b32_e32 v59, 0x3fcc71c0
	;; [unrolled: 3-line block ×5, first 2 shown]
	v_fmac_f64_e32 v[60:61], v[52:53], v[58:59]
	v_cvt_f64_i32_e32 v[58:59], v55
	s_mov_b32 s37, 0x3fe62e42
	v_mul_f64 v[62:63], v[58:59], s[36:37]
	v_fma_f64 v[64:65], v[58:59], s[36:37], -v[62:63]
	s_mov_b32 s41, 0x3c7abc9e
	v_fmac_f64_e32 v[64:65], s[40:41], v[58:59]
	v_add_f64 v[58:59], v[62:63], v[64:65]
	v_add_f64 v[62:63], v[58:59], -v[62:63]
	v_mul_f64 v[52:53], v[56:57], v[52:53]
	v_add_f64 v[62:63], v[64:65], -v[62:63]
	v_ldexp_f64 v[64:65], v[56:57], 1
	v_mul_f64 v[52:53], v[52:53], v[60:61]
	v_add_f64 v[56:57], v[64:65], v[52:53]
	v_add_f64 v[60:61], v[56:57], -v[64:65]
	v_ldexp_f64 v[50:51], v[50:51], 1
	v_add_f64 v[52:53], v[52:53], -v[60:61]
	v_add_f64 v[50:51], v[50:51], v[52:53]
	v_add_f64 v[52:53], v[56:57], v[50:51]
	v_add_f64 v[56:57], v[52:53], -v[56:57]
	v_add_f64 v[50:51], v[50:51], -v[56:57]
	v_add_f64 v[56:57], v[58:59], v[52:53]
	v_add_f64 v[60:61], v[56:57], -v[58:59]
	v_add_f64 v[64:65], v[56:57], -v[60:61]
	;; [unrolled: 1-line block ×4, first 2 shown]
	v_add_f64 v[52:53], v[52:53], v[58:59]
	v_add_f64 v[58:59], v[62:63], v[50:51]
	v_add_f64 v[60:61], v[58:59], -v[62:63]
	v_add_f64 v[52:53], v[58:59], v[52:53]
	v_add_f64 v[64:65], v[58:59], -v[60:61]
	;; [unrolled: 2-line block ×3, first 2 shown]
	v_add_f64 v[50:51], v[50:51], -v[60:61]
	v_add_f64 v[56:57], v[58:59], -v[56:57]
	v_add_f64 v[50:51], v[50:51], v[62:63]
	v_add_f64 v[52:53], v[52:53], -v[56:57]
	s_mov_b32 s20, 0
	v_add_f64 v[50:51], v[50:51], v[52:53]
	s_mov_b32 s21, 0x7ff00000
	v_add_f64 v[50:51], v[58:59], v[50:51]
	v_cmp_eq_f64_e64 s[20:21], s[20:21], v[48:49]
	v_cndmask_b32_e64 v50, v50, v48, s[20:21]
	v_cndmask_b32_e64 v51, v51, v49, s[20:21]
	v_mov_b32_e32 v52, 0x7ff80000
	v_cmp_ngt_f64_e64 s[20:21], -1.0, v[48:49]
	v_cndmask_b32_e64 v51, v52, v51, s[20:21]
	v_cmp_nge_f64_e64 s[20:21], -1.0, v[48:49]
	v_cndmask_b32_e64 v50, 0, v50, s[20:21]
	v_mov_b32_e32 v52, 0xfff00000
	v_cmp_neq_f64_e64 s[20:21], -1.0, v[48:49]
	v_cndmask_b32_e64 v51, v52, v51, s[20:21]
	v_add_f64 v[48:49], v[46:47], v[50:51]
.LBB30_229:
	s_or_b64 exec, exec, s[26:27]
	v_pk_mov_b32 v[46:47], v[48:49], v[48:49] op_sel:[0,1]
.LBB30_230:
	s_or_b64 exec, exec, s[24:25]
	v_or_b32_e32 v48, 63, v0
	v_lshrrev_b32_e32 v55, 6, v0
	v_cmp_eq_u32_e64 s[20:21], v48, v0
	s_and_saveexec_b64 s[22:23], s[20:21]
	s_cbranch_execz .LBB30_232
; %bb.231:
	v_lshlrev_b32_e32 v48, 3, v55
	ds_write_b64 v48, v[46:47]
.LBB30_232:
	s_or_b64 exec, exec, s[22:23]
	v_cmp_gt_u32_e64 s[20:21], 2, v0
	s_waitcnt lgkmcnt(0)
	s_barrier
	s_and_saveexec_b64 s[24:25], s[20:21]
	s_cbranch_execz .LBB30_238
; %bb.233:
	s_movk_i32 s20, 0xffb8
	v_mad_i32_i24 v48, v0, s20, v1
	ds_read_b64 v[48:49], v48
	v_and_b32_e32 v52, 1, v54
	v_mul_i32_i24_e32 v56, 0xffffffb8, v0
	v_cmp_eq_u32_e64 s[20:21], 1, v52
	s_waitcnt lgkmcnt(0)
	v_mov_b32_dpp v50, v48 row_shr:1 row_mask:0xf bank_mask:0xf
	v_mov_b32_dpp v51, v49 row_shr:1 row_mask:0xf bank_mask:0xf
	s_and_saveexec_b64 s[26:27], s[20:21]
	s_cbranch_execz .LBB30_237
; %bb.234:
	v_max_f64 v[58:59], v[50:51], v[50:51]
	v_max_f64 v[60:61], v[48:49], v[48:49]
	v_min_f64 v[52:53], v[58:59], v[60:61]
	v_cmp_u_f64_e64 s[20:21], v[50:51], v[50:51]
	v_max_f64 v[58:59], v[58:59], v[60:61]
	v_cndmask_b32_e64 v52, v52, v50, s[20:21]
	v_cndmask_b32_e64 v53, v53, v51, s[20:21]
	v_cmp_u_f64_e64 s[22:23], v[48:49], v[48:49]
	v_cndmask_b32_e64 v57, v58, v50, s[20:21]
	v_cndmask_b32_e64 v58, v59, v51, s[20:21]
	;; [unrolled: 1-line block ×6, first 2 shown]
	s_movk_i32 s22, 0x1f8
	v_cmp_neq_f64_e64 s[20:21], v[52:53], v[48:49]
	v_cmp_class_f64_e64 s[22:23], v[52:53], s22
	s_or_b64 s[20:21], s[20:21], s[22:23]
	s_and_saveexec_b64 s[36:37], s[20:21]
	s_cbranch_execz .LBB30_236
; %bb.235:
	s_mov_b32 s20, 0x652b82fe
	v_add_f64 v[50:51], v[52:53], -v[48:49]
	s_mov_b32 s21, 0x3ff71547
	v_mul_f64 v[52:53], v[50:51], s[20:21]
	v_rndne_f64_e32 v[52:53], v[52:53]
	s_mov_b32 s41, 0xbfe62e42
	s_mov_b32 s40, 0xfefa39ef
	v_fma_f64 v[58:59], s[40:41], v[52:53], v[50:51]
	s_mov_b32 s49, 0xbc7abc9e
	s_mov_b32 s48, 0x3b39803f
	;; [unrolled: 1-line block ×3, first 2 shown]
	v_fmac_f64_e32 v[58:59], s[48:49], v[52:53]
	v_mov_b32_e32 v60, 0xfca7ab0c
	v_mov_b32_e32 v61, 0x3e928af3
	s_mov_b32 s21, 0x3e5ade15
	v_fmac_f64_e32 v[60:61], s[20:21], v[58:59]
	v_mov_b32_e32 v62, 0x623fde64
	v_mov_b32_e32 v63, 0x3ec71dee
	v_fmac_f64_e32 v[62:63], v[58:59], v[60:61]
	v_mov_b32_e32 v60, 0x7c89e6b0
	v_mov_b32_e32 v61, 0x3efa0199
	;; [unrolled: 3-line block ×8, first 2 shown]
	v_fmac_f64_e32 v[60:61], v[58:59], v[62:63]
	v_fma_f64 v[60:61], v[58:59], v[60:61], 1.0
	s_mov_b32 s20, 0
	s_mov_b32 s22, 0
	v_fma_f64 v[58:59], v[58:59], v[60:61], 1.0
	v_cvt_i32_f64_e32 v52, v[52:53]
	s_mov_b32 s21, 0x40900000
	s_mov_b32 s23, 0xc090cc00
	v_ldexp_f64 v[52:53], v[58:59], v52
	v_mov_b32_e32 v57, 0x7ff00000
	v_cmp_nlt_f64_e64 s[20:21], s[20:21], v[50:51]
	v_cmp_ngt_f64_e64 s[22:23], s[22:23], v[50:51]
	v_cndmask_b32_e64 v53, v57, v53, s[20:21]
	s_and_b64 s[20:21], s[22:23], s[20:21]
	v_cndmask_b32_e64 v51, 0, v53, s[22:23]
	v_cndmask_b32_e64 v50, 0, v52, s[20:21]
	v_add_f64 v[52:53], v[50:51], 1.0
	v_add_f64 v[58:59], v[52:53], -1.0
	v_add_f64 v[60:61], v[58:59], -v[52:53]
	v_add_f64 v[60:61], v[60:61], 1.0
	v_add_f64 v[58:59], v[50:51], -v[58:59]
	s_mov_b32 s20, 0x55555555
	v_add_f64 v[58:59], v[58:59], v[60:61]
	v_frexp_mant_f64_e32 v[60:61], v[52:53]
	s_mov_b32 s21, 0x3fe55555
	v_frexp_exp_i32_f64_e32 v57, v[52:53]
	v_cmp_gt_f64_e64 s[20:21], s[20:21], v[60:61]
	v_subbrev_co_u32_e64 v57, s[20:21], 0, v57, s[20:21]
	v_sub_u32_e32 v60, 0, v57
	v_ldexp_f64 v[52:53], v[52:53], v60
	v_ldexp_f64 v[58:59], v[58:59], v60
	v_add_f64 v[60:61], v[52:53], -1.0
	v_add_f64 v[66:67], v[52:53], 1.0
	v_add_f64 v[62:63], v[60:61], 1.0
	v_add_f64 v[68:69], v[66:67], -1.0
	v_add_f64 v[62:63], v[52:53], -v[62:63]
	v_add_f64 v[52:53], v[52:53], -v[68:69]
	v_add_f64 v[52:53], v[58:59], v[52:53]
	v_add_f64 v[62:63], v[58:59], v[62:63]
	;; [unrolled: 1-line block ×3, first 2 shown]
	v_rcp_f64_e32 v[68:69], v[58:59]
	v_add_f64 v[64:65], v[60:61], v[62:63]
	v_add_f64 v[60:61], v[64:65], -v[60:61]
	v_add_f64 v[60:61], v[62:63], -v[60:61]
	;; [unrolled: 1-line block ×4, first 2 shown]
	v_fma_f64 v[62:63], -v[58:59], v[68:69], 1.0
	v_fmac_f64_e32 v[68:69], v[62:63], v[68:69]
	v_fma_f64 v[62:63], -v[58:59], v[68:69], 1.0
	v_fmac_f64_e32 v[68:69], v[62:63], v[68:69]
	v_mul_f64 v[62:63], v[64:65], v[68:69]
	v_mul_f64 v[66:67], v[58:59], v[62:63]
	v_fma_f64 v[70:71], v[62:63], v[58:59], -v[66:67]
	v_fmac_f64_e32 v[70:71], v[62:63], v[52:53]
	v_add_f64 v[72:73], v[66:67], v[70:71]
	v_add_f64 v[74:75], v[64:65], -v[72:73]
	v_add_f64 v[64:65], v[64:65], -v[74:75]
	;; [unrolled: 1-line block ×4, first 2 shown]
	v_add_f64 v[60:61], v[60:61], v[64:65]
	v_add_f64 v[64:65], v[66:67], -v[70:71]
	v_add_f64 v[60:61], v[64:65], v[60:61]
	v_add_f64 v[64:65], v[74:75], v[60:61]
	v_add_f64 v[66:67], v[74:75], -v[64:65]
	v_add_f64 v[60:61], v[60:61], v[66:67]
	v_mul_f64 v[66:67], v[68:69], v[64:65]
	v_mul_f64 v[70:71], v[58:59], v[66:67]
	v_fma_f64 v[58:59], v[66:67], v[58:59], -v[70:71]
	v_fmac_f64_e32 v[58:59], v[66:67], v[52:53]
	v_add_f64 v[52:53], v[70:71], v[58:59]
	v_add_f64 v[72:73], v[64:65], -v[52:53]
	v_add_f64 v[64:65], v[64:65], -v[72:73]
	;; [unrolled: 1-line block ×4, first 2 shown]
	v_add_f64 v[52:53], v[60:61], v[52:53]
	v_add_f64 v[58:59], v[70:71], -v[58:59]
	v_add_f64 v[52:53], v[58:59], v[52:53]
	v_add_f64 v[58:59], v[62:63], v[66:67]
	;; [unrolled: 1-line block ×3, first 2 shown]
	v_add_f64 v[60:61], v[58:59], -v[62:63]
	v_mul_f64 v[52:53], v[68:69], v[52:53]
	v_add_f64 v[60:61], v[66:67], -v[60:61]
	v_add_f64 v[52:53], v[60:61], v[52:53]
	v_add_f64 v[60:61], v[58:59], v[52:53]
	v_add_f64 v[58:59], v[60:61], -v[58:59]
	s_mov_b32 s20, 0xbf559e2b
	v_add_f64 v[52:53], v[52:53], -v[58:59]
	v_mul_f64 v[58:59], v[60:61], v[60:61]
	v_mov_b32_e32 v62, 0x6b47b09a
	v_mov_b32_e32 v63, 0x3fc38538
	s_mov_b32 s21, 0x3fc3ab76
	v_fmac_f64_e32 v[62:63], s[20:21], v[58:59]
	v_mov_b32_e32 v64, 0xd7f4df2e
	v_mov_b32_e32 v65, 0x3fc7474d
	v_fmac_f64_e32 v[64:65], v[58:59], v[62:63]
	v_mov_b32_e32 v62, 0x16291751
	v_mov_b32_e32 v63, 0x3fcc71c0
	;; [unrolled: 3-line block ×5, first 2 shown]
	v_fmac_f64_e32 v[64:65], v[58:59], v[62:63]
	v_cvt_f64_i32_e32 v[62:63], v57
	s_mov_b32 s41, 0x3fe62e42
	v_mul_f64 v[66:67], v[62:63], s[40:41]
	v_fma_f64 v[68:69], v[62:63], s[40:41], -v[66:67]
	s_mov_b32 s49, 0x3c7abc9e
	v_fmac_f64_e32 v[68:69], s[48:49], v[62:63]
	v_add_f64 v[62:63], v[66:67], v[68:69]
	v_add_f64 v[66:67], v[62:63], -v[66:67]
	v_mul_f64 v[58:59], v[60:61], v[58:59]
	v_add_f64 v[66:67], v[68:69], -v[66:67]
	v_ldexp_f64 v[68:69], v[60:61], 1
	v_mul_f64 v[58:59], v[58:59], v[64:65]
	v_add_f64 v[60:61], v[68:69], v[58:59]
	v_add_f64 v[64:65], v[60:61], -v[68:69]
	v_ldexp_f64 v[52:53], v[52:53], 1
	v_add_f64 v[58:59], v[58:59], -v[64:65]
	v_add_f64 v[52:53], v[52:53], v[58:59]
	v_add_f64 v[58:59], v[60:61], v[52:53]
	v_add_f64 v[60:61], v[58:59], -v[60:61]
	v_add_f64 v[52:53], v[52:53], -v[60:61]
	v_add_f64 v[60:61], v[62:63], v[58:59]
	v_add_f64 v[64:65], v[60:61], -v[62:63]
	v_add_f64 v[68:69], v[60:61], -v[64:65]
	;; [unrolled: 1-line block ×4, first 2 shown]
	v_add_f64 v[58:59], v[58:59], v[62:63]
	v_add_f64 v[62:63], v[66:67], v[52:53]
	v_add_f64 v[64:65], v[62:63], -v[66:67]
	v_add_f64 v[58:59], v[62:63], v[58:59]
	v_add_f64 v[68:69], v[62:63], -v[64:65]
	;; [unrolled: 2-line block ×3, first 2 shown]
	v_add_f64 v[52:53], v[52:53], -v[64:65]
	v_add_f64 v[60:61], v[62:63], -v[60:61]
	v_add_f64 v[52:53], v[52:53], v[66:67]
	v_add_f64 v[58:59], v[58:59], -v[60:61]
	s_mov_b32 s20, 0
	v_add_f64 v[52:53], v[52:53], v[58:59]
	s_mov_b32 s21, 0x7ff00000
	v_add_f64 v[52:53], v[62:63], v[52:53]
	v_cmp_eq_f64_e64 s[20:21], s[20:21], v[50:51]
	v_cndmask_b32_e64 v52, v52, v50, s[20:21]
	v_cndmask_b32_e64 v53, v53, v51, s[20:21]
	v_mov_b32_e32 v57, 0x7ff80000
	v_cmp_ngt_f64_e64 s[20:21], -1.0, v[50:51]
	v_cndmask_b32_e64 v53, v57, v53, s[20:21]
	v_cmp_nge_f64_e64 s[20:21], -1.0, v[50:51]
	v_cndmask_b32_e64 v52, 0, v52, s[20:21]
	v_mov_b32_e32 v57, 0xfff00000
	v_cmp_neq_f64_e64 s[20:21], -1.0, v[50:51]
	v_cndmask_b32_e64 v53, v57, v53, s[20:21]
	v_add_f64 v[50:51], v[48:49], v[52:53]
.LBB30_236:
	s_or_b64 exec, exec, s[36:37]
	v_pk_mov_b32 v[48:49], v[50:51], v[50:51] op_sel:[0,1]
.LBB30_237:
	s_or_b64 exec, exec, s[26:27]
	v_add_u32_e32 v50, v1, v56
	ds_write_b64 v50, v[48:49]
.LBB30_238:
	s_or_b64 exec, exec, s[24:25]
	v_cmp_lt_u32_e64 s[20:21], 63, v0
	s_waitcnt lgkmcnt(0)
	s_barrier
	s_waitcnt lgkmcnt(0)
                                        ; implicit-def: $vgpr48_vgpr49
	s_and_saveexec_b64 s[24:25], s[20:21]
	s_cbranch_execz .LBB30_242
; %bb.239:
	v_lshl_add_u32 v48, v55, 3, -8
	ds_read_b64 v[48:49], v48
	v_max_f64 v[50:51], v[46:47], v[46:47]
	v_cmp_u_f64_e64 s[22:23], v[46:47], v[46:47]
	s_waitcnt lgkmcnt(0)
	v_max_f64 v[56:57], v[48:49], v[48:49]
	v_min_f64 v[52:53], v[56:57], v[50:51]
	v_cmp_u_f64_e64 s[20:21], v[48:49], v[48:49]
	v_max_f64 v[50:51], v[56:57], v[50:51]
	v_cndmask_b32_e64 v52, v52, v48, s[20:21]
	v_cndmask_b32_e64 v53, v53, v49, s[20:21]
	v_cndmask_b32_e64 v50, v50, v48, s[20:21]
	v_cndmask_b32_e64 v51, v51, v49, s[20:21]
	v_cndmask_b32_e64 v53, v53, v47, s[22:23]
	v_cndmask_b32_e64 v52, v52, v46, s[22:23]
	v_cndmask_b32_e64 v51, v51, v47, s[22:23]
	v_cndmask_b32_e64 v50, v50, v46, s[22:23]
	s_movk_i32 s22, 0x1f8
	v_cmp_neq_f64_e64 s[20:21], v[52:53], v[50:51]
	v_cmp_class_f64_e64 s[22:23], v[52:53], s22
	s_or_b64 s[20:21], s[20:21], s[22:23]
	v_pk_mov_b32 v[46:47], v[48:49], v[48:49] op_sel:[0,1]
	s_and_saveexec_b64 s[26:27], s[20:21]
	s_cbranch_execz .LBB30_241
; %bb.240:
	s_mov_b32 s20, 0x652b82fe
	v_add_f64 v[46:47], v[52:53], -v[50:51]
	s_mov_b32 s21, 0x3ff71547
	v_mul_f64 v[52:53], v[46:47], s[20:21]
	v_rndne_f64_e32 v[52:53], v[52:53]
	s_mov_b32 s37, 0xbfe62e42
	s_mov_b32 s36, 0xfefa39ef
	v_fma_f64 v[56:57], s[36:37], v[52:53], v[46:47]
	s_mov_b32 s41, 0xbc7abc9e
	s_mov_b32 s40, 0x3b39803f
	;; [unrolled: 1-line block ×3, first 2 shown]
	v_fmac_f64_e32 v[56:57], s[40:41], v[52:53]
	v_mov_b32_e32 v58, 0xfca7ab0c
	v_mov_b32_e32 v59, 0x3e928af3
	s_mov_b32 s21, 0x3e5ade15
	v_fmac_f64_e32 v[58:59], s[20:21], v[56:57]
	v_mov_b32_e32 v60, 0x623fde64
	v_mov_b32_e32 v61, 0x3ec71dee
	v_fmac_f64_e32 v[60:61], v[56:57], v[58:59]
	v_mov_b32_e32 v58, 0x7c89e6b0
	v_mov_b32_e32 v59, 0x3efa0199
	;; [unrolled: 3-line block ×8, first 2 shown]
	v_fmac_f64_e32 v[58:59], v[56:57], v[60:61]
	v_fma_f64 v[58:59], v[56:57], v[58:59], 1.0
	s_mov_b32 s20, 0
	s_mov_b32 s22, 0
	v_fma_f64 v[56:57], v[56:57], v[58:59], 1.0
	v_cvt_i32_f64_e32 v52, v[52:53]
	s_mov_b32 s21, 0x40900000
	s_mov_b32 s23, 0xc090cc00
	v_ldexp_f64 v[52:53], v[56:57], v52
	v_mov_b32_e32 v55, 0x7ff00000
	v_cmp_nlt_f64_e64 s[20:21], s[20:21], v[46:47]
	v_cmp_ngt_f64_e64 s[22:23], s[22:23], v[46:47]
	v_cndmask_b32_e64 v53, v55, v53, s[20:21]
	s_and_b64 s[20:21], s[22:23], s[20:21]
	v_cndmask_b32_e64 v47, 0, v53, s[22:23]
	v_cndmask_b32_e64 v46, 0, v52, s[20:21]
	v_add_f64 v[52:53], v[46:47], 1.0
	v_add_f64 v[56:57], v[52:53], -1.0
	v_add_f64 v[58:59], v[56:57], -v[52:53]
	v_add_f64 v[58:59], v[58:59], 1.0
	v_add_f64 v[56:57], v[46:47], -v[56:57]
	s_mov_b32 s20, 0x55555555
	v_add_f64 v[56:57], v[56:57], v[58:59]
	v_frexp_mant_f64_e32 v[58:59], v[52:53]
	s_mov_b32 s21, 0x3fe55555
	v_frexp_exp_i32_f64_e32 v55, v[52:53]
	v_cmp_gt_f64_e64 s[20:21], s[20:21], v[58:59]
	v_subbrev_co_u32_e64 v55, s[20:21], 0, v55, s[20:21]
	v_sub_u32_e32 v58, 0, v55
	v_ldexp_f64 v[52:53], v[52:53], v58
	v_ldexp_f64 v[56:57], v[56:57], v58
	v_add_f64 v[58:59], v[52:53], -1.0
	v_add_f64 v[64:65], v[52:53], 1.0
	v_add_f64 v[60:61], v[58:59], 1.0
	v_add_f64 v[66:67], v[64:65], -1.0
	v_add_f64 v[60:61], v[52:53], -v[60:61]
	v_add_f64 v[52:53], v[52:53], -v[66:67]
	v_add_f64 v[52:53], v[56:57], v[52:53]
	v_add_f64 v[60:61], v[56:57], v[60:61]
	;; [unrolled: 1-line block ×3, first 2 shown]
	v_rcp_f64_e32 v[66:67], v[56:57]
	v_add_f64 v[62:63], v[58:59], v[60:61]
	v_add_f64 v[58:59], v[62:63], -v[58:59]
	v_add_f64 v[58:59], v[60:61], -v[58:59]
	;; [unrolled: 1-line block ×4, first 2 shown]
	v_fma_f64 v[60:61], -v[56:57], v[66:67], 1.0
	v_fmac_f64_e32 v[66:67], v[60:61], v[66:67]
	v_fma_f64 v[60:61], -v[56:57], v[66:67], 1.0
	v_fmac_f64_e32 v[66:67], v[60:61], v[66:67]
	v_mul_f64 v[60:61], v[62:63], v[66:67]
	v_mul_f64 v[64:65], v[56:57], v[60:61]
	v_fma_f64 v[68:69], v[60:61], v[56:57], -v[64:65]
	v_fmac_f64_e32 v[68:69], v[60:61], v[52:53]
	v_add_f64 v[70:71], v[64:65], v[68:69]
	v_add_f64 v[72:73], v[62:63], -v[70:71]
	v_add_f64 v[62:63], v[62:63], -v[72:73]
	v_add_f64 v[64:65], v[70:71], -v[64:65]
	v_add_f64 v[62:63], v[62:63], -v[70:71]
	v_add_f64 v[58:59], v[58:59], v[62:63]
	v_add_f64 v[62:63], v[64:65], -v[68:69]
	v_add_f64 v[58:59], v[62:63], v[58:59]
	v_add_f64 v[62:63], v[72:73], v[58:59]
	v_add_f64 v[64:65], v[72:73], -v[62:63]
	v_add_f64 v[58:59], v[58:59], v[64:65]
	v_mul_f64 v[64:65], v[66:67], v[62:63]
	v_mul_f64 v[68:69], v[56:57], v[64:65]
	v_fma_f64 v[56:57], v[64:65], v[56:57], -v[68:69]
	v_fmac_f64_e32 v[56:57], v[64:65], v[52:53]
	v_add_f64 v[52:53], v[68:69], v[56:57]
	v_add_f64 v[70:71], v[62:63], -v[52:53]
	v_add_f64 v[62:63], v[62:63], -v[70:71]
	;; [unrolled: 1-line block ×4, first 2 shown]
	v_add_f64 v[52:53], v[58:59], v[52:53]
	v_add_f64 v[56:57], v[68:69], -v[56:57]
	v_add_f64 v[52:53], v[56:57], v[52:53]
	v_add_f64 v[56:57], v[60:61], v[64:65]
	;; [unrolled: 1-line block ×3, first 2 shown]
	v_add_f64 v[58:59], v[56:57], -v[60:61]
	v_mul_f64 v[52:53], v[66:67], v[52:53]
	v_add_f64 v[58:59], v[64:65], -v[58:59]
	v_add_f64 v[52:53], v[58:59], v[52:53]
	v_add_f64 v[58:59], v[56:57], v[52:53]
	v_add_f64 v[56:57], v[58:59], -v[56:57]
	s_mov_b32 s20, 0xbf559e2b
	v_add_f64 v[52:53], v[52:53], -v[56:57]
	v_mul_f64 v[56:57], v[58:59], v[58:59]
	v_mov_b32_e32 v60, 0x6b47b09a
	v_mov_b32_e32 v61, 0x3fc38538
	s_mov_b32 s21, 0x3fc3ab76
	v_fmac_f64_e32 v[60:61], s[20:21], v[56:57]
	v_mov_b32_e32 v62, 0xd7f4df2e
	v_mov_b32_e32 v63, 0x3fc7474d
	v_fmac_f64_e32 v[62:63], v[56:57], v[60:61]
	v_mov_b32_e32 v60, 0x16291751
	v_mov_b32_e32 v61, 0x3fcc71c0
	;; [unrolled: 3-line block ×5, first 2 shown]
	v_fmac_f64_e32 v[62:63], v[56:57], v[60:61]
	v_cvt_f64_i32_e32 v[60:61], v55
	s_mov_b32 s37, 0x3fe62e42
	v_mul_f64 v[64:65], v[60:61], s[36:37]
	v_fma_f64 v[66:67], v[60:61], s[36:37], -v[64:65]
	s_mov_b32 s41, 0x3c7abc9e
	v_fmac_f64_e32 v[66:67], s[40:41], v[60:61]
	v_add_f64 v[60:61], v[64:65], v[66:67]
	v_add_f64 v[64:65], v[60:61], -v[64:65]
	v_mul_f64 v[56:57], v[58:59], v[56:57]
	v_add_f64 v[64:65], v[66:67], -v[64:65]
	v_ldexp_f64 v[66:67], v[58:59], 1
	v_mul_f64 v[56:57], v[56:57], v[62:63]
	v_add_f64 v[58:59], v[66:67], v[56:57]
	v_add_f64 v[62:63], v[58:59], -v[66:67]
	v_ldexp_f64 v[52:53], v[52:53], 1
	v_add_f64 v[56:57], v[56:57], -v[62:63]
	v_add_f64 v[52:53], v[52:53], v[56:57]
	v_add_f64 v[56:57], v[58:59], v[52:53]
	v_add_f64 v[58:59], v[56:57], -v[58:59]
	v_add_f64 v[52:53], v[52:53], -v[58:59]
	v_add_f64 v[58:59], v[60:61], v[56:57]
	v_add_f64 v[62:63], v[58:59], -v[60:61]
	v_add_f64 v[66:67], v[58:59], -v[62:63]
	;; [unrolled: 1-line block ×4, first 2 shown]
	v_add_f64 v[56:57], v[56:57], v[60:61]
	v_add_f64 v[60:61], v[64:65], v[52:53]
	v_add_f64 v[62:63], v[60:61], -v[64:65]
	v_add_f64 v[56:57], v[60:61], v[56:57]
	v_add_f64 v[66:67], v[60:61], -v[62:63]
	;; [unrolled: 2-line block ×3, first 2 shown]
	v_add_f64 v[52:53], v[52:53], -v[62:63]
	v_add_f64 v[58:59], v[60:61], -v[58:59]
	v_add_f64 v[52:53], v[52:53], v[64:65]
	v_add_f64 v[56:57], v[56:57], -v[58:59]
	s_mov_b32 s20, 0
	v_add_f64 v[52:53], v[52:53], v[56:57]
	s_mov_b32 s21, 0x7ff00000
	v_add_f64 v[52:53], v[60:61], v[52:53]
	v_cmp_eq_f64_e64 s[20:21], s[20:21], v[46:47]
	v_cndmask_b32_e64 v52, v52, v46, s[20:21]
	v_cndmask_b32_e64 v53, v53, v47, s[20:21]
	v_mov_b32_e32 v55, 0x7ff80000
	v_cmp_ngt_f64_e64 s[20:21], -1.0, v[46:47]
	v_cndmask_b32_e64 v53, v55, v53, s[20:21]
	v_cmp_nge_f64_e64 s[20:21], -1.0, v[46:47]
	v_cndmask_b32_e64 v52, 0, v52, s[20:21]
	v_mov_b32_e32 v55, 0xfff00000
	v_cmp_neq_f64_e64 s[20:21], -1.0, v[46:47]
	v_cndmask_b32_e64 v53, v55, v53, s[20:21]
	v_add_f64 v[46:47], v[50:51], v[52:53]
.LBB30_241:
	s_or_b64 exec, exec, s[26:27]
.LBB30_242:
	s_or_b64 exec, exec, s[24:25]
	v_add_u32_e32 v50, -1, v54
	v_and_b32_e32 v51, 64, v54
	v_cmp_lt_i32_e64 s[20:21], v50, v51
	v_cndmask_b32_e64 v50, v50, v54, s[20:21]
	v_lshlrev_b32_e32 v50, 2, v50
	ds_bpermute_b32 v46, v50, v46
	ds_bpermute_b32 v47, v50, v47
	s_and_saveexec_b64 s[20:21], s[0:1]
	s_cbranch_execz .LBB30_246
; %bb.243:
	v_cmp_eq_u32_e64 s[0:1], 0, v54
	s_waitcnt lgkmcnt(0)
	v_cndmask_b32_e64 v47, v47, v49, s[0:1]
	v_cndmask_b32_e64 v46, v46, v48, s[0:1]
	v_max_f64 v[44:45], v[46:47], v[46:47]
	v_min_f64 v[26:27], v[44:45], v[24:25]
	v_cmp_u_f64_e64 s[0:1], v[46:47], v[46:47]
	v_max_f64 v[24:25], v[44:45], v[24:25]
	v_cndmask_b32_e64 v26, v26, v46, s[0:1]
	v_cndmask_b32_e64 v27, v27, v47, s[0:1]
	;; [unrolled: 1-line block ×8, first 2 shown]
	s_movk_i32 s18, 0x1f8
	v_cmp_neq_f64_e64 s[0:1], v[26:27], v[2:3]
	v_cmp_class_f64_e64 s[18:19], v[26:27], s18
	s_or_b64 s[0:1], s[0:1], s[18:19]
	s_and_saveexec_b64 s[22:23], s[0:1]
	s_cbranch_execz .LBB30_245
; %bb.244:
	s_mov_b32 s0, 0x652b82fe
	v_add_f64 v[24:25], v[26:27], -v[2:3]
	s_mov_b32 s1, 0x3ff71547
	v_mul_f64 v[26:27], v[24:25], s[0:1]
	v_rndne_f64_e32 v[26:27], v[26:27]
	s_mov_b32 s25, 0xbfe62e42
	s_mov_b32 s24, 0xfefa39ef
	v_fma_f64 v[44:45], s[24:25], v[26:27], v[24:25]
	s_mov_b32 s27, 0xbc7abc9e
	s_mov_b32 s26, 0x3b39803f
	;; [unrolled: 1-line block ×3, first 2 shown]
	v_fmac_f64_e32 v[44:45], s[26:27], v[26:27]
	v_mov_b32_e32 v46, 0xfca7ab0c
	v_mov_b32_e32 v47, 0x3e928af3
	s_mov_b32 s1, 0x3e5ade15
	v_fmac_f64_e32 v[46:47], s[0:1], v[44:45]
	v_mov_b32_e32 v48, 0x623fde64
	v_mov_b32_e32 v49, 0x3ec71dee
	v_fmac_f64_e32 v[48:49], v[44:45], v[46:47]
	v_mov_b32_e32 v46, 0x7c89e6b0
	v_mov_b32_e32 v47, 0x3efa0199
	;; [unrolled: 3-line block ×8, first 2 shown]
	v_fmac_f64_e32 v[46:47], v[44:45], v[48:49]
	v_fma_f64 v[46:47], v[44:45], v[46:47], 1.0
	s_mov_b32 s0, 0
	s_mov_b32 s18, 0
	v_fma_f64 v[44:45], v[44:45], v[46:47], 1.0
	v_cvt_i32_f64_e32 v26, v[26:27]
	s_mov_b32 s1, 0x40900000
	s_mov_b32 s19, 0xc090cc00
	v_ldexp_f64 v[26:27], v[44:45], v26
	v_mov_b32_e32 v44, 0x7ff00000
	v_cmp_nlt_f64_e64 s[0:1], s[0:1], v[24:25]
	v_cmp_ngt_f64_e64 s[18:19], s[18:19], v[24:25]
	v_cndmask_b32_e64 v27, v44, v27, s[0:1]
	s_and_b64 s[0:1], s[18:19], s[0:1]
	v_cndmask_b32_e64 v25, 0, v27, s[18:19]
	v_cndmask_b32_e64 v24, 0, v26, s[0:1]
	v_add_f64 v[26:27], v[24:25], 1.0
	v_add_f64 v[44:45], v[26:27], -1.0
	v_add_f64 v[46:47], v[44:45], -v[26:27]
	v_add_f64 v[46:47], v[46:47], 1.0
	v_add_f64 v[44:45], v[24:25], -v[44:45]
	s_mov_b32 s0, 0x55555555
	v_add_f64 v[44:45], v[44:45], v[46:47]
	v_frexp_mant_f64_e32 v[46:47], v[26:27]
	s_mov_b32 s1, 0x3fe55555
	v_frexp_exp_i32_f64_e32 v48, v[26:27]
	v_cmp_gt_f64_e64 s[0:1], s[0:1], v[46:47]
	v_subbrev_co_u32_e64 v62, s[0:1], 0, v48, s[0:1]
	v_sub_u32_e32 v46, 0, v62
	v_ldexp_f64 v[26:27], v[26:27], v46
	v_ldexp_f64 v[44:45], v[44:45], v46
	v_add_f64 v[46:47], v[26:27], -1.0
	v_add_f64 v[52:53], v[26:27], 1.0
	v_add_f64 v[48:49], v[46:47], 1.0
	v_add_f64 v[54:55], v[52:53], -1.0
	v_add_f64 v[48:49], v[26:27], -v[48:49]
	v_add_f64 v[26:27], v[26:27], -v[54:55]
	v_add_f64 v[26:27], v[44:45], v[26:27]
	v_add_f64 v[48:49], v[44:45], v[48:49]
	;; [unrolled: 1-line block ×3, first 2 shown]
	v_rcp_f64_e32 v[54:55], v[44:45]
	v_add_f64 v[50:51], v[46:47], v[48:49]
	v_add_f64 v[46:47], v[50:51], -v[46:47]
	v_add_f64 v[46:47], v[48:49], -v[46:47]
	;; [unrolled: 1-line block ×4, first 2 shown]
	v_fma_f64 v[48:49], -v[44:45], v[54:55], 1.0
	v_fmac_f64_e32 v[54:55], v[48:49], v[54:55]
	v_fma_f64 v[48:49], -v[44:45], v[54:55], 1.0
	v_fmac_f64_e32 v[54:55], v[48:49], v[54:55]
	v_mul_f64 v[48:49], v[50:51], v[54:55]
	v_mul_f64 v[52:53], v[44:45], v[48:49]
	v_fma_f64 v[56:57], v[48:49], v[44:45], -v[52:53]
	v_fmac_f64_e32 v[56:57], v[48:49], v[26:27]
	v_add_f64 v[58:59], v[52:53], v[56:57]
	v_add_f64 v[60:61], v[50:51], -v[58:59]
	v_add_f64 v[50:51], v[50:51], -v[60:61]
	;; [unrolled: 1-line block ×4, first 2 shown]
	v_add_f64 v[46:47], v[46:47], v[50:51]
	v_add_f64 v[50:51], v[52:53], -v[56:57]
	v_add_f64 v[46:47], v[50:51], v[46:47]
	v_add_f64 v[50:51], v[60:61], v[46:47]
	v_add_f64 v[52:53], v[60:61], -v[50:51]
	v_add_f64 v[46:47], v[46:47], v[52:53]
	v_mul_f64 v[52:53], v[54:55], v[50:51]
	v_mul_f64 v[56:57], v[44:45], v[52:53]
	v_fma_f64 v[44:45], v[52:53], v[44:45], -v[56:57]
	v_fmac_f64_e32 v[44:45], v[52:53], v[26:27]
	v_add_f64 v[26:27], v[56:57], v[44:45]
	v_add_f64 v[58:59], v[50:51], -v[26:27]
	v_add_f64 v[50:51], v[50:51], -v[58:59]
	;; [unrolled: 1-line block ×4, first 2 shown]
	v_add_f64 v[26:27], v[46:47], v[26:27]
	v_add_f64 v[44:45], v[56:57], -v[44:45]
	v_add_f64 v[26:27], v[44:45], v[26:27]
	v_add_f64 v[44:45], v[48:49], v[52:53]
	v_add_f64 v[26:27], v[58:59], v[26:27]
	v_add_f64 v[46:47], v[44:45], -v[48:49]
	v_mul_f64 v[26:27], v[54:55], v[26:27]
	v_add_f64 v[46:47], v[52:53], -v[46:47]
	v_add_f64 v[26:27], v[46:47], v[26:27]
	v_add_f64 v[46:47], v[44:45], v[26:27]
	v_add_f64 v[44:45], v[46:47], -v[44:45]
	s_mov_b32 s0, 0xbf559e2b
	v_add_f64 v[26:27], v[26:27], -v[44:45]
	v_mul_f64 v[44:45], v[46:47], v[46:47]
	v_mov_b32_e32 v48, 0x6b47b09a
	v_mov_b32_e32 v49, 0x3fc38538
	s_mov_b32 s1, 0x3fc3ab76
	v_fmac_f64_e32 v[48:49], s[0:1], v[44:45]
	v_mov_b32_e32 v50, 0xd7f4df2e
	v_mov_b32_e32 v51, 0x3fc7474d
	v_fmac_f64_e32 v[50:51], v[44:45], v[48:49]
	v_mov_b32_e32 v48, 0x16291751
	v_mov_b32_e32 v49, 0x3fcc71c0
	;; [unrolled: 3-line block ×5, first 2 shown]
	v_fmac_f64_e32 v[50:51], v[44:45], v[48:49]
	v_cvt_f64_i32_e32 v[48:49], v62
	s_mov_b32 s25, 0x3fe62e42
	v_mul_f64 v[52:53], v[48:49], s[24:25]
	v_fma_f64 v[54:55], v[48:49], s[24:25], -v[52:53]
	s_mov_b32 s27, 0x3c7abc9e
	v_fmac_f64_e32 v[54:55], s[26:27], v[48:49]
	v_add_f64 v[48:49], v[52:53], v[54:55]
	v_add_f64 v[52:53], v[48:49], -v[52:53]
	v_mul_f64 v[44:45], v[46:47], v[44:45]
	v_add_f64 v[52:53], v[54:55], -v[52:53]
	v_ldexp_f64 v[54:55], v[46:47], 1
	v_mul_f64 v[44:45], v[44:45], v[50:51]
	v_add_f64 v[46:47], v[54:55], v[44:45]
	v_add_f64 v[50:51], v[46:47], -v[54:55]
	v_ldexp_f64 v[26:27], v[26:27], 1
	v_add_f64 v[44:45], v[44:45], -v[50:51]
	v_add_f64 v[26:27], v[26:27], v[44:45]
	v_add_f64 v[44:45], v[46:47], v[26:27]
	v_add_f64 v[46:47], v[44:45], -v[46:47]
	v_add_f64 v[26:27], v[26:27], -v[46:47]
	v_add_f64 v[46:47], v[48:49], v[44:45]
	v_add_f64 v[50:51], v[46:47], -v[48:49]
	v_add_f64 v[54:55], v[46:47], -v[50:51]
	;; [unrolled: 1-line block ×4, first 2 shown]
	v_add_f64 v[44:45], v[44:45], v[48:49]
	v_add_f64 v[48:49], v[52:53], v[26:27]
	v_add_f64 v[50:51], v[48:49], -v[52:53]
	v_add_f64 v[44:45], v[48:49], v[44:45]
	v_add_f64 v[54:55], v[48:49], -v[50:51]
	;; [unrolled: 2-line block ×3, first 2 shown]
	v_add_f64 v[26:27], v[26:27], -v[50:51]
	v_add_f64 v[46:47], v[48:49], -v[46:47]
	v_add_f64 v[26:27], v[26:27], v[52:53]
	v_add_f64 v[44:45], v[44:45], -v[46:47]
	s_mov_b32 s0, 0
	v_add_f64 v[26:27], v[26:27], v[44:45]
	s_mov_b32 s1, 0x7ff00000
	v_add_f64 v[26:27], v[48:49], v[26:27]
	v_cmp_eq_f64_e64 s[0:1], s[0:1], v[24:25]
	v_cndmask_b32_e64 v26, v26, v24, s[0:1]
	v_cndmask_b32_e64 v27, v27, v25, s[0:1]
	v_mov_b32_e32 v44, 0x7ff80000
	v_cmp_ngt_f64_e64 s[0:1], -1.0, v[24:25]
	v_cndmask_b32_e64 v27, v44, v27, s[0:1]
	v_cmp_nge_f64_e64 s[0:1], -1.0, v[24:25]
	v_cndmask_b32_e64 v26, 0, v26, s[0:1]
	v_mov_b32_e32 v44, 0xfff00000
	v_cmp_neq_f64_e64 s[0:1], -1.0, v[24:25]
	v_cndmask_b32_e64 v27, v44, v27, s[0:1]
	v_add_f64 v[46:47], v[2:3], v[26:27]
.LBB30_245:
	s_or_b64 exec, exec, s[22:23]
	v_max_f64 v[2:3], v[46:47], v[46:47]
	v_min_f64 v[26:27], v[2:3], v[42:43]
	v_max_f64 v[44:45], v[2:3], v[42:43]
	v_pk_mov_b32 v[2:3], v[46:47], v[46:47] op_sel:[0,1]
	;;#ASMSTART
	;;#ASMEND
.LBB30_246:
	s_or_b64 exec, exec, s[20:21]
	v_cmp_u_f64_e64 s[0:1], v[2:3], v[2:3]
	v_cndmask_b32_e64 v24, v26, v2, s[0:1]
	v_cndmask_b32_e64 v25, v27, v3, s[0:1]
	v_cndmask_b32_e32 v27, v25, v5, vcc
	v_cndmask_b32_e32 v26, v24, v4, vcc
	v_cndmask_b32_e64 v24, v44, v2, s[0:1]
	v_cndmask_b32_e64 v25, v45, v3, s[0:1]
	v_cndmask_b32_e32 v5, v25, v5, vcc
	v_cndmask_b32_e32 v4, v24, v4, vcc
	s_movk_i32 s24, 0x1f8
	v_cmp_neq_f64_e32 vcc, v[26:27], v[4:5]
	v_cmp_class_f64_e64 s[0:1], v[26:27], s24
	s_or_b64 s[0:1], vcc, s[0:1]
	v_pk_mov_b32 v[24:25], v[2:3], v[2:3] op_sel:[0,1]
	s_and_saveexec_b64 s[18:19], s[0:1]
	s_cbranch_execz .LBB30_248
; %bb.247:
	s_mov_b32 s0, 0x652b82fe
	v_add_f64 v[24:25], v[26:27], -v[4:5]
	s_mov_b32 s1, 0x3ff71547
	v_mul_f64 v[26:27], v[24:25], s[0:1]
	v_rndne_f64_e32 v[26:27], v[26:27]
	s_mov_b32 s21, 0xbfe62e42
	s_mov_b32 s20, 0xfefa39ef
	v_fma_f64 v[42:43], s[20:21], v[26:27], v[24:25]
	s_mov_b32 s23, 0xbc7abc9e
	s_mov_b32 s22, 0x3b39803f
	;; [unrolled: 1-line block ×3, first 2 shown]
	v_fmac_f64_e32 v[42:43], s[22:23], v[26:27]
	v_mov_b32_e32 v44, 0xfca7ab0c
	v_mov_b32_e32 v45, 0x3e928af3
	s_mov_b32 s1, 0x3e5ade15
	v_fmac_f64_e32 v[44:45], s[0:1], v[42:43]
	s_waitcnt lgkmcnt(1)
	v_mov_b32_e32 v46, 0x623fde64
	s_waitcnt lgkmcnt(0)
	v_mov_b32_e32 v47, 0x3ec71dee
	v_fmac_f64_e32 v[46:47], v[42:43], v[44:45]
	v_mov_b32_e32 v44, 0x7c89e6b0
	v_mov_b32_e32 v45, 0x3efa0199
	v_fmac_f64_e32 v[44:45], v[42:43], v[46:47]
	v_mov_b32_e32 v46, 0x14761f6e
	;; [unrolled: 3-line block ×7, first 2 shown]
	v_mov_b32_e32 v45, 0x3fe00000
	s_mov_b32 s0, 0
	v_fmac_f64_e32 v[44:45], v[42:43], v[46:47]
	s_mov_b32 s1, 0x40900000
	v_fma_f64 v[44:45], v[42:43], v[44:45], 1.0
	v_cmp_nlt_f64_e32 vcc, s[0:1], v[24:25]
	s_mov_b32 s0, 0
	v_fma_f64 v[42:43], v[42:43], v[44:45], 1.0
	v_cvt_i32_f64_e32 v26, v[26:27]
	s_mov_b32 s1, 0xc090cc00
	v_ldexp_f64 v[26:27], v[42:43], v26
	v_mov_b32_e32 v42, 0x7ff00000
	v_cmp_ngt_f64_e64 s[0:1], s[0:1], v[24:25]
	v_cndmask_b32_e32 v27, v42, v27, vcc
	s_and_b64 vcc, s[0:1], vcc
	v_cndmask_b32_e64 v25, 0, v27, s[0:1]
	v_cndmask_b32_e32 v24, 0, v26, vcc
	v_add_f64 v[26:27], v[24:25], 1.0
	v_add_f64 v[42:43], v[26:27], -1.0
	v_add_f64 v[44:45], v[42:43], -v[26:27]
	v_add_f64 v[44:45], v[44:45], 1.0
	v_add_f64 v[42:43], v[24:25], -v[42:43]
	s_mov_b32 s0, 0x55555555
	v_add_f64 v[42:43], v[42:43], v[44:45]
	v_frexp_mant_f64_e32 v[44:45], v[26:27]
	s_mov_b32 s1, 0x3fe55555
	v_frexp_exp_i32_f64_e32 v46, v[26:27]
	v_cmp_gt_f64_e32 vcc, s[0:1], v[44:45]
	v_subbrev_co_u32_e32 v60, vcc, 0, v46, vcc
	v_sub_u32_e32 v44, 0, v60
	v_ldexp_f64 v[26:27], v[26:27], v44
	v_ldexp_f64 v[42:43], v[42:43], v44
	v_add_f64 v[44:45], v[26:27], -1.0
	v_add_f64 v[50:51], v[26:27], 1.0
	v_add_f64 v[46:47], v[44:45], 1.0
	v_add_f64 v[52:53], v[50:51], -1.0
	v_add_f64 v[46:47], v[26:27], -v[46:47]
	v_add_f64 v[26:27], v[26:27], -v[52:53]
	v_add_f64 v[26:27], v[42:43], v[26:27]
	v_add_f64 v[46:47], v[42:43], v[46:47]
	;; [unrolled: 1-line block ×3, first 2 shown]
	v_rcp_f64_e32 v[52:53], v[42:43]
	v_add_f64 v[48:49], v[44:45], v[46:47]
	v_add_f64 v[44:45], v[48:49], -v[44:45]
	v_add_f64 v[44:45], v[46:47], -v[44:45]
	;; [unrolled: 1-line block ×4, first 2 shown]
	v_fma_f64 v[46:47], -v[42:43], v[52:53], 1.0
	v_fmac_f64_e32 v[52:53], v[46:47], v[52:53]
	v_fma_f64 v[46:47], -v[42:43], v[52:53], 1.0
	v_fmac_f64_e32 v[52:53], v[46:47], v[52:53]
	v_mul_f64 v[46:47], v[48:49], v[52:53]
	v_mul_f64 v[50:51], v[42:43], v[46:47]
	v_fma_f64 v[54:55], v[46:47], v[42:43], -v[50:51]
	v_fmac_f64_e32 v[54:55], v[46:47], v[26:27]
	v_add_f64 v[56:57], v[50:51], v[54:55]
	v_add_f64 v[58:59], v[48:49], -v[56:57]
	v_add_f64 v[48:49], v[48:49], -v[58:59]
	;; [unrolled: 1-line block ×4, first 2 shown]
	v_add_f64 v[44:45], v[44:45], v[48:49]
	v_add_f64 v[48:49], v[50:51], -v[54:55]
	v_add_f64 v[44:45], v[48:49], v[44:45]
	v_add_f64 v[48:49], v[58:59], v[44:45]
	v_add_f64 v[50:51], v[58:59], -v[48:49]
	v_add_f64 v[44:45], v[44:45], v[50:51]
	v_mul_f64 v[50:51], v[52:53], v[48:49]
	v_mul_f64 v[54:55], v[42:43], v[50:51]
	v_fma_f64 v[42:43], v[50:51], v[42:43], -v[54:55]
	v_fmac_f64_e32 v[42:43], v[50:51], v[26:27]
	v_add_f64 v[26:27], v[54:55], v[42:43]
	v_add_f64 v[56:57], v[48:49], -v[26:27]
	v_add_f64 v[48:49], v[48:49], -v[56:57]
	;; [unrolled: 1-line block ×4, first 2 shown]
	v_add_f64 v[26:27], v[44:45], v[26:27]
	v_add_f64 v[42:43], v[54:55], -v[42:43]
	v_add_f64 v[26:27], v[42:43], v[26:27]
	v_add_f64 v[42:43], v[46:47], v[50:51]
	;; [unrolled: 1-line block ×3, first 2 shown]
	v_add_f64 v[44:45], v[42:43], -v[46:47]
	v_mul_f64 v[26:27], v[52:53], v[26:27]
	v_add_f64 v[44:45], v[50:51], -v[44:45]
	v_add_f64 v[26:27], v[44:45], v[26:27]
	v_add_f64 v[44:45], v[42:43], v[26:27]
	v_add_f64 v[42:43], v[44:45], -v[42:43]
	s_mov_b32 s0, 0xbf559e2b
	v_add_f64 v[26:27], v[26:27], -v[42:43]
	v_mul_f64 v[42:43], v[44:45], v[44:45]
	v_mov_b32_e32 v46, 0x6b47b09a
	v_mov_b32_e32 v47, 0x3fc38538
	s_mov_b32 s1, 0x3fc3ab76
	v_fmac_f64_e32 v[46:47], s[0:1], v[42:43]
	v_mov_b32_e32 v48, 0xd7f4df2e
	v_mov_b32_e32 v49, 0x3fc7474d
	v_fmac_f64_e32 v[48:49], v[42:43], v[46:47]
	v_mov_b32_e32 v46, 0x16291751
	v_mov_b32_e32 v47, 0x3fcc71c0
	;; [unrolled: 3-line block ×5, first 2 shown]
	v_fmac_f64_e32 v[48:49], v[42:43], v[46:47]
	v_cvt_f64_i32_e32 v[46:47], v60
	s_mov_b32 s21, 0x3fe62e42
	v_mul_f64 v[50:51], v[46:47], s[20:21]
	v_fma_f64 v[52:53], v[46:47], s[20:21], -v[50:51]
	s_mov_b32 s23, 0x3c7abc9e
	v_fmac_f64_e32 v[52:53], s[22:23], v[46:47]
	v_add_f64 v[46:47], v[50:51], v[52:53]
	v_add_f64 v[50:51], v[46:47], -v[50:51]
	v_mul_f64 v[42:43], v[44:45], v[42:43]
	v_add_f64 v[50:51], v[52:53], -v[50:51]
	v_ldexp_f64 v[52:53], v[44:45], 1
	v_mul_f64 v[42:43], v[42:43], v[48:49]
	v_add_f64 v[44:45], v[52:53], v[42:43]
	v_add_f64 v[48:49], v[44:45], -v[52:53]
	v_ldexp_f64 v[26:27], v[26:27], 1
	v_add_f64 v[42:43], v[42:43], -v[48:49]
	v_add_f64 v[26:27], v[26:27], v[42:43]
	v_add_f64 v[42:43], v[44:45], v[26:27]
	v_add_f64 v[44:45], v[42:43], -v[44:45]
	v_add_f64 v[26:27], v[26:27], -v[44:45]
	v_add_f64 v[44:45], v[46:47], v[42:43]
	v_add_f64 v[48:49], v[44:45], -v[46:47]
	v_add_f64 v[52:53], v[44:45], -v[48:49]
	;; [unrolled: 1-line block ×4, first 2 shown]
	v_add_f64 v[42:43], v[42:43], v[46:47]
	v_add_f64 v[46:47], v[50:51], v[26:27]
	v_add_f64 v[48:49], v[46:47], -v[50:51]
	v_add_f64 v[42:43], v[46:47], v[42:43]
	v_add_f64 v[52:53], v[46:47], -v[48:49]
	;; [unrolled: 2-line block ×3, first 2 shown]
	v_add_f64 v[26:27], v[26:27], -v[48:49]
	v_add_f64 v[44:45], v[46:47], -v[44:45]
	v_add_f64 v[26:27], v[26:27], v[50:51]
	v_add_f64 v[42:43], v[42:43], -v[44:45]
	s_mov_b32 s0, 0
	v_add_f64 v[26:27], v[26:27], v[42:43]
	s_mov_b32 s1, 0x7ff00000
	v_add_f64 v[26:27], v[46:47], v[26:27]
	v_cmp_eq_f64_e32 vcc, s[0:1], v[24:25]
	v_cndmask_b32_e32 v26, v26, v24, vcc
	v_cndmask_b32_e32 v27, v27, v25, vcc
	v_mov_b32_e32 v42, 0x7ff80000
	v_cmp_ngt_f64_e32 vcc, -1.0, v[24:25]
	v_cndmask_b32_e32 v27, v42, v27, vcc
	v_cmp_nge_f64_e32 vcc, -1.0, v[24:25]
	v_cndmask_b32_e32 v26, 0, v26, vcc
	v_mov_b32_e32 v42, 0xfff00000
	v_cmp_neq_f64_e32 vcc, -1.0, v[24:25]
	v_cndmask_b32_e32 v27, v42, v27, vcc
	v_add_f64 v[24:25], v[4:5], v[26:27]
.LBB30_248:
	s_or_b64 exec, exec, s[18:19]
	v_max_f64 v[4:5], v[24:25], v[24:25]
	v_min_f64 v[26:27], v[4:5], v[22:23]
	v_cmp_u_f64_e32 vcc, v[24:25], v[24:25]
	v_max_f64 v[4:5], v[4:5], v[22:23]
	v_cndmask_b32_e32 v26, v26, v24, vcc
	v_cndmask_b32_e32 v27, v27, v25, vcc
	;; [unrolled: 1-line block ×4, first 2 shown]
	v_cndmask_b32_e64 v43, v27, v19, s[2:3]
	v_cndmask_b32_e64 v42, v26, v18, s[2:3]
	;; [unrolled: 1-line block ×4, first 2 shown]
	v_cmp_neq_f64_e32 vcc, v[42:43], v[4:5]
	v_cmp_class_f64_e64 s[0:1], v[42:43], s24
	s_or_b64 s[0:1], vcc, s[0:1]
	v_pk_mov_b32 v[26:27], v[24:25], v[24:25] op_sel:[0,1]
	s_and_saveexec_b64 s[2:3], s[0:1]
	s_cbranch_execz .LBB30_250
; %bb.249:
	s_mov_b32 s0, 0x652b82fe
	v_add_f64 v[18:19], v[42:43], -v[4:5]
	s_mov_b32 s1, 0x3ff71547
	v_mul_f64 v[22:23], v[18:19], s[0:1]
	v_rndne_f64_e32 v[22:23], v[22:23]
	s_mov_b32 s19, 0xbfe62e42
	s_mov_b32 s18, 0xfefa39ef
	v_fma_f64 v[26:27], s[18:19], v[22:23], v[18:19]
	s_mov_b32 s21, 0xbc7abc9e
	s_mov_b32 s20, 0x3b39803f
	s_mov_b32 s0, 0x6a5dcb37
	v_fmac_f64_e32 v[26:27], s[20:21], v[22:23]
	v_mov_b32_e32 v42, 0xfca7ab0c
	v_mov_b32_e32 v43, 0x3e928af3
	s_mov_b32 s1, 0x3e5ade15
	v_fmac_f64_e32 v[42:43], s[0:1], v[26:27]
	v_mov_b32_e32 v44, 0x623fde64
	v_mov_b32_e32 v45, 0x3ec71dee
	v_fmac_f64_e32 v[44:45], v[26:27], v[42:43]
	v_mov_b32_e32 v42, 0x7c89e6b0
	v_mov_b32_e32 v43, 0x3efa0199
	;; [unrolled: 3-line block ×8, first 2 shown]
	s_mov_b32 s0, 0
	v_fmac_f64_e32 v[42:43], v[26:27], v[44:45]
	s_mov_b32 s1, 0x40900000
	v_fma_f64 v[42:43], v[26:27], v[42:43], 1.0
	v_cmp_nlt_f64_e32 vcc, s[0:1], v[18:19]
	s_mov_b32 s0, 0
	v_fma_f64 v[26:27], v[26:27], v[42:43], 1.0
	v_cvt_i32_f64_e32 v22, v[22:23]
	s_mov_b32 s1, 0xc090cc00
	v_ldexp_f64 v[22:23], v[26:27], v22
	v_mov_b32_e32 v26, 0x7ff00000
	v_cmp_ngt_f64_e64 s[0:1], s[0:1], v[18:19]
	v_cndmask_b32_e32 v23, v26, v23, vcc
	s_and_b64 vcc, s[0:1], vcc
	v_cndmask_b32_e64 v19, 0, v23, s[0:1]
	v_cndmask_b32_e32 v18, 0, v22, vcc
	v_add_f64 v[22:23], v[18:19], 1.0
	v_add_f64 v[26:27], v[22:23], -1.0
	v_add_f64 v[42:43], v[26:27], -v[22:23]
	v_add_f64 v[42:43], v[42:43], 1.0
	v_add_f64 v[26:27], v[18:19], -v[26:27]
	s_mov_b32 s0, 0x55555555
	v_add_f64 v[26:27], v[26:27], v[42:43]
	v_frexp_mant_f64_e32 v[42:43], v[22:23]
	s_mov_b32 s1, 0x3fe55555
	v_frexp_exp_i32_f64_e32 v44, v[22:23]
	v_cmp_gt_f64_e32 vcc, s[0:1], v[42:43]
	v_subbrev_co_u32_e32 v58, vcc, 0, v44, vcc
	v_sub_u32_e32 v42, 0, v58
	v_ldexp_f64 v[22:23], v[22:23], v42
	v_ldexp_f64 v[26:27], v[26:27], v42
	v_add_f64 v[42:43], v[22:23], -1.0
	v_add_f64 v[48:49], v[22:23], 1.0
	v_add_f64 v[44:45], v[42:43], 1.0
	v_add_f64 v[50:51], v[48:49], -1.0
	v_add_f64 v[44:45], v[22:23], -v[44:45]
	v_add_f64 v[22:23], v[22:23], -v[50:51]
	v_add_f64 v[22:23], v[26:27], v[22:23]
	v_add_f64 v[44:45], v[26:27], v[44:45]
	;; [unrolled: 1-line block ×3, first 2 shown]
	v_rcp_f64_e32 v[50:51], v[26:27]
	s_waitcnt lgkmcnt(0)
	v_add_f64 v[46:47], v[42:43], v[44:45]
	v_add_f64 v[42:43], v[46:47], -v[42:43]
	v_add_f64 v[42:43], v[44:45], -v[42:43]
	;; [unrolled: 1-line block ×4, first 2 shown]
	v_fma_f64 v[44:45], -v[26:27], v[50:51], 1.0
	v_fmac_f64_e32 v[50:51], v[44:45], v[50:51]
	v_fma_f64 v[44:45], -v[26:27], v[50:51], 1.0
	v_fmac_f64_e32 v[50:51], v[44:45], v[50:51]
	v_mul_f64 v[44:45], v[46:47], v[50:51]
	v_mul_f64 v[48:49], v[26:27], v[44:45]
	v_fma_f64 v[52:53], v[44:45], v[26:27], -v[48:49]
	v_fmac_f64_e32 v[52:53], v[44:45], v[22:23]
	v_add_f64 v[54:55], v[48:49], v[52:53]
	v_add_f64 v[56:57], v[46:47], -v[54:55]
	v_add_f64 v[46:47], v[46:47], -v[56:57]
	;; [unrolled: 1-line block ×4, first 2 shown]
	v_add_f64 v[42:43], v[42:43], v[46:47]
	v_add_f64 v[46:47], v[48:49], -v[52:53]
	v_add_f64 v[42:43], v[46:47], v[42:43]
	v_add_f64 v[46:47], v[56:57], v[42:43]
	v_add_f64 v[48:49], v[56:57], -v[46:47]
	v_add_f64 v[42:43], v[42:43], v[48:49]
	v_mul_f64 v[48:49], v[50:51], v[46:47]
	v_mul_f64 v[52:53], v[26:27], v[48:49]
	v_fma_f64 v[26:27], v[48:49], v[26:27], -v[52:53]
	v_fmac_f64_e32 v[26:27], v[48:49], v[22:23]
	v_add_f64 v[22:23], v[52:53], v[26:27]
	v_add_f64 v[54:55], v[46:47], -v[22:23]
	v_add_f64 v[46:47], v[46:47], -v[54:55]
	;; [unrolled: 1-line block ×4, first 2 shown]
	v_add_f64 v[22:23], v[42:43], v[22:23]
	v_add_f64 v[26:27], v[52:53], -v[26:27]
	v_add_f64 v[22:23], v[26:27], v[22:23]
	v_add_f64 v[26:27], v[44:45], v[48:49]
	;; [unrolled: 1-line block ×3, first 2 shown]
	v_add_f64 v[42:43], v[26:27], -v[44:45]
	v_mul_f64 v[22:23], v[50:51], v[22:23]
	v_add_f64 v[42:43], v[48:49], -v[42:43]
	v_add_f64 v[22:23], v[42:43], v[22:23]
	v_add_f64 v[42:43], v[26:27], v[22:23]
	v_add_f64 v[26:27], v[42:43], -v[26:27]
	s_mov_b32 s0, 0xbf559e2b
	v_add_f64 v[22:23], v[22:23], -v[26:27]
	v_mul_f64 v[26:27], v[42:43], v[42:43]
	v_mov_b32_e32 v44, 0x6b47b09a
	v_mov_b32_e32 v45, 0x3fc38538
	s_mov_b32 s1, 0x3fc3ab76
	v_fmac_f64_e32 v[44:45], s[0:1], v[26:27]
	v_mov_b32_e32 v46, 0xd7f4df2e
	v_mov_b32_e32 v47, 0x3fc7474d
	v_fmac_f64_e32 v[46:47], v[26:27], v[44:45]
	v_mov_b32_e32 v44, 0x16291751
	v_mov_b32_e32 v45, 0x3fcc71c0
	;; [unrolled: 3-line block ×5, first 2 shown]
	v_fmac_f64_e32 v[46:47], v[26:27], v[44:45]
	v_cvt_f64_i32_e32 v[44:45], v58
	s_mov_b32 s19, 0x3fe62e42
	v_mul_f64 v[48:49], v[44:45], s[18:19]
	v_fma_f64 v[50:51], v[44:45], s[18:19], -v[48:49]
	s_mov_b32 s21, 0x3c7abc9e
	v_fmac_f64_e32 v[50:51], s[20:21], v[44:45]
	v_add_f64 v[44:45], v[48:49], v[50:51]
	v_add_f64 v[48:49], v[44:45], -v[48:49]
	v_mul_f64 v[26:27], v[42:43], v[26:27]
	v_add_f64 v[48:49], v[50:51], -v[48:49]
	v_ldexp_f64 v[50:51], v[42:43], 1
	v_mul_f64 v[26:27], v[26:27], v[46:47]
	v_add_f64 v[42:43], v[50:51], v[26:27]
	v_add_f64 v[46:47], v[42:43], -v[50:51]
	v_ldexp_f64 v[22:23], v[22:23], 1
	v_add_f64 v[26:27], v[26:27], -v[46:47]
	v_add_f64 v[22:23], v[22:23], v[26:27]
	v_add_f64 v[26:27], v[42:43], v[22:23]
	v_add_f64 v[42:43], v[26:27], -v[42:43]
	v_add_f64 v[22:23], v[22:23], -v[42:43]
	v_add_f64 v[42:43], v[44:45], v[26:27]
	v_add_f64 v[46:47], v[42:43], -v[44:45]
	v_add_f64 v[50:51], v[42:43], -v[46:47]
	;; [unrolled: 1-line block ×4, first 2 shown]
	v_add_f64 v[26:27], v[26:27], v[44:45]
	v_add_f64 v[44:45], v[48:49], v[22:23]
	v_add_f64 v[46:47], v[44:45], -v[48:49]
	v_add_f64 v[26:27], v[44:45], v[26:27]
	v_add_f64 v[50:51], v[44:45], -v[46:47]
	;; [unrolled: 2-line block ×3, first 2 shown]
	v_add_f64 v[22:23], v[22:23], -v[46:47]
	v_add_f64 v[42:43], v[44:45], -v[42:43]
	v_add_f64 v[22:23], v[22:23], v[48:49]
	v_add_f64 v[26:27], v[26:27], -v[42:43]
	s_mov_b32 s0, 0
	v_add_f64 v[22:23], v[22:23], v[26:27]
	s_mov_b32 s1, 0x7ff00000
	v_add_f64 v[22:23], v[44:45], v[22:23]
	v_cmp_eq_f64_e32 vcc, s[0:1], v[18:19]
	v_cndmask_b32_e32 v22, v22, v18, vcc
	v_cndmask_b32_e32 v23, v23, v19, vcc
	v_mov_b32_e32 v26, 0x7ff80000
	v_cmp_ngt_f64_e32 vcc, -1.0, v[18:19]
	v_cndmask_b32_e32 v23, v26, v23, vcc
	v_cmp_nge_f64_e32 vcc, -1.0, v[18:19]
	v_cndmask_b32_e32 v22, 0, v22, vcc
	v_mov_b32_e32 v26, 0xfff00000
	v_cmp_neq_f64_e32 vcc, -1.0, v[18:19]
	v_cndmask_b32_e32 v23, v26, v23, vcc
	v_add_f64 v[26:27], v[4:5], v[22:23]
.LBB30_250:
	s_or_b64 exec, exec, s[2:3]
	v_max_f64 v[4:5], v[26:27], v[26:27]
	v_min_f64 v[18:19], v[4:5], v[28:29]
	v_cmp_u_f64_e32 vcc, v[26:27], v[26:27]
	v_max_f64 v[4:5], v[4:5], v[28:29]
	v_cndmask_b32_e32 v18, v18, v26, vcc
	v_cndmask_b32_e32 v19, v19, v27, vcc
	;; [unrolled: 1-line block ×4, first 2 shown]
	v_cndmask_b32_e64 v19, v19, v21, s[4:5]
	v_cndmask_b32_e64 v18, v18, v20, s[4:5]
	;; [unrolled: 1-line block ×4, first 2 shown]
	s_movk_i32 s20, 0x1f8
	v_cmp_neq_f64_e32 vcc, v[18:19], v[4:5]
	v_cmp_class_f64_e64 s[0:1], v[18:19], s20
	s_or_b64 s[0:1], vcc, s[0:1]
	v_pk_mov_b32 v[28:29], v[26:27], v[26:27] op_sel:[0,1]
	s_and_saveexec_b64 s[2:3], s[0:1]
	s_cbranch_execz .LBB30_252
; %bb.251:
	s_mov_b32 s0, 0x652b82fe
	v_add_f64 v[18:19], v[18:19], -v[4:5]
	s_mov_b32 s1, 0x3ff71547
	v_mul_f64 v[20:21], v[18:19], s[0:1]
	v_rndne_f64_e32 v[20:21], v[20:21]
	s_mov_b32 s5, 0xbfe62e42
	s_mov_b32 s4, 0xfefa39ef
	v_fma_f64 v[22:23], s[4:5], v[20:21], v[18:19]
	s_mov_b32 s19, 0xbc7abc9e
	s_mov_b32 s18, 0x3b39803f
	;; [unrolled: 1-line block ×3, first 2 shown]
	v_fmac_f64_e32 v[22:23], s[18:19], v[20:21]
	v_mov_b32_e32 v28, 0xfca7ab0c
	v_mov_b32_e32 v29, 0x3e928af3
	s_mov_b32 s1, 0x3e5ade15
	v_fmac_f64_e32 v[28:29], s[0:1], v[22:23]
	v_mov_b32_e32 v42, 0x623fde64
	v_mov_b32_e32 v43, 0x3ec71dee
	v_fmac_f64_e32 v[42:43], v[22:23], v[28:29]
	v_mov_b32_e32 v28, 0x7c89e6b0
	v_mov_b32_e32 v29, 0x3efa0199
	;; [unrolled: 3-line block ×8, first 2 shown]
	s_mov_b32 s0, 0
	v_fmac_f64_e32 v[28:29], v[22:23], v[42:43]
	s_mov_b32 s1, 0x40900000
	v_fma_f64 v[28:29], v[22:23], v[28:29], 1.0
	v_cmp_nlt_f64_e32 vcc, s[0:1], v[18:19]
	s_mov_b32 s0, 0
	v_fma_f64 v[22:23], v[22:23], v[28:29], 1.0
	v_cvt_i32_f64_e32 v20, v[20:21]
	s_mov_b32 s1, 0xc090cc00
	v_ldexp_f64 v[20:21], v[22:23], v20
	v_mov_b32_e32 v22, 0x7ff00000
	v_cmp_ngt_f64_e64 s[0:1], s[0:1], v[18:19]
	v_cndmask_b32_e32 v21, v22, v21, vcc
	s_and_b64 vcc, s[0:1], vcc
	v_cndmask_b32_e64 v19, 0, v21, s[0:1]
	v_cndmask_b32_e32 v18, 0, v20, vcc
	v_add_f64 v[20:21], v[18:19], 1.0
	v_add_f64 v[22:23], v[20:21], -1.0
	v_add_f64 v[28:29], v[22:23], -v[20:21]
	v_add_f64 v[28:29], v[28:29], 1.0
	v_add_f64 v[22:23], v[18:19], -v[22:23]
	s_mov_b32 s0, 0x55555555
	v_add_f64 v[22:23], v[22:23], v[28:29]
	v_frexp_mant_f64_e32 v[28:29], v[20:21]
	s_mov_b32 s1, 0x3fe55555
	v_frexp_exp_i32_f64_e32 v42, v[20:21]
	v_cmp_gt_f64_e32 vcc, s[0:1], v[28:29]
	v_subbrev_co_u32_e32 v56, vcc, 0, v42, vcc
	v_sub_u32_e32 v28, 0, v56
	v_ldexp_f64 v[20:21], v[20:21], v28
	v_ldexp_f64 v[22:23], v[22:23], v28
	v_add_f64 v[28:29], v[20:21], -1.0
	s_waitcnt lgkmcnt(0)
	v_add_f64 v[46:47], v[20:21], 1.0
	v_add_f64 v[42:43], v[28:29], 1.0
	v_add_f64 v[48:49], v[46:47], -1.0
	v_add_f64 v[42:43], v[20:21], -v[42:43]
	v_add_f64 v[20:21], v[20:21], -v[48:49]
	v_add_f64 v[20:21], v[22:23], v[20:21]
	v_add_f64 v[42:43], v[22:23], v[42:43]
	;; [unrolled: 1-line block ×3, first 2 shown]
	v_rcp_f64_e32 v[48:49], v[22:23]
	v_add_f64 v[44:45], v[28:29], v[42:43]
	v_add_f64 v[28:29], v[44:45], -v[28:29]
	v_add_f64 v[28:29], v[42:43], -v[28:29]
	v_add_f64 v[42:43], v[22:23], -v[46:47]
	v_add_f64 v[20:21], v[20:21], -v[42:43]
	v_fma_f64 v[42:43], -v[22:23], v[48:49], 1.0
	v_fmac_f64_e32 v[48:49], v[42:43], v[48:49]
	v_fma_f64 v[42:43], -v[22:23], v[48:49], 1.0
	v_fmac_f64_e32 v[48:49], v[42:43], v[48:49]
	v_mul_f64 v[42:43], v[44:45], v[48:49]
	v_mul_f64 v[46:47], v[22:23], v[42:43]
	v_fma_f64 v[50:51], v[42:43], v[22:23], -v[46:47]
	v_fmac_f64_e32 v[50:51], v[42:43], v[20:21]
	v_add_f64 v[52:53], v[46:47], v[50:51]
	v_add_f64 v[54:55], v[44:45], -v[52:53]
	v_add_f64 v[44:45], v[44:45], -v[54:55]
	v_add_f64 v[46:47], v[52:53], -v[46:47]
	v_add_f64 v[44:45], v[44:45], -v[52:53]
	v_add_f64 v[28:29], v[28:29], v[44:45]
	v_add_f64 v[44:45], v[46:47], -v[50:51]
	v_add_f64 v[28:29], v[44:45], v[28:29]
	v_add_f64 v[44:45], v[54:55], v[28:29]
	v_add_f64 v[46:47], v[54:55], -v[44:45]
	v_add_f64 v[28:29], v[28:29], v[46:47]
	v_mul_f64 v[46:47], v[48:49], v[44:45]
	v_mul_f64 v[50:51], v[22:23], v[46:47]
	v_fma_f64 v[22:23], v[46:47], v[22:23], -v[50:51]
	v_fmac_f64_e32 v[22:23], v[46:47], v[20:21]
	v_add_f64 v[20:21], v[50:51], v[22:23]
	v_add_f64 v[52:53], v[44:45], -v[20:21]
	v_add_f64 v[44:45], v[44:45], -v[52:53]
	;; [unrolled: 1-line block ×4, first 2 shown]
	v_add_f64 v[20:21], v[28:29], v[20:21]
	v_add_f64 v[22:23], v[50:51], -v[22:23]
	v_add_f64 v[20:21], v[22:23], v[20:21]
	v_add_f64 v[22:23], v[42:43], v[46:47]
	;; [unrolled: 1-line block ×3, first 2 shown]
	v_add_f64 v[28:29], v[22:23], -v[42:43]
	v_mul_f64 v[20:21], v[48:49], v[20:21]
	v_add_f64 v[28:29], v[46:47], -v[28:29]
	v_add_f64 v[20:21], v[28:29], v[20:21]
	v_add_f64 v[28:29], v[22:23], v[20:21]
	v_add_f64 v[22:23], v[28:29], -v[22:23]
	s_mov_b32 s0, 0xbf559e2b
	v_add_f64 v[20:21], v[20:21], -v[22:23]
	v_mul_f64 v[22:23], v[28:29], v[28:29]
	v_mov_b32_e32 v42, 0x6b47b09a
	v_mov_b32_e32 v43, 0x3fc38538
	s_mov_b32 s1, 0x3fc3ab76
	v_fmac_f64_e32 v[42:43], s[0:1], v[22:23]
	v_mov_b32_e32 v44, 0xd7f4df2e
	v_mov_b32_e32 v45, 0x3fc7474d
	v_fmac_f64_e32 v[44:45], v[22:23], v[42:43]
	v_mov_b32_e32 v42, 0x16291751
	v_mov_b32_e32 v43, 0x3fcc71c0
	;; [unrolled: 3-line block ×5, first 2 shown]
	v_fmac_f64_e32 v[44:45], v[22:23], v[42:43]
	v_cvt_f64_i32_e32 v[42:43], v56
	s_mov_b32 s5, 0x3fe62e42
	v_mul_f64 v[46:47], v[42:43], s[4:5]
	v_fma_f64 v[48:49], v[42:43], s[4:5], -v[46:47]
	s_mov_b32 s19, 0x3c7abc9e
	v_fmac_f64_e32 v[48:49], s[18:19], v[42:43]
	v_add_f64 v[42:43], v[46:47], v[48:49]
	v_add_f64 v[46:47], v[42:43], -v[46:47]
	v_mul_f64 v[22:23], v[28:29], v[22:23]
	v_add_f64 v[46:47], v[48:49], -v[46:47]
	v_ldexp_f64 v[48:49], v[28:29], 1
	v_mul_f64 v[22:23], v[22:23], v[44:45]
	v_add_f64 v[28:29], v[48:49], v[22:23]
	v_add_f64 v[44:45], v[28:29], -v[48:49]
	v_ldexp_f64 v[20:21], v[20:21], 1
	v_add_f64 v[22:23], v[22:23], -v[44:45]
	v_add_f64 v[20:21], v[20:21], v[22:23]
	v_add_f64 v[22:23], v[28:29], v[20:21]
	v_add_f64 v[28:29], v[22:23], -v[28:29]
	v_add_f64 v[20:21], v[20:21], -v[28:29]
	v_add_f64 v[28:29], v[42:43], v[22:23]
	v_add_f64 v[44:45], v[28:29], -v[42:43]
	v_add_f64 v[48:49], v[28:29], -v[44:45]
	;; [unrolled: 1-line block ×4, first 2 shown]
	v_add_f64 v[22:23], v[22:23], v[42:43]
	v_add_f64 v[42:43], v[46:47], v[20:21]
	v_add_f64 v[44:45], v[42:43], -v[46:47]
	v_add_f64 v[22:23], v[42:43], v[22:23]
	v_add_f64 v[48:49], v[42:43], -v[44:45]
	;; [unrolled: 2-line block ×3, first 2 shown]
	v_add_f64 v[20:21], v[20:21], -v[44:45]
	v_add_f64 v[28:29], v[42:43], -v[28:29]
	v_add_f64 v[20:21], v[20:21], v[46:47]
	v_add_f64 v[22:23], v[22:23], -v[28:29]
	s_mov_b32 s0, 0
	v_add_f64 v[20:21], v[20:21], v[22:23]
	s_mov_b32 s1, 0x7ff00000
	v_add_f64 v[20:21], v[42:43], v[20:21]
	v_cmp_eq_f64_e32 vcc, s[0:1], v[18:19]
	v_cndmask_b32_e32 v20, v20, v18, vcc
	v_cndmask_b32_e32 v21, v21, v19, vcc
	v_mov_b32_e32 v22, 0x7ff80000
	v_cmp_ngt_f64_e32 vcc, -1.0, v[18:19]
	v_cndmask_b32_e32 v21, v22, v21, vcc
	v_cmp_nge_f64_e32 vcc, -1.0, v[18:19]
	v_cndmask_b32_e32 v20, 0, v20, vcc
	v_mov_b32_e32 v22, 0xfff00000
	v_cmp_neq_f64_e32 vcc, -1.0, v[18:19]
	v_cndmask_b32_e32 v21, v22, v21, vcc
	v_add_f64 v[28:29], v[4:5], v[20:21]
.LBB30_252:
	s_or_b64 exec, exec, s[2:3]
	v_max_f64 v[4:5], v[28:29], v[28:29]
	v_min_f64 v[18:19], v[4:5], v[30:31]
	v_cmp_u_f64_e32 vcc, v[28:29], v[28:29]
	v_max_f64 v[4:5], v[4:5], v[30:31]
	v_cndmask_b32_e32 v18, v18, v28, vcc
	v_cndmask_b32_e32 v19, v19, v29, vcc
	;; [unrolled: 1-line block ×4, first 2 shown]
	v_cndmask_b32_e64 v19, v19, v15, s[6:7]
	v_cndmask_b32_e64 v18, v18, v14, s[6:7]
	;; [unrolled: 1-line block ×4, first 2 shown]
	v_cmp_neq_f64_e32 vcc, v[18:19], v[4:5]
	v_cmp_class_f64_e64 s[0:1], v[18:19], s20
	s_or_b64 s[0:1], vcc, s[0:1]
	v_pk_mov_b32 v[30:31], v[28:29], v[28:29] op_sel:[0,1]
	s_and_saveexec_b64 s[2:3], s[0:1]
	s_cbranch_execz .LBB30_254
; %bb.253:
	s_mov_b32 s0, 0x652b82fe
	v_add_f64 v[14:15], v[18:19], -v[4:5]
	s_mov_b32 s1, 0x3ff71547
	v_mul_f64 v[18:19], v[14:15], s[0:1]
	v_rndne_f64_e32 v[18:19], v[18:19]
	s_mov_b32 s5, 0xbfe62e42
	s_mov_b32 s4, 0xfefa39ef
	v_fma_f64 v[20:21], s[4:5], v[18:19], v[14:15]
	s_mov_b32 s7, 0xbc7abc9e
	s_mov_b32 s6, 0x3b39803f
	;; [unrolled: 1-line block ×3, first 2 shown]
	v_fmac_f64_e32 v[20:21], s[6:7], v[18:19]
	v_mov_b32_e32 v22, 0xfca7ab0c
	v_mov_b32_e32 v23, 0x3e928af3
	s_mov_b32 s1, 0x3e5ade15
	v_fmac_f64_e32 v[22:23], s[0:1], v[20:21]
	v_mov_b32_e32 v30, 0x623fde64
	v_mov_b32_e32 v31, 0x3ec71dee
	v_fmac_f64_e32 v[30:31], v[20:21], v[22:23]
	v_mov_b32_e32 v22, 0x7c89e6b0
	v_mov_b32_e32 v23, 0x3efa0199
	;; [unrolled: 3-line block ×8, first 2 shown]
	s_mov_b32 s0, 0
	v_fmac_f64_e32 v[22:23], v[20:21], v[30:31]
	s_mov_b32 s1, 0x40900000
	v_fma_f64 v[22:23], v[20:21], v[22:23], 1.0
	v_cmp_nlt_f64_e32 vcc, s[0:1], v[14:15]
	s_mov_b32 s0, 0
	v_fma_f64 v[20:21], v[20:21], v[22:23], 1.0
	v_cvt_i32_f64_e32 v18, v[18:19]
	s_mov_b32 s1, 0xc090cc00
	v_ldexp_f64 v[18:19], v[20:21], v18
	v_mov_b32_e32 v20, 0x7ff00000
	v_cmp_ngt_f64_e64 s[0:1], s[0:1], v[14:15]
	v_cndmask_b32_e32 v19, v20, v19, vcc
	s_and_b64 vcc, s[0:1], vcc
	v_cndmask_b32_e64 v15, 0, v19, s[0:1]
	v_cndmask_b32_e32 v14, 0, v18, vcc
	v_add_f64 v[18:19], v[14:15], 1.0
	v_add_f64 v[20:21], v[18:19], -1.0
	v_add_f64 v[22:23], v[20:21], -v[18:19]
	v_add_f64 v[22:23], v[22:23], 1.0
	v_add_f64 v[20:21], v[14:15], -v[20:21]
	s_mov_b32 s0, 0x55555555
	v_add_f64 v[20:21], v[20:21], v[22:23]
	v_frexp_mant_f64_e32 v[22:23], v[18:19]
	s_mov_b32 s1, 0x3fe55555
	v_frexp_exp_i32_f64_e32 v30, v[18:19]
	v_cmp_gt_f64_e32 vcc, s[0:1], v[22:23]
	v_subbrev_co_u32_e32 v54, vcc, 0, v30, vcc
	v_sub_u32_e32 v22, 0, v54
	v_ldexp_f64 v[18:19], v[18:19], v22
	v_ldexp_f64 v[20:21], v[20:21], v22
	v_add_f64 v[22:23], v[18:19], -1.0
	v_add_f64 v[44:45], v[18:19], 1.0
	v_add_f64 v[30:31], v[22:23], 1.0
	s_waitcnt lgkmcnt(0)
	v_add_f64 v[46:47], v[44:45], -1.0
	v_add_f64 v[30:31], v[18:19], -v[30:31]
	v_add_f64 v[18:19], v[18:19], -v[46:47]
	v_add_f64 v[18:19], v[20:21], v[18:19]
	v_add_f64 v[30:31], v[20:21], v[30:31]
	;; [unrolled: 1-line block ×3, first 2 shown]
	v_rcp_f64_e32 v[46:47], v[20:21]
	v_add_f64 v[42:43], v[22:23], v[30:31]
	v_add_f64 v[22:23], v[42:43], -v[22:23]
	v_add_f64 v[22:23], v[30:31], -v[22:23]
	;; [unrolled: 1-line block ×4, first 2 shown]
	v_fma_f64 v[30:31], -v[20:21], v[46:47], 1.0
	v_fmac_f64_e32 v[46:47], v[30:31], v[46:47]
	v_fma_f64 v[30:31], -v[20:21], v[46:47], 1.0
	v_fmac_f64_e32 v[46:47], v[30:31], v[46:47]
	v_mul_f64 v[30:31], v[42:43], v[46:47]
	v_mul_f64 v[44:45], v[20:21], v[30:31]
	v_fma_f64 v[48:49], v[30:31], v[20:21], -v[44:45]
	v_fmac_f64_e32 v[48:49], v[30:31], v[18:19]
	v_add_f64 v[50:51], v[44:45], v[48:49]
	v_add_f64 v[52:53], v[42:43], -v[50:51]
	v_add_f64 v[42:43], v[42:43], -v[52:53]
	;; [unrolled: 1-line block ×4, first 2 shown]
	v_add_f64 v[22:23], v[22:23], v[42:43]
	v_add_f64 v[42:43], v[44:45], -v[48:49]
	v_add_f64 v[22:23], v[42:43], v[22:23]
	v_add_f64 v[42:43], v[52:53], v[22:23]
	v_add_f64 v[44:45], v[52:53], -v[42:43]
	v_add_f64 v[22:23], v[22:23], v[44:45]
	v_mul_f64 v[44:45], v[46:47], v[42:43]
	v_mul_f64 v[48:49], v[20:21], v[44:45]
	v_fma_f64 v[20:21], v[44:45], v[20:21], -v[48:49]
	v_fmac_f64_e32 v[20:21], v[44:45], v[18:19]
	v_add_f64 v[18:19], v[48:49], v[20:21]
	v_add_f64 v[50:51], v[42:43], -v[18:19]
	v_add_f64 v[42:43], v[42:43], -v[50:51]
	;; [unrolled: 1-line block ×4, first 2 shown]
	v_add_f64 v[18:19], v[22:23], v[18:19]
	v_add_f64 v[20:21], v[48:49], -v[20:21]
	v_add_f64 v[18:19], v[20:21], v[18:19]
	v_add_f64 v[20:21], v[30:31], v[44:45]
	;; [unrolled: 1-line block ×3, first 2 shown]
	v_add_f64 v[22:23], v[20:21], -v[30:31]
	v_mul_f64 v[18:19], v[46:47], v[18:19]
	v_add_f64 v[22:23], v[44:45], -v[22:23]
	v_add_f64 v[18:19], v[22:23], v[18:19]
	v_add_f64 v[22:23], v[20:21], v[18:19]
	v_add_f64 v[20:21], v[22:23], -v[20:21]
	s_mov_b32 s0, 0xbf559e2b
	v_add_f64 v[18:19], v[18:19], -v[20:21]
	v_mul_f64 v[20:21], v[22:23], v[22:23]
	v_mov_b32_e32 v30, 0x6b47b09a
	v_mov_b32_e32 v31, 0x3fc38538
	s_mov_b32 s1, 0x3fc3ab76
	v_fmac_f64_e32 v[30:31], s[0:1], v[20:21]
	v_mov_b32_e32 v42, 0xd7f4df2e
	v_mov_b32_e32 v43, 0x3fc7474d
	v_fmac_f64_e32 v[42:43], v[20:21], v[30:31]
	v_mov_b32_e32 v30, 0x16291751
	v_mov_b32_e32 v31, 0x3fcc71c0
	;; [unrolled: 3-line block ×5, first 2 shown]
	v_fmac_f64_e32 v[42:43], v[20:21], v[30:31]
	v_cvt_f64_i32_e32 v[30:31], v54
	s_mov_b32 s5, 0x3fe62e42
	v_mul_f64 v[44:45], v[30:31], s[4:5]
	v_fma_f64 v[46:47], v[30:31], s[4:5], -v[44:45]
	s_mov_b32 s7, 0x3c7abc9e
	v_fmac_f64_e32 v[46:47], s[6:7], v[30:31]
	v_add_f64 v[30:31], v[44:45], v[46:47]
	v_add_f64 v[44:45], v[30:31], -v[44:45]
	v_mul_f64 v[20:21], v[22:23], v[20:21]
	v_add_f64 v[44:45], v[46:47], -v[44:45]
	v_ldexp_f64 v[46:47], v[22:23], 1
	v_mul_f64 v[20:21], v[20:21], v[42:43]
	v_add_f64 v[22:23], v[46:47], v[20:21]
	v_add_f64 v[42:43], v[22:23], -v[46:47]
	v_ldexp_f64 v[18:19], v[18:19], 1
	v_add_f64 v[20:21], v[20:21], -v[42:43]
	v_add_f64 v[18:19], v[18:19], v[20:21]
	v_add_f64 v[20:21], v[22:23], v[18:19]
	v_add_f64 v[22:23], v[20:21], -v[22:23]
	v_add_f64 v[18:19], v[18:19], -v[22:23]
	v_add_f64 v[22:23], v[30:31], v[20:21]
	v_add_f64 v[42:43], v[22:23], -v[30:31]
	v_add_f64 v[46:47], v[22:23], -v[42:43]
	;; [unrolled: 1-line block ×4, first 2 shown]
	v_add_f64 v[20:21], v[20:21], v[30:31]
	v_add_f64 v[30:31], v[44:45], v[18:19]
	v_add_f64 v[42:43], v[30:31], -v[44:45]
	v_add_f64 v[20:21], v[30:31], v[20:21]
	v_add_f64 v[46:47], v[30:31], -v[42:43]
	;; [unrolled: 2-line block ×3, first 2 shown]
	v_add_f64 v[18:19], v[18:19], -v[42:43]
	v_add_f64 v[22:23], v[30:31], -v[22:23]
	v_add_f64 v[18:19], v[18:19], v[44:45]
	v_add_f64 v[20:21], v[20:21], -v[22:23]
	s_mov_b32 s0, 0
	v_add_f64 v[18:19], v[18:19], v[20:21]
	s_mov_b32 s1, 0x7ff00000
	v_add_f64 v[18:19], v[30:31], v[18:19]
	v_cmp_eq_f64_e32 vcc, s[0:1], v[14:15]
	v_cndmask_b32_e32 v18, v18, v14, vcc
	v_cndmask_b32_e32 v19, v19, v15, vcc
	v_mov_b32_e32 v20, 0x7ff80000
	v_cmp_ngt_f64_e32 vcc, -1.0, v[14:15]
	v_cndmask_b32_e32 v19, v20, v19, vcc
	v_cmp_nge_f64_e32 vcc, -1.0, v[14:15]
	v_cndmask_b32_e32 v18, 0, v18, vcc
	v_mov_b32_e32 v20, 0xfff00000
	v_cmp_neq_f64_e32 vcc, -1.0, v[14:15]
	v_cndmask_b32_e32 v19, v20, v19, vcc
	v_add_f64 v[30:31], v[4:5], v[18:19]
.LBB30_254:
	s_or_b64 exec, exec, s[2:3]
	v_max_f64 v[4:5], v[30:31], v[30:31]
	v_min_f64 v[14:15], v[4:5], v[32:33]
	v_cmp_u_f64_e32 vcc, v[30:31], v[30:31]
	v_max_f64 v[4:5], v[4:5], v[32:33]
	v_cndmask_b32_e32 v14, v14, v30, vcc
	v_cndmask_b32_e32 v15, v15, v31, vcc
	;; [unrolled: 1-line block ×4, first 2 shown]
	v_cndmask_b32_e64 v15, v15, v17, s[8:9]
	v_cndmask_b32_e64 v14, v14, v16, s[8:9]
	;; [unrolled: 1-line block ×4, first 2 shown]
	s_movk_i32 s8, 0x1f8
	v_cmp_neq_f64_e32 vcc, v[14:15], v[4:5]
	v_cmp_class_f64_e64 s[0:1], v[14:15], s8
	s_or_b64 s[0:1], vcc, s[0:1]
	v_pk_mov_b32 v[32:33], v[30:31], v[30:31] op_sel:[0,1]
	s_and_saveexec_b64 s[2:3], s[0:1]
	s_cbranch_execz .LBB30_256
; %bb.255:
	s_mov_b32 s0, 0x652b82fe
	v_add_f64 v[14:15], v[14:15], -v[4:5]
	s_mov_b32 s1, 0x3ff71547
	v_mul_f64 v[16:17], v[14:15], s[0:1]
	v_rndne_f64_e32 v[16:17], v[16:17]
	s_mov_b32 s5, 0xbfe62e42
	s_mov_b32 s4, 0xfefa39ef
	v_fma_f64 v[18:19], s[4:5], v[16:17], v[14:15]
	s_mov_b32 s7, 0xbc7abc9e
	s_mov_b32 s6, 0x3b39803f
	;; [unrolled: 1-line block ×3, first 2 shown]
	v_fmac_f64_e32 v[18:19], s[6:7], v[16:17]
	v_mov_b32_e32 v20, 0xfca7ab0c
	v_mov_b32_e32 v21, 0x3e928af3
	s_mov_b32 s1, 0x3e5ade15
	v_fmac_f64_e32 v[20:21], s[0:1], v[18:19]
	v_mov_b32_e32 v22, 0x623fde64
	v_mov_b32_e32 v23, 0x3ec71dee
	v_fmac_f64_e32 v[22:23], v[18:19], v[20:21]
	v_mov_b32_e32 v20, 0x7c89e6b0
	v_mov_b32_e32 v21, 0x3efa0199
	;; [unrolled: 3-line block ×8, first 2 shown]
	s_mov_b32 s0, 0
	v_fmac_f64_e32 v[20:21], v[18:19], v[22:23]
	s_mov_b32 s1, 0x40900000
	v_fma_f64 v[20:21], v[18:19], v[20:21], 1.0
	v_cmp_nlt_f64_e32 vcc, s[0:1], v[14:15]
	s_mov_b32 s0, 0
	v_fma_f64 v[18:19], v[18:19], v[20:21], 1.0
	v_cvt_i32_f64_e32 v16, v[16:17]
	s_mov_b32 s1, 0xc090cc00
	v_ldexp_f64 v[16:17], v[18:19], v16
	v_mov_b32_e32 v18, 0x7ff00000
	v_cmp_ngt_f64_e64 s[0:1], s[0:1], v[14:15]
	v_cndmask_b32_e32 v17, v18, v17, vcc
	s_and_b64 vcc, s[0:1], vcc
	v_cndmask_b32_e64 v15, 0, v17, s[0:1]
	v_cndmask_b32_e32 v14, 0, v16, vcc
	v_add_f64 v[16:17], v[14:15], 1.0
	v_add_f64 v[18:19], v[16:17], -1.0
	v_add_f64 v[20:21], v[18:19], -v[16:17]
	v_add_f64 v[20:21], v[20:21], 1.0
	v_add_f64 v[18:19], v[14:15], -v[18:19]
	s_mov_b32 s0, 0x55555555
	v_add_f64 v[18:19], v[18:19], v[20:21]
	v_frexp_mant_f64_e32 v[20:21], v[16:17]
	s_mov_b32 s1, 0x3fe55555
	v_frexp_exp_i32_f64_e32 v22, v[16:17]
	v_cmp_gt_f64_e32 vcc, s[0:1], v[20:21]
	v_subbrev_co_u32_e32 v52, vcc, 0, v22, vcc
	v_sub_u32_e32 v20, 0, v52
	v_ldexp_f64 v[16:17], v[16:17], v20
	v_ldexp_f64 v[18:19], v[18:19], v20
	v_add_f64 v[20:21], v[16:17], -1.0
	v_add_f64 v[42:43], v[16:17], 1.0
	v_add_f64 v[22:23], v[20:21], 1.0
	v_add_f64 v[44:45], v[42:43], -1.0
	v_add_f64 v[22:23], v[16:17], -v[22:23]
	v_add_f64 v[16:17], v[16:17], -v[44:45]
	v_add_f64 v[16:17], v[18:19], v[16:17]
	v_add_f64 v[22:23], v[18:19], v[22:23]
	;; [unrolled: 1-line block ×3, first 2 shown]
	v_rcp_f64_e32 v[44:45], v[18:19]
	v_add_f64 v[32:33], v[20:21], v[22:23]
	v_add_f64 v[20:21], v[32:33], -v[20:21]
	v_add_f64 v[20:21], v[22:23], -v[20:21]
	;; [unrolled: 1-line block ×4, first 2 shown]
	v_fma_f64 v[22:23], -v[18:19], v[44:45], 1.0
	v_fmac_f64_e32 v[44:45], v[22:23], v[44:45]
	v_fma_f64 v[22:23], -v[18:19], v[44:45], 1.0
	v_fmac_f64_e32 v[44:45], v[22:23], v[44:45]
	v_mul_f64 v[22:23], v[32:33], v[44:45]
	v_mul_f64 v[42:43], v[18:19], v[22:23]
	s_waitcnt lgkmcnt(0)
	v_fma_f64 v[46:47], v[22:23], v[18:19], -v[42:43]
	v_fmac_f64_e32 v[46:47], v[22:23], v[16:17]
	v_add_f64 v[48:49], v[42:43], v[46:47]
	v_add_f64 v[50:51], v[32:33], -v[48:49]
	v_add_f64 v[32:33], v[32:33], -v[50:51]
	;; [unrolled: 1-line block ×4, first 2 shown]
	v_add_f64 v[20:21], v[20:21], v[32:33]
	v_add_f64 v[32:33], v[42:43], -v[46:47]
	v_add_f64 v[20:21], v[32:33], v[20:21]
	v_add_f64 v[32:33], v[50:51], v[20:21]
	v_add_f64 v[42:43], v[50:51], -v[32:33]
	v_add_f64 v[20:21], v[20:21], v[42:43]
	v_mul_f64 v[42:43], v[44:45], v[32:33]
	v_mul_f64 v[46:47], v[18:19], v[42:43]
	v_fma_f64 v[18:19], v[42:43], v[18:19], -v[46:47]
	v_fmac_f64_e32 v[18:19], v[42:43], v[16:17]
	v_add_f64 v[16:17], v[46:47], v[18:19]
	v_add_f64 v[48:49], v[32:33], -v[16:17]
	v_add_f64 v[32:33], v[32:33], -v[48:49]
	v_add_f64 v[46:47], v[16:17], -v[46:47]
	v_add_f64 v[16:17], v[32:33], -v[16:17]
	v_add_f64 v[16:17], v[20:21], v[16:17]
	v_add_f64 v[18:19], v[46:47], -v[18:19]
	v_add_f64 v[16:17], v[18:19], v[16:17]
	v_add_f64 v[18:19], v[22:23], v[42:43]
	;; [unrolled: 1-line block ×3, first 2 shown]
	v_add_f64 v[20:21], v[18:19], -v[22:23]
	v_mul_f64 v[16:17], v[44:45], v[16:17]
	v_add_f64 v[20:21], v[42:43], -v[20:21]
	v_add_f64 v[16:17], v[20:21], v[16:17]
	v_add_f64 v[20:21], v[18:19], v[16:17]
	v_add_f64 v[18:19], v[20:21], -v[18:19]
	s_mov_b32 s0, 0xbf559e2b
	v_add_f64 v[16:17], v[16:17], -v[18:19]
	v_mul_f64 v[18:19], v[20:21], v[20:21]
	v_mov_b32_e32 v22, 0x6b47b09a
	v_mov_b32_e32 v23, 0x3fc38538
	s_mov_b32 s1, 0x3fc3ab76
	v_fmac_f64_e32 v[22:23], s[0:1], v[18:19]
	v_mov_b32_e32 v32, 0xd7f4df2e
	v_mov_b32_e32 v33, 0x3fc7474d
	v_fmac_f64_e32 v[32:33], v[18:19], v[22:23]
	v_mov_b32_e32 v22, 0x16291751
	v_mov_b32_e32 v23, 0x3fcc71c0
	;; [unrolled: 3-line block ×5, first 2 shown]
	v_fmac_f64_e32 v[32:33], v[18:19], v[22:23]
	v_cvt_f64_i32_e32 v[22:23], v52
	s_mov_b32 s5, 0x3fe62e42
	v_mul_f64 v[42:43], v[22:23], s[4:5]
	v_fma_f64 v[44:45], v[22:23], s[4:5], -v[42:43]
	s_mov_b32 s7, 0x3c7abc9e
	v_fmac_f64_e32 v[44:45], s[6:7], v[22:23]
	v_add_f64 v[22:23], v[42:43], v[44:45]
	v_add_f64 v[42:43], v[22:23], -v[42:43]
	v_mul_f64 v[18:19], v[20:21], v[18:19]
	v_add_f64 v[42:43], v[44:45], -v[42:43]
	v_ldexp_f64 v[44:45], v[20:21], 1
	v_mul_f64 v[18:19], v[18:19], v[32:33]
	v_add_f64 v[20:21], v[44:45], v[18:19]
	v_add_f64 v[32:33], v[20:21], -v[44:45]
	v_ldexp_f64 v[16:17], v[16:17], 1
	v_add_f64 v[18:19], v[18:19], -v[32:33]
	v_add_f64 v[16:17], v[16:17], v[18:19]
	v_add_f64 v[18:19], v[20:21], v[16:17]
	v_add_f64 v[20:21], v[18:19], -v[20:21]
	v_add_f64 v[16:17], v[16:17], -v[20:21]
	v_add_f64 v[20:21], v[22:23], v[18:19]
	v_add_f64 v[32:33], v[20:21], -v[22:23]
	v_add_f64 v[44:45], v[20:21], -v[32:33]
	;; [unrolled: 1-line block ×4, first 2 shown]
	v_add_f64 v[18:19], v[18:19], v[22:23]
	v_add_f64 v[22:23], v[42:43], v[16:17]
	v_add_f64 v[32:33], v[22:23], -v[42:43]
	v_add_f64 v[18:19], v[22:23], v[18:19]
	v_add_f64 v[44:45], v[22:23], -v[32:33]
	;; [unrolled: 2-line block ×3, first 2 shown]
	v_add_f64 v[16:17], v[16:17], -v[32:33]
	v_add_f64 v[20:21], v[22:23], -v[20:21]
	v_add_f64 v[16:17], v[16:17], v[42:43]
	v_add_f64 v[18:19], v[18:19], -v[20:21]
	s_mov_b32 s0, 0
	v_add_f64 v[16:17], v[16:17], v[18:19]
	s_mov_b32 s1, 0x7ff00000
	v_add_f64 v[16:17], v[22:23], v[16:17]
	v_cmp_eq_f64_e32 vcc, s[0:1], v[14:15]
	v_cndmask_b32_e32 v16, v16, v14, vcc
	v_cndmask_b32_e32 v17, v17, v15, vcc
	v_mov_b32_e32 v18, 0x7ff80000
	v_cmp_ngt_f64_e32 vcc, -1.0, v[14:15]
	v_cndmask_b32_e32 v17, v18, v17, vcc
	v_cmp_nge_f64_e32 vcc, -1.0, v[14:15]
	v_cndmask_b32_e32 v16, 0, v16, vcc
	v_mov_b32_e32 v18, 0xfff00000
	v_cmp_neq_f64_e32 vcc, -1.0, v[14:15]
	v_cndmask_b32_e32 v17, v18, v17, vcc
	v_add_f64 v[32:33], v[4:5], v[16:17]
.LBB30_256:
	s_or_b64 exec, exec, s[2:3]
	v_max_f64 v[4:5], v[32:33], v[32:33]
	v_min_f64 v[14:15], v[4:5], v[34:35]
	v_cmp_u_f64_e32 vcc, v[32:33], v[32:33]
	v_max_f64 v[4:5], v[4:5], v[34:35]
	v_cndmask_b32_e32 v14, v14, v32, vcc
	v_cndmask_b32_e32 v15, v15, v33, vcc
	;; [unrolled: 1-line block ×4, first 2 shown]
	v_cndmask_b32_e64 v15, v15, v11, s[10:11]
	v_cndmask_b32_e64 v14, v14, v10, s[10:11]
	;; [unrolled: 1-line block ×4, first 2 shown]
	v_cmp_neq_f64_e32 vcc, v[14:15], v[4:5]
	v_cmp_class_f64_e64 s[0:1], v[14:15], s8
	s_or_b64 s[0:1], vcc, s[0:1]
	v_pk_mov_b32 v[34:35], v[32:33], v[32:33] op_sel:[0,1]
	s_and_saveexec_b64 s[2:3], s[0:1]
	s_cbranch_execz .LBB30_258
; %bb.257:
	s_mov_b32 s0, 0x652b82fe
	v_add_f64 v[10:11], v[14:15], -v[4:5]
	s_mov_b32 s1, 0x3ff71547
	v_mul_f64 v[14:15], v[10:11], s[0:1]
	v_rndne_f64_e32 v[14:15], v[14:15]
	s_mov_b32 s5, 0xbfe62e42
	s_mov_b32 s4, 0xfefa39ef
	v_fma_f64 v[16:17], s[4:5], v[14:15], v[10:11]
	s_mov_b32 s7, 0xbc7abc9e
	s_mov_b32 s6, 0x3b39803f
	;; [unrolled: 1-line block ×3, first 2 shown]
	v_fmac_f64_e32 v[16:17], s[6:7], v[14:15]
	v_mov_b32_e32 v18, 0xfca7ab0c
	v_mov_b32_e32 v19, 0x3e928af3
	s_mov_b32 s1, 0x3e5ade15
	v_fmac_f64_e32 v[18:19], s[0:1], v[16:17]
	v_mov_b32_e32 v20, 0x623fde64
	v_mov_b32_e32 v21, 0x3ec71dee
	v_fmac_f64_e32 v[20:21], v[16:17], v[18:19]
	v_mov_b32_e32 v18, 0x7c89e6b0
	v_mov_b32_e32 v19, 0x3efa0199
	;; [unrolled: 3-line block ×8, first 2 shown]
	s_mov_b32 s0, 0
	v_fmac_f64_e32 v[18:19], v[16:17], v[20:21]
	s_mov_b32 s1, 0x40900000
	v_fma_f64 v[18:19], v[16:17], v[18:19], 1.0
	v_cmp_nlt_f64_e32 vcc, s[0:1], v[10:11]
	s_mov_b32 s0, 0
	v_fma_f64 v[16:17], v[16:17], v[18:19], 1.0
	v_cvt_i32_f64_e32 v14, v[14:15]
	s_mov_b32 s1, 0xc090cc00
	v_ldexp_f64 v[14:15], v[16:17], v14
	v_mov_b32_e32 v16, 0x7ff00000
	v_cmp_ngt_f64_e64 s[0:1], s[0:1], v[10:11]
	v_cndmask_b32_e32 v15, v16, v15, vcc
	s_and_b64 vcc, s[0:1], vcc
	v_cndmask_b32_e64 v11, 0, v15, s[0:1]
	v_cndmask_b32_e32 v10, 0, v14, vcc
	v_add_f64 v[14:15], v[10:11], 1.0
	v_add_f64 v[16:17], v[14:15], -1.0
	v_add_f64 v[18:19], v[16:17], -v[14:15]
	v_add_f64 v[18:19], v[18:19], 1.0
	v_add_f64 v[16:17], v[10:11], -v[16:17]
	s_mov_b32 s0, 0x55555555
	v_add_f64 v[16:17], v[16:17], v[18:19]
	v_frexp_mant_f64_e32 v[18:19], v[14:15]
	s_mov_b32 s1, 0x3fe55555
	v_frexp_exp_i32_f64_e32 v20, v[14:15]
	v_cmp_gt_f64_e32 vcc, s[0:1], v[18:19]
	v_subbrev_co_u32_e32 v50, vcc, 0, v20, vcc
	v_sub_u32_e32 v18, 0, v50
	v_ldexp_f64 v[14:15], v[14:15], v18
	v_ldexp_f64 v[16:17], v[16:17], v18
	v_add_f64 v[18:19], v[14:15], -1.0
	v_add_f64 v[34:35], v[14:15], 1.0
	v_add_f64 v[20:21], v[18:19], 1.0
	v_add_f64 v[42:43], v[34:35], -1.0
	v_add_f64 v[20:21], v[14:15], -v[20:21]
	v_add_f64 v[14:15], v[14:15], -v[42:43]
	v_add_f64 v[14:15], v[16:17], v[14:15]
	v_add_f64 v[20:21], v[16:17], v[20:21]
	;; [unrolled: 1-line block ×3, first 2 shown]
	v_rcp_f64_e32 v[42:43], v[16:17]
	v_add_f64 v[22:23], v[18:19], v[20:21]
	v_add_f64 v[18:19], v[22:23], -v[18:19]
	v_add_f64 v[18:19], v[20:21], -v[18:19]
	;; [unrolled: 1-line block ×4, first 2 shown]
	v_fma_f64 v[20:21], -v[16:17], v[42:43], 1.0
	v_fmac_f64_e32 v[42:43], v[20:21], v[42:43]
	v_fma_f64 v[20:21], -v[16:17], v[42:43], 1.0
	v_fmac_f64_e32 v[42:43], v[20:21], v[42:43]
	v_mul_f64 v[20:21], v[22:23], v[42:43]
	v_mul_f64 v[34:35], v[16:17], v[20:21]
	v_fma_f64 v[44:45], v[20:21], v[16:17], -v[34:35]
	v_fmac_f64_e32 v[44:45], v[20:21], v[14:15]
	s_waitcnt lgkmcnt(0)
	v_add_f64 v[46:47], v[34:35], v[44:45]
	v_add_f64 v[48:49], v[22:23], -v[46:47]
	v_add_f64 v[22:23], v[22:23], -v[48:49]
	;; [unrolled: 1-line block ×4, first 2 shown]
	v_add_f64 v[18:19], v[18:19], v[22:23]
	v_add_f64 v[22:23], v[34:35], -v[44:45]
	v_add_f64 v[18:19], v[22:23], v[18:19]
	v_add_f64 v[22:23], v[48:49], v[18:19]
	v_add_f64 v[34:35], v[48:49], -v[22:23]
	v_add_f64 v[18:19], v[18:19], v[34:35]
	v_mul_f64 v[34:35], v[42:43], v[22:23]
	v_mul_f64 v[44:45], v[16:17], v[34:35]
	v_fma_f64 v[16:17], v[34:35], v[16:17], -v[44:45]
	v_fmac_f64_e32 v[16:17], v[34:35], v[14:15]
	v_add_f64 v[14:15], v[44:45], v[16:17]
	v_add_f64 v[46:47], v[22:23], -v[14:15]
	v_add_f64 v[22:23], v[22:23], -v[46:47]
	;; [unrolled: 1-line block ×4, first 2 shown]
	v_add_f64 v[14:15], v[18:19], v[14:15]
	v_add_f64 v[16:17], v[44:45], -v[16:17]
	v_add_f64 v[14:15], v[16:17], v[14:15]
	v_add_f64 v[16:17], v[20:21], v[34:35]
	;; [unrolled: 1-line block ×3, first 2 shown]
	v_add_f64 v[18:19], v[16:17], -v[20:21]
	v_mul_f64 v[14:15], v[42:43], v[14:15]
	v_add_f64 v[18:19], v[34:35], -v[18:19]
	v_add_f64 v[14:15], v[18:19], v[14:15]
	v_add_f64 v[18:19], v[16:17], v[14:15]
	v_add_f64 v[16:17], v[18:19], -v[16:17]
	s_mov_b32 s0, 0xbf559e2b
	v_add_f64 v[14:15], v[14:15], -v[16:17]
	v_mul_f64 v[16:17], v[18:19], v[18:19]
	v_mov_b32_e32 v20, 0x6b47b09a
	v_mov_b32_e32 v21, 0x3fc38538
	s_mov_b32 s1, 0x3fc3ab76
	v_fmac_f64_e32 v[20:21], s[0:1], v[16:17]
	v_mov_b32_e32 v22, 0xd7f4df2e
	v_mov_b32_e32 v23, 0x3fc7474d
	v_fmac_f64_e32 v[22:23], v[16:17], v[20:21]
	v_mov_b32_e32 v20, 0x16291751
	v_mov_b32_e32 v21, 0x3fcc71c0
	;; [unrolled: 3-line block ×5, first 2 shown]
	v_fmac_f64_e32 v[22:23], v[16:17], v[20:21]
	v_cvt_f64_i32_e32 v[20:21], v50
	s_mov_b32 s5, 0x3fe62e42
	v_mul_f64 v[34:35], v[20:21], s[4:5]
	v_fma_f64 v[42:43], v[20:21], s[4:5], -v[34:35]
	s_mov_b32 s7, 0x3c7abc9e
	v_fmac_f64_e32 v[42:43], s[6:7], v[20:21]
	v_add_f64 v[20:21], v[34:35], v[42:43]
	v_add_f64 v[34:35], v[20:21], -v[34:35]
	v_mul_f64 v[16:17], v[18:19], v[16:17]
	v_add_f64 v[34:35], v[42:43], -v[34:35]
	v_ldexp_f64 v[42:43], v[18:19], 1
	v_mul_f64 v[16:17], v[16:17], v[22:23]
	v_add_f64 v[18:19], v[42:43], v[16:17]
	v_add_f64 v[22:23], v[18:19], -v[42:43]
	v_ldexp_f64 v[14:15], v[14:15], 1
	v_add_f64 v[16:17], v[16:17], -v[22:23]
	v_add_f64 v[14:15], v[14:15], v[16:17]
	v_add_f64 v[16:17], v[18:19], v[14:15]
	v_add_f64 v[18:19], v[16:17], -v[18:19]
	v_add_f64 v[14:15], v[14:15], -v[18:19]
	v_add_f64 v[18:19], v[20:21], v[16:17]
	v_add_f64 v[22:23], v[18:19], -v[20:21]
	v_add_f64 v[42:43], v[18:19], -v[22:23]
	;; [unrolled: 1-line block ×4, first 2 shown]
	v_add_f64 v[16:17], v[16:17], v[20:21]
	v_add_f64 v[20:21], v[34:35], v[14:15]
	v_add_f64 v[22:23], v[20:21], -v[34:35]
	v_add_f64 v[16:17], v[20:21], v[16:17]
	v_add_f64 v[42:43], v[20:21], -v[22:23]
	;; [unrolled: 2-line block ×3, first 2 shown]
	v_add_f64 v[14:15], v[14:15], -v[22:23]
	v_add_f64 v[18:19], v[20:21], -v[18:19]
	v_add_f64 v[14:15], v[14:15], v[34:35]
	v_add_f64 v[16:17], v[16:17], -v[18:19]
	s_mov_b32 s0, 0
	v_add_f64 v[14:15], v[14:15], v[16:17]
	s_mov_b32 s1, 0x7ff00000
	v_add_f64 v[14:15], v[20:21], v[14:15]
	v_cmp_eq_f64_e32 vcc, s[0:1], v[10:11]
	v_cndmask_b32_e32 v14, v14, v10, vcc
	v_cndmask_b32_e32 v15, v15, v11, vcc
	v_mov_b32_e32 v16, 0x7ff80000
	v_cmp_ngt_f64_e32 vcc, -1.0, v[10:11]
	v_cndmask_b32_e32 v15, v16, v15, vcc
	v_cmp_nge_f64_e32 vcc, -1.0, v[10:11]
	v_cndmask_b32_e32 v14, 0, v14, vcc
	v_mov_b32_e32 v16, 0xfff00000
	v_cmp_neq_f64_e32 vcc, -1.0, v[10:11]
	v_cndmask_b32_e32 v15, v16, v15, vcc
	v_add_f64 v[34:35], v[4:5], v[14:15]
.LBB30_258:
	s_or_b64 exec, exec, s[2:3]
	v_max_f64 v[4:5], v[34:35], v[34:35]
	v_min_f64 v[10:11], v[4:5], v[36:37]
	v_cmp_u_f64_e32 vcc, v[34:35], v[34:35]
	v_max_f64 v[4:5], v[4:5], v[36:37]
	v_cndmask_b32_e32 v10, v10, v34, vcc
	v_cndmask_b32_e32 v11, v11, v35, vcc
	;; [unrolled: 1-line block ×4, first 2 shown]
	v_cndmask_b32_e64 v11, v11, v13, s[12:13]
	v_cndmask_b32_e64 v10, v10, v12, s[12:13]
	;; [unrolled: 1-line block ×4, first 2 shown]
	v_cmp_neq_f64_e32 vcc, v[10:11], v[4:5]
	v_cmp_class_f64_e64 s[0:1], v[10:11], s8
	s_or_b64 s[0:1], vcc, s[0:1]
	v_pk_mov_b32 v[36:37], v[34:35], v[34:35] op_sel:[0,1]
	s_and_saveexec_b64 s[2:3], s[0:1]
	s_cbranch_execz .LBB30_260
; %bb.259:
	s_mov_b32 s0, 0x652b82fe
	v_add_f64 v[10:11], v[10:11], -v[4:5]
	s_mov_b32 s1, 0x3ff71547
	v_mul_f64 v[12:13], v[10:11], s[0:1]
	v_rndne_f64_e32 v[12:13], v[12:13]
	s_mov_b32 s5, 0xbfe62e42
	s_mov_b32 s4, 0xfefa39ef
	v_fma_f64 v[14:15], s[4:5], v[12:13], v[10:11]
	s_mov_b32 s7, 0xbc7abc9e
	s_mov_b32 s6, 0x3b39803f
	;; [unrolled: 1-line block ×3, first 2 shown]
	v_fmac_f64_e32 v[14:15], s[6:7], v[12:13]
	v_mov_b32_e32 v16, 0xfca7ab0c
	v_mov_b32_e32 v17, 0x3e928af3
	s_mov_b32 s1, 0x3e5ade15
	v_fmac_f64_e32 v[16:17], s[0:1], v[14:15]
	v_mov_b32_e32 v18, 0x623fde64
	v_mov_b32_e32 v19, 0x3ec71dee
	v_fmac_f64_e32 v[18:19], v[14:15], v[16:17]
	v_mov_b32_e32 v16, 0x7c89e6b0
	v_mov_b32_e32 v17, 0x3efa0199
	v_fmac_f64_e32 v[16:17], v[14:15], v[18:19]
	v_mov_b32_e32 v18, 0x14761f6e
	v_mov_b32_e32 v19, 0x3f2a01a0
	v_fmac_f64_e32 v[18:19], v[14:15], v[16:17]
	v_mov_b32_e32 v16, 0x1852b7b0
	v_mov_b32_e32 v17, 0x3f56c16c
	v_fmac_f64_e32 v[16:17], v[14:15], v[18:19]
	v_mov_b32_e32 v18, 0x11122322
	v_mov_b32_e32 v19, 0x3f811111
	v_fmac_f64_e32 v[18:19], v[14:15], v[16:17]
	v_mov_b32_e32 v16, 0x555502a1
	v_mov_b32_e32 v17, 0x3fa55555
	v_fmac_f64_e32 v[16:17], v[14:15], v[18:19]
	v_mov_b32_e32 v18, 0x55555511
	v_mov_b32_e32 v19, 0x3fc55555
	v_fmac_f64_e32 v[18:19], v[14:15], v[16:17]
	v_mov_b32_e32 v16, 11
	v_mov_b32_e32 v17, 0x3fe00000
	s_mov_b32 s0, 0
	v_fmac_f64_e32 v[16:17], v[14:15], v[18:19]
	s_mov_b32 s1, 0x40900000
	v_fma_f64 v[16:17], v[14:15], v[16:17], 1.0
	v_cmp_nlt_f64_e32 vcc, s[0:1], v[10:11]
	s_mov_b32 s0, 0
	v_fma_f64 v[14:15], v[14:15], v[16:17], 1.0
	v_cvt_i32_f64_e32 v12, v[12:13]
	s_mov_b32 s1, 0xc090cc00
	v_ldexp_f64 v[12:13], v[14:15], v12
	v_mov_b32_e32 v14, 0x7ff00000
	v_cmp_ngt_f64_e64 s[0:1], s[0:1], v[10:11]
	v_cndmask_b32_e32 v13, v14, v13, vcc
	s_and_b64 vcc, s[0:1], vcc
	v_cndmask_b32_e64 v11, 0, v13, s[0:1]
	v_cndmask_b32_e32 v10, 0, v12, vcc
	v_add_f64 v[12:13], v[10:11], 1.0
	v_add_f64 v[14:15], v[12:13], -1.0
	v_add_f64 v[16:17], v[14:15], -v[12:13]
	v_add_f64 v[16:17], v[16:17], 1.0
	v_add_f64 v[14:15], v[10:11], -v[14:15]
	s_mov_b32 s0, 0x55555555
	v_add_f64 v[14:15], v[14:15], v[16:17]
	v_frexp_mant_f64_e32 v[16:17], v[12:13]
	s_mov_b32 s1, 0x3fe55555
	v_frexp_exp_i32_f64_e32 v18, v[12:13]
	v_cmp_gt_f64_e32 vcc, s[0:1], v[16:17]
	v_subbrev_co_u32_e32 v48, vcc, 0, v18, vcc
	v_sub_u32_e32 v16, 0, v48
	v_ldexp_f64 v[12:13], v[12:13], v16
	v_ldexp_f64 v[14:15], v[14:15], v16
	v_add_f64 v[16:17], v[12:13], -1.0
	v_add_f64 v[22:23], v[12:13], 1.0
	v_add_f64 v[18:19], v[16:17], 1.0
	v_add_f64 v[36:37], v[22:23], -1.0
	v_add_f64 v[18:19], v[12:13], -v[18:19]
	v_add_f64 v[12:13], v[12:13], -v[36:37]
	v_add_f64 v[12:13], v[14:15], v[12:13]
	v_add_f64 v[18:19], v[14:15], v[18:19]
	;; [unrolled: 1-line block ×3, first 2 shown]
	v_rcp_f64_e32 v[36:37], v[14:15]
	v_add_f64 v[20:21], v[16:17], v[18:19]
	v_add_f64 v[16:17], v[20:21], -v[16:17]
	v_add_f64 v[16:17], v[18:19], -v[16:17]
	;; [unrolled: 1-line block ×4, first 2 shown]
	v_fma_f64 v[18:19], -v[14:15], v[36:37], 1.0
	v_fmac_f64_e32 v[36:37], v[18:19], v[36:37]
	v_fma_f64 v[18:19], -v[14:15], v[36:37], 1.0
	v_fmac_f64_e32 v[36:37], v[18:19], v[36:37]
	v_mul_f64 v[18:19], v[20:21], v[36:37]
	v_mul_f64 v[22:23], v[14:15], v[18:19]
	v_fma_f64 v[42:43], v[18:19], v[14:15], -v[22:23]
	v_fmac_f64_e32 v[42:43], v[18:19], v[12:13]
	v_add_f64 v[44:45], v[22:23], v[42:43]
	s_waitcnt lgkmcnt(0)
	v_add_f64 v[46:47], v[20:21], -v[44:45]
	v_add_f64 v[20:21], v[20:21], -v[46:47]
	;; [unrolled: 1-line block ×4, first 2 shown]
	v_add_f64 v[16:17], v[16:17], v[20:21]
	v_add_f64 v[20:21], v[22:23], -v[42:43]
	v_add_f64 v[16:17], v[20:21], v[16:17]
	v_add_f64 v[20:21], v[46:47], v[16:17]
	v_add_f64 v[22:23], v[46:47], -v[20:21]
	v_add_f64 v[16:17], v[16:17], v[22:23]
	v_mul_f64 v[22:23], v[36:37], v[20:21]
	v_mul_f64 v[42:43], v[14:15], v[22:23]
	v_fma_f64 v[14:15], v[22:23], v[14:15], -v[42:43]
	v_fmac_f64_e32 v[14:15], v[22:23], v[12:13]
	v_add_f64 v[12:13], v[42:43], v[14:15]
	v_add_f64 v[44:45], v[20:21], -v[12:13]
	v_add_f64 v[20:21], v[20:21], -v[44:45]
	;; [unrolled: 1-line block ×4, first 2 shown]
	v_add_f64 v[12:13], v[16:17], v[12:13]
	v_add_f64 v[14:15], v[42:43], -v[14:15]
	v_add_f64 v[12:13], v[14:15], v[12:13]
	v_add_f64 v[14:15], v[18:19], v[22:23]
	;; [unrolled: 1-line block ×3, first 2 shown]
	v_add_f64 v[16:17], v[14:15], -v[18:19]
	v_mul_f64 v[12:13], v[36:37], v[12:13]
	v_add_f64 v[16:17], v[22:23], -v[16:17]
	v_add_f64 v[12:13], v[16:17], v[12:13]
	v_add_f64 v[16:17], v[14:15], v[12:13]
	v_add_f64 v[14:15], v[16:17], -v[14:15]
	s_mov_b32 s0, 0xbf559e2b
	v_add_f64 v[12:13], v[12:13], -v[14:15]
	v_mul_f64 v[14:15], v[16:17], v[16:17]
	v_mov_b32_e32 v18, 0x6b47b09a
	v_mov_b32_e32 v19, 0x3fc38538
	s_mov_b32 s1, 0x3fc3ab76
	v_fmac_f64_e32 v[18:19], s[0:1], v[14:15]
	v_mov_b32_e32 v20, 0xd7f4df2e
	v_mov_b32_e32 v21, 0x3fc7474d
	v_fmac_f64_e32 v[20:21], v[14:15], v[18:19]
	v_mov_b32_e32 v18, 0x16291751
	v_mov_b32_e32 v19, 0x3fcc71c0
	v_fmac_f64_e32 v[18:19], v[14:15], v[20:21]
	v_mov_b32_e32 v20, 0x9b27acf1
	v_mov_b32_e32 v21, 0x3fd24924
	v_fmac_f64_e32 v[20:21], v[14:15], v[18:19]
	v_mov_b32_e32 v18, 0x998ef7b6
	v_mov_b32_e32 v19, 0x3fd99999
	v_fmac_f64_e32 v[18:19], v[14:15], v[20:21]
	v_mov_b32_e32 v20, 0x55555780
	v_mov_b32_e32 v21, 0x3fe55555
	v_fmac_f64_e32 v[20:21], v[14:15], v[18:19]
	v_cvt_f64_i32_e32 v[18:19], v48
	s_mov_b32 s5, 0x3fe62e42
	v_mul_f64 v[22:23], v[18:19], s[4:5]
	v_fma_f64 v[36:37], v[18:19], s[4:5], -v[22:23]
	s_mov_b32 s7, 0x3c7abc9e
	v_fmac_f64_e32 v[36:37], s[6:7], v[18:19]
	v_add_f64 v[18:19], v[22:23], v[36:37]
	v_add_f64 v[22:23], v[18:19], -v[22:23]
	v_mul_f64 v[14:15], v[16:17], v[14:15]
	v_add_f64 v[22:23], v[36:37], -v[22:23]
	v_ldexp_f64 v[36:37], v[16:17], 1
	v_mul_f64 v[14:15], v[14:15], v[20:21]
	v_add_f64 v[16:17], v[36:37], v[14:15]
	v_add_f64 v[20:21], v[16:17], -v[36:37]
	v_ldexp_f64 v[12:13], v[12:13], 1
	v_add_f64 v[14:15], v[14:15], -v[20:21]
	v_add_f64 v[12:13], v[12:13], v[14:15]
	v_add_f64 v[14:15], v[16:17], v[12:13]
	v_add_f64 v[16:17], v[14:15], -v[16:17]
	v_add_f64 v[12:13], v[12:13], -v[16:17]
	v_add_f64 v[16:17], v[18:19], v[14:15]
	v_add_f64 v[20:21], v[16:17], -v[18:19]
	v_add_f64 v[36:37], v[16:17], -v[20:21]
	;; [unrolled: 1-line block ×4, first 2 shown]
	v_add_f64 v[14:15], v[14:15], v[18:19]
	v_add_f64 v[18:19], v[22:23], v[12:13]
	v_add_f64 v[20:21], v[18:19], -v[22:23]
	v_add_f64 v[14:15], v[18:19], v[14:15]
	v_add_f64 v[36:37], v[18:19], -v[20:21]
	;; [unrolled: 2-line block ×3, first 2 shown]
	v_add_f64 v[12:13], v[12:13], -v[20:21]
	v_add_f64 v[16:17], v[18:19], -v[16:17]
	v_add_f64 v[12:13], v[12:13], v[22:23]
	v_add_f64 v[14:15], v[14:15], -v[16:17]
	s_mov_b32 s0, 0
	v_add_f64 v[12:13], v[12:13], v[14:15]
	s_mov_b32 s1, 0x7ff00000
	v_add_f64 v[12:13], v[18:19], v[12:13]
	v_cmp_eq_f64_e32 vcc, s[0:1], v[10:11]
	v_cndmask_b32_e32 v12, v12, v10, vcc
	v_cndmask_b32_e32 v13, v13, v11, vcc
	v_mov_b32_e32 v14, 0x7ff80000
	v_cmp_ngt_f64_e32 vcc, -1.0, v[10:11]
	v_cndmask_b32_e32 v13, v14, v13, vcc
	v_cmp_nge_f64_e32 vcc, -1.0, v[10:11]
	v_cndmask_b32_e32 v12, 0, v12, vcc
	v_mov_b32_e32 v14, 0xfff00000
	v_cmp_neq_f64_e32 vcc, -1.0, v[10:11]
	v_cndmask_b32_e32 v13, v14, v13, vcc
	v_add_f64 v[36:37], v[4:5], v[12:13]
.LBB30_260:
	s_or_b64 exec, exec, s[2:3]
	v_max_f64 v[4:5], v[36:37], v[36:37]
	v_min_f64 v[10:11], v[4:5], v[38:39]
	v_cmp_u_f64_e32 vcc, v[36:37], v[36:37]
	v_max_f64 v[4:5], v[4:5], v[38:39]
	v_cndmask_b32_e32 v10, v10, v36, vcc
	v_cndmask_b32_e32 v11, v11, v37, vcc
	;; [unrolled: 1-line block ×4, first 2 shown]
	v_cndmask_b32_e64 v11, v11, v7, s[14:15]
	v_cndmask_b32_e64 v10, v10, v6, s[14:15]
	;; [unrolled: 1-line block ×4, first 2 shown]
	v_cmp_neq_f64_e32 vcc, v[10:11], v[4:5]
	v_cmp_class_f64_e64 s[0:1], v[10:11], s8
	s_or_b64 s[0:1], vcc, s[0:1]
	v_pk_mov_b32 v[38:39], v[36:37], v[36:37] op_sel:[0,1]
	s_and_saveexec_b64 s[2:3], s[0:1]
	s_cbranch_execz .LBB30_262
; %bb.261:
	s_mov_b32 s0, 0x652b82fe
	v_add_f64 v[6:7], v[10:11], -v[4:5]
	s_mov_b32 s1, 0x3ff71547
	v_mul_f64 v[10:11], v[6:7], s[0:1]
	v_rndne_f64_e32 v[10:11], v[10:11]
	s_mov_b32 s5, 0xbfe62e42
	s_mov_b32 s4, 0xfefa39ef
	v_fma_f64 v[12:13], s[4:5], v[10:11], v[6:7]
	s_mov_b32 s7, 0xbc7abc9e
	s_mov_b32 s6, 0x3b39803f
	;; [unrolled: 1-line block ×3, first 2 shown]
	v_fmac_f64_e32 v[12:13], s[6:7], v[10:11]
	v_mov_b32_e32 v14, 0xfca7ab0c
	v_mov_b32_e32 v15, 0x3e928af3
	s_mov_b32 s1, 0x3e5ade15
	v_fmac_f64_e32 v[14:15], s[0:1], v[12:13]
	v_mov_b32_e32 v16, 0x623fde64
	v_mov_b32_e32 v17, 0x3ec71dee
	v_fmac_f64_e32 v[16:17], v[12:13], v[14:15]
	v_mov_b32_e32 v14, 0x7c89e6b0
	v_mov_b32_e32 v15, 0x3efa0199
	;; [unrolled: 3-line block ×8, first 2 shown]
	s_mov_b32 s0, 0
	v_fmac_f64_e32 v[14:15], v[12:13], v[16:17]
	s_mov_b32 s1, 0x40900000
	v_fma_f64 v[14:15], v[12:13], v[14:15], 1.0
	v_cmp_nlt_f64_e32 vcc, s[0:1], v[6:7]
	s_mov_b32 s0, 0
	v_fma_f64 v[12:13], v[12:13], v[14:15], 1.0
	v_cvt_i32_f64_e32 v10, v[10:11]
	s_mov_b32 s1, 0xc090cc00
	v_ldexp_f64 v[10:11], v[12:13], v10
	v_mov_b32_e32 v12, 0x7ff00000
	v_cmp_ngt_f64_e64 s[0:1], s[0:1], v[6:7]
	v_cndmask_b32_e32 v11, v12, v11, vcc
	s_and_b64 vcc, s[0:1], vcc
	v_cndmask_b32_e64 v7, 0, v11, s[0:1]
	v_cndmask_b32_e32 v6, 0, v10, vcc
	v_add_f64 v[10:11], v[6:7], 1.0
	v_add_f64 v[12:13], v[10:11], -1.0
	v_add_f64 v[14:15], v[12:13], -v[10:11]
	v_add_f64 v[14:15], v[14:15], 1.0
	v_add_f64 v[12:13], v[6:7], -v[12:13]
	s_mov_b32 s0, 0x55555555
	v_add_f64 v[12:13], v[12:13], v[14:15]
	v_frexp_mant_f64_e32 v[14:15], v[10:11]
	s_mov_b32 s1, 0x3fe55555
	v_frexp_exp_i32_f64_e32 v16, v[10:11]
	v_cmp_gt_f64_e32 vcc, s[0:1], v[14:15]
	s_waitcnt lgkmcnt(1)
	v_subbrev_co_u32_e32 v46, vcc, 0, v16, vcc
	v_sub_u32_e32 v14, 0, v46
	v_ldexp_f64 v[10:11], v[10:11], v14
	v_ldexp_f64 v[12:13], v[12:13], v14
	v_add_f64 v[14:15], v[10:11], -1.0
	v_add_f64 v[20:21], v[10:11], 1.0
	v_add_f64 v[16:17], v[14:15], 1.0
	v_add_f64 v[22:23], v[20:21], -1.0
	v_add_f64 v[16:17], v[10:11], -v[16:17]
	v_add_f64 v[10:11], v[10:11], -v[22:23]
	v_add_f64 v[10:11], v[12:13], v[10:11]
	v_add_f64 v[16:17], v[12:13], v[16:17]
	;; [unrolled: 1-line block ×3, first 2 shown]
	v_rcp_f64_e32 v[22:23], v[12:13]
	v_add_f64 v[18:19], v[14:15], v[16:17]
	v_add_f64 v[14:15], v[18:19], -v[14:15]
	v_add_f64 v[14:15], v[16:17], -v[14:15]
	v_add_f64 v[16:17], v[12:13], -v[20:21]
	v_add_f64 v[10:11], v[10:11], -v[16:17]
	v_fma_f64 v[16:17], -v[12:13], v[22:23], 1.0
	v_fmac_f64_e32 v[22:23], v[16:17], v[22:23]
	v_fma_f64 v[16:17], -v[12:13], v[22:23], 1.0
	v_fmac_f64_e32 v[22:23], v[16:17], v[22:23]
	v_mul_f64 v[16:17], v[18:19], v[22:23]
	v_mul_f64 v[20:21], v[12:13], v[16:17]
	v_fma_f64 v[38:39], v[16:17], v[12:13], -v[20:21]
	v_fmac_f64_e32 v[38:39], v[16:17], v[10:11]
	v_add_f64 v[42:43], v[20:21], v[38:39]
	v_add_f64 v[44:45], v[18:19], -v[42:43]
	v_add_f64 v[18:19], v[18:19], -v[44:45]
	;; [unrolled: 1-line block ×4, first 2 shown]
	v_add_f64 v[14:15], v[14:15], v[18:19]
	v_add_f64 v[18:19], v[20:21], -v[38:39]
	v_add_f64 v[14:15], v[18:19], v[14:15]
	v_add_f64 v[18:19], v[44:45], v[14:15]
	v_add_f64 v[20:21], v[44:45], -v[18:19]
	v_add_f64 v[14:15], v[14:15], v[20:21]
	v_mul_f64 v[20:21], v[22:23], v[18:19]
	v_mul_f64 v[38:39], v[12:13], v[20:21]
	v_fma_f64 v[12:13], v[20:21], v[12:13], -v[38:39]
	v_fmac_f64_e32 v[12:13], v[20:21], v[10:11]
	v_add_f64 v[10:11], v[38:39], v[12:13]
	v_add_f64 v[42:43], v[18:19], -v[10:11]
	v_add_f64 v[18:19], v[18:19], -v[42:43]
	;; [unrolled: 1-line block ×4, first 2 shown]
	v_add_f64 v[10:11], v[14:15], v[10:11]
	v_add_f64 v[12:13], v[38:39], -v[12:13]
	v_add_f64 v[10:11], v[12:13], v[10:11]
	v_add_f64 v[12:13], v[16:17], v[20:21]
	;; [unrolled: 1-line block ×3, first 2 shown]
	v_add_f64 v[14:15], v[12:13], -v[16:17]
	v_mul_f64 v[10:11], v[22:23], v[10:11]
	v_add_f64 v[14:15], v[20:21], -v[14:15]
	v_add_f64 v[10:11], v[14:15], v[10:11]
	v_add_f64 v[14:15], v[12:13], v[10:11]
	v_add_f64 v[12:13], v[14:15], -v[12:13]
	s_mov_b32 s0, 0xbf559e2b
	v_add_f64 v[10:11], v[10:11], -v[12:13]
	v_mul_f64 v[12:13], v[14:15], v[14:15]
	v_mov_b32_e32 v16, 0x6b47b09a
	v_mov_b32_e32 v17, 0x3fc38538
	s_mov_b32 s1, 0x3fc3ab76
	v_fmac_f64_e32 v[16:17], s[0:1], v[12:13]
	v_mov_b32_e32 v18, 0xd7f4df2e
	v_mov_b32_e32 v19, 0x3fc7474d
	v_fmac_f64_e32 v[18:19], v[12:13], v[16:17]
	v_mov_b32_e32 v16, 0x16291751
	v_mov_b32_e32 v17, 0x3fcc71c0
	;; [unrolled: 3-line block ×5, first 2 shown]
	v_fmac_f64_e32 v[18:19], v[12:13], v[16:17]
	v_cvt_f64_i32_e32 v[16:17], v46
	s_mov_b32 s5, 0x3fe62e42
	v_mul_f64 v[20:21], v[16:17], s[4:5]
	v_fma_f64 v[22:23], v[16:17], s[4:5], -v[20:21]
	s_mov_b32 s7, 0x3c7abc9e
	v_fmac_f64_e32 v[22:23], s[6:7], v[16:17]
	v_add_f64 v[16:17], v[20:21], v[22:23]
	v_add_f64 v[20:21], v[16:17], -v[20:21]
	v_mul_f64 v[12:13], v[14:15], v[12:13]
	v_add_f64 v[20:21], v[22:23], -v[20:21]
	v_ldexp_f64 v[22:23], v[14:15], 1
	v_mul_f64 v[12:13], v[12:13], v[18:19]
	v_add_f64 v[14:15], v[22:23], v[12:13]
	v_add_f64 v[18:19], v[14:15], -v[22:23]
	v_ldexp_f64 v[10:11], v[10:11], 1
	v_add_f64 v[12:13], v[12:13], -v[18:19]
	v_add_f64 v[10:11], v[10:11], v[12:13]
	v_add_f64 v[12:13], v[14:15], v[10:11]
	v_add_f64 v[14:15], v[12:13], -v[14:15]
	v_add_f64 v[10:11], v[10:11], -v[14:15]
	v_add_f64 v[14:15], v[16:17], v[12:13]
	v_add_f64 v[18:19], v[14:15], -v[16:17]
	v_add_f64 v[22:23], v[14:15], -v[18:19]
	;; [unrolled: 1-line block ×4, first 2 shown]
	v_add_f64 v[12:13], v[12:13], v[16:17]
	v_add_f64 v[16:17], v[20:21], v[10:11]
	v_add_f64 v[18:19], v[16:17], -v[20:21]
	v_add_f64 v[12:13], v[16:17], v[12:13]
	v_add_f64 v[22:23], v[16:17], -v[18:19]
	v_add_f64 v[16:17], v[14:15], v[12:13]
	v_add_f64 v[20:21], v[20:21], -v[22:23]
	v_add_f64 v[10:11], v[10:11], -v[18:19]
	v_add_f64 v[14:15], v[16:17], -v[14:15]
	v_add_f64 v[10:11], v[10:11], v[20:21]
	v_add_f64 v[12:13], v[12:13], -v[14:15]
	s_mov_b32 s0, 0
	v_add_f64 v[10:11], v[10:11], v[12:13]
	s_mov_b32 s1, 0x7ff00000
	v_add_f64 v[10:11], v[16:17], v[10:11]
	v_cmp_eq_f64_e32 vcc, s[0:1], v[6:7]
	v_cndmask_b32_e32 v10, v10, v6, vcc
	v_cndmask_b32_e32 v11, v11, v7, vcc
	v_mov_b32_e32 v12, 0x7ff80000
	v_cmp_ngt_f64_e32 vcc, -1.0, v[6:7]
	v_cndmask_b32_e32 v11, v12, v11, vcc
	v_cmp_nge_f64_e32 vcc, -1.0, v[6:7]
	v_cndmask_b32_e32 v10, 0, v10, vcc
	v_mov_b32_e32 v12, 0xfff00000
	v_cmp_neq_f64_e32 vcc, -1.0, v[6:7]
	v_cndmask_b32_e32 v11, v12, v11, vcc
	v_add_f64 v[38:39], v[4:5], v[10:11]
.LBB30_262:
	s_or_b64 exec, exec, s[2:3]
	v_max_f64 v[4:5], v[38:39], v[38:39]
	v_min_f64 v[6:7], v[4:5], v[40:41]
	v_cmp_u_f64_e32 vcc, v[38:39], v[38:39]
	v_max_f64 v[4:5], v[4:5], v[40:41]
	v_cndmask_b32_e32 v6, v6, v38, vcc
	v_cndmask_b32_e32 v7, v7, v39, vcc
	;; [unrolled: 1-line block ×4, first 2 shown]
	v_cndmask_b32_e64 v7, v7, v9, s[16:17]
	v_cndmask_b32_e64 v6, v6, v8, s[16:17]
	;; [unrolled: 1-line block ×4, first 2 shown]
	s_movk_i32 s0, 0x1f8
	v_cmp_neq_f64_e32 vcc, v[6:7], v[4:5]
	v_cmp_class_f64_e64 s[0:1], v[6:7], s0
	s_or_b64 s[0:1], vcc, s[0:1]
	v_pk_mov_b32 v[40:41], v[38:39], v[38:39] op_sel:[0,1]
	s_and_saveexec_b64 s[2:3], s[0:1]
	s_cbranch_execz .LBB30_264
; %bb.263:
	s_mov_b32 s0, 0x652b82fe
	v_add_f64 v[6:7], v[6:7], -v[4:5]
	s_mov_b32 s1, 0x3ff71547
	v_mul_f64 v[8:9], v[6:7], s[0:1]
	v_rndne_f64_e32 v[8:9], v[8:9]
	s_mov_b32 s5, 0xbfe62e42
	s_mov_b32 s4, 0xfefa39ef
	v_fma_f64 v[10:11], s[4:5], v[8:9], v[6:7]
	s_mov_b32 s7, 0xbc7abc9e
	s_mov_b32 s6, 0x3b39803f
	;; [unrolled: 1-line block ×3, first 2 shown]
	v_fmac_f64_e32 v[10:11], s[6:7], v[8:9]
	v_mov_b32_e32 v12, 0xfca7ab0c
	v_mov_b32_e32 v13, 0x3e928af3
	s_mov_b32 s1, 0x3e5ade15
	v_fmac_f64_e32 v[12:13], s[0:1], v[10:11]
	v_mov_b32_e32 v14, 0x623fde64
	v_mov_b32_e32 v15, 0x3ec71dee
	v_fmac_f64_e32 v[14:15], v[10:11], v[12:13]
	v_mov_b32_e32 v12, 0x7c89e6b0
	v_mov_b32_e32 v13, 0x3efa0199
	;; [unrolled: 3-line block ×8, first 2 shown]
	s_mov_b32 s0, 0
	v_fmac_f64_e32 v[12:13], v[10:11], v[14:15]
	s_mov_b32 s1, 0x40900000
	v_fma_f64 v[12:13], v[10:11], v[12:13], 1.0
	v_cmp_nlt_f64_e32 vcc, s[0:1], v[6:7]
	s_mov_b32 s0, 0
	v_fma_f64 v[10:11], v[10:11], v[12:13], 1.0
	v_cvt_i32_f64_e32 v8, v[8:9]
	s_mov_b32 s1, 0xc090cc00
	v_ldexp_f64 v[8:9], v[10:11], v8
	v_mov_b32_e32 v10, 0x7ff00000
	v_cmp_ngt_f64_e64 s[0:1], s[0:1], v[6:7]
	v_cndmask_b32_e32 v9, v10, v9, vcc
	s_and_b64 vcc, s[0:1], vcc
	v_cndmask_b32_e64 v7, 0, v9, s[0:1]
	v_cndmask_b32_e32 v6, 0, v8, vcc
	v_add_f64 v[8:9], v[6:7], 1.0
	v_add_f64 v[10:11], v[8:9], -1.0
	v_add_f64 v[12:13], v[10:11], -v[8:9]
	v_add_f64 v[12:13], v[12:13], 1.0
	v_add_f64 v[10:11], v[6:7], -v[10:11]
	s_mov_b32 s0, 0x55555555
	v_add_f64 v[10:11], v[10:11], v[12:13]
	v_frexp_mant_f64_e32 v[12:13], v[8:9]
	s_mov_b32 s1, 0x3fe55555
	v_frexp_exp_i32_f64_e32 v14, v[8:9]
	v_cmp_gt_f64_e32 vcc, s[0:1], v[12:13]
	v_subbrev_co_u32_e32 v44, vcc, 0, v14, vcc
	v_sub_u32_e32 v12, 0, v44
	v_ldexp_f64 v[8:9], v[8:9], v12
	v_ldexp_f64 v[10:11], v[10:11], v12
	v_add_f64 v[12:13], v[8:9], -1.0
	v_add_f64 v[18:19], v[8:9], 1.0
	v_add_f64 v[14:15], v[12:13], 1.0
	v_add_f64 v[20:21], v[18:19], -1.0
	v_add_f64 v[14:15], v[8:9], -v[14:15]
	v_add_f64 v[8:9], v[8:9], -v[20:21]
	v_add_f64 v[8:9], v[10:11], v[8:9]
	v_add_f64 v[14:15], v[10:11], v[14:15]
	;; [unrolled: 1-line block ×3, first 2 shown]
	v_rcp_f64_e32 v[20:21], v[10:11]
	v_add_f64 v[16:17], v[12:13], v[14:15]
	v_add_f64 v[12:13], v[16:17], -v[12:13]
	v_add_f64 v[12:13], v[14:15], -v[12:13]
	;; [unrolled: 1-line block ×4, first 2 shown]
	v_fma_f64 v[14:15], -v[10:11], v[20:21], 1.0
	v_fmac_f64_e32 v[20:21], v[14:15], v[20:21]
	v_fma_f64 v[14:15], -v[10:11], v[20:21], 1.0
	v_fmac_f64_e32 v[20:21], v[14:15], v[20:21]
	v_mul_f64 v[14:15], v[16:17], v[20:21]
	v_mul_f64 v[18:19], v[10:11], v[14:15]
	v_fma_f64 v[22:23], v[14:15], v[10:11], -v[18:19]
	v_fmac_f64_e32 v[22:23], v[14:15], v[8:9]
	v_add_f64 v[40:41], v[18:19], v[22:23]
	v_add_f64 v[42:43], v[16:17], -v[40:41]
	v_add_f64 v[16:17], v[16:17], -v[42:43]
	;; [unrolled: 1-line block ×4, first 2 shown]
	v_add_f64 v[12:13], v[12:13], v[16:17]
	v_add_f64 v[16:17], v[18:19], -v[22:23]
	v_add_f64 v[12:13], v[16:17], v[12:13]
	v_add_f64 v[16:17], v[42:43], v[12:13]
	v_add_f64 v[18:19], v[42:43], -v[16:17]
	v_add_f64 v[12:13], v[12:13], v[18:19]
	v_mul_f64 v[18:19], v[20:21], v[16:17]
	v_mul_f64 v[22:23], v[10:11], v[18:19]
	v_fma_f64 v[10:11], v[18:19], v[10:11], -v[22:23]
	v_fmac_f64_e32 v[10:11], v[18:19], v[8:9]
	v_add_f64 v[8:9], v[22:23], v[10:11]
	v_add_f64 v[40:41], v[16:17], -v[8:9]
	v_add_f64 v[16:17], v[16:17], -v[40:41]
	;; [unrolled: 1-line block ×4, first 2 shown]
	v_add_f64 v[8:9], v[12:13], v[8:9]
	v_add_f64 v[10:11], v[22:23], -v[10:11]
	v_add_f64 v[8:9], v[10:11], v[8:9]
	v_add_f64 v[10:11], v[14:15], v[18:19]
	;; [unrolled: 1-line block ×3, first 2 shown]
	v_add_f64 v[12:13], v[10:11], -v[14:15]
	v_mul_f64 v[8:9], v[20:21], v[8:9]
	v_add_f64 v[12:13], v[18:19], -v[12:13]
	v_add_f64 v[8:9], v[12:13], v[8:9]
	v_add_f64 v[12:13], v[10:11], v[8:9]
	v_add_f64 v[10:11], v[12:13], -v[10:11]
	s_mov_b32 s0, 0xbf559e2b
	v_add_f64 v[8:9], v[8:9], -v[10:11]
	v_mul_f64 v[10:11], v[12:13], v[12:13]
	v_mov_b32_e32 v14, 0x6b47b09a
	v_mov_b32_e32 v15, 0x3fc38538
	s_mov_b32 s1, 0x3fc3ab76
	v_fmac_f64_e32 v[14:15], s[0:1], v[10:11]
	v_mov_b32_e32 v16, 0xd7f4df2e
	v_mov_b32_e32 v17, 0x3fc7474d
	v_fmac_f64_e32 v[16:17], v[10:11], v[14:15]
	v_mov_b32_e32 v14, 0x16291751
	v_mov_b32_e32 v15, 0x3fcc71c0
	;; [unrolled: 3-line block ×5, first 2 shown]
	v_fmac_f64_e32 v[16:17], v[10:11], v[14:15]
	v_cvt_f64_i32_e32 v[14:15], v44
	s_mov_b32 s5, 0x3fe62e42
	v_mul_f64 v[18:19], v[14:15], s[4:5]
	v_fma_f64 v[20:21], v[14:15], s[4:5], -v[18:19]
	s_mov_b32 s7, 0x3c7abc9e
	v_fmac_f64_e32 v[20:21], s[6:7], v[14:15]
	v_add_f64 v[14:15], v[18:19], v[20:21]
	v_add_f64 v[18:19], v[14:15], -v[18:19]
	v_mul_f64 v[10:11], v[12:13], v[10:11]
	v_add_f64 v[18:19], v[20:21], -v[18:19]
	v_ldexp_f64 v[20:21], v[12:13], 1
	v_mul_f64 v[10:11], v[10:11], v[16:17]
	v_add_f64 v[12:13], v[20:21], v[10:11]
	v_add_f64 v[16:17], v[12:13], -v[20:21]
	v_ldexp_f64 v[8:9], v[8:9], 1
	v_add_f64 v[10:11], v[10:11], -v[16:17]
	v_add_f64 v[8:9], v[8:9], v[10:11]
	v_add_f64 v[10:11], v[12:13], v[8:9]
	v_add_f64 v[12:13], v[10:11], -v[12:13]
	v_add_f64 v[8:9], v[8:9], -v[12:13]
	v_add_f64 v[12:13], v[14:15], v[10:11]
	v_add_f64 v[16:17], v[12:13], -v[14:15]
	v_add_f64 v[20:21], v[12:13], -v[16:17]
	;; [unrolled: 1-line block ×4, first 2 shown]
	v_add_f64 v[10:11], v[10:11], v[14:15]
	v_add_f64 v[14:15], v[18:19], v[8:9]
	v_add_f64 v[16:17], v[14:15], -v[18:19]
	v_add_f64 v[10:11], v[14:15], v[10:11]
	v_add_f64 v[20:21], v[14:15], -v[16:17]
	;; [unrolled: 2-line block ×3, first 2 shown]
	v_add_f64 v[8:9], v[8:9], -v[16:17]
	v_add_f64 v[12:13], v[14:15], -v[12:13]
	v_add_f64 v[8:9], v[8:9], v[18:19]
	v_add_f64 v[10:11], v[10:11], -v[12:13]
	s_mov_b32 s0, 0
	v_add_f64 v[8:9], v[8:9], v[10:11]
	s_mov_b32 s1, 0x7ff00000
	v_add_f64 v[8:9], v[14:15], v[8:9]
	v_cmp_eq_f64_e32 vcc, s[0:1], v[6:7]
	v_cndmask_b32_e32 v8, v8, v6, vcc
	v_cndmask_b32_e32 v9, v9, v7, vcc
	v_mov_b32_e32 v10, 0x7ff80000
	v_cmp_ngt_f64_e32 vcc, -1.0, v[6:7]
	v_cndmask_b32_e32 v9, v10, v9, vcc
	v_cmp_nge_f64_e32 vcc, -1.0, v[6:7]
	v_cndmask_b32_e32 v8, 0, v8, vcc
	v_mov_b32_e32 v10, 0xfff00000
	v_cmp_neq_f64_e32 vcc, -1.0, v[6:7]
	v_cndmask_b32_e32 v9, v10, v9, vcc
	v_add_f64 v[40:41], v[4:5], v[8:9]
.LBB30_264:
	s_or_b64 exec, exec, s[2:3]
	s_movk_i32 s0, 0x7f
	v_cmp_eq_u32_e32 vcc, s0, v0
	s_and_saveexec_b64 s[0:1], vcc
	s_cbranch_execz .LBB30_266
; %bb.265:
	s_add_u32 s2, s34, 0x400
	s_addc_u32 s3, s35, 0
	v_mov_b32_e32 v6, 2
	v_mov_b32_e32 v7, 0
	;; [unrolled: 1-line block ×4, first 2 shown]
	v_pk_mov_b32 v[8:9], s[2:3], s[2:3] op_sel:[0,1]
	;;#ASMSTART
	global_store_dwordx4 v[8:9], v[4:7] off	
s_waitcnt vmcnt(0)
	;;#ASMEND
.LBB30_266:
	s_or_b64 exec, exec, s[0:1]
	v_pk_mov_b32 v[22:23], v[2:3], v[2:3] op_sel:[0,1]
.LBB30_267:
	s_add_u32 s0, s28, s44
	s_addc_u32 s1, s29, s45
	s_add_u32 s0, s0, s46
	s_addc_u32 s1, s1, s47
	s_mov_b64 s[2:3], -1
	s_and_b64 vcc, exec, s[30:31]
	s_waitcnt lgkmcnt(0)
	s_barrier
	s_cbranch_vccz .LBB30_269
; %bb.268:
	ds_write_b128 v1, v[22:25]
	ds_write_b128 v1, v[26:29] offset:16
	ds_write_b128 v1, v[30:33] offset:32
	;; [unrolled: 1-line block ×4, first 2 shown]
	s_waitcnt lgkmcnt(0)
	s_barrier
	ds_read2st64_b64 v[2:5], v92 offset1:2
	ds_read2st64_b64 v[6:9], v92 offset0:4 offset1:6
	ds_read2st64_b64 v[10:13], v92 offset0:8 offset1:10
	;; [unrolled: 1-line block ×4, first 2 shown]
	v_mov_b32_e32 v42, s1
	v_add_co_u32_e32 v43, vcc, s0, v92
	v_addc_co_u32_e32 v42, vcc, 0, v42, vcc
	s_movk_i32 s2, 0x1000
	s_waitcnt lgkmcnt(4)
	global_store_dwordx2 v92, v[2:3], s[0:1]
	global_store_dwordx2 v92, v[4:5], s[0:1] offset:1024
	s_waitcnt lgkmcnt(3)
	global_store_dwordx2 v92, v[6:7], s[0:1] offset:2048
	global_store_dwordx2 v92, v[8:9], s[0:1] offset:3072
	v_add_co_u32_e32 v2, vcc, s2, v43
	v_addc_co_u32_e32 v3, vcc, 0, v42, vcc
	s_waitcnt lgkmcnt(2)
	global_store_dwordx2 v[2:3], v[10:11], off
	global_store_dwordx2 v[2:3], v[12:13], off offset:1024
	s_waitcnt lgkmcnt(1)
	global_store_dwordx2 v[2:3], v[14:15], off offset:2048
	global_store_dwordx2 v[2:3], v[16:17], off offset:3072
	v_add_co_u32_e32 v2, vcc, 0x2000, v43
	v_addc_co_u32_e32 v3, vcc, 0, v42, vcc
	s_waitcnt lgkmcnt(0)
	global_store_dwordx2 v[2:3], v[18:19], off
	global_store_dwordx2 v[2:3], v[20:21], off offset:1024
	s_mov_b64 s[2:3], 0
.LBB30_269:
	s_andn2_b64 vcc, exec, s[2:3]
	s_cbranch_vccnz .LBB30_325
; %bb.270:
	ds_write_b128 v1, v[22:25]
	ds_write_b128 v1, v[26:29] offset:16
	ds_write_b128 v1, v[30:33] offset:32
	;; [unrolled: 1-line block ×4, first 2 shown]
	s_waitcnt lgkmcnt(0)
	s_barrier
	ds_read2st64_b64 v[2:5], v92 offset1:2
	ds_read2st64_b64 v[10:13], v92 offset0:4 offset1:6
	ds_read2st64_b64 v[6:9], v92 offset0:8 offset1:10
	;; [unrolled: 1-line block ×4, first 2 shown]
	v_mov_b32_e32 v23, s1
	v_add_co_u32_e32 v22, vcc, s0, v92
	v_addc_co_u32_e32 v23, vcc, 0, v23, vcc
	v_mov_b32_e32 v1, 0
	v_cmp_gt_u32_e32 vcc, s33, v0
	s_and_saveexec_b64 s[0:1], vcc
	s_cbranch_execz .LBB30_272
; %bb.271:
	s_waitcnt lgkmcnt(4)
	global_store_dwordx2 v[22:23], v[2:3], off
.LBB30_272:
	s_or_b64 exec, exec, s[0:1]
	v_or_b32_e32 v24, 0x80, v0
	v_cmp_gt_u32_e32 vcc, s33, v24
	s_and_saveexec_b64 s[0:1], vcc
	s_cbranch_execz .LBB30_274
; %bb.273:
	s_waitcnt lgkmcnt(4)
	global_store_dwordx2 v[22:23], v[4:5], off offset:1024
.LBB30_274:
	s_or_b64 exec, exec, s[0:1]
	v_or_b32_e32 v24, 0x100, v0
	v_cmp_gt_u32_e32 vcc, s33, v24
	s_and_saveexec_b64 s[0:1], vcc
	s_cbranch_execz .LBB30_276
; %bb.275:
	s_waitcnt lgkmcnt(3)
	global_store_dwordx2 v[22:23], v[10:11], off offset:2048
.LBB30_276:
	;; [unrolled: 9-line block ×3, first 2 shown]
	s_or_b64 exec, exec, s[0:1]
	v_or_b32_e32 v24, 0x200, v0
	v_cmp_gt_u32_e32 vcc, s33, v24
	s_and_saveexec_b64 s[0:1], vcc
	s_cbranch_execz .LBB30_280
; %bb.279:
	v_add_co_u32_e32 v24, vcc, 0x1000, v22
	v_addc_co_u32_e32 v25, vcc, 0, v23, vcc
	s_waitcnt lgkmcnt(2)
	global_store_dwordx2 v[24:25], v[6:7], off
.LBB30_280:
	s_or_b64 exec, exec, s[0:1]
	v_or_b32_e32 v24, 0x280, v0
	v_cmp_gt_u32_e32 vcc, s33, v24
	s_and_saveexec_b64 s[0:1], vcc
	s_cbranch_execz .LBB30_282
; %bb.281:
	v_add_co_u32_e32 v24, vcc, 0x1000, v22
	v_addc_co_u32_e32 v25, vcc, 0, v23, vcc
	s_waitcnt lgkmcnt(2)
	global_store_dwordx2 v[24:25], v[8:9], off offset:1024
.LBB30_282:
	s_or_b64 exec, exec, s[0:1]
	v_or_b32_e32 v24, 0x300, v0
	v_cmp_gt_u32_e32 vcc, s33, v24
	s_and_saveexec_b64 s[0:1], vcc
	s_cbranch_execz .LBB30_284
; %bb.283:
	v_add_co_u32_e32 v24, vcc, 0x1000, v22
	v_addc_co_u32_e32 v25, vcc, 0, v23, vcc
	s_waitcnt lgkmcnt(1)
	global_store_dwordx2 v[24:25], v[14:15], off offset:2048
.LBB30_284:
	s_or_b64 exec, exec, s[0:1]
	v_or_b32_e32 v24, 0x380, v0
	v_cmp_gt_u32_e32 vcc, s33, v24
	s_and_saveexec_b64 s[0:1], vcc
	s_cbranch_execz .LBB30_286
; %bb.285:
	v_add_co_u32_e32 v24, vcc, 0x1000, v22
	v_addc_co_u32_e32 v25, vcc, 0, v23, vcc
	s_waitcnt lgkmcnt(1)
	global_store_dwordx2 v[24:25], v[16:17], off offset:3072
.LBB30_286:
	s_or_b64 exec, exec, s[0:1]
	v_or_b32_e32 v24, 0x400, v0
	v_cmp_gt_u32_e32 vcc, s33, v24
	s_and_saveexec_b64 s[0:1], vcc
	s_cbranch_execz .LBB30_288
; %bb.287:
	v_add_co_u32_e32 v24, vcc, 0x2000, v22
	v_addc_co_u32_e32 v25, vcc, 0, v23, vcc
	s_waitcnt lgkmcnt(0)
	global_store_dwordx2 v[24:25], v[18:19], off
.LBB30_288:
	s_or_b64 exec, exec, s[0:1]
	v_or_b32_e32 v24, 0x480, v0
	v_cmp_gt_u32_e32 vcc, s33, v24
	s_and_saveexec_b64 s[0:1], vcc
	s_cbranch_execz .LBB30_290
; %bb.289:
	v_add_co_u32_e32 v22, vcc, 0x2000, v22
	v_addc_co_u32_e32 v23, vcc, 0, v23, vcc
	s_waitcnt lgkmcnt(0)
	global_store_dwordx2 v[22:23], v[20:21], off offset:1024
.LBB30_290:
	s_or_b64 exec, exec, s[0:1]
	v_cmp_lt_u64_e64 s[0:1], s[42:43], 2
	s_and_b64 vcc, exec, s[0:1]
	s_cbranch_vccnz .LBB30_325
; %bb.291:
	s_add_u32 s0, s33, -1
	s_addc_u32 s1, s76, -1
	s_add_u32 s2, 0, 0x99986000
	s_addc_u32 s3, 0, 0x59
	s_add_i32 s3, s3, 0x19999940
	s_mul_hi_u32 s7, s2, -10
	s_sub_i32 s7, s7, s2
	s_mul_i32 s8, s3, -10
	s_mul_i32 s4, s2, -10
	s_add_i32 s7, s7, s8
	s_mul_hi_u32 s5, s3, s4
	s_mul_i32 s6, s3, s4
	s_mul_i32 s9, s2, s7
	s_mul_hi_u32 s4, s2, s4
	s_mul_hi_u32 s8, s2, s7
	s_add_u32 s4, s4, s9
	s_addc_u32 s8, 0, s8
	s_add_u32 s4, s4, s6
	s_mul_hi_u32 s9, s3, s7
	s_addc_u32 s4, s8, s5
	s_addc_u32 s5, s9, 0
	s_mul_i32 s6, s3, s7
	s_add_u32 s4, s4, s6
	v_mov_b32_e32 v22, s4
	s_addc_u32 s5, 0, s5
	v_add_co_u32_e32 v22, vcc, s2, v22
	s_cmp_lg_u64 vcc, 0
	s_addc_u32 s2, s3, s5
	v_readfirstlane_b32 s5, v22
	s_mul_i32 s4, s0, s2
	s_mul_hi_u32 s6, s0, s5
	s_mul_hi_u32 s3, s0, s2
	s_add_u32 s4, s6, s4
	s_addc_u32 s3, 0, s3
	s_mul_hi_u32 s7, s1, s5
	s_mul_i32 s5, s1, s5
	s_add_u32 s4, s4, s5
	s_mul_hi_u32 s6, s1, s2
	s_addc_u32 s3, s3, s7
	s_addc_u32 s4, s6, 0
	s_mul_i32 s2, s1, s2
	s_add_u32 s2, s3, s2
	s_addc_u32 s3, 0, s4
	s_add_u32 s4, s2, 1
	s_addc_u32 s5, s3, 0
	s_add_u32 s6, s2, 2
	s_mul_i32 s8, s3, 10
	s_mul_hi_u32 s9, s2, 10
	s_addc_u32 s7, s3, 0
	s_add_i32 s9, s9, s8
	s_mul_i32 s8, s2, 10
	v_mov_b32_e32 v22, s8
	v_sub_co_u32_e32 v22, vcc, s0, v22
	s_cmp_lg_u64 vcc, 0
	s_subb_u32 s8, s1, s9
	v_subrev_co_u32_e32 v23, vcc, 10, v22
	s_cmp_lg_u64 vcc, 0
	s_subb_u32 s9, s8, 0
	v_readfirstlane_b32 s10, v23
	s_cmp_gt_u32 s10, 9
	s_cselect_b32 s10, -1, 0
	s_cmp_eq_u32 s9, 0
	s_cselect_b32 s9, s10, -1
	s_cmp_lg_u32 s9, 0
	s_cselect_b32 s4, s6, s4
	v_readfirstlane_b32 s6, v22
	s_cselect_b32 s5, s7, s5
	s_cmp_gt_u32 s6, 9
	s_cselect_b32 s6, -1, 0
	s_cmp_eq_u32 s8, 0
	s_cselect_b32 s6, s6, -1
	s_cmp_lg_u32 s6, 0
	s_cselect_b32 s3, s5, s3
	s_cselect_b32 s2, s4, s2
	v_cmp_eq_u64_e32 vcc, s[2:3], v[0:1]
	s_and_saveexec_b64 s[2:3], vcc
	s_cbranch_execz .LBB30_325
; %bb.292:
	v_mul_hi_u32_u24_e32 v1, 10, v0
	v_mov_b32_e32 v22, s1
	v_sub_co_u32_e32 v0, vcc, s0, v93
	v_subb_co_u32_e32 v1, vcc, v22, v1, vcc
	v_cmp_lt_i64_e32 vcc, 4, v[0:1]
	s_and_saveexec_b64 s[0:1], vcc
	s_xor_b64 s[0:1], exec, s[0:1]
	s_cbranch_execz .LBB30_310
; %bb.293:
	v_cmp_lt_i64_e32 vcc, 6, v[0:1]
	s_and_saveexec_b64 s[2:3], vcc
	s_xor_b64 s[2:3], exec, s[2:3]
	s_cbranch_execz .LBB30_303
; %bb.294:
	;; [unrolled: 5-line block ×4, first 2 shown]
	v_mov_b32_e32 v0, 0
	s_waitcnt lgkmcnt(0)
	global_store_dwordx2 v0, v[20:21], s[38:39]
                                        ; implicit-def: $vgpr18_vgpr19_vgpr20_vgpr21
.LBB30_297:
	s_andn2_saveexec_b64 s[6:7], s[6:7]
	s_cbranch_execz .LBB30_299
; %bb.298:
	v_mov_b32_e32 v0, 0
	s_waitcnt lgkmcnt(0)
	global_store_dwordx2 v0, v[18:19], s[38:39]
.LBB30_299:
	s_or_b64 exec, exec, s[6:7]
                                        ; implicit-def: $vgpr14_vgpr15_vgpr16_vgpr17
.LBB30_300:
	s_andn2_saveexec_b64 s[4:5], s[4:5]
	s_cbranch_execz .LBB30_302
; %bb.301:
	v_mov_b32_e32 v0, 0
	s_waitcnt lgkmcnt(1)
	global_store_dwordx2 v0, v[16:17], s[38:39]
.LBB30_302:
	s_or_b64 exec, exec, s[4:5]
                                        ; implicit-def: $vgpr6_vgpr7_vgpr8_vgpr9
                                        ; implicit-def: $vgpr0_vgpr1
                                        ; implicit-def: $vgpr14_vgpr15_vgpr16_vgpr17
.LBB30_303:
	s_andn2_saveexec_b64 s[2:3], s[2:3]
	s_cbranch_execz .LBB30_309
; %bb.304:
	v_cmp_lt_i64_e32 vcc, 5, v[0:1]
	s_and_saveexec_b64 s[4:5], vcc
	s_xor_b64 s[4:5], exec, s[4:5]
	s_cbranch_execz .LBB30_306
; %bb.305:
	v_mov_b32_e32 v0, 0
	s_waitcnt lgkmcnt(1)
	global_store_dwordx2 v0, v[14:15], s[38:39]
                                        ; implicit-def: $vgpr6_vgpr7_vgpr8_vgpr9
.LBB30_306:
	s_andn2_saveexec_b64 s[4:5], s[4:5]
	s_cbranch_execz .LBB30_308
; %bb.307:
	v_mov_b32_e32 v0, 0
	s_waitcnt lgkmcnt(2)
	global_store_dwordx2 v0, v[8:9], s[38:39]
.LBB30_308:
	s_or_b64 exec, exec, s[4:5]
.LBB30_309:
	s_or_b64 exec, exec, s[2:3]
                                        ; implicit-def: $vgpr0_vgpr1
                                        ; implicit-def: $vgpr10_vgpr11_vgpr12_vgpr13
                                        ; implicit-def: $vgpr2_vgpr3_vgpr4_vgpr5
                                        ; implicit-def: $vgpr6_vgpr7_vgpr8_vgpr9
.LBB30_310:
	s_andn2_saveexec_b64 s[0:1], s[0:1]
	s_cbranch_execz .LBB30_325
; %bb.311:
	v_cmp_lt_i64_e32 vcc, 2, v[0:1]
	s_and_saveexec_b64 s[0:1], vcc
	s_xor_b64 s[0:1], exec, s[0:1]
	s_cbranch_execz .LBB30_317
; %bb.312:
	v_cmp_lt_i64_e32 vcc, 3, v[0:1]
	s_and_saveexec_b64 s[2:3], vcc
	s_xor_b64 s[2:3], exec, s[2:3]
	s_cbranch_execz .LBB30_314
; %bb.313:
	v_mov_b32_e32 v0, 0
	s_waitcnt lgkmcnt(2)
	global_store_dwordx2 v0, v[6:7], s[38:39]
                                        ; implicit-def: $vgpr10_vgpr11_vgpr12_vgpr13
.LBB30_314:
	s_andn2_saveexec_b64 s[2:3], s[2:3]
	s_cbranch_execz .LBB30_316
; %bb.315:
	v_mov_b32_e32 v0, 0
	s_waitcnt lgkmcnt(3)
	global_store_dwordx2 v0, v[12:13], s[38:39]
.LBB30_316:
	s_or_b64 exec, exec, s[2:3]
                                        ; implicit-def: $vgpr0_vgpr1
                                        ; implicit-def: $vgpr10_vgpr11_vgpr12_vgpr13
                                        ; implicit-def: $vgpr2_vgpr3_vgpr4_vgpr5
.LBB30_317:
	s_andn2_saveexec_b64 s[0:1], s[0:1]
	s_cbranch_execz .LBB30_325
; %bb.318:
	v_cmp_lt_i64_e32 vcc, 1, v[0:1]
	s_and_saveexec_b64 s[0:1], vcc
	s_xor_b64 s[0:1], exec, s[0:1]
	s_cbranch_execz .LBB30_320
; %bb.319:
	v_mov_b32_e32 v0, 0
	s_waitcnt lgkmcnt(3)
	global_store_dwordx2 v0, v[10:11], s[38:39]
                                        ; implicit-def: $vgpr2_vgpr3_vgpr4_vgpr5
                                        ; implicit-def: $vgpr0_vgpr1
.LBB30_320:
	s_andn2_saveexec_b64 s[0:1], s[0:1]
	s_cbranch_execz .LBB30_325
; %bb.321:
	v_cmp_ne_u64_e32 vcc, 1, v[0:1]
	s_and_saveexec_b64 s[0:1], vcc
	s_xor_b64 s[0:1], exec, s[0:1]
	s_cbranch_execz .LBB30_323
; %bb.322:
	v_mov_b32_e32 v0, 0
	s_waitcnt lgkmcnt(4)
	global_store_dwordx2 v0, v[2:3], s[38:39]
                                        ; implicit-def: $vgpr2_vgpr3_vgpr4_vgpr5
.LBB30_323:
	s_andn2_saveexec_b64 s[0:1], s[0:1]
	s_cbranch_execz .LBB30_325
; %bb.324:
	v_mov_b32_e32 v0, 0
	s_waitcnt lgkmcnt(4)
	global_store_dwordx2 v0, v[4:5], s[38:39]
.LBB30_325:
	s_endpgm
	.section	.rodata,"a",@progbits
	.p2align	6, 0x0
	.amdhsa_kernel _ZN7rocprim17ROCPRIM_400000_NS6detail17trampoline_kernelINS0_14default_configENS1_20scan_config_selectorIdEEZZNS1_9scan_implILNS1_25lookback_scan_determinismE0ELb0ELb0ES3_PKdPddZZZN2at6native31launch_logcumsumexp_cuda_kernelERKNSB_10TensorBaseESF_lENKUlvE_clEvENKUlvE_clEvEUlddE_dEEDaPvRmT3_T4_T5_mT6_P12ihipStream_tbENKUlT_T0_E_clISt17integral_constantIbLb1EESW_EEDaSR_SS_EUlSR_E_NS1_11comp_targetILNS1_3genE4ELNS1_11target_archE910ELNS1_3gpuE8ELNS1_3repE0EEENS1_30default_config_static_selectorELNS0_4arch9wavefront6targetE1EEEvT1_
		.amdhsa_group_segment_fixed_size 10240
		.amdhsa_private_segment_fixed_size 0
		.amdhsa_kernarg_size 104
		.amdhsa_user_sgpr_count 6
		.amdhsa_user_sgpr_private_segment_buffer 1
		.amdhsa_user_sgpr_dispatch_ptr 0
		.amdhsa_user_sgpr_queue_ptr 0
		.amdhsa_user_sgpr_kernarg_segment_ptr 1
		.amdhsa_user_sgpr_dispatch_id 0
		.amdhsa_user_sgpr_flat_scratch_init 0
		.amdhsa_user_sgpr_kernarg_preload_length 0
		.amdhsa_user_sgpr_kernarg_preload_offset 0
		.amdhsa_user_sgpr_private_segment_size 0
		.amdhsa_uses_dynamic_stack 0
		.amdhsa_system_sgpr_private_segment_wavefront_offset 0
		.amdhsa_system_sgpr_workgroup_id_x 1
		.amdhsa_system_sgpr_workgroup_id_y 0
		.amdhsa_system_sgpr_workgroup_id_z 0
		.amdhsa_system_sgpr_workgroup_info 0
		.amdhsa_system_vgpr_workitem_id 0
		.amdhsa_next_free_vgpr 129
		.amdhsa_next_free_sgpr 79
		.amdhsa_accum_offset 132
		.amdhsa_reserve_vcc 1
		.amdhsa_reserve_flat_scratch 0
		.amdhsa_float_round_mode_32 0
		.amdhsa_float_round_mode_16_64 0
		.amdhsa_float_denorm_mode_32 3
		.amdhsa_float_denorm_mode_16_64 3
		.amdhsa_dx10_clamp 1
		.amdhsa_ieee_mode 1
		.amdhsa_fp16_overflow 0
		.amdhsa_tg_split 0
		.amdhsa_exception_fp_ieee_invalid_op 0
		.amdhsa_exception_fp_denorm_src 0
		.amdhsa_exception_fp_ieee_div_zero 0
		.amdhsa_exception_fp_ieee_overflow 0
		.amdhsa_exception_fp_ieee_underflow 0
		.amdhsa_exception_fp_ieee_inexact 0
		.amdhsa_exception_int_div_zero 0
	.end_amdhsa_kernel
	.section	.text._ZN7rocprim17ROCPRIM_400000_NS6detail17trampoline_kernelINS0_14default_configENS1_20scan_config_selectorIdEEZZNS1_9scan_implILNS1_25lookback_scan_determinismE0ELb0ELb0ES3_PKdPddZZZN2at6native31launch_logcumsumexp_cuda_kernelERKNSB_10TensorBaseESF_lENKUlvE_clEvENKUlvE_clEvEUlddE_dEEDaPvRmT3_T4_T5_mT6_P12ihipStream_tbENKUlT_T0_E_clISt17integral_constantIbLb1EESW_EEDaSR_SS_EUlSR_E_NS1_11comp_targetILNS1_3genE4ELNS1_11target_archE910ELNS1_3gpuE8ELNS1_3repE0EEENS1_30default_config_static_selectorELNS0_4arch9wavefront6targetE1EEEvT1_,"axG",@progbits,_ZN7rocprim17ROCPRIM_400000_NS6detail17trampoline_kernelINS0_14default_configENS1_20scan_config_selectorIdEEZZNS1_9scan_implILNS1_25lookback_scan_determinismE0ELb0ELb0ES3_PKdPddZZZN2at6native31launch_logcumsumexp_cuda_kernelERKNSB_10TensorBaseESF_lENKUlvE_clEvENKUlvE_clEvEUlddE_dEEDaPvRmT3_T4_T5_mT6_P12ihipStream_tbENKUlT_T0_E_clISt17integral_constantIbLb1EESW_EEDaSR_SS_EUlSR_E_NS1_11comp_targetILNS1_3genE4ELNS1_11target_archE910ELNS1_3gpuE8ELNS1_3repE0EEENS1_30default_config_static_selectorELNS0_4arch9wavefront6targetE1EEEvT1_,comdat
.Lfunc_end30:
	.size	_ZN7rocprim17ROCPRIM_400000_NS6detail17trampoline_kernelINS0_14default_configENS1_20scan_config_selectorIdEEZZNS1_9scan_implILNS1_25lookback_scan_determinismE0ELb0ELb0ES3_PKdPddZZZN2at6native31launch_logcumsumexp_cuda_kernelERKNSB_10TensorBaseESF_lENKUlvE_clEvENKUlvE_clEvEUlddE_dEEDaPvRmT3_T4_T5_mT6_P12ihipStream_tbENKUlT_T0_E_clISt17integral_constantIbLb1EESW_EEDaSR_SS_EUlSR_E_NS1_11comp_targetILNS1_3genE4ELNS1_11target_archE910ELNS1_3gpuE8ELNS1_3repE0EEENS1_30default_config_static_selectorELNS0_4arch9wavefront6targetE1EEEvT1_, .Lfunc_end30-_ZN7rocprim17ROCPRIM_400000_NS6detail17trampoline_kernelINS0_14default_configENS1_20scan_config_selectorIdEEZZNS1_9scan_implILNS1_25lookback_scan_determinismE0ELb0ELb0ES3_PKdPddZZZN2at6native31launch_logcumsumexp_cuda_kernelERKNSB_10TensorBaseESF_lENKUlvE_clEvENKUlvE_clEvEUlddE_dEEDaPvRmT3_T4_T5_mT6_P12ihipStream_tbENKUlT_T0_E_clISt17integral_constantIbLb1EESW_EEDaSR_SS_EUlSR_E_NS1_11comp_targetILNS1_3genE4ELNS1_11target_archE910ELNS1_3gpuE8ELNS1_3repE0EEENS1_30default_config_static_selectorELNS0_4arch9wavefront6targetE1EEEvT1_
                                        ; -- End function
	.section	.AMDGPU.csdata,"",@progbits
; Kernel info:
; codeLenInByte = 112028
; NumSgprs: 83
; NumVgprs: 129
; NumAgprs: 0
; TotalNumVgprs: 129
; ScratchSize: 0
; MemoryBound: 0
; FloatMode: 240
; IeeeMode: 1
; LDSByteSize: 10240 bytes/workgroup (compile time only)
; SGPRBlocks: 10
; VGPRBlocks: 16
; NumSGPRsForWavesPerEU: 83
; NumVGPRsForWavesPerEU: 129
; AccumOffset: 132
; Occupancy: 3
; WaveLimiterHint : 1
; COMPUTE_PGM_RSRC2:SCRATCH_EN: 0
; COMPUTE_PGM_RSRC2:USER_SGPR: 6
; COMPUTE_PGM_RSRC2:TRAP_HANDLER: 0
; COMPUTE_PGM_RSRC2:TGID_X_EN: 1
; COMPUTE_PGM_RSRC2:TGID_Y_EN: 0
; COMPUTE_PGM_RSRC2:TGID_Z_EN: 0
; COMPUTE_PGM_RSRC2:TIDIG_COMP_CNT: 0
; COMPUTE_PGM_RSRC3_GFX90A:ACCUM_OFFSET: 32
; COMPUTE_PGM_RSRC3_GFX90A:TG_SPLIT: 0
	.section	.text._ZN7rocprim17ROCPRIM_400000_NS6detail17trampoline_kernelINS0_14default_configENS1_20scan_config_selectorIdEEZZNS1_9scan_implILNS1_25lookback_scan_determinismE0ELb0ELb0ES3_PKdPddZZZN2at6native31launch_logcumsumexp_cuda_kernelERKNSB_10TensorBaseESF_lENKUlvE_clEvENKUlvE_clEvEUlddE_dEEDaPvRmT3_T4_T5_mT6_P12ihipStream_tbENKUlT_T0_E_clISt17integral_constantIbLb1EESW_EEDaSR_SS_EUlSR_E_NS1_11comp_targetILNS1_3genE3ELNS1_11target_archE908ELNS1_3gpuE7ELNS1_3repE0EEENS1_30default_config_static_selectorELNS0_4arch9wavefront6targetE1EEEvT1_,"axG",@progbits,_ZN7rocprim17ROCPRIM_400000_NS6detail17trampoline_kernelINS0_14default_configENS1_20scan_config_selectorIdEEZZNS1_9scan_implILNS1_25lookback_scan_determinismE0ELb0ELb0ES3_PKdPddZZZN2at6native31launch_logcumsumexp_cuda_kernelERKNSB_10TensorBaseESF_lENKUlvE_clEvENKUlvE_clEvEUlddE_dEEDaPvRmT3_T4_T5_mT6_P12ihipStream_tbENKUlT_T0_E_clISt17integral_constantIbLb1EESW_EEDaSR_SS_EUlSR_E_NS1_11comp_targetILNS1_3genE3ELNS1_11target_archE908ELNS1_3gpuE7ELNS1_3repE0EEENS1_30default_config_static_selectorELNS0_4arch9wavefront6targetE1EEEvT1_,comdat
	.globl	_ZN7rocprim17ROCPRIM_400000_NS6detail17trampoline_kernelINS0_14default_configENS1_20scan_config_selectorIdEEZZNS1_9scan_implILNS1_25lookback_scan_determinismE0ELb0ELb0ES3_PKdPddZZZN2at6native31launch_logcumsumexp_cuda_kernelERKNSB_10TensorBaseESF_lENKUlvE_clEvENKUlvE_clEvEUlddE_dEEDaPvRmT3_T4_T5_mT6_P12ihipStream_tbENKUlT_T0_E_clISt17integral_constantIbLb1EESW_EEDaSR_SS_EUlSR_E_NS1_11comp_targetILNS1_3genE3ELNS1_11target_archE908ELNS1_3gpuE7ELNS1_3repE0EEENS1_30default_config_static_selectorELNS0_4arch9wavefront6targetE1EEEvT1_ ; -- Begin function _ZN7rocprim17ROCPRIM_400000_NS6detail17trampoline_kernelINS0_14default_configENS1_20scan_config_selectorIdEEZZNS1_9scan_implILNS1_25lookback_scan_determinismE0ELb0ELb0ES3_PKdPddZZZN2at6native31launch_logcumsumexp_cuda_kernelERKNSB_10TensorBaseESF_lENKUlvE_clEvENKUlvE_clEvEUlddE_dEEDaPvRmT3_T4_T5_mT6_P12ihipStream_tbENKUlT_T0_E_clISt17integral_constantIbLb1EESW_EEDaSR_SS_EUlSR_E_NS1_11comp_targetILNS1_3genE3ELNS1_11target_archE908ELNS1_3gpuE7ELNS1_3repE0EEENS1_30default_config_static_selectorELNS0_4arch9wavefront6targetE1EEEvT1_
	.p2align	8
	.type	_ZN7rocprim17ROCPRIM_400000_NS6detail17trampoline_kernelINS0_14default_configENS1_20scan_config_selectorIdEEZZNS1_9scan_implILNS1_25lookback_scan_determinismE0ELb0ELb0ES3_PKdPddZZZN2at6native31launch_logcumsumexp_cuda_kernelERKNSB_10TensorBaseESF_lENKUlvE_clEvENKUlvE_clEvEUlddE_dEEDaPvRmT3_T4_T5_mT6_P12ihipStream_tbENKUlT_T0_E_clISt17integral_constantIbLb1EESW_EEDaSR_SS_EUlSR_E_NS1_11comp_targetILNS1_3genE3ELNS1_11target_archE908ELNS1_3gpuE7ELNS1_3repE0EEENS1_30default_config_static_selectorELNS0_4arch9wavefront6targetE1EEEvT1_,@function
_ZN7rocprim17ROCPRIM_400000_NS6detail17trampoline_kernelINS0_14default_configENS1_20scan_config_selectorIdEEZZNS1_9scan_implILNS1_25lookback_scan_determinismE0ELb0ELb0ES3_PKdPddZZZN2at6native31launch_logcumsumexp_cuda_kernelERKNSB_10TensorBaseESF_lENKUlvE_clEvENKUlvE_clEvEUlddE_dEEDaPvRmT3_T4_T5_mT6_P12ihipStream_tbENKUlT_T0_E_clISt17integral_constantIbLb1EESW_EEDaSR_SS_EUlSR_E_NS1_11comp_targetILNS1_3genE3ELNS1_11target_archE908ELNS1_3gpuE7ELNS1_3repE0EEENS1_30default_config_static_selectorELNS0_4arch9wavefront6targetE1EEEvT1_: ; @_ZN7rocprim17ROCPRIM_400000_NS6detail17trampoline_kernelINS0_14default_configENS1_20scan_config_selectorIdEEZZNS1_9scan_implILNS1_25lookback_scan_determinismE0ELb0ELb0ES3_PKdPddZZZN2at6native31launch_logcumsumexp_cuda_kernelERKNSB_10TensorBaseESF_lENKUlvE_clEvENKUlvE_clEvEUlddE_dEEDaPvRmT3_T4_T5_mT6_P12ihipStream_tbENKUlT_T0_E_clISt17integral_constantIbLb1EESW_EEDaSR_SS_EUlSR_E_NS1_11comp_targetILNS1_3genE3ELNS1_11target_archE908ELNS1_3gpuE7ELNS1_3repE0EEENS1_30default_config_static_selectorELNS0_4arch9wavefront6targetE1EEEvT1_
; %bb.0:
	.section	.rodata,"a",@progbits
	.p2align	6, 0x0
	.amdhsa_kernel _ZN7rocprim17ROCPRIM_400000_NS6detail17trampoline_kernelINS0_14default_configENS1_20scan_config_selectorIdEEZZNS1_9scan_implILNS1_25lookback_scan_determinismE0ELb0ELb0ES3_PKdPddZZZN2at6native31launch_logcumsumexp_cuda_kernelERKNSB_10TensorBaseESF_lENKUlvE_clEvENKUlvE_clEvEUlddE_dEEDaPvRmT3_T4_T5_mT6_P12ihipStream_tbENKUlT_T0_E_clISt17integral_constantIbLb1EESW_EEDaSR_SS_EUlSR_E_NS1_11comp_targetILNS1_3genE3ELNS1_11target_archE908ELNS1_3gpuE7ELNS1_3repE0EEENS1_30default_config_static_selectorELNS0_4arch9wavefront6targetE1EEEvT1_
		.amdhsa_group_segment_fixed_size 0
		.amdhsa_private_segment_fixed_size 0
		.amdhsa_kernarg_size 104
		.amdhsa_user_sgpr_count 6
		.amdhsa_user_sgpr_private_segment_buffer 1
		.amdhsa_user_sgpr_dispatch_ptr 0
		.amdhsa_user_sgpr_queue_ptr 0
		.amdhsa_user_sgpr_kernarg_segment_ptr 1
		.amdhsa_user_sgpr_dispatch_id 0
		.amdhsa_user_sgpr_flat_scratch_init 0
		.amdhsa_user_sgpr_kernarg_preload_length 0
		.amdhsa_user_sgpr_kernarg_preload_offset 0
		.amdhsa_user_sgpr_private_segment_size 0
		.amdhsa_uses_dynamic_stack 0
		.amdhsa_system_sgpr_private_segment_wavefront_offset 0
		.amdhsa_system_sgpr_workgroup_id_x 1
		.amdhsa_system_sgpr_workgroup_id_y 0
		.amdhsa_system_sgpr_workgroup_id_z 0
		.amdhsa_system_sgpr_workgroup_info 0
		.amdhsa_system_vgpr_workitem_id 0
		.amdhsa_next_free_vgpr 1
		.amdhsa_next_free_sgpr 0
		.amdhsa_accum_offset 4
		.amdhsa_reserve_vcc 0
		.amdhsa_reserve_flat_scratch 0
		.amdhsa_float_round_mode_32 0
		.amdhsa_float_round_mode_16_64 0
		.amdhsa_float_denorm_mode_32 3
		.amdhsa_float_denorm_mode_16_64 3
		.amdhsa_dx10_clamp 1
		.amdhsa_ieee_mode 1
		.amdhsa_fp16_overflow 0
		.amdhsa_tg_split 0
		.amdhsa_exception_fp_ieee_invalid_op 0
		.amdhsa_exception_fp_denorm_src 0
		.amdhsa_exception_fp_ieee_div_zero 0
		.amdhsa_exception_fp_ieee_overflow 0
		.amdhsa_exception_fp_ieee_underflow 0
		.amdhsa_exception_fp_ieee_inexact 0
		.amdhsa_exception_int_div_zero 0
	.end_amdhsa_kernel
	.section	.text._ZN7rocprim17ROCPRIM_400000_NS6detail17trampoline_kernelINS0_14default_configENS1_20scan_config_selectorIdEEZZNS1_9scan_implILNS1_25lookback_scan_determinismE0ELb0ELb0ES3_PKdPddZZZN2at6native31launch_logcumsumexp_cuda_kernelERKNSB_10TensorBaseESF_lENKUlvE_clEvENKUlvE_clEvEUlddE_dEEDaPvRmT3_T4_T5_mT6_P12ihipStream_tbENKUlT_T0_E_clISt17integral_constantIbLb1EESW_EEDaSR_SS_EUlSR_E_NS1_11comp_targetILNS1_3genE3ELNS1_11target_archE908ELNS1_3gpuE7ELNS1_3repE0EEENS1_30default_config_static_selectorELNS0_4arch9wavefront6targetE1EEEvT1_,"axG",@progbits,_ZN7rocprim17ROCPRIM_400000_NS6detail17trampoline_kernelINS0_14default_configENS1_20scan_config_selectorIdEEZZNS1_9scan_implILNS1_25lookback_scan_determinismE0ELb0ELb0ES3_PKdPddZZZN2at6native31launch_logcumsumexp_cuda_kernelERKNSB_10TensorBaseESF_lENKUlvE_clEvENKUlvE_clEvEUlddE_dEEDaPvRmT3_T4_T5_mT6_P12ihipStream_tbENKUlT_T0_E_clISt17integral_constantIbLb1EESW_EEDaSR_SS_EUlSR_E_NS1_11comp_targetILNS1_3genE3ELNS1_11target_archE908ELNS1_3gpuE7ELNS1_3repE0EEENS1_30default_config_static_selectorELNS0_4arch9wavefront6targetE1EEEvT1_,comdat
.Lfunc_end31:
	.size	_ZN7rocprim17ROCPRIM_400000_NS6detail17trampoline_kernelINS0_14default_configENS1_20scan_config_selectorIdEEZZNS1_9scan_implILNS1_25lookback_scan_determinismE0ELb0ELb0ES3_PKdPddZZZN2at6native31launch_logcumsumexp_cuda_kernelERKNSB_10TensorBaseESF_lENKUlvE_clEvENKUlvE_clEvEUlddE_dEEDaPvRmT3_T4_T5_mT6_P12ihipStream_tbENKUlT_T0_E_clISt17integral_constantIbLb1EESW_EEDaSR_SS_EUlSR_E_NS1_11comp_targetILNS1_3genE3ELNS1_11target_archE908ELNS1_3gpuE7ELNS1_3repE0EEENS1_30default_config_static_selectorELNS0_4arch9wavefront6targetE1EEEvT1_, .Lfunc_end31-_ZN7rocprim17ROCPRIM_400000_NS6detail17trampoline_kernelINS0_14default_configENS1_20scan_config_selectorIdEEZZNS1_9scan_implILNS1_25lookback_scan_determinismE0ELb0ELb0ES3_PKdPddZZZN2at6native31launch_logcumsumexp_cuda_kernelERKNSB_10TensorBaseESF_lENKUlvE_clEvENKUlvE_clEvEUlddE_dEEDaPvRmT3_T4_T5_mT6_P12ihipStream_tbENKUlT_T0_E_clISt17integral_constantIbLb1EESW_EEDaSR_SS_EUlSR_E_NS1_11comp_targetILNS1_3genE3ELNS1_11target_archE908ELNS1_3gpuE7ELNS1_3repE0EEENS1_30default_config_static_selectorELNS0_4arch9wavefront6targetE1EEEvT1_
                                        ; -- End function
	.section	.AMDGPU.csdata,"",@progbits
; Kernel info:
; codeLenInByte = 0
; NumSgprs: 4
; NumVgprs: 0
; NumAgprs: 0
; TotalNumVgprs: 0
; ScratchSize: 0
; MemoryBound: 0
; FloatMode: 240
; IeeeMode: 1
; LDSByteSize: 0 bytes/workgroup (compile time only)
; SGPRBlocks: 0
; VGPRBlocks: 0
; NumSGPRsForWavesPerEU: 4
; NumVGPRsForWavesPerEU: 1
; AccumOffset: 4
; Occupancy: 8
; WaveLimiterHint : 0
; COMPUTE_PGM_RSRC2:SCRATCH_EN: 0
; COMPUTE_PGM_RSRC2:USER_SGPR: 6
; COMPUTE_PGM_RSRC2:TRAP_HANDLER: 0
; COMPUTE_PGM_RSRC2:TGID_X_EN: 1
; COMPUTE_PGM_RSRC2:TGID_Y_EN: 0
; COMPUTE_PGM_RSRC2:TGID_Z_EN: 0
; COMPUTE_PGM_RSRC2:TIDIG_COMP_CNT: 0
; COMPUTE_PGM_RSRC3_GFX90A:ACCUM_OFFSET: 0
; COMPUTE_PGM_RSRC3_GFX90A:TG_SPLIT: 0
	.section	.text._ZN7rocprim17ROCPRIM_400000_NS6detail17trampoline_kernelINS0_14default_configENS1_20scan_config_selectorIdEEZZNS1_9scan_implILNS1_25lookback_scan_determinismE0ELb0ELb0ES3_PKdPddZZZN2at6native31launch_logcumsumexp_cuda_kernelERKNSB_10TensorBaseESF_lENKUlvE_clEvENKUlvE_clEvEUlddE_dEEDaPvRmT3_T4_T5_mT6_P12ihipStream_tbENKUlT_T0_E_clISt17integral_constantIbLb1EESW_EEDaSR_SS_EUlSR_E_NS1_11comp_targetILNS1_3genE2ELNS1_11target_archE906ELNS1_3gpuE6ELNS1_3repE0EEENS1_30default_config_static_selectorELNS0_4arch9wavefront6targetE1EEEvT1_,"axG",@progbits,_ZN7rocprim17ROCPRIM_400000_NS6detail17trampoline_kernelINS0_14default_configENS1_20scan_config_selectorIdEEZZNS1_9scan_implILNS1_25lookback_scan_determinismE0ELb0ELb0ES3_PKdPddZZZN2at6native31launch_logcumsumexp_cuda_kernelERKNSB_10TensorBaseESF_lENKUlvE_clEvENKUlvE_clEvEUlddE_dEEDaPvRmT3_T4_T5_mT6_P12ihipStream_tbENKUlT_T0_E_clISt17integral_constantIbLb1EESW_EEDaSR_SS_EUlSR_E_NS1_11comp_targetILNS1_3genE2ELNS1_11target_archE906ELNS1_3gpuE6ELNS1_3repE0EEENS1_30default_config_static_selectorELNS0_4arch9wavefront6targetE1EEEvT1_,comdat
	.globl	_ZN7rocprim17ROCPRIM_400000_NS6detail17trampoline_kernelINS0_14default_configENS1_20scan_config_selectorIdEEZZNS1_9scan_implILNS1_25lookback_scan_determinismE0ELb0ELb0ES3_PKdPddZZZN2at6native31launch_logcumsumexp_cuda_kernelERKNSB_10TensorBaseESF_lENKUlvE_clEvENKUlvE_clEvEUlddE_dEEDaPvRmT3_T4_T5_mT6_P12ihipStream_tbENKUlT_T0_E_clISt17integral_constantIbLb1EESW_EEDaSR_SS_EUlSR_E_NS1_11comp_targetILNS1_3genE2ELNS1_11target_archE906ELNS1_3gpuE6ELNS1_3repE0EEENS1_30default_config_static_selectorELNS0_4arch9wavefront6targetE1EEEvT1_ ; -- Begin function _ZN7rocprim17ROCPRIM_400000_NS6detail17trampoline_kernelINS0_14default_configENS1_20scan_config_selectorIdEEZZNS1_9scan_implILNS1_25lookback_scan_determinismE0ELb0ELb0ES3_PKdPddZZZN2at6native31launch_logcumsumexp_cuda_kernelERKNSB_10TensorBaseESF_lENKUlvE_clEvENKUlvE_clEvEUlddE_dEEDaPvRmT3_T4_T5_mT6_P12ihipStream_tbENKUlT_T0_E_clISt17integral_constantIbLb1EESW_EEDaSR_SS_EUlSR_E_NS1_11comp_targetILNS1_3genE2ELNS1_11target_archE906ELNS1_3gpuE6ELNS1_3repE0EEENS1_30default_config_static_selectorELNS0_4arch9wavefront6targetE1EEEvT1_
	.p2align	8
	.type	_ZN7rocprim17ROCPRIM_400000_NS6detail17trampoline_kernelINS0_14default_configENS1_20scan_config_selectorIdEEZZNS1_9scan_implILNS1_25lookback_scan_determinismE0ELb0ELb0ES3_PKdPddZZZN2at6native31launch_logcumsumexp_cuda_kernelERKNSB_10TensorBaseESF_lENKUlvE_clEvENKUlvE_clEvEUlddE_dEEDaPvRmT3_T4_T5_mT6_P12ihipStream_tbENKUlT_T0_E_clISt17integral_constantIbLb1EESW_EEDaSR_SS_EUlSR_E_NS1_11comp_targetILNS1_3genE2ELNS1_11target_archE906ELNS1_3gpuE6ELNS1_3repE0EEENS1_30default_config_static_selectorELNS0_4arch9wavefront6targetE1EEEvT1_,@function
_ZN7rocprim17ROCPRIM_400000_NS6detail17trampoline_kernelINS0_14default_configENS1_20scan_config_selectorIdEEZZNS1_9scan_implILNS1_25lookback_scan_determinismE0ELb0ELb0ES3_PKdPddZZZN2at6native31launch_logcumsumexp_cuda_kernelERKNSB_10TensorBaseESF_lENKUlvE_clEvENKUlvE_clEvEUlddE_dEEDaPvRmT3_T4_T5_mT6_P12ihipStream_tbENKUlT_T0_E_clISt17integral_constantIbLb1EESW_EEDaSR_SS_EUlSR_E_NS1_11comp_targetILNS1_3genE2ELNS1_11target_archE906ELNS1_3gpuE6ELNS1_3repE0EEENS1_30default_config_static_selectorELNS0_4arch9wavefront6targetE1EEEvT1_: ; @_ZN7rocprim17ROCPRIM_400000_NS6detail17trampoline_kernelINS0_14default_configENS1_20scan_config_selectorIdEEZZNS1_9scan_implILNS1_25lookback_scan_determinismE0ELb0ELb0ES3_PKdPddZZZN2at6native31launch_logcumsumexp_cuda_kernelERKNSB_10TensorBaseESF_lENKUlvE_clEvENKUlvE_clEvEUlddE_dEEDaPvRmT3_T4_T5_mT6_P12ihipStream_tbENKUlT_T0_E_clISt17integral_constantIbLb1EESW_EEDaSR_SS_EUlSR_E_NS1_11comp_targetILNS1_3genE2ELNS1_11target_archE906ELNS1_3gpuE6ELNS1_3repE0EEENS1_30default_config_static_selectorELNS0_4arch9wavefront6targetE1EEEvT1_
; %bb.0:
	.section	.rodata,"a",@progbits
	.p2align	6, 0x0
	.amdhsa_kernel _ZN7rocprim17ROCPRIM_400000_NS6detail17trampoline_kernelINS0_14default_configENS1_20scan_config_selectorIdEEZZNS1_9scan_implILNS1_25lookback_scan_determinismE0ELb0ELb0ES3_PKdPddZZZN2at6native31launch_logcumsumexp_cuda_kernelERKNSB_10TensorBaseESF_lENKUlvE_clEvENKUlvE_clEvEUlddE_dEEDaPvRmT3_T4_T5_mT6_P12ihipStream_tbENKUlT_T0_E_clISt17integral_constantIbLb1EESW_EEDaSR_SS_EUlSR_E_NS1_11comp_targetILNS1_3genE2ELNS1_11target_archE906ELNS1_3gpuE6ELNS1_3repE0EEENS1_30default_config_static_selectorELNS0_4arch9wavefront6targetE1EEEvT1_
		.amdhsa_group_segment_fixed_size 0
		.amdhsa_private_segment_fixed_size 0
		.amdhsa_kernarg_size 104
		.amdhsa_user_sgpr_count 6
		.amdhsa_user_sgpr_private_segment_buffer 1
		.amdhsa_user_sgpr_dispatch_ptr 0
		.amdhsa_user_sgpr_queue_ptr 0
		.amdhsa_user_sgpr_kernarg_segment_ptr 1
		.amdhsa_user_sgpr_dispatch_id 0
		.amdhsa_user_sgpr_flat_scratch_init 0
		.amdhsa_user_sgpr_kernarg_preload_length 0
		.amdhsa_user_sgpr_kernarg_preload_offset 0
		.amdhsa_user_sgpr_private_segment_size 0
		.amdhsa_uses_dynamic_stack 0
		.amdhsa_system_sgpr_private_segment_wavefront_offset 0
		.amdhsa_system_sgpr_workgroup_id_x 1
		.amdhsa_system_sgpr_workgroup_id_y 0
		.amdhsa_system_sgpr_workgroup_id_z 0
		.amdhsa_system_sgpr_workgroup_info 0
		.amdhsa_system_vgpr_workitem_id 0
		.amdhsa_next_free_vgpr 1
		.amdhsa_next_free_sgpr 0
		.amdhsa_accum_offset 4
		.amdhsa_reserve_vcc 0
		.amdhsa_reserve_flat_scratch 0
		.amdhsa_float_round_mode_32 0
		.amdhsa_float_round_mode_16_64 0
		.amdhsa_float_denorm_mode_32 3
		.amdhsa_float_denorm_mode_16_64 3
		.amdhsa_dx10_clamp 1
		.amdhsa_ieee_mode 1
		.amdhsa_fp16_overflow 0
		.amdhsa_tg_split 0
		.amdhsa_exception_fp_ieee_invalid_op 0
		.amdhsa_exception_fp_denorm_src 0
		.amdhsa_exception_fp_ieee_div_zero 0
		.amdhsa_exception_fp_ieee_overflow 0
		.amdhsa_exception_fp_ieee_underflow 0
		.amdhsa_exception_fp_ieee_inexact 0
		.amdhsa_exception_int_div_zero 0
	.end_amdhsa_kernel
	.section	.text._ZN7rocprim17ROCPRIM_400000_NS6detail17trampoline_kernelINS0_14default_configENS1_20scan_config_selectorIdEEZZNS1_9scan_implILNS1_25lookback_scan_determinismE0ELb0ELb0ES3_PKdPddZZZN2at6native31launch_logcumsumexp_cuda_kernelERKNSB_10TensorBaseESF_lENKUlvE_clEvENKUlvE_clEvEUlddE_dEEDaPvRmT3_T4_T5_mT6_P12ihipStream_tbENKUlT_T0_E_clISt17integral_constantIbLb1EESW_EEDaSR_SS_EUlSR_E_NS1_11comp_targetILNS1_3genE2ELNS1_11target_archE906ELNS1_3gpuE6ELNS1_3repE0EEENS1_30default_config_static_selectorELNS0_4arch9wavefront6targetE1EEEvT1_,"axG",@progbits,_ZN7rocprim17ROCPRIM_400000_NS6detail17trampoline_kernelINS0_14default_configENS1_20scan_config_selectorIdEEZZNS1_9scan_implILNS1_25lookback_scan_determinismE0ELb0ELb0ES3_PKdPddZZZN2at6native31launch_logcumsumexp_cuda_kernelERKNSB_10TensorBaseESF_lENKUlvE_clEvENKUlvE_clEvEUlddE_dEEDaPvRmT3_T4_T5_mT6_P12ihipStream_tbENKUlT_T0_E_clISt17integral_constantIbLb1EESW_EEDaSR_SS_EUlSR_E_NS1_11comp_targetILNS1_3genE2ELNS1_11target_archE906ELNS1_3gpuE6ELNS1_3repE0EEENS1_30default_config_static_selectorELNS0_4arch9wavefront6targetE1EEEvT1_,comdat
.Lfunc_end32:
	.size	_ZN7rocprim17ROCPRIM_400000_NS6detail17trampoline_kernelINS0_14default_configENS1_20scan_config_selectorIdEEZZNS1_9scan_implILNS1_25lookback_scan_determinismE0ELb0ELb0ES3_PKdPddZZZN2at6native31launch_logcumsumexp_cuda_kernelERKNSB_10TensorBaseESF_lENKUlvE_clEvENKUlvE_clEvEUlddE_dEEDaPvRmT3_T4_T5_mT6_P12ihipStream_tbENKUlT_T0_E_clISt17integral_constantIbLb1EESW_EEDaSR_SS_EUlSR_E_NS1_11comp_targetILNS1_3genE2ELNS1_11target_archE906ELNS1_3gpuE6ELNS1_3repE0EEENS1_30default_config_static_selectorELNS0_4arch9wavefront6targetE1EEEvT1_, .Lfunc_end32-_ZN7rocprim17ROCPRIM_400000_NS6detail17trampoline_kernelINS0_14default_configENS1_20scan_config_selectorIdEEZZNS1_9scan_implILNS1_25lookback_scan_determinismE0ELb0ELb0ES3_PKdPddZZZN2at6native31launch_logcumsumexp_cuda_kernelERKNSB_10TensorBaseESF_lENKUlvE_clEvENKUlvE_clEvEUlddE_dEEDaPvRmT3_T4_T5_mT6_P12ihipStream_tbENKUlT_T0_E_clISt17integral_constantIbLb1EESW_EEDaSR_SS_EUlSR_E_NS1_11comp_targetILNS1_3genE2ELNS1_11target_archE906ELNS1_3gpuE6ELNS1_3repE0EEENS1_30default_config_static_selectorELNS0_4arch9wavefront6targetE1EEEvT1_
                                        ; -- End function
	.section	.AMDGPU.csdata,"",@progbits
; Kernel info:
; codeLenInByte = 0
; NumSgprs: 4
; NumVgprs: 0
; NumAgprs: 0
; TotalNumVgprs: 0
; ScratchSize: 0
; MemoryBound: 0
; FloatMode: 240
; IeeeMode: 1
; LDSByteSize: 0 bytes/workgroup (compile time only)
; SGPRBlocks: 0
; VGPRBlocks: 0
; NumSGPRsForWavesPerEU: 4
; NumVGPRsForWavesPerEU: 1
; AccumOffset: 4
; Occupancy: 8
; WaveLimiterHint : 0
; COMPUTE_PGM_RSRC2:SCRATCH_EN: 0
; COMPUTE_PGM_RSRC2:USER_SGPR: 6
; COMPUTE_PGM_RSRC2:TRAP_HANDLER: 0
; COMPUTE_PGM_RSRC2:TGID_X_EN: 1
; COMPUTE_PGM_RSRC2:TGID_Y_EN: 0
; COMPUTE_PGM_RSRC2:TGID_Z_EN: 0
; COMPUTE_PGM_RSRC2:TIDIG_COMP_CNT: 0
; COMPUTE_PGM_RSRC3_GFX90A:ACCUM_OFFSET: 0
; COMPUTE_PGM_RSRC3_GFX90A:TG_SPLIT: 0
	.section	.text._ZN7rocprim17ROCPRIM_400000_NS6detail17trampoline_kernelINS0_14default_configENS1_20scan_config_selectorIdEEZZNS1_9scan_implILNS1_25lookback_scan_determinismE0ELb0ELb0ES3_PKdPddZZZN2at6native31launch_logcumsumexp_cuda_kernelERKNSB_10TensorBaseESF_lENKUlvE_clEvENKUlvE_clEvEUlddE_dEEDaPvRmT3_T4_T5_mT6_P12ihipStream_tbENKUlT_T0_E_clISt17integral_constantIbLb1EESW_EEDaSR_SS_EUlSR_E_NS1_11comp_targetILNS1_3genE10ELNS1_11target_archE1201ELNS1_3gpuE5ELNS1_3repE0EEENS1_30default_config_static_selectorELNS0_4arch9wavefront6targetE1EEEvT1_,"axG",@progbits,_ZN7rocprim17ROCPRIM_400000_NS6detail17trampoline_kernelINS0_14default_configENS1_20scan_config_selectorIdEEZZNS1_9scan_implILNS1_25lookback_scan_determinismE0ELb0ELb0ES3_PKdPddZZZN2at6native31launch_logcumsumexp_cuda_kernelERKNSB_10TensorBaseESF_lENKUlvE_clEvENKUlvE_clEvEUlddE_dEEDaPvRmT3_T4_T5_mT6_P12ihipStream_tbENKUlT_T0_E_clISt17integral_constantIbLb1EESW_EEDaSR_SS_EUlSR_E_NS1_11comp_targetILNS1_3genE10ELNS1_11target_archE1201ELNS1_3gpuE5ELNS1_3repE0EEENS1_30default_config_static_selectorELNS0_4arch9wavefront6targetE1EEEvT1_,comdat
	.globl	_ZN7rocprim17ROCPRIM_400000_NS6detail17trampoline_kernelINS0_14default_configENS1_20scan_config_selectorIdEEZZNS1_9scan_implILNS1_25lookback_scan_determinismE0ELb0ELb0ES3_PKdPddZZZN2at6native31launch_logcumsumexp_cuda_kernelERKNSB_10TensorBaseESF_lENKUlvE_clEvENKUlvE_clEvEUlddE_dEEDaPvRmT3_T4_T5_mT6_P12ihipStream_tbENKUlT_T0_E_clISt17integral_constantIbLb1EESW_EEDaSR_SS_EUlSR_E_NS1_11comp_targetILNS1_3genE10ELNS1_11target_archE1201ELNS1_3gpuE5ELNS1_3repE0EEENS1_30default_config_static_selectorELNS0_4arch9wavefront6targetE1EEEvT1_ ; -- Begin function _ZN7rocprim17ROCPRIM_400000_NS6detail17trampoline_kernelINS0_14default_configENS1_20scan_config_selectorIdEEZZNS1_9scan_implILNS1_25lookback_scan_determinismE0ELb0ELb0ES3_PKdPddZZZN2at6native31launch_logcumsumexp_cuda_kernelERKNSB_10TensorBaseESF_lENKUlvE_clEvENKUlvE_clEvEUlddE_dEEDaPvRmT3_T4_T5_mT6_P12ihipStream_tbENKUlT_T0_E_clISt17integral_constantIbLb1EESW_EEDaSR_SS_EUlSR_E_NS1_11comp_targetILNS1_3genE10ELNS1_11target_archE1201ELNS1_3gpuE5ELNS1_3repE0EEENS1_30default_config_static_selectorELNS0_4arch9wavefront6targetE1EEEvT1_
	.p2align	8
	.type	_ZN7rocprim17ROCPRIM_400000_NS6detail17trampoline_kernelINS0_14default_configENS1_20scan_config_selectorIdEEZZNS1_9scan_implILNS1_25lookback_scan_determinismE0ELb0ELb0ES3_PKdPddZZZN2at6native31launch_logcumsumexp_cuda_kernelERKNSB_10TensorBaseESF_lENKUlvE_clEvENKUlvE_clEvEUlddE_dEEDaPvRmT3_T4_T5_mT6_P12ihipStream_tbENKUlT_T0_E_clISt17integral_constantIbLb1EESW_EEDaSR_SS_EUlSR_E_NS1_11comp_targetILNS1_3genE10ELNS1_11target_archE1201ELNS1_3gpuE5ELNS1_3repE0EEENS1_30default_config_static_selectorELNS0_4arch9wavefront6targetE1EEEvT1_,@function
_ZN7rocprim17ROCPRIM_400000_NS6detail17trampoline_kernelINS0_14default_configENS1_20scan_config_selectorIdEEZZNS1_9scan_implILNS1_25lookback_scan_determinismE0ELb0ELb0ES3_PKdPddZZZN2at6native31launch_logcumsumexp_cuda_kernelERKNSB_10TensorBaseESF_lENKUlvE_clEvENKUlvE_clEvEUlddE_dEEDaPvRmT3_T4_T5_mT6_P12ihipStream_tbENKUlT_T0_E_clISt17integral_constantIbLb1EESW_EEDaSR_SS_EUlSR_E_NS1_11comp_targetILNS1_3genE10ELNS1_11target_archE1201ELNS1_3gpuE5ELNS1_3repE0EEENS1_30default_config_static_selectorELNS0_4arch9wavefront6targetE1EEEvT1_: ; @_ZN7rocprim17ROCPRIM_400000_NS6detail17trampoline_kernelINS0_14default_configENS1_20scan_config_selectorIdEEZZNS1_9scan_implILNS1_25lookback_scan_determinismE0ELb0ELb0ES3_PKdPddZZZN2at6native31launch_logcumsumexp_cuda_kernelERKNSB_10TensorBaseESF_lENKUlvE_clEvENKUlvE_clEvEUlddE_dEEDaPvRmT3_T4_T5_mT6_P12ihipStream_tbENKUlT_T0_E_clISt17integral_constantIbLb1EESW_EEDaSR_SS_EUlSR_E_NS1_11comp_targetILNS1_3genE10ELNS1_11target_archE1201ELNS1_3gpuE5ELNS1_3repE0EEENS1_30default_config_static_selectorELNS0_4arch9wavefront6targetE1EEEvT1_
; %bb.0:
	.section	.rodata,"a",@progbits
	.p2align	6, 0x0
	.amdhsa_kernel _ZN7rocprim17ROCPRIM_400000_NS6detail17trampoline_kernelINS0_14default_configENS1_20scan_config_selectorIdEEZZNS1_9scan_implILNS1_25lookback_scan_determinismE0ELb0ELb0ES3_PKdPddZZZN2at6native31launch_logcumsumexp_cuda_kernelERKNSB_10TensorBaseESF_lENKUlvE_clEvENKUlvE_clEvEUlddE_dEEDaPvRmT3_T4_T5_mT6_P12ihipStream_tbENKUlT_T0_E_clISt17integral_constantIbLb1EESW_EEDaSR_SS_EUlSR_E_NS1_11comp_targetILNS1_3genE10ELNS1_11target_archE1201ELNS1_3gpuE5ELNS1_3repE0EEENS1_30default_config_static_selectorELNS0_4arch9wavefront6targetE1EEEvT1_
		.amdhsa_group_segment_fixed_size 0
		.amdhsa_private_segment_fixed_size 0
		.amdhsa_kernarg_size 104
		.amdhsa_user_sgpr_count 6
		.amdhsa_user_sgpr_private_segment_buffer 1
		.amdhsa_user_sgpr_dispatch_ptr 0
		.amdhsa_user_sgpr_queue_ptr 0
		.amdhsa_user_sgpr_kernarg_segment_ptr 1
		.amdhsa_user_sgpr_dispatch_id 0
		.amdhsa_user_sgpr_flat_scratch_init 0
		.amdhsa_user_sgpr_kernarg_preload_length 0
		.amdhsa_user_sgpr_kernarg_preload_offset 0
		.amdhsa_user_sgpr_private_segment_size 0
		.amdhsa_uses_dynamic_stack 0
		.amdhsa_system_sgpr_private_segment_wavefront_offset 0
		.amdhsa_system_sgpr_workgroup_id_x 1
		.amdhsa_system_sgpr_workgroup_id_y 0
		.amdhsa_system_sgpr_workgroup_id_z 0
		.amdhsa_system_sgpr_workgroup_info 0
		.amdhsa_system_vgpr_workitem_id 0
		.amdhsa_next_free_vgpr 1
		.amdhsa_next_free_sgpr 0
		.amdhsa_accum_offset 4
		.amdhsa_reserve_vcc 0
		.amdhsa_reserve_flat_scratch 0
		.amdhsa_float_round_mode_32 0
		.amdhsa_float_round_mode_16_64 0
		.amdhsa_float_denorm_mode_32 3
		.amdhsa_float_denorm_mode_16_64 3
		.amdhsa_dx10_clamp 1
		.amdhsa_ieee_mode 1
		.amdhsa_fp16_overflow 0
		.amdhsa_tg_split 0
		.amdhsa_exception_fp_ieee_invalid_op 0
		.amdhsa_exception_fp_denorm_src 0
		.amdhsa_exception_fp_ieee_div_zero 0
		.amdhsa_exception_fp_ieee_overflow 0
		.amdhsa_exception_fp_ieee_underflow 0
		.amdhsa_exception_fp_ieee_inexact 0
		.amdhsa_exception_int_div_zero 0
	.end_amdhsa_kernel
	.section	.text._ZN7rocprim17ROCPRIM_400000_NS6detail17trampoline_kernelINS0_14default_configENS1_20scan_config_selectorIdEEZZNS1_9scan_implILNS1_25lookback_scan_determinismE0ELb0ELb0ES3_PKdPddZZZN2at6native31launch_logcumsumexp_cuda_kernelERKNSB_10TensorBaseESF_lENKUlvE_clEvENKUlvE_clEvEUlddE_dEEDaPvRmT3_T4_T5_mT6_P12ihipStream_tbENKUlT_T0_E_clISt17integral_constantIbLb1EESW_EEDaSR_SS_EUlSR_E_NS1_11comp_targetILNS1_3genE10ELNS1_11target_archE1201ELNS1_3gpuE5ELNS1_3repE0EEENS1_30default_config_static_selectorELNS0_4arch9wavefront6targetE1EEEvT1_,"axG",@progbits,_ZN7rocprim17ROCPRIM_400000_NS6detail17trampoline_kernelINS0_14default_configENS1_20scan_config_selectorIdEEZZNS1_9scan_implILNS1_25lookback_scan_determinismE0ELb0ELb0ES3_PKdPddZZZN2at6native31launch_logcumsumexp_cuda_kernelERKNSB_10TensorBaseESF_lENKUlvE_clEvENKUlvE_clEvEUlddE_dEEDaPvRmT3_T4_T5_mT6_P12ihipStream_tbENKUlT_T0_E_clISt17integral_constantIbLb1EESW_EEDaSR_SS_EUlSR_E_NS1_11comp_targetILNS1_3genE10ELNS1_11target_archE1201ELNS1_3gpuE5ELNS1_3repE0EEENS1_30default_config_static_selectorELNS0_4arch9wavefront6targetE1EEEvT1_,comdat
.Lfunc_end33:
	.size	_ZN7rocprim17ROCPRIM_400000_NS6detail17trampoline_kernelINS0_14default_configENS1_20scan_config_selectorIdEEZZNS1_9scan_implILNS1_25lookback_scan_determinismE0ELb0ELb0ES3_PKdPddZZZN2at6native31launch_logcumsumexp_cuda_kernelERKNSB_10TensorBaseESF_lENKUlvE_clEvENKUlvE_clEvEUlddE_dEEDaPvRmT3_T4_T5_mT6_P12ihipStream_tbENKUlT_T0_E_clISt17integral_constantIbLb1EESW_EEDaSR_SS_EUlSR_E_NS1_11comp_targetILNS1_3genE10ELNS1_11target_archE1201ELNS1_3gpuE5ELNS1_3repE0EEENS1_30default_config_static_selectorELNS0_4arch9wavefront6targetE1EEEvT1_, .Lfunc_end33-_ZN7rocprim17ROCPRIM_400000_NS6detail17trampoline_kernelINS0_14default_configENS1_20scan_config_selectorIdEEZZNS1_9scan_implILNS1_25lookback_scan_determinismE0ELb0ELb0ES3_PKdPddZZZN2at6native31launch_logcumsumexp_cuda_kernelERKNSB_10TensorBaseESF_lENKUlvE_clEvENKUlvE_clEvEUlddE_dEEDaPvRmT3_T4_T5_mT6_P12ihipStream_tbENKUlT_T0_E_clISt17integral_constantIbLb1EESW_EEDaSR_SS_EUlSR_E_NS1_11comp_targetILNS1_3genE10ELNS1_11target_archE1201ELNS1_3gpuE5ELNS1_3repE0EEENS1_30default_config_static_selectorELNS0_4arch9wavefront6targetE1EEEvT1_
                                        ; -- End function
	.section	.AMDGPU.csdata,"",@progbits
; Kernel info:
; codeLenInByte = 0
; NumSgprs: 4
; NumVgprs: 0
; NumAgprs: 0
; TotalNumVgprs: 0
; ScratchSize: 0
; MemoryBound: 0
; FloatMode: 240
; IeeeMode: 1
; LDSByteSize: 0 bytes/workgroup (compile time only)
; SGPRBlocks: 0
; VGPRBlocks: 0
; NumSGPRsForWavesPerEU: 4
; NumVGPRsForWavesPerEU: 1
; AccumOffset: 4
; Occupancy: 8
; WaveLimiterHint : 0
; COMPUTE_PGM_RSRC2:SCRATCH_EN: 0
; COMPUTE_PGM_RSRC2:USER_SGPR: 6
; COMPUTE_PGM_RSRC2:TRAP_HANDLER: 0
; COMPUTE_PGM_RSRC2:TGID_X_EN: 1
; COMPUTE_PGM_RSRC2:TGID_Y_EN: 0
; COMPUTE_PGM_RSRC2:TGID_Z_EN: 0
; COMPUTE_PGM_RSRC2:TIDIG_COMP_CNT: 0
; COMPUTE_PGM_RSRC3_GFX90A:ACCUM_OFFSET: 0
; COMPUTE_PGM_RSRC3_GFX90A:TG_SPLIT: 0
	.section	.text._ZN7rocprim17ROCPRIM_400000_NS6detail17trampoline_kernelINS0_14default_configENS1_20scan_config_selectorIdEEZZNS1_9scan_implILNS1_25lookback_scan_determinismE0ELb0ELb0ES3_PKdPddZZZN2at6native31launch_logcumsumexp_cuda_kernelERKNSB_10TensorBaseESF_lENKUlvE_clEvENKUlvE_clEvEUlddE_dEEDaPvRmT3_T4_T5_mT6_P12ihipStream_tbENKUlT_T0_E_clISt17integral_constantIbLb1EESW_EEDaSR_SS_EUlSR_E_NS1_11comp_targetILNS1_3genE10ELNS1_11target_archE1200ELNS1_3gpuE4ELNS1_3repE0EEENS1_30default_config_static_selectorELNS0_4arch9wavefront6targetE1EEEvT1_,"axG",@progbits,_ZN7rocprim17ROCPRIM_400000_NS6detail17trampoline_kernelINS0_14default_configENS1_20scan_config_selectorIdEEZZNS1_9scan_implILNS1_25lookback_scan_determinismE0ELb0ELb0ES3_PKdPddZZZN2at6native31launch_logcumsumexp_cuda_kernelERKNSB_10TensorBaseESF_lENKUlvE_clEvENKUlvE_clEvEUlddE_dEEDaPvRmT3_T4_T5_mT6_P12ihipStream_tbENKUlT_T0_E_clISt17integral_constantIbLb1EESW_EEDaSR_SS_EUlSR_E_NS1_11comp_targetILNS1_3genE10ELNS1_11target_archE1200ELNS1_3gpuE4ELNS1_3repE0EEENS1_30default_config_static_selectorELNS0_4arch9wavefront6targetE1EEEvT1_,comdat
	.globl	_ZN7rocprim17ROCPRIM_400000_NS6detail17trampoline_kernelINS0_14default_configENS1_20scan_config_selectorIdEEZZNS1_9scan_implILNS1_25lookback_scan_determinismE0ELb0ELb0ES3_PKdPddZZZN2at6native31launch_logcumsumexp_cuda_kernelERKNSB_10TensorBaseESF_lENKUlvE_clEvENKUlvE_clEvEUlddE_dEEDaPvRmT3_T4_T5_mT6_P12ihipStream_tbENKUlT_T0_E_clISt17integral_constantIbLb1EESW_EEDaSR_SS_EUlSR_E_NS1_11comp_targetILNS1_3genE10ELNS1_11target_archE1200ELNS1_3gpuE4ELNS1_3repE0EEENS1_30default_config_static_selectorELNS0_4arch9wavefront6targetE1EEEvT1_ ; -- Begin function _ZN7rocprim17ROCPRIM_400000_NS6detail17trampoline_kernelINS0_14default_configENS1_20scan_config_selectorIdEEZZNS1_9scan_implILNS1_25lookback_scan_determinismE0ELb0ELb0ES3_PKdPddZZZN2at6native31launch_logcumsumexp_cuda_kernelERKNSB_10TensorBaseESF_lENKUlvE_clEvENKUlvE_clEvEUlddE_dEEDaPvRmT3_T4_T5_mT6_P12ihipStream_tbENKUlT_T0_E_clISt17integral_constantIbLb1EESW_EEDaSR_SS_EUlSR_E_NS1_11comp_targetILNS1_3genE10ELNS1_11target_archE1200ELNS1_3gpuE4ELNS1_3repE0EEENS1_30default_config_static_selectorELNS0_4arch9wavefront6targetE1EEEvT1_
	.p2align	8
	.type	_ZN7rocprim17ROCPRIM_400000_NS6detail17trampoline_kernelINS0_14default_configENS1_20scan_config_selectorIdEEZZNS1_9scan_implILNS1_25lookback_scan_determinismE0ELb0ELb0ES3_PKdPddZZZN2at6native31launch_logcumsumexp_cuda_kernelERKNSB_10TensorBaseESF_lENKUlvE_clEvENKUlvE_clEvEUlddE_dEEDaPvRmT3_T4_T5_mT6_P12ihipStream_tbENKUlT_T0_E_clISt17integral_constantIbLb1EESW_EEDaSR_SS_EUlSR_E_NS1_11comp_targetILNS1_3genE10ELNS1_11target_archE1200ELNS1_3gpuE4ELNS1_3repE0EEENS1_30default_config_static_selectorELNS0_4arch9wavefront6targetE1EEEvT1_,@function
_ZN7rocprim17ROCPRIM_400000_NS6detail17trampoline_kernelINS0_14default_configENS1_20scan_config_selectorIdEEZZNS1_9scan_implILNS1_25lookback_scan_determinismE0ELb0ELb0ES3_PKdPddZZZN2at6native31launch_logcumsumexp_cuda_kernelERKNSB_10TensorBaseESF_lENKUlvE_clEvENKUlvE_clEvEUlddE_dEEDaPvRmT3_T4_T5_mT6_P12ihipStream_tbENKUlT_T0_E_clISt17integral_constantIbLb1EESW_EEDaSR_SS_EUlSR_E_NS1_11comp_targetILNS1_3genE10ELNS1_11target_archE1200ELNS1_3gpuE4ELNS1_3repE0EEENS1_30default_config_static_selectorELNS0_4arch9wavefront6targetE1EEEvT1_: ; @_ZN7rocprim17ROCPRIM_400000_NS6detail17trampoline_kernelINS0_14default_configENS1_20scan_config_selectorIdEEZZNS1_9scan_implILNS1_25lookback_scan_determinismE0ELb0ELb0ES3_PKdPddZZZN2at6native31launch_logcumsumexp_cuda_kernelERKNSB_10TensorBaseESF_lENKUlvE_clEvENKUlvE_clEvEUlddE_dEEDaPvRmT3_T4_T5_mT6_P12ihipStream_tbENKUlT_T0_E_clISt17integral_constantIbLb1EESW_EEDaSR_SS_EUlSR_E_NS1_11comp_targetILNS1_3genE10ELNS1_11target_archE1200ELNS1_3gpuE4ELNS1_3repE0EEENS1_30default_config_static_selectorELNS0_4arch9wavefront6targetE1EEEvT1_
; %bb.0:
	.section	.rodata,"a",@progbits
	.p2align	6, 0x0
	.amdhsa_kernel _ZN7rocprim17ROCPRIM_400000_NS6detail17trampoline_kernelINS0_14default_configENS1_20scan_config_selectorIdEEZZNS1_9scan_implILNS1_25lookback_scan_determinismE0ELb0ELb0ES3_PKdPddZZZN2at6native31launch_logcumsumexp_cuda_kernelERKNSB_10TensorBaseESF_lENKUlvE_clEvENKUlvE_clEvEUlddE_dEEDaPvRmT3_T4_T5_mT6_P12ihipStream_tbENKUlT_T0_E_clISt17integral_constantIbLb1EESW_EEDaSR_SS_EUlSR_E_NS1_11comp_targetILNS1_3genE10ELNS1_11target_archE1200ELNS1_3gpuE4ELNS1_3repE0EEENS1_30default_config_static_selectorELNS0_4arch9wavefront6targetE1EEEvT1_
		.amdhsa_group_segment_fixed_size 0
		.amdhsa_private_segment_fixed_size 0
		.amdhsa_kernarg_size 104
		.amdhsa_user_sgpr_count 6
		.amdhsa_user_sgpr_private_segment_buffer 1
		.amdhsa_user_sgpr_dispatch_ptr 0
		.amdhsa_user_sgpr_queue_ptr 0
		.amdhsa_user_sgpr_kernarg_segment_ptr 1
		.amdhsa_user_sgpr_dispatch_id 0
		.amdhsa_user_sgpr_flat_scratch_init 0
		.amdhsa_user_sgpr_kernarg_preload_length 0
		.amdhsa_user_sgpr_kernarg_preload_offset 0
		.amdhsa_user_sgpr_private_segment_size 0
		.amdhsa_uses_dynamic_stack 0
		.amdhsa_system_sgpr_private_segment_wavefront_offset 0
		.amdhsa_system_sgpr_workgroup_id_x 1
		.amdhsa_system_sgpr_workgroup_id_y 0
		.amdhsa_system_sgpr_workgroup_id_z 0
		.amdhsa_system_sgpr_workgroup_info 0
		.amdhsa_system_vgpr_workitem_id 0
		.amdhsa_next_free_vgpr 1
		.amdhsa_next_free_sgpr 0
		.amdhsa_accum_offset 4
		.amdhsa_reserve_vcc 0
		.amdhsa_reserve_flat_scratch 0
		.amdhsa_float_round_mode_32 0
		.amdhsa_float_round_mode_16_64 0
		.amdhsa_float_denorm_mode_32 3
		.amdhsa_float_denorm_mode_16_64 3
		.amdhsa_dx10_clamp 1
		.amdhsa_ieee_mode 1
		.amdhsa_fp16_overflow 0
		.amdhsa_tg_split 0
		.amdhsa_exception_fp_ieee_invalid_op 0
		.amdhsa_exception_fp_denorm_src 0
		.amdhsa_exception_fp_ieee_div_zero 0
		.amdhsa_exception_fp_ieee_overflow 0
		.amdhsa_exception_fp_ieee_underflow 0
		.amdhsa_exception_fp_ieee_inexact 0
		.amdhsa_exception_int_div_zero 0
	.end_amdhsa_kernel
	.section	.text._ZN7rocprim17ROCPRIM_400000_NS6detail17trampoline_kernelINS0_14default_configENS1_20scan_config_selectorIdEEZZNS1_9scan_implILNS1_25lookback_scan_determinismE0ELb0ELb0ES3_PKdPddZZZN2at6native31launch_logcumsumexp_cuda_kernelERKNSB_10TensorBaseESF_lENKUlvE_clEvENKUlvE_clEvEUlddE_dEEDaPvRmT3_T4_T5_mT6_P12ihipStream_tbENKUlT_T0_E_clISt17integral_constantIbLb1EESW_EEDaSR_SS_EUlSR_E_NS1_11comp_targetILNS1_3genE10ELNS1_11target_archE1200ELNS1_3gpuE4ELNS1_3repE0EEENS1_30default_config_static_selectorELNS0_4arch9wavefront6targetE1EEEvT1_,"axG",@progbits,_ZN7rocprim17ROCPRIM_400000_NS6detail17trampoline_kernelINS0_14default_configENS1_20scan_config_selectorIdEEZZNS1_9scan_implILNS1_25lookback_scan_determinismE0ELb0ELb0ES3_PKdPddZZZN2at6native31launch_logcumsumexp_cuda_kernelERKNSB_10TensorBaseESF_lENKUlvE_clEvENKUlvE_clEvEUlddE_dEEDaPvRmT3_T4_T5_mT6_P12ihipStream_tbENKUlT_T0_E_clISt17integral_constantIbLb1EESW_EEDaSR_SS_EUlSR_E_NS1_11comp_targetILNS1_3genE10ELNS1_11target_archE1200ELNS1_3gpuE4ELNS1_3repE0EEENS1_30default_config_static_selectorELNS0_4arch9wavefront6targetE1EEEvT1_,comdat
.Lfunc_end34:
	.size	_ZN7rocprim17ROCPRIM_400000_NS6detail17trampoline_kernelINS0_14default_configENS1_20scan_config_selectorIdEEZZNS1_9scan_implILNS1_25lookback_scan_determinismE0ELb0ELb0ES3_PKdPddZZZN2at6native31launch_logcumsumexp_cuda_kernelERKNSB_10TensorBaseESF_lENKUlvE_clEvENKUlvE_clEvEUlddE_dEEDaPvRmT3_T4_T5_mT6_P12ihipStream_tbENKUlT_T0_E_clISt17integral_constantIbLb1EESW_EEDaSR_SS_EUlSR_E_NS1_11comp_targetILNS1_3genE10ELNS1_11target_archE1200ELNS1_3gpuE4ELNS1_3repE0EEENS1_30default_config_static_selectorELNS0_4arch9wavefront6targetE1EEEvT1_, .Lfunc_end34-_ZN7rocprim17ROCPRIM_400000_NS6detail17trampoline_kernelINS0_14default_configENS1_20scan_config_selectorIdEEZZNS1_9scan_implILNS1_25lookback_scan_determinismE0ELb0ELb0ES3_PKdPddZZZN2at6native31launch_logcumsumexp_cuda_kernelERKNSB_10TensorBaseESF_lENKUlvE_clEvENKUlvE_clEvEUlddE_dEEDaPvRmT3_T4_T5_mT6_P12ihipStream_tbENKUlT_T0_E_clISt17integral_constantIbLb1EESW_EEDaSR_SS_EUlSR_E_NS1_11comp_targetILNS1_3genE10ELNS1_11target_archE1200ELNS1_3gpuE4ELNS1_3repE0EEENS1_30default_config_static_selectorELNS0_4arch9wavefront6targetE1EEEvT1_
                                        ; -- End function
	.section	.AMDGPU.csdata,"",@progbits
; Kernel info:
; codeLenInByte = 0
; NumSgprs: 4
; NumVgprs: 0
; NumAgprs: 0
; TotalNumVgprs: 0
; ScratchSize: 0
; MemoryBound: 0
; FloatMode: 240
; IeeeMode: 1
; LDSByteSize: 0 bytes/workgroup (compile time only)
; SGPRBlocks: 0
; VGPRBlocks: 0
; NumSGPRsForWavesPerEU: 4
; NumVGPRsForWavesPerEU: 1
; AccumOffset: 4
; Occupancy: 8
; WaveLimiterHint : 0
; COMPUTE_PGM_RSRC2:SCRATCH_EN: 0
; COMPUTE_PGM_RSRC2:USER_SGPR: 6
; COMPUTE_PGM_RSRC2:TRAP_HANDLER: 0
; COMPUTE_PGM_RSRC2:TGID_X_EN: 1
; COMPUTE_PGM_RSRC2:TGID_Y_EN: 0
; COMPUTE_PGM_RSRC2:TGID_Z_EN: 0
; COMPUTE_PGM_RSRC2:TIDIG_COMP_CNT: 0
; COMPUTE_PGM_RSRC3_GFX90A:ACCUM_OFFSET: 0
; COMPUTE_PGM_RSRC3_GFX90A:TG_SPLIT: 0
	.section	.text._ZN7rocprim17ROCPRIM_400000_NS6detail17trampoline_kernelINS0_14default_configENS1_20scan_config_selectorIdEEZZNS1_9scan_implILNS1_25lookback_scan_determinismE0ELb0ELb0ES3_PKdPddZZZN2at6native31launch_logcumsumexp_cuda_kernelERKNSB_10TensorBaseESF_lENKUlvE_clEvENKUlvE_clEvEUlddE_dEEDaPvRmT3_T4_T5_mT6_P12ihipStream_tbENKUlT_T0_E_clISt17integral_constantIbLb1EESW_EEDaSR_SS_EUlSR_E_NS1_11comp_targetILNS1_3genE9ELNS1_11target_archE1100ELNS1_3gpuE3ELNS1_3repE0EEENS1_30default_config_static_selectorELNS0_4arch9wavefront6targetE1EEEvT1_,"axG",@progbits,_ZN7rocprim17ROCPRIM_400000_NS6detail17trampoline_kernelINS0_14default_configENS1_20scan_config_selectorIdEEZZNS1_9scan_implILNS1_25lookback_scan_determinismE0ELb0ELb0ES3_PKdPddZZZN2at6native31launch_logcumsumexp_cuda_kernelERKNSB_10TensorBaseESF_lENKUlvE_clEvENKUlvE_clEvEUlddE_dEEDaPvRmT3_T4_T5_mT6_P12ihipStream_tbENKUlT_T0_E_clISt17integral_constantIbLb1EESW_EEDaSR_SS_EUlSR_E_NS1_11comp_targetILNS1_3genE9ELNS1_11target_archE1100ELNS1_3gpuE3ELNS1_3repE0EEENS1_30default_config_static_selectorELNS0_4arch9wavefront6targetE1EEEvT1_,comdat
	.globl	_ZN7rocprim17ROCPRIM_400000_NS6detail17trampoline_kernelINS0_14default_configENS1_20scan_config_selectorIdEEZZNS1_9scan_implILNS1_25lookback_scan_determinismE0ELb0ELb0ES3_PKdPddZZZN2at6native31launch_logcumsumexp_cuda_kernelERKNSB_10TensorBaseESF_lENKUlvE_clEvENKUlvE_clEvEUlddE_dEEDaPvRmT3_T4_T5_mT6_P12ihipStream_tbENKUlT_T0_E_clISt17integral_constantIbLb1EESW_EEDaSR_SS_EUlSR_E_NS1_11comp_targetILNS1_3genE9ELNS1_11target_archE1100ELNS1_3gpuE3ELNS1_3repE0EEENS1_30default_config_static_selectorELNS0_4arch9wavefront6targetE1EEEvT1_ ; -- Begin function _ZN7rocprim17ROCPRIM_400000_NS6detail17trampoline_kernelINS0_14default_configENS1_20scan_config_selectorIdEEZZNS1_9scan_implILNS1_25lookback_scan_determinismE0ELb0ELb0ES3_PKdPddZZZN2at6native31launch_logcumsumexp_cuda_kernelERKNSB_10TensorBaseESF_lENKUlvE_clEvENKUlvE_clEvEUlddE_dEEDaPvRmT3_T4_T5_mT6_P12ihipStream_tbENKUlT_T0_E_clISt17integral_constantIbLb1EESW_EEDaSR_SS_EUlSR_E_NS1_11comp_targetILNS1_3genE9ELNS1_11target_archE1100ELNS1_3gpuE3ELNS1_3repE0EEENS1_30default_config_static_selectorELNS0_4arch9wavefront6targetE1EEEvT1_
	.p2align	8
	.type	_ZN7rocprim17ROCPRIM_400000_NS6detail17trampoline_kernelINS0_14default_configENS1_20scan_config_selectorIdEEZZNS1_9scan_implILNS1_25lookback_scan_determinismE0ELb0ELb0ES3_PKdPddZZZN2at6native31launch_logcumsumexp_cuda_kernelERKNSB_10TensorBaseESF_lENKUlvE_clEvENKUlvE_clEvEUlddE_dEEDaPvRmT3_T4_T5_mT6_P12ihipStream_tbENKUlT_T0_E_clISt17integral_constantIbLb1EESW_EEDaSR_SS_EUlSR_E_NS1_11comp_targetILNS1_3genE9ELNS1_11target_archE1100ELNS1_3gpuE3ELNS1_3repE0EEENS1_30default_config_static_selectorELNS0_4arch9wavefront6targetE1EEEvT1_,@function
_ZN7rocprim17ROCPRIM_400000_NS6detail17trampoline_kernelINS0_14default_configENS1_20scan_config_selectorIdEEZZNS1_9scan_implILNS1_25lookback_scan_determinismE0ELb0ELb0ES3_PKdPddZZZN2at6native31launch_logcumsumexp_cuda_kernelERKNSB_10TensorBaseESF_lENKUlvE_clEvENKUlvE_clEvEUlddE_dEEDaPvRmT3_T4_T5_mT6_P12ihipStream_tbENKUlT_T0_E_clISt17integral_constantIbLb1EESW_EEDaSR_SS_EUlSR_E_NS1_11comp_targetILNS1_3genE9ELNS1_11target_archE1100ELNS1_3gpuE3ELNS1_3repE0EEENS1_30default_config_static_selectorELNS0_4arch9wavefront6targetE1EEEvT1_: ; @_ZN7rocprim17ROCPRIM_400000_NS6detail17trampoline_kernelINS0_14default_configENS1_20scan_config_selectorIdEEZZNS1_9scan_implILNS1_25lookback_scan_determinismE0ELb0ELb0ES3_PKdPddZZZN2at6native31launch_logcumsumexp_cuda_kernelERKNSB_10TensorBaseESF_lENKUlvE_clEvENKUlvE_clEvEUlddE_dEEDaPvRmT3_T4_T5_mT6_P12ihipStream_tbENKUlT_T0_E_clISt17integral_constantIbLb1EESW_EEDaSR_SS_EUlSR_E_NS1_11comp_targetILNS1_3genE9ELNS1_11target_archE1100ELNS1_3gpuE3ELNS1_3repE0EEENS1_30default_config_static_selectorELNS0_4arch9wavefront6targetE1EEEvT1_
; %bb.0:
	.section	.rodata,"a",@progbits
	.p2align	6, 0x0
	.amdhsa_kernel _ZN7rocprim17ROCPRIM_400000_NS6detail17trampoline_kernelINS0_14default_configENS1_20scan_config_selectorIdEEZZNS1_9scan_implILNS1_25lookback_scan_determinismE0ELb0ELb0ES3_PKdPddZZZN2at6native31launch_logcumsumexp_cuda_kernelERKNSB_10TensorBaseESF_lENKUlvE_clEvENKUlvE_clEvEUlddE_dEEDaPvRmT3_T4_T5_mT6_P12ihipStream_tbENKUlT_T0_E_clISt17integral_constantIbLb1EESW_EEDaSR_SS_EUlSR_E_NS1_11comp_targetILNS1_3genE9ELNS1_11target_archE1100ELNS1_3gpuE3ELNS1_3repE0EEENS1_30default_config_static_selectorELNS0_4arch9wavefront6targetE1EEEvT1_
		.amdhsa_group_segment_fixed_size 0
		.amdhsa_private_segment_fixed_size 0
		.amdhsa_kernarg_size 104
		.amdhsa_user_sgpr_count 6
		.amdhsa_user_sgpr_private_segment_buffer 1
		.amdhsa_user_sgpr_dispatch_ptr 0
		.amdhsa_user_sgpr_queue_ptr 0
		.amdhsa_user_sgpr_kernarg_segment_ptr 1
		.amdhsa_user_sgpr_dispatch_id 0
		.amdhsa_user_sgpr_flat_scratch_init 0
		.amdhsa_user_sgpr_kernarg_preload_length 0
		.amdhsa_user_sgpr_kernarg_preload_offset 0
		.amdhsa_user_sgpr_private_segment_size 0
		.amdhsa_uses_dynamic_stack 0
		.amdhsa_system_sgpr_private_segment_wavefront_offset 0
		.amdhsa_system_sgpr_workgroup_id_x 1
		.amdhsa_system_sgpr_workgroup_id_y 0
		.amdhsa_system_sgpr_workgroup_id_z 0
		.amdhsa_system_sgpr_workgroup_info 0
		.amdhsa_system_vgpr_workitem_id 0
		.amdhsa_next_free_vgpr 1
		.amdhsa_next_free_sgpr 0
		.amdhsa_accum_offset 4
		.amdhsa_reserve_vcc 0
		.amdhsa_reserve_flat_scratch 0
		.amdhsa_float_round_mode_32 0
		.amdhsa_float_round_mode_16_64 0
		.amdhsa_float_denorm_mode_32 3
		.amdhsa_float_denorm_mode_16_64 3
		.amdhsa_dx10_clamp 1
		.amdhsa_ieee_mode 1
		.amdhsa_fp16_overflow 0
		.amdhsa_tg_split 0
		.amdhsa_exception_fp_ieee_invalid_op 0
		.amdhsa_exception_fp_denorm_src 0
		.amdhsa_exception_fp_ieee_div_zero 0
		.amdhsa_exception_fp_ieee_overflow 0
		.amdhsa_exception_fp_ieee_underflow 0
		.amdhsa_exception_fp_ieee_inexact 0
		.amdhsa_exception_int_div_zero 0
	.end_amdhsa_kernel
	.section	.text._ZN7rocprim17ROCPRIM_400000_NS6detail17trampoline_kernelINS0_14default_configENS1_20scan_config_selectorIdEEZZNS1_9scan_implILNS1_25lookback_scan_determinismE0ELb0ELb0ES3_PKdPddZZZN2at6native31launch_logcumsumexp_cuda_kernelERKNSB_10TensorBaseESF_lENKUlvE_clEvENKUlvE_clEvEUlddE_dEEDaPvRmT3_T4_T5_mT6_P12ihipStream_tbENKUlT_T0_E_clISt17integral_constantIbLb1EESW_EEDaSR_SS_EUlSR_E_NS1_11comp_targetILNS1_3genE9ELNS1_11target_archE1100ELNS1_3gpuE3ELNS1_3repE0EEENS1_30default_config_static_selectorELNS0_4arch9wavefront6targetE1EEEvT1_,"axG",@progbits,_ZN7rocprim17ROCPRIM_400000_NS6detail17trampoline_kernelINS0_14default_configENS1_20scan_config_selectorIdEEZZNS1_9scan_implILNS1_25lookback_scan_determinismE0ELb0ELb0ES3_PKdPddZZZN2at6native31launch_logcumsumexp_cuda_kernelERKNSB_10TensorBaseESF_lENKUlvE_clEvENKUlvE_clEvEUlddE_dEEDaPvRmT3_T4_T5_mT6_P12ihipStream_tbENKUlT_T0_E_clISt17integral_constantIbLb1EESW_EEDaSR_SS_EUlSR_E_NS1_11comp_targetILNS1_3genE9ELNS1_11target_archE1100ELNS1_3gpuE3ELNS1_3repE0EEENS1_30default_config_static_selectorELNS0_4arch9wavefront6targetE1EEEvT1_,comdat
.Lfunc_end35:
	.size	_ZN7rocprim17ROCPRIM_400000_NS6detail17trampoline_kernelINS0_14default_configENS1_20scan_config_selectorIdEEZZNS1_9scan_implILNS1_25lookback_scan_determinismE0ELb0ELb0ES3_PKdPddZZZN2at6native31launch_logcumsumexp_cuda_kernelERKNSB_10TensorBaseESF_lENKUlvE_clEvENKUlvE_clEvEUlddE_dEEDaPvRmT3_T4_T5_mT6_P12ihipStream_tbENKUlT_T0_E_clISt17integral_constantIbLb1EESW_EEDaSR_SS_EUlSR_E_NS1_11comp_targetILNS1_3genE9ELNS1_11target_archE1100ELNS1_3gpuE3ELNS1_3repE0EEENS1_30default_config_static_selectorELNS0_4arch9wavefront6targetE1EEEvT1_, .Lfunc_end35-_ZN7rocprim17ROCPRIM_400000_NS6detail17trampoline_kernelINS0_14default_configENS1_20scan_config_selectorIdEEZZNS1_9scan_implILNS1_25lookback_scan_determinismE0ELb0ELb0ES3_PKdPddZZZN2at6native31launch_logcumsumexp_cuda_kernelERKNSB_10TensorBaseESF_lENKUlvE_clEvENKUlvE_clEvEUlddE_dEEDaPvRmT3_T4_T5_mT6_P12ihipStream_tbENKUlT_T0_E_clISt17integral_constantIbLb1EESW_EEDaSR_SS_EUlSR_E_NS1_11comp_targetILNS1_3genE9ELNS1_11target_archE1100ELNS1_3gpuE3ELNS1_3repE0EEENS1_30default_config_static_selectorELNS0_4arch9wavefront6targetE1EEEvT1_
                                        ; -- End function
	.section	.AMDGPU.csdata,"",@progbits
; Kernel info:
; codeLenInByte = 0
; NumSgprs: 4
; NumVgprs: 0
; NumAgprs: 0
; TotalNumVgprs: 0
; ScratchSize: 0
; MemoryBound: 0
; FloatMode: 240
; IeeeMode: 1
; LDSByteSize: 0 bytes/workgroup (compile time only)
; SGPRBlocks: 0
; VGPRBlocks: 0
; NumSGPRsForWavesPerEU: 4
; NumVGPRsForWavesPerEU: 1
; AccumOffset: 4
; Occupancy: 8
; WaveLimiterHint : 0
; COMPUTE_PGM_RSRC2:SCRATCH_EN: 0
; COMPUTE_PGM_RSRC2:USER_SGPR: 6
; COMPUTE_PGM_RSRC2:TRAP_HANDLER: 0
; COMPUTE_PGM_RSRC2:TGID_X_EN: 1
; COMPUTE_PGM_RSRC2:TGID_Y_EN: 0
; COMPUTE_PGM_RSRC2:TGID_Z_EN: 0
; COMPUTE_PGM_RSRC2:TIDIG_COMP_CNT: 0
; COMPUTE_PGM_RSRC3_GFX90A:ACCUM_OFFSET: 0
; COMPUTE_PGM_RSRC3_GFX90A:TG_SPLIT: 0
	.section	.text._ZN7rocprim17ROCPRIM_400000_NS6detail17trampoline_kernelINS0_14default_configENS1_20scan_config_selectorIdEEZZNS1_9scan_implILNS1_25lookback_scan_determinismE0ELb0ELb0ES3_PKdPddZZZN2at6native31launch_logcumsumexp_cuda_kernelERKNSB_10TensorBaseESF_lENKUlvE_clEvENKUlvE_clEvEUlddE_dEEDaPvRmT3_T4_T5_mT6_P12ihipStream_tbENKUlT_T0_E_clISt17integral_constantIbLb1EESW_EEDaSR_SS_EUlSR_E_NS1_11comp_targetILNS1_3genE8ELNS1_11target_archE1030ELNS1_3gpuE2ELNS1_3repE0EEENS1_30default_config_static_selectorELNS0_4arch9wavefront6targetE1EEEvT1_,"axG",@progbits,_ZN7rocprim17ROCPRIM_400000_NS6detail17trampoline_kernelINS0_14default_configENS1_20scan_config_selectorIdEEZZNS1_9scan_implILNS1_25lookback_scan_determinismE0ELb0ELb0ES3_PKdPddZZZN2at6native31launch_logcumsumexp_cuda_kernelERKNSB_10TensorBaseESF_lENKUlvE_clEvENKUlvE_clEvEUlddE_dEEDaPvRmT3_T4_T5_mT6_P12ihipStream_tbENKUlT_T0_E_clISt17integral_constantIbLb1EESW_EEDaSR_SS_EUlSR_E_NS1_11comp_targetILNS1_3genE8ELNS1_11target_archE1030ELNS1_3gpuE2ELNS1_3repE0EEENS1_30default_config_static_selectorELNS0_4arch9wavefront6targetE1EEEvT1_,comdat
	.globl	_ZN7rocprim17ROCPRIM_400000_NS6detail17trampoline_kernelINS0_14default_configENS1_20scan_config_selectorIdEEZZNS1_9scan_implILNS1_25lookback_scan_determinismE0ELb0ELb0ES3_PKdPddZZZN2at6native31launch_logcumsumexp_cuda_kernelERKNSB_10TensorBaseESF_lENKUlvE_clEvENKUlvE_clEvEUlddE_dEEDaPvRmT3_T4_T5_mT6_P12ihipStream_tbENKUlT_T0_E_clISt17integral_constantIbLb1EESW_EEDaSR_SS_EUlSR_E_NS1_11comp_targetILNS1_3genE8ELNS1_11target_archE1030ELNS1_3gpuE2ELNS1_3repE0EEENS1_30default_config_static_selectorELNS0_4arch9wavefront6targetE1EEEvT1_ ; -- Begin function _ZN7rocprim17ROCPRIM_400000_NS6detail17trampoline_kernelINS0_14default_configENS1_20scan_config_selectorIdEEZZNS1_9scan_implILNS1_25lookback_scan_determinismE0ELb0ELb0ES3_PKdPddZZZN2at6native31launch_logcumsumexp_cuda_kernelERKNSB_10TensorBaseESF_lENKUlvE_clEvENKUlvE_clEvEUlddE_dEEDaPvRmT3_T4_T5_mT6_P12ihipStream_tbENKUlT_T0_E_clISt17integral_constantIbLb1EESW_EEDaSR_SS_EUlSR_E_NS1_11comp_targetILNS1_3genE8ELNS1_11target_archE1030ELNS1_3gpuE2ELNS1_3repE0EEENS1_30default_config_static_selectorELNS0_4arch9wavefront6targetE1EEEvT1_
	.p2align	8
	.type	_ZN7rocprim17ROCPRIM_400000_NS6detail17trampoline_kernelINS0_14default_configENS1_20scan_config_selectorIdEEZZNS1_9scan_implILNS1_25lookback_scan_determinismE0ELb0ELb0ES3_PKdPddZZZN2at6native31launch_logcumsumexp_cuda_kernelERKNSB_10TensorBaseESF_lENKUlvE_clEvENKUlvE_clEvEUlddE_dEEDaPvRmT3_T4_T5_mT6_P12ihipStream_tbENKUlT_T0_E_clISt17integral_constantIbLb1EESW_EEDaSR_SS_EUlSR_E_NS1_11comp_targetILNS1_3genE8ELNS1_11target_archE1030ELNS1_3gpuE2ELNS1_3repE0EEENS1_30default_config_static_selectorELNS0_4arch9wavefront6targetE1EEEvT1_,@function
_ZN7rocprim17ROCPRIM_400000_NS6detail17trampoline_kernelINS0_14default_configENS1_20scan_config_selectorIdEEZZNS1_9scan_implILNS1_25lookback_scan_determinismE0ELb0ELb0ES3_PKdPddZZZN2at6native31launch_logcumsumexp_cuda_kernelERKNSB_10TensorBaseESF_lENKUlvE_clEvENKUlvE_clEvEUlddE_dEEDaPvRmT3_T4_T5_mT6_P12ihipStream_tbENKUlT_T0_E_clISt17integral_constantIbLb1EESW_EEDaSR_SS_EUlSR_E_NS1_11comp_targetILNS1_3genE8ELNS1_11target_archE1030ELNS1_3gpuE2ELNS1_3repE0EEENS1_30default_config_static_selectorELNS0_4arch9wavefront6targetE1EEEvT1_: ; @_ZN7rocprim17ROCPRIM_400000_NS6detail17trampoline_kernelINS0_14default_configENS1_20scan_config_selectorIdEEZZNS1_9scan_implILNS1_25lookback_scan_determinismE0ELb0ELb0ES3_PKdPddZZZN2at6native31launch_logcumsumexp_cuda_kernelERKNSB_10TensorBaseESF_lENKUlvE_clEvENKUlvE_clEvEUlddE_dEEDaPvRmT3_T4_T5_mT6_P12ihipStream_tbENKUlT_T0_E_clISt17integral_constantIbLb1EESW_EEDaSR_SS_EUlSR_E_NS1_11comp_targetILNS1_3genE8ELNS1_11target_archE1030ELNS1_3gpuE2ELNS1_3repE0EEENS1_30default_config_static_selectorELNS0_4arch9wavefront6targetE1EEEvT1_
; %bb.0:
	.section	.rodata,"a",@progbits
	.p2align	6, 0x0
	.amdhsa_kernel _ZN7rocprim17ROCPRIM_400000_NS6detail17trampoline_kernelINS0_14default_configENS1_20scan_config_selectorIdEEZZNS1_9scan_implILNS1_25lookback_scan_determinismE0ELb0ELb0ES3_PKdPddZZZN2at6native31launch_logcumsumexp_cuda_kernelERKNSB_10TensorBaseESF_lENKUlvE_clEvENKUlvE_clEvEUlddE_dEEDaPvRmT3_T4_T5_mT6_P12ihipStream_tbENKUlT_T0_E_clISt17integral_constantIbLb1EESW_EEDaSR_SS_EUlSR_E_NS1_11comp_targetILNS1_3genE8ELNS1_11target_archE1030ELNS1_3gpuE2ELNS1_3repE0EEENS1_30default_config_static_selectorELNS0_4arch9wavefront6targetE1EEEvT1_
		.amdhsa_group_segment_fixed_size 0
		.amdhsa_private_segment_fixed_size 0
		.amdhsa_kernarg_size 104
		.amdhsa_user_sgpr_count 6
		.amdhsa_user_sgpr_private_segment_buffer 1
		.amdhsa_user_sgpr_dispatch_ptr 0
		.amdhsa_user_sgpr_queue_ptr 0
		.amdhsa_user_sgpr_kernarg_segment_ptr 1
		.amdhsa_user_sgpr_dispatch_id 0
		.amdhsa_user_sgpr_flat_scratch_init 0
		.amdhsa_user_sgpr_kernarg_preload_length 0
		.amdhsa_user_sgpr_kernarg_preload_offset 0
		.amdhsa_user_sgpr_private_segment_size 0
		.amdhsa_uses_dynamic_stack 0
		.amdhsa_system_sgpr_private_segment_wavefront_offset 0
		.amdhsa_system_sgpr_workgroup_id_x 1
		.amdhsa_system_sgpr_workgroup_id_y 0
		.amdhsa_system_sgpr_workgroup_id_z 0
		.amdhsa_system_sgpr_workgroup_info 0
		.amdhsa_system_vgpr_workitem_id 0
		.amdhsa_next_free_vgpr 1
		.amdhsa_next_free_sgpr 0
		.amdhsa_accum_offset 4
		.amdhsa_reserve_vcc 0
		.amdhsa_reserve_flat_scratch 0
		.amdhsa_float_round_mode_32 0
		.amdhsa_float_round_mode_16_64 0
		.amdhsa_float_denorm_mode_32 3
		.amdhsa_float_denorm_mode_16_64 3
		.amdhsa_dx10_clamp 1
		.amdhsa_ieee_mode 1
		.amdhsa_fp16_overflow 0
		.amdhsa_tg_split 0
		.amdhsa_exception_fp_ieee_invalid_op 0
		.amdhsa_exception_fp_denorm_src 0
		.amdhsa_exception_fp_ieee_div_zero 0
		.amdhsa_exception_fp_ieee_overflow 0
		.amdhsa_exception_fp_ieee_underflow 0
		.amdhsa_exception_fp_ieee_inexact 0
		.amdhsa_exception_int_div_zero 0
	.end_amdhsa_kernel
	.section	.text._ZN7rocprim17ROCPRIM_400000_NS6detail17trampoline_kernelINS0_14default_configENS1_20scan_config_selectorIdEEZZNS1_9scan_implILNS1_25lookback_scan_determinismE0ELb0ELb0ES3_PKdPddZZZN2at6native31launch_logcumsumexp_cuda_kernelERKNSB_10TensorBaseESF_lENKUlvE_clEvENKUlvE_clEvEUlddE_dEEDaPvRmT3_T4_T5_mT6_P12ihipStream_tbENKUlT_T0_E_clISt17integral_constantIbLb1EESW_EEDaSR_SS_EUlSR_E_NS1_11comp_targetILNS1_3genE8ELNS1_11target_archE1030ELNS1_3gpuE2ELNS1_3repE0EEENS1_30default_config_static_selectorELNS0_4arch9wavefront6targetE1EEEvT1_,"axG",@progbits,_ZN7rocprim17ROCPRIM_400000_NS6detail17trampoline_kernelINS0_14default_configENS1_20scan_config_selectorIdEEZZNS1_9scan_implILNS1_25lookback_scan_determinismE0ELb0ELb0ES3_PKdPddZZZN2at6native31launch_logcumsumexp_cuda_kernelERKNSB_10TensorBaseESF_lENKUlvE_clEvENKUlvE_clEvEUlddE_dEEDaPvRmT3_T4_T5_mT6_P12ihipStream_tbENKUlT_T0_E_clISt17integral_constantIbLb1EESW_EEDaSR_SS_EUlSR_E_NS1_11comp_targetILNS1_3genE8ELNS1_11target_archE1030ELNS1_3gpuE2ELNS1_3repE0EEENS1_30default_config_static_selectorELNS0_4arch9wavefront6targetE1EEEvT1_,comdat
.Lfunc_end36:
	.size	_ZN7rocprim17ROCPRIM_400000_NS6detail17trampoline_kernelINS0_14default_configENS1_20scan_config_selectorIdEEZZNS1_9scan_implILNS1_25lookback_scan_determinismE0ELb0ELb0ES3_PKdPddZZZN2at6native31launch_logcumsumexp_cuda_kernelERKNSB_10TensorBaseESF_lENKUlvE_clEvENKUlvE_clEvEUlddE_dEEDaPvRmT3_T4_T5_mT6_P12ihipStream_tbENKUlT_T0_E_clISt17integral_constantIbLb1EESW_EEDaSR_SS_EUlSR_E_NS1_11comp_targetILNS1_3genE8ELNS1_11target_archE1030ELNS1_3gpuE2ELNS1_3repE0EEENS1_30default_config_static_selectorELNS0_4arch9wavefront6targetE1EEEvT1_, .Lfunc_end36-_ZN7rocprim17ROCPRIM_400000_NS6detail17trampoline_kernelINS0_14default_configENS1_20scan_config_selectorIdEEZZNS1_9scan_implILNS1_25lookback_scan_determinismE0ELb0ELb0ES3_PKdPddZZZN2at6native31launch_logcumsumexp_cuda_kernelERKNSB_10TensorBaseESF_lENKUlvE_clEvENKUlvE_clEvEUlddE_dEEDaPvRmT3_T4_T5_mT6_P12ihipStream_tbENKUlT_T0_E_clISt17integral_constantIbLb1EESW_EEDaSR_SS_EUlSR_E_NS1_11comp_targetILNS1_3genE8ELNS1_11target_archE1030ELNS1_3gpuE2ELNS1_3repE0EEENS1_30default_config_static_selectorELNS0_4arch9wavefront6targetE1EEEvT1_
                                        ; -- End function
	.section	.AMDGPU.csdata,"",@progbits
; Kernel info:
; codeLenInByte = 0
; NumSgprs: 4
; NumVgprs: 0
; NumAgprs: 0
; TotalNumVgprs: 0
; ScratchSize: 0
; MemoryBound: 0
; FloatMode: 240
; IeeeMode: 1
; LDSByteSize: 0 bytes/workgroup (compile time only)
; SGPRBlocks: 0
; VGPRBlocks: 0
; NumSGPRsForWavesPerEU: 4
; NumVGPRsForWavesPerEU: 1
; AccumOffset: 4
; Occupancy: 8
; WaveLimiterHint : 0
; COMPUTE_PGM_RSRC2:SCRATCH_EN: 0
; COMPUTE_PGM_RSRC2:USER_SGPR: 6
; COMPUTE_PGM_RSRC2:TRAP_HANDLER: 0
; COMPUTE_PGM_RSRC2:TGID_X_EN: 1
; COMPUTE_PGM_RSRC2:TGID_Y_EN: 0
; COMPUTE_PGM_RSRC2:TGID_Z_EN: 0
; COMPUTE_PGM_RSRC2:TIDIG_COMP_CNT: 0
; COMPUTE_PGM_RSRC3_GFX90A:ACCUM_OFFSET: 0
; COMPUTE_PGM_RSRC3_GFX90A:TG_SPLIT: 0
	.section	.text._ZN7rocprim17ROCPRIM_400000_NS6detail17trampoline_kernelINS0_14default_configENS1_20scan_config_selectorIdEEZZNS1_9scan_implILNS1_25lookback_scan_determinismE0ELb0ELb0ES3_PKdPddZZZN2at6native31launch_logcumsumexp_cuda_kernelERKNSB_10TensorBaseESF_lENKUlvE_clEvENKUlvE_clEvEUlddE_dEEDaPvRmT3_T4_T5_mT6_P12ihipStream_tbENKUlT_T0_E_clISt17integral_constantIbLb1EESW_EEDaSR_SS_EUlSR_E0_NS1_11comp_targetILNS1_3genE0ELNS1_11target_archE4294967295ELNS1_3gpuE0ELNS1_3repE0EEENS1_30default_config_static_selectorELNS0_4arch9wavefront6targetE1EEEvT1_,"axG",@progbits,_ZN7rocprim17ROCPRIM_400000_NS6detail17trampoline_kernelINS0_14default_configENS1_20scan_config_selectorIdEEZZNS1_9scan_implILNS1_25lookback_scan_determinismE0ELb0ELb0ES3_PKdPddZZZN2at6native31launch_logcumsumexp_cuda_kernelERKNSB_10TensorBaseESF_lENKUlvE_clEvENKUlvE_clEvEUlddE_dEEDaPvRmT3_T4_T5_mT6_P12ihipStream_tbENKUlT_T0_E_clISt17integral_constantIbLb1EESW_EEDaSR_SS_EUlSR_E0_NS1_11comp_targetILNS1_3genE0ELNS1_11target_archE4294967295ELNS1_3gpuE0ELNS1_3repE0EEENS1_30default_config_static_selectorELNS0_4arch9wavefront6targetE1EEEvT1_,comdat
	.globl	_ZN7rocprim17ROCPRIM_400000_NS6detail17trampoline_kernelINS0_14default_configENS1_20scan_config_selectorIdEEZZNS1_9scan_implILNS1_25lookback_scan_determinismE0ELb0ELb0ES3_PKdPddZZZN2at6native31launch_logcumsumexp_cuda_kernelERKNSB_10TensorBaseESF_lENKUlvE_clEvENKUlvE_clEvEUlddE_dEEDaPvRmT3_T4_T5_mT6_P12ihipStream_tbENKUlT_T0_E_clISt17integral_constantIbLb1EESW_EEDaSR_SS_EUlSR_E0_NS1_11comp_targetILNS1_3genE0ELNS1_11target_archE4294967295ELNS1_3gpuE0ELNS1_3repE0EEENS1_30default_config_static_selectorELNS0_4arch9wavefront6targetE1EEEvT1_ ; -- Begin function _ZN7rocprim17ROCPRIM_400000_NS6detail17trampoline_kernelINS0_14default_configENS1_20scan_config_selectorIdEEZZNS1_9scan_implILNS1_25lookback_scan_determinismE0ELb0ELb0ES3_PKdPddZZZN2at6native31launch_logcumsumexp_cuda_kernelERKNSB_10TensorBaseESF_lENKUlvE_clEvENKUlvE_clEvEUlddE_dEEDaPvRmT3_T4_T5_mT6_P12ihipStream_tbENKUlT_T0_E_clISt17integral_constantIbLb1EESW_EEDaSR_SS_EUlSR_E0_NS1_11comp_targetILNS1_3genE0ELNS1_11target_archE4294967295ELNS1_3gpuE0ELNS1_3repE0EEENS1_30default_config_static_selectorELNS0_4arch9wavefront6targetE1EEEvT1_
	.p2align	8
	.type	_ZN7rocprim17ROCPRIM_400000_NS6detail17trampoline_kernelINS0_14default_configENS1_20scan_config_selectorIdEEZZNS1_9scan_implILNS1_25lookback_scan_determinismE0ELb0ELb0ES3_PKdPddZZZN2at6native31launch_logcumsumexp_cuda_kernelERKNSB_10TensorBaseESF_lENKUlvE_clEvENKUlvE_clEvEUlddE_dEEDaPvRmT3_T4_T5_mT6_P12ihipStream_tbENKUlT_T0_E_clISt17integral_constantIbLb1EESW_EEDaSR_SS_EUlSR_E0_NS1_11comp_targetILNS1_3genE0ELNS1_11target_archE4294967295ELNS1_3gpuE0ELNS1_3repE0EEENS1_30default_config_static_selectorELNS0_4arch9wavefront6targetE1EEEvT1_,@function
_ZN7rocprim17ROCPRIM_400000_NS6detail17trampoline_kernelINS0_14default_configENS1_20scan_config_selectorIdEEZZNS1_9scan_implILNS1_25lookback_scan_determinismE0ELb0ELb0ES3_PKdPddZZZN2at6native31launch_logcumsumexp_cuda_kernelERKNSB_10TensorBaseESF_lENKUlvE_clEvENKUlvE_clEvEUlddE_dEEDaPvRmT3_T4_T5_mT6_P12ihipStream_tbENKUlT_T0_E_clISt17integral_constantIbLb1EESW_EEDaSR_SS_EUlSR_E0_NS1_11comp_targetILNS1_3genE0ELNS1_11target_archE4294967295ELNS1_3gpuE0ELNS1_3repE0EEENS1_30default_config_static_selectorELNS0_4arch9wavefront6targetE1EEEvT1_: ; @_ZN7rocprim17ROCPRIM_400000_NS6detail17trampoline_kernelINS0_14default_configENS1_20scan_config_selectorIdEEZZNS1_9scan_implILNS1_25lookback_scan_determinismE0ELb0ELb0ES3_PKdPddZZZN2at6native31launch_logcumsumexp_cuda_kernelERKNSB_10TensorBaseESF_lENKUlvE_clEvENKUlvE_clEvEUlddE_dEEDaPvRmT3_T4_T5_mT6_P12ihipStream_tbENKUlT_T0_E_clISt17integral_constantIbLb1EESW_EEDaSR_SS_EUlSR_E0_NS1_11comp_targetILNS1_3genE0ELNS1_11target_archE4294967295ELNS1_3gpuE0ELNS1_3repE0EEENS1_30default_config_static_selectorELNS0_4arch9wavefront6targetE1EEEvT1_
; %bb.0:
	.section	.rodata,"a",@progbits
	.p2align	6, 0x0
	.amdhsa_kernel _ZN7rocprim17ROCPRIM_400000_NS6detail17trampoline_kernelINS0_14default_configENS1_20scan_config_selectorIdEEZZNS1_9scan_implILNS1_25lookback_scan_determinismE0ELb0ELb0ES3_PKdPddZZZN2at6native31launch_logcumsumexp_cuda_kernelERKNSB_10TensorBaseESF_lENKUlvE_clEvENKUlvE_clEvEUlddE_dEEDaPvRmT3_T4_T5_mT6_P12ihipStream_tbENKUlT_T0_E_clISt17integral_constantIbLb1EESW_EEDaSR_SS_EUlSR_E0_NS1_11comp_targetILNS1_3genE0ELNS1_11target_archE4294967295ELNS1_3gpuE0ELNS1_3repE0EEENS1_30default_config_static_selectorELNS0_4arch9wavefront6targetE1EEEvT1_
		.amdhsa_group_segment_fixed_size 0
		.amdhsa_private_segment_fixed_size 0
		.amdhsa_kernarg_size 40
		.amdhsa_user_sgpr_count 6
		.amdhsa_user_sgpr_private_segment_buffer 1
		.amdhsa_user_sgpr_dispatch_ptr 0
		.amdhsa_user_sgpr_queue_ptr 0
		.amdhsa_user_sgpr_kernarg_segment_ptr 1
		.amdhsa_user_sgpr_dispatch_id 0
		.amdhsa_user_sgpr_flat_scratch_init 0
		.amdhsa_user_sgpr_kernarg_preload_length 0
		.amdhsa_user_sgpr_kernarg_preload_offset 0
		.amdhsa_user_sgpr_private_segment_size 0
		.amdhsa_uses_dynamic_stack 0
		.amdhsa_system_sgpr_private_segment_wavefront_offset 0
		.amdhsa_system_sgpr_workgroup_id_x 1
		.amdhsa_system_sgpr_workgroup_id_y 0
		.amdhsa_system_sgpr_workgroup_id_z 0
		.amdhsa_system_sgpr_workgroup_info 0
		.amdhsa_system_vgpr_workitem_id 0
		.amdhsa_next_free_vgpr 1
		.amdhsa_next_free_sgpr 0
		.amdhsa_accum_offset 4
		.amdhsa_reserve_vcc 0
		.amdhsa_reserve_flat_scratch 0
		.amdhsa_float_round_mode_32 0
		.amdhsa_float_round_mode_16_64 0
		.amdhsa_float_denorm_mode_32 3
		.amdhsa_float_denorm_mode_16_64 3
		.amdhsa_dx10_clamp 1
		.amdhsa_ieee_mode 1
		.amdhsa_fp16_overflow 0
		.amdhsa_tg_split 0
		.amdhsa_exception_fp_ieee_invalid_op 0
		.amdhsa_exception_fp_denorm_src 0
		.amdhsa_exception_fp_ieee_div_zero 0
		.amdhsa_exception_fp_ieee_overflow 0
		.amdhsa_exception_fp_ieee_underflow 0
		.amdhsa_exception_fp_ieee_inexact 0
		.amdhsa_exception_int_div_zero 0
	.end_amdhsa_kernel
	.section	.text._ZN7rocprim17ROCPRIM_400000_NS6detail17trampoline_kernelINS0_14default_configENS1_20scan_config_selectorIdEEZZNS1_9scan_implILNS1_25lookback_scan_determinismE0ELb0ELb0ES3_PKdPddZZZN2at6native31launch_logcumsumexp_cuda_kernelERKNSB_10TensorBaseESF_lENKUlvE_clEvENKUlvE_clEvEUlddE_dEEDaPvRmT3_T4_T5_mT6_P12ihipStream_tbENKUlT_T0_E_clISt17integral_constantIbLb1EESW_EEDaSR_SS_EUlSR_E0_NS1_11comp_targetILNS1_3genE0ELNS1_11target_archE4294967295ELNS1_3gpuE0ELNS1_3repE0EEENS1_30default_config_static_selectorELNS0_4arch9wavefront6targetE1EEEvT1_,"axG",@progbits,_ZN7rocprim17ROCPRIM_400000_NS6detail17trampoline_kernelINS0_14default_configENS1_20scan_config_selectorIdEEZZNS1_9scan_implILNS1_25lookback_scan_determinismE0ELb0ELb0ES3_PKdPddZZZN2at6native31launch_logcumsumexp_cuda_kernelERKNSB_10TensorBaseESF_lENKUlvE_clEvENKUlvE_clEvEUlddE_dEEDaPvRmT3_T4_T5_mT6_P12ihipStream_tbENKUlT_T0_E_clISt17integral_constantIbLb1EESW_EEDaSR_SS_EUlSR_E0_NS1_11comp_targetILNS1_3genE0ELNS1_11target_archE4294967295ELNS1_3gpuE0ELNS1_3repE0EEENS1_30default_config_static_selectorELNS0_4arch9wavefront6targetE1EEEvT1_,comdat
.Lfunc_end37:
	.size	_ZN7rocprim17ROCPRIM_400000_NS6detail17trampoline_kernelINS0_14default_configENS1_20scan_config_selectorIdEEZZNS1_9scan_implILNS1_25lookback_scan_determinismE0ELb0ELb0ES3_PKdPddZZZN2at6native31launch_logcumsumexp_cuda_kernelERKNSB_10TensorBaseESF_lENKUlvE_clEvENKUlvE_clEvEUlddE_dEEDaPvRmT3_T4_T5_mT6_P12ihipStream_tbENKUlT_T0_E_clISt17integral_constantIbLb1EESW_EEDaSR_SS_EUlSR_E0_NS1_11comp_targetILNS1_3genE0ELNS1_11target_archE4294967295ELNS1_3gpuE0ELNS1_3repE0EEENS1_30default_config_static_selectorELNS0_4arch9wavefront6targetE1EEEvT1_, .Lfunc_end37-_ZN7rocprim17ROCPRIM_400000_NS6detail17trampoline_kernelINS0_14default_configENS1_20scan_config_selectorIdEEZZNS1_9scan_implILNS1_25lookback_scan_determinismE0ELb0ELb0ES3_PKdPddZZZN2at6native31launch_logcumsumexp_cuda_kernelERKNSB_10TensorBaseESF_lENKUlvE_clEvENKUlvE_clEvEUlddE_dEEDaPvRmT3_T4_T5_mT6_P12ihipStream_tbENKUlT_T0_E_clISt17integral_constantIbLb1EESW_EEDaSR_SS_EUlSR_E0_NS1_11comp_targetILNS1_3genE0ELNS1_11target_archE4294967295ELNS1_3gpuE0ELNS1_3repE0EEENS1_30default_config_static_selectorELNS0_4arch9wavefront6targetE1EEEvT1_
                                        ; -- End function
	.section	.AMDGPU.csdata,"",@progbits
; Kernel info:
; codeLenInByte = 0
; NumSgprs: 4
; NumVgprs: 0
; NumAgprs: 0
; TotalNumVgprs: 0
; ScratchSize: 0
; MemoryBound: 0
; FloatMode: 240
; IeeeMode: 1
; LDSByteSize: 0 bytes/workgroup (compile time only)
; SGPRBlocks: 0
; VGPRBlocks: 0
; NumSGPRsForWavesPerEU: 4
; NumVGPRsForWavesPerEU: 1
; AccumOffset: 4
; Occupancy: 8
; WaveLimiterHint : 0
; COMPUTE_PGM_RSRC2:SCRATCH_EN: 0
; COMPUTE_PGM_RSRC2:USER_SGPR: 6
; COMPUTE_PGM_RSRC2:TRAP_HANDLER: 0
; COMPUTE_PGM_RSRC2:TGID_X_EN: 1
; COMPUTE_PGM_RSRC2:TGID_Y_EN: 0
; COMPUTE_PGM_RSRC2:TGID_Z_EN: 0
; COMPUTE_PGM_RSRC2:TIDIG_COMP_CNT: 0
; COMPUTE_PGM_RSRC3_GFX90A:ACCUM_OFFSET: 0
; COMPUTE_PGM_RSRC3_GFX90A:TG_SPLIT: 0
	.section	.text._ZN7rocprim17ROCPRIM_400000_NS6detail17trampoline_kernelINS0_14default_configENS1_20scan_config_selectorIdEEZZNS1_9scan_implILNS1_25lookback_scan_determinismE0ELb0ELb0ES3_PKdPddZZZN2at6native31launch_logcumsumexp_cuda_kernelERKNSB_10TensorBaseESF_lENKUlvE_clEvENKUlvE_clEvEUlddE_dEEDaPvRmT3_T4_T5_mT6_P12ihipStream_tbENKUlT_T0_E_clISt17integral_constantIbLb1EESW_EEDaSR_SS_EUlSR_E0_NS1_11comp_targetILNS1_3genE5ELNS1_11target_archE942ELNS1_3gpuE9ELNS1_3repE0EEENS1_30default_config_static_selectorELNS0_4arch9wavefront6targetE1EEEvT1_,"axG",@progbits,_ZN7rocprim17ROCPRIM_400000_NS6detail17trampoline_kernelINS0_14default_configENS1_20scan_config_selectorIdEEZZNS1_9scan_implILNS1_25lookback_scan_determinismE0ELb0ELb0ES3_PKdPddZZZN2at6native31launch_logcumsumexp_cuda_kernelERKNSB_10TensorBaseESF_lENKUlvE_clEvENKUlvE_clEvEUlddE_dEEDaPvRmT3_T4_T5_mT6_P12ihipStream_tbENKUlT_T0_E_clISt17integral_constantIbLb1EESW_EEDaSR_SS_EUlSR_E0_NS1_11comp_targetILNS1_3genE5ELNS1_11target_archE942ELNS1_3gpuE9ELNS1_3repE0EEENS1_30default_config_static_selectorELNS0_4arch9wavefront6targetE1EEEvT1_,comdat
	.globl	_ZN7rocprim17ROCPRIM_400000_NS6detail17trampoline_kernelINS0_14default_configENS1_20scan_config_selectorIdEEZZNS1_9scan_implILNS1_25lookback_scan_determinismE0ELb0ELb0ES3_PKdPddZZZN2at6native31launch_logcumsumexp_cuda_kernelERKNSB_10TensorBaseESF_lENKUlvE_clEvENKUlvE_clEvEUlddE_dEEDaPvRmT3_T4_T5_mT6_P12ihipStream_tbENKUlT_T0_E_clISt17integral_constantIbLb1EESW_EEDaSR_SS_EUlSR_E0_NS1_11comp_targetILNS1_3genE5ELNS1_11target_archE942ELNS1_3gpuE9ELNS1_3repE0EEENS1_30default_config_static_selectorELNS0_4arch9wavefront6targetE1EEEvT1_ ; -- Begin function _ZN7rocprim17ROCPRIM_400000_NS6detail17trampoline_kernelINS0_14default_configENS1_20scan_config_selectorIdEEZZNS1_9scan_implILNS1_25lookback_scan_determinismE0ELb0ELb0ES3_PKdPddZZZN2at6native31launch_logcumsumexp_cuda_kernelERKNSB_10TensorBaseESF_lENKUlvE_clEvENKUlvE_clEvEUlddE_dEEDaPvRmT3_T4_T5_mT6_P12ihipStream_tbENKUlT_T0_E_clISt17integral_constantIbLb1EESW_EEDaSR_SS_EUlSR_E0_NS1_11comp_targetILNS1_3genE5ELNS1_11target_archE942ELNS1_3gpuE9ELNS1_3repE0EEENS1_30default_config_static_selectorELNS0_4arch9wavefront6targetE1EEEvT1_
	.p2align	8
	.type	_ZN7rocprim17ROCPRIM_400000_NS6detail17trampoline_kernelINS0_14default_configENS1_20scan_config_selectorIdEEZZNS1_9scan_implILNS1_25lookback_scan_determinismE0ELb0ELb0ES3_PKdPddZZZN2at6native31launch_logcumsumexp_cuda_kernelERKNSB_10TensorBaseESF_lENKUlvE_clEvENKUlvE_clEvEUlddE_dEEDaPvRmT3_T4_T5_mT6_P12ihipStream_tbENKUlT_T0_E_clISt17integral_constantIbLb1EESW_EEDaSR_SS_EUlSR_E0_NS1_11comp_targetILNS1_3genE5ELNS1_11target_archE942ELNS1_3gpuE9ELNS1_3repE0EEENS1_30default_config_static_selectorELNS0_4arch9wavefront6targetE1EEEvT1_,@function
_ZN7rocprim17ROCPRIM_400000_NS6detail17trampoline_kernelINS0_14default_configENS1_20scan_config_selectorIdEEZZNS1_9scan_implILNS1_25lookback_scan_determinismE0ELb0ELb0ES3_PKdPddZZZN2at6native31launch_logcumsumexp_cuda_kernelERKNSB_10TensorBaseESF_lENKUlvE_clEvENKUlvE_clEvEUlddE_dEEDaPvRmT3_T4_T5_mT6_P12ihipStream_tbENKUlT_T0_E_clISt17integral_constantIbLb1EESW_EEDaSR_SS_EUlSR_E0_NS1_11comp_targetILNS1_3genE5ELNS1_11target_archE942ELNS1_3gpuE9ELNS1_3repE0EEENS1_30default_config_static_selectorELNS0_4arch9wavefront6targetE1EEEvT1_: ; @_ZN7rocprim17ROCPRIM_400000_NS6detail17trampoline_kernelINS0_14default_configENS1_20scan_config_selectorIdEEZZNS1_9scan_implILNS1_25lookback_scan_determinismE0ELb0ELb0ES3_PKdPddZZZN2at6native31launch_logcumsumexp_cuda_kernelERKNSB_10TensorBaseESF_lENKUlvE_clEvENKUlvE_clEvEUlddE_dEEDaPvRmT3_T4_T5_mT6_P12ihipStream_tbENKUlT_T0_E_clISt17integral_constantIbLb1EESW_EEDaSR_SS_EUlSR_E0_NS1_11comp_targetILNS1_3genE5ELNS1_11target_archE942ELNS1_3gpuE9ELNS1_3repE0EEENS1_30default_config_static_selectorELNS0_4arch9wavefront6targetE1EEEvT1_
; %bb.0:
	.section	.rodata,"a",@progbits
	.p2align	6, 0x0
	.amdhsa_kernel _ZN7rocprim17ROCPRIM_400000_NS6detail17trampoline_kernelINS0_14default_configENS1_20scan_config_selectorIdEEZZNS1_9scan_implILNS1_25lookback_scan_determinismE0ELb0ELb0ES3_PKdPddZZZN2at6native31launch_logcumsumexp_cuda_kernelERKNSB_10TensorBaseESF_lENKUlvE_clEvENKUlvE_clEvEUlddE_dEEDaPvRmT3_T4_T5_mT6_P12ihipStream_tbENKUlT_T0_E_clISt17integral_constantIbLb1EESW_EEDaSR_SS_EUlSR_E0_NS1_11comp_targetILNS1_3genE5ELNS1_11target_archE942ELNS1_3gpuE9ELNS1_3repE0EEENS1_30default_config_static_selectorELNS0_4arch9wavefront6targetE1EEEvT1_
		.amdhsa_group_segment_fixed_size 0
		.amdhsa_private_segment_fixed_size 0
		.amdhsa_kernarg_size 40
		.amdhsa_user_sgpr_count 6
		.amdhsa_user_sgpr_private_segment_buffer 1
		.amdhsa_user_sgpr_dispatch_ptr 0
		.amdhsa_user_sgpr_queue_ptr 0
		.amdhsa_user_sgpr_kernarg_segment_ptr 1
		.amdhsa_user_sgpr_dispatch_id 0
		.amdhsa_user_sgpr_flat_scratch_init 0
		.amdhsa_user_sgpr_kernarg_preload_length 0
		.amdhsa_user_sgpr_kernarg_preload_offset 0
		.amdhsa_user_sgpr_private_segment_size 0
		.amdhsa_uses_dynamic_stack 0
		.amdhsa_system_sgpr_private_segment_wavefront_offset 0
		.amdhsa_system_sgpr_workgroup_id_x 1
		.amdhsa_system_sgpr_workgroup_id_y 0
		.amdhsa_system_sgpr_workgroup_id_z 0
		.amdhsa_system_sgpr_workgroup_info 0
		.amdhsa_system_vgpr_workitem_id 0
		.amdhsa_next_free_vgpr 1
		.amdhsa_next_free_sgpr 0
		.amdhsa_accum_offset 4
		.amdhsa_reserve_vcc 0
		.amdhsa_reserve_flat_scratch 0
		.amdhsa_float_round_mode_32 0
		.amdhsa_float_round_mode_16_64 0
		.amdhsa_float_denorm_mode_32 3
		.amdhsa_float_denorm_mode_16_64 3
		.amdhsa_dx10_clamp 1
		.amdhsa_ieee_mode 1
		.amdhsa_fp16_overflow 0
		.amdhsa_tg_split 0
		.amdhsa_exception_fp_ieee_invalid_op 0
		.amdhsa_exception_fp_denorm_src 0
		.amdhsa_exception_fp_ieee_div_zero 0
		.amdhsa_exception_fp_ieee_overflow 0
		.amdhsa_exception_fp_ieee_underflow 0
		.amdhsa_exception_fp_ieee_inexact 0
		.amdhsa_exception_int_div_zero 0
	.end_amdhsa_kernel
	.section	.text._ZN7rocprim17ROCPRIM_400000_NS6detail17trampoline_kernelINS0_14default_configENS1_20scan_config_selectorIdEEZZNS1_9scan_implILNS1_25lookback_scan_determinismE0ELb0ELb0ES3_PKdPddZZZN2at6native31launch_logcumsumexp_cuda_kernelERKNSB_10TensorBaseESF_lENKUlvE_clEvENKUlvE_clEvEUlddE_dEEDaPvRmT3_T4_T5_mT6_P12ihipStream_tbENKUlT_T0_E_clISt17integral_constantIbLb1EESW_EEDaSR_SS_EUlSR_E0_NS1_11comp_targetILNS1_3genE5ELNS1_11target_archE942ELNS1_3gpuE9ELNS1_3repE0EEENS1_30default_config_static_selectorELNS0_4arch9wavefront6targetE1EEEvT1_,"axG",@progbits,_ZN7rocprim17ROCPRIM_400000_NS6detail17trampoline_kernelINS0_14default_configENS1_20scan_config_selectorIdEEZZNS1_9scan_implILNS1_25lookback_scan_determinismE0ELb0ELb0ES3_PKdPddZZZN2at6native31launch_logcumsumexp_cuda_kernelERKNSB_10TensorBaseESF_lENKUlvE_clEvENKUlvE_clEvEUlddE_dEEDaPvRmT3_T4_T5_mT6_P12ihipStream_tbENKUlT_T0_E_clISt17integral_constantIbLb1EESW_EEDaSR_SS_EUlSR_E0_NS1_11comp_targetILNS1_3genE5ELNS1_11target_archE942ELNS1_3gpuE9ELNS1_3repE0EEENS1_30default_config_static_selectorELNS0_4arch9wavefront6targetE1EEEvT1_,comdat
.Lfunc_end38:
	.size	_ZN7rocprim17ROCPRIM_400000_NS6detail17trampoline_kernelINS0_14default_configENS1_20scan_config_selectorIdEEZZNS1_9scan_implILNS1_25lookback_scan_determinismE0ELb0ELb0ES3_PKdPddZZZN2at6native31launch_logcumsumexp_cuda_kernelERKNSB_10TensorBaseESF_lENKUlvE_clEvENKUlvE_clEvEUlddE_dEEDaPvRmT3_T4_T5_mT6_P12ihipStream_tbENKUlT_T0_E_clISt17integral_constantIbLb1EESW_EEDaSR_SS_EUlSR_E0_NS1_11comp_targetILNS1_3genE5ELNS1_11target_archE942ELNS1_3gpuE9ELNS1_3repE0EEENS1_30default_config_static_selectorELNS0_4arch9wavefront6targetE1EEEvT1_, .Lfunc_end38-_ZN7rocprim17ROCPRIM_400000_NS6detail17trampoline_kernelINS0_14default_configENS1_20scan_config_selectorIdEEZZNS1_9scan_implILNS1_25lookback_scan_determinismE0ELb0ELb0ES3_PKdPddZZZN2at6native31launch_logcumsumexp_cuda_kernelERKNSB_10TensorBaseESF_lENKUlvE_clEvENKUlvE_clEvEUlddE_dEEDaPvRmT3_T4_T5_mT6_P12ihipStream_tbENKUlT_T0_E_clISt17integral_constantIbLb1EESW_EEDaSR_SS_EUlSR_E0_NS1_11comp_targetILNS1_3genE5ELNS1_11target_archE942ELNS1_3gpuE9ELNS1_3repE0EEENS1_30default_config_static_selectorELNS0_4arch9wavefront6targetE1EEEvT1_
                                        ; -- End function
	.section	.AMDGPU.csdata,"",@progbits
; Kernel info:
; codeLenInByte = 0
; NumSgprs: 4
; NumVgprs: 0
; NumAgprs: 0
; TotalNumVgprs: 0
; ScratchSize: 0
; MemoryBound: 0
; FloatMode: 240
; IeeeMode: 1
; LDSByteSize: 0 bytes/workgroup (compile time only)
; SGPRBlocks: 0
; VGPRBlocks: 0
; NumSGPRsForWavesPerEU: 4
; NumVGPRsForWavesPerEU: 1
; AccumOffset: 4
; Occupancy: 8
; WaveLimiterHint : 0
; COMPUTE_PGM_RSRC2:SCRATCH_EN: 0
; COMPUTE_PGM_RSRC2:USER_SGPR: 6
; COMPUTE_PGM_RSRC2:TRAP_HANDLER: 0
; COMPUTE_PGM_RSRC2:TGID_X_EN: 1
; COMPUTE_PGM_RSRC2:TGID_Y_EN: 0
; COMPUTE_PGM_RSRC2:TGID_Z_EN: 0
; COMPUTE_PGM_RSRC2:TIDIG_COMP_CNT: 0
; COMPUTE_PGM_RSRC3_GFX90A:ACCUM_OFFSET: 0
; COMPUTE_PGM_RSRC3_GFX90A:TG_SPLIT: 0
	.section	.text._ZN7rocprim17ROCPRIM_400000_NS6detail17trampoline_kernelINS0_14default_configENS1_20scan_config_selectorIdEEZZNS1_9scan_implILNS1_25lookback_scan_determinismE0ELb0ELb0ES3_PKdPddZZZN2at6native31launch_logcumsumexp_cuda_kernelERKNSB_10TensorBaseESF_lENKUlvE_clEvENKUlvE_clEvEUlddE_dEEDaPvRmT3_T4_T5_mT6_P12ihipStream_tbENKUlT_T0_E_clISt17integral_constantIbLb1EESW_EEDaSR_SS_EUlSR_E0_NS1_11comp_targetILNS1_3genE4ELNS1_11target_archE910ELNS1_3gpuE8ELNS1_3repE0EEENS1_30default_config_static_selectorELNS0_4arch9wavefront6targetE1EEEvT1_,"axG",@progbits,_ZN7rocprim17ROCPRIM_400000_NS6detail17trampoline_kernelINS0_14default_configENS1_20scan_config_selectorIdEEZZNS1_9scan_implILNS1_25lookback_scan_determinismE0ELb0ELb0ES3_PKdPddZZZN2at6native31launch_logcumsumexp_cuda_kernelERKNSB_10TensorBaseESF_lENKUlvE_clEvENKUlvE_clEvEUlddE_dEEDaPvRmT3_T4_T5_mT6_P12ihipStream_tbENKUlT_T0_E_clISt17integral_constantIbLb1EESW_EEDaSR_SS_EUlSR_E0_NS1_11comp_targetILNS1_3genE4ELNS1_11target_archE910ELNS1_3gpuE8ELNS1_3repE0EEENS1_30default_config_static_selectorELNS0_4arch9wavefront6targetE1EEEvT1_,comdat
	.globl	_ZN7rocprim17ROCPRIM_400000_NS6detail17trampoline_kernelINS0_14default_configENS1_20scan_config_selectorIdEEZZNS1_9scan_implILNS1_25lookback_scan_determinismE0ELb0ELb0ES3_PKdPddZZZN2at6native31launch_logcumsumexp_cuda_kernelERKNSB_10TensorBaseESF_lENKUlvE_clEvENKUlvE_clEvEUlddE_dEEDaPvRmT3_T4_T5_mT6_P12ihipStream_tbENKUlT_T0_E_clISt17integral_constantIbLb1EESW_EEDaSR_SS_EUlSR_E0_NS1_11comp_targetILNS1_3genE4ELNS1_11target_archE910ELNS1_3gpuE8ELNS1_3repE0EEENS1_30default_config_static_selectorELNS0_4arch9wavefront6targetE1EEEvT1_ ; -- Begin function _ZN7rocprim17ROCPRIM_400000_NS6detail17trampoline_kernelINS0_14default_configENS1_20scan_config_selectorIdEEZZNS1_9scan_implILNS1_25lookback_scan_determinismE0ELb0ELb0ES3_PKdPddZZZN2at6native31launch_logcumsumexp_cuda_kernelERKNSB_10TensorBaseESF_lENKUlvE_clEvENKUlvE_clEvEUlddE_dEEDaPvRmT3_T4_T5_mT6_P12ihipStream_tbENKUlT_T0_E_clISt17integral_constantIbLb1EESW_EEDaSR_SS_EUlSR_E0_NS1_11comp_targetILNS1_3genE4ELNS1_11target_archE910ELNS1_3gpuE8ELNS1_3repE0EEENS1_30default_config_static_selectorELNS0_4arch9wavefront6targetE1EEEvT1_
	.p2align	8
	.type	_ZN7rocprim17ROCPRIM_400000_NS6detail17trampoline_kernelINS0_14default_configENS1_20scan_config_selectorIdEEZZNS1_9scan_implILNS1_25lookback_scan_determinismE0ELb0ELb0ES3_PKdPddZZZN2at6native31launch_logcumsumexp_cuda_kernelERKNSB_10TensorBaseESF_lENKUlvE_clEvENKUlvE_clEvEUlddE_dEEDaPvRmT3_T4_T5_mT6_P12ihipStream_tbENKUlT_T0_E_clISt17integral_constantIbLb1EESW_EEDaSR_SS_EUlSR_E0_NS1_11comp_targetILNS1_3genE4ELNS1_11target_archE910ELNS1_3gpuE8ELNS1_3repE0EEENS1_30default_config_static_selectorELNS0_4arch9wavefront6targetE1EEEvT1_,@function
_ZN7rocprim17ROCPRIM_400000_NS6detail17trampoline_kernelINS0_14default_configENS1_20scan_config_selectorIdEEZZNS1_9scan_implILNS1_25lookback_scan_determinismE0ELb0ELb0ES3_PKdPddZZZN2at6native31launch_logcumsumexp_cuda_kernelERKNSB_10TensorBaseESF_lENKUlvE_clEvENKUlvE_clEvEUlddE_dEEDaPvRmT3_T4_T5_mT6_P12ihipStream_tbENKUlT_T0_E_clISt17integral_constantIbLb1EESW_EEDaSR_SS_EUlSR_E0_NS1_11comp_targetILNS1_3genE4ELNS1_11target_archE910ELNS1_3gpuE8ELNS1_3repE0EEENS1_30default_config_static_selectorELNS0_4arch9wavefront6targetE1EEEvT1_: ; @_ZN7rocprim17ROCPRIM_400000_NS6detail17trampoline_kernelINS0_14default_configENS1_20scan_config_selectorIdEEZZNS1_9scan_implILNS1_25lookback_scan_determinismE0ELb0ELb0ES3_PKdPddZZZN2at6native31launch_logcumsumexp_cuda_kernelERKNSB_10TensorBaseESF_lENKUlvE_clEvENKUlvE_clEvEUlddE_dEEDaPvRmT3_T4_T5_mT6_P12ihipStream_tbENKUlT_T0_E_clISt17integral_constantIbLb1EESW_EEDaSR_SS_EUlSR_E0_NS1_11comp_targetILNS1_3genE4ELNS1_11target_archE910ELNS1_3gpuE8ELNS1_3repE0EEENS1_30default_config_static_selectorELNS0_4arch9wavefront6targetE1EEEvT1_
; %bb.0:
	s_load_dwordx4 s[20:23], s[4:5], 0x0
	v_lshlrev_b32_e32 v54, 3, v0
	s_waitcnt lgkmcnt(0)
	s_load_dwordx2 s[18:19], s[20:21], 0x0
	v_cmp_gt_u32_e32 vcc, s22, v0
	s_waitcnt lgkmcnt(0)
	v_pk_mov_b32 v[2:3], s[18:19], s[18:19] op_sel:[0,1]
	s_and_saveexec_b64 s[0:1], vcc
	s_cbranch_execz .LBB39_2
; %bb.1:
	global_load_dwordx2 v[2:3], v54, s[20:21]
.LBB39_2:
	s_or_b64 exec, exec, s[0:1]
	v_or_b32_e32 v1, 0x80, v0
	v_cmp_gt_u32_e64 s[0:1], s22, v1
	v_pk_mov_b32 v[4:5], s[18:19], s[18:19] op_sel:[0,1]
	s_and_saveexec_b64 s[2:3], s[0:1]
	s_cbranch_execz .LBB39_4
; %bb.3:
	global_load_dwordx2 v[4:5], v54, s[20:21] offset:1024
.LBB39_4:
	s_or_b64 exec, exec, s[2:3]
	v_or_b32_e32 v1, 0x100, v0
	v_cmp_gt_u32_e64 s[2:3], s22, v1
	v_pk_mov_b32 v[6:7], s[18:19], s[18:19] op_sel:[0,1]
	s_and_saveexec_b64 s[6:7], s[2:3]
	s_cbranch_execz .LBB39_6
; %bb.5:
	global_load_dwordx2 v[6:7], v54, s[20:21] offset:2048
.LBB39_6:
	;; [unrolled: 9-line block ×3, first 2 shown]
	s_or_b64 exec, exec, s[6:7]
	v_or_b32_e32 v1, 0x200, v0
	v_cmp_gt_u32_e64 s[6:7], s22, v1
	v_pk_mov_b32 v[10:11], s[18:19], s[18:19] op_sel:[0,1]
	s_and_saveexec_b64 s[8:9], s[6:7]
	s_cbranch_execz .LBB39_10
; %bb.9:
	v_lshlrev_b32_e32 v1, 3, v1
	global_load_dwordx2 v[10:11], v1, s[20:21]
.LBB39_10:
	s_or_b64 exec, exec, s[8:9]
	v_or_b32_e32 v1, 0x280, v0
	v_cmp_gt_u32_e64 s[8:9], s22, v1
	v_pk_mov_b32 v[12:13], s[18:19], s[18:19] op_sel:[0,1]
	s_and_saveexec_b64 s[10:11], s[8:9]
	s_cbranch_execz .LBB39_12
; %bb.11:
	v_lshlrev_b32_e32 v1, 3, v1
	global_load_dwordx2 v[12:13], v1, s[20:21]
.LBB39_12:
	;; [unrolled: 10-line block ×6, first 2 shown]
	s_or_b64 exec, exec, s[18:19]
	s_movk_i32 s18, 0x48
	v_mad_u32_u24 v1, v0, s18, v54
	s_waitcnt vmcnt(0)
	ds_write2st64_b64 v54, v[2:3], v[4:5] offset1:2
	ds_write2st64_b64 v54, v[6:7], v[8:9] offset0:4 offset1:6
	ds_write2st64_b64 v54, v[10:11], v[12:13] offset0:8 offset1:10
	;; [unrolled: 1-line block ×4, first 2 shown]
	s_waitcnt lgkmcnt(0)
	s_barrier
	ds_read_b128 v[2:5], v1
	ds_read_b128 v[18:21], v1 offset:16
	ds_read_b128 v[14:17], v1 offset:32
	;; [unrolled: 1-line block ×4, first 2 shown]
	s_waitcnt lgkmcnt(4)
	v_max_f64 v[26:27], v[4:5], v[4:5]
	v_max_f64 v[40:41], v[2:3], v[2:3]
	v_min_f64 v[42:43], v[40:41], v[26:27]
	v_cmp_u_f64_e64 s[38:39], v[2:3], v[2:3]
	v_cndmask_b32_e64 v1, v42, v2, s[38:39]
	v_cndmask_b32_e64 v22, v43, v3, s[38:39]
	v_cmp_u_f64_e64 s[18:19], v[4:5], v[4:5]
	v_max_f64 v[44:45], v[40:41], v[26:27]
	v_cndmask_b32_e64 v25, v22, v5, s[18:19]
	v_cndmask_b32_e64 v24, v1, v4, s[18:19]
	;; [unrolled: 1-line block ×6, first 2 shown]
	s_movk_i32 s30, 0x1f8
	v_cmp_neq_f64_e64 s[20:21], v[24:25], v[22:23]
	v_cmp_class_f64_e64 s[22:23], v[24:25], s30
	s_or_b64 s[20:21], s[20:21], s[22:23]
	v_pk_mov_b32 v[46:47], v[2:3], v[2:3] op_sel:[0,1]
	s_waitcnt lgkmcnt(0)
	s_barrier
	s_and_saveexec_b64 s[24:25], s[20:21]
	s_cbranch_execz .LBB39_22
; %bb.21:
	s_mov_b32 s20, 0x652b82fe
	v_add_f64 v[24:25], v[24:25], -v[22:23]
	s_mov_b32 s21, 0x3ff71547
	v_mul_f64 v[28:29], v[24:25], s[20:21]
	v_rndne_f64_e32 v[28:29], v[28:29]
	s_mov_b32 s27, 0xbfe62e42
	s_mov_b32 s26, 0xfefa39ef
	v_fma_f64 v[30:31], s[26:27], v[28:29], v[24:25]
	s_mov_b32 s29, 0xbc7abc9e
	s_mov_b32 s28, 0x3b39803f
	;; [unrolled: 1-line block ×3, first 2 shown]
	v_fmac_f64_e32 v[30:31], s[28:29], v[28:29]
	v_mov_b32_e32 v32, 0xfca7ab0c
	v_mov_b32_e32 v33, 0x3e928af3
	s_mov_b32 s21, 0x3e5ade15
	v_fmac_f64_e32 v[32:33], s[20:21], v[30:31]
	v_mov_b32_e32 v34, 0x623fde64
	v_mov_b32_e32 v35, 0x3ec71dee
	v_fmac_f64_e32 v[34:35], v[30:31], v[32:33]
	v_mov_b32_e32 v32, 0x7c89e6b0
	v_mov_b32_e32 v33, 0x3efa0199
	;; [unrolled: 3-line block ×8, first 2 shown]
	v_fmac_f64_e32 v[32:33], v[30:31], v[34:35]
	v_fma_f64 v[32:33], v[30:31], v[32:33], 1.0
	s_mov_b32 s20, 0
	s_mov_b32 s22, 0
	v_fma_f64 v[30:31], v[30:31], v[32:33], 1.0
	v_cvt_i32_f64_e32 v1, v[28:29]
	s_mov_b32 s21, 0x40900000
	s_mov_b32 s23, 0xc090cc00
	v_ldexp_f64 v[28:29], v[30:31], v1
	v_mov_b32_e32 v1, 0x7ff00000
	v_cmp_nlt_f64_e64 s[20:21], s[20:21], v[24:25]
	v_cmp_ngt_f64_e64 s[22:23], s[22:23], v[24:25]
	v_cndmask_b32_e64 v1, v1, v29, s[20:21]
	s_and_b64 s[20:21], s[22:23], s[20:21]
	v_cndmask_b32_e64 v25, 0, v1, s[22:23]
	v_cndmask_b32_e64 v24, 0, v28, s[20:21]
	v_add_f64 v[28:29], v[24:25], 1.0
	v_add_f64 v[30:31], v[28:29], -1.0
	v_add_f64 v[32:33], v[30:31], -v[28:29]
	v_add_f64 v[32:33], v[32:33], 1.0
	v_add_f64 v[30:31], v[24:25], -v[30:31]
	s_mov_b32 s20, 0x55555555
	v_add_f64 v[30:31], v[30:31], v[32:33]
	v_frexp_mant_f64_e32 v[32:33], v[28:29]
	s_mov_b32 s21, 0x3fe55555
	v_frexp_exp_i32_f64_e32 v1, v[28:29]
	v_cmp_gt_f64_e64 s[20:21], s[20:21], v[32:33]
	v_subbrev_co_u32_e64 v1, s[20:21], 0, v1, s[20:21]
	v_sub_u32_e32 v32, 0, v1
	v_ldexp_f64 v[28:29], v[28:29], v32
	v_ldexp_f64 v[30:31], v[30:31], v32
	v_add_f64 v[32:33], v[28:29], -1.0
	v_add_f64 v[38:39], v[28:29], 1.0
	v_add_f64 v[34:35], v[32:33], 1.0
	v_add_f64 v[46:47], v[38:39], -1.0
	v_add_f64 v[34:35], v[28:29], -v[34:35]
	v_add_f64 v[28:29], v[28:29], -v[46:47]
	v_add_f64 v[28:29], v[30:31], v[28:29]
	v_add_f64 v[34:35], v[30:31], v[34:35]
	;; [unrolled: 1-line block ×3, first 2 shown]
	v_rcp_f64_e32 v[46:47], v[30:31]
	v_add_f64 v[36:37], v[32:33], v[34:35]
	v_add_f64 v[32:33], v[36:37], -v[32:33]
	v_add_f64 v[32:33], v[34:35], -v[32:33]
	;; [unrolled: 1-line block ×4, first 2 shown]
	v_fma_f64 v[34:35], -v[30:31], v[46:47], 1.0
	v_fmac_f64_e32 v[46:47], v[34:35], v[46:47]
	v_fma_f64 v[34:35], -v[30:31], v[46:47], 1.0
	v_fmac_f64_e32 v[46:47], v[34:35], v[46:47]
	v_mul_f64 v[34:35], v[36:37], v[46:47]
	v_mul_f64 v[38:39], v[30:31], v[34:35]
	v_fma_f64 v[48:49], v[34:35], v[30:31], -v[38:39]
	v_fmac_f64_e32 v[48:49], v[34:35], v[28:29]
	v_add_f64 v[50:51], v[38:39], v[48:49]
	v_add_f64 v[52:53], v[36:37], -v[50:51]
	v_add_f64 v[36:37], v[36:37], -v[52:53]
	;; [unrolled: 1-line block ×4, first 2 shown]
	v_add_f64 v[32:33], v[32:33], v[36:37]
	v_add_f64 v[36:37], v[38:39], -v[48:49]
	v_add_f64 v[32:33], v[36:37], v[32:33]
	v_add_f64 v[36:37], v[52:53], v[32:33]
	v_add_f64 v[38:39], v[52:53], -v[36:37]
	v_add_f64 v[32:33], v[32:33], v[38:39]
	v_mul_f64 v[38:39], v[46:47], v[36:37]
	v_mul_f64 v[48:49], v[30:31], v[38:39]
	v_fma_f64 v[30:31], v[38:39], v[30:31], -v[48:49]
	v_fmac_f64_e32 v[30:31], v[38:39], v[28:29]
	v_add_f64 v[28:29], v[48:49], v[30:31]
	v_add_f64 v[50:51], v[36:37], -v[28:29]
	v_add_f64 v[36:37], v[36:37], -v[50:51]
	;; [unrolled: 1-line block ×4, first 2 shown]
	v_add_f64 v[28:29], v[32:33], v[28:29]
	v_add_f64 v[30:31], v[48:49], -v[30:31]
	v_add_f64 v[28:29], v[30:31], v[28:29]
	v_add_f64 v[30:31], v[34:35], v[38:39]
	;; [unrolled: 1-line block ×3, first 2 shown]
	v_add_f64 v[32:33], v[30:31], -v[34:35]
	v_mul_f64 v[28:29], v[46:47], v[28:29]
	v_add_f64 v[32:33], v[38:39], -v[32:33]
	v_add_f64 v[28:29], v[32:33], v[28:29]
	v_add_f64 v[32:33], v[30:31], v[28:29]
	v_add_f64 v[30:31], v[32:33], -v[30:31]
	s_mov_b32 s20, 0xbf559e2b
	v_add_f64 v[28:29], v[28:29], -v[30:31]
	v_mul_f64 v[30:31], v[32:33], v[32:33]
	v_mov_b32_e32 v34, 0x6b47b09a
	v_mov_b32_e32 v35, 0x3fc38538
	s_mov_b32 s21, 0x3fc3ab76
	v_fmac_f64_e32 v[34:35], s[20:21], v[30:31]
	v_mov_b32_e32 v36, 0xd7f4df2e
	v_mov_b32_e32 v37, 0x3fc7474d
	v_fmac_f64_e32 v[36:37], v[30:31], v[34:35]
	v_mov_b32_e32 v34, 0x16291751
	v_mov_b32_e32 v35, 0x3fcc71c0
	v_fmac_f64_e32 v[34:35], v[30:31], v[36:37]
	v_mov_b32_e32 v36, 0x9b27acf1
	v_mov_b32_e32 v37, 0x3fd24924
	v_fmac_f64_e32 v[36:37], v[30:31], v[34:35]
	v_mov_b32_e32 v34, 0x998ef7b6
	v_mov_b32_e32 v35, 0x3fd99999
	v_fmac_f64_e32 v[34:35], v[30:31], v[36:37]
	v_mov_b32_e32 v36, 0x55555780
	v_mov_b32_e32 v37, 0x3fe55555
	v_fmac_f64_e32 v[36:37], v[30:31], v[34:35]
	v_cvt_f64_i32_e32 v[34:35], v1
	s_mov_b32 s27, 0x3fe62e42
	v_mul_f64 v[38:39], v[34:35], s[26:27]
	v_fma_f64 v[46:47], v[34:35], s[26:27], -v[38:39]
	s_mov_b32 s29, 0x3c7abc9e
	v_fmac_f64_e32 v[46:47], s[28:29], v[34:35]
	v_add_f64 v[34:35], v[38:39], v[46:47]
	v_add_f64 v[38:39], v[34:35], -v[38:39]
	v_mul_f64 v[30:31], v[32:33], v[30:31]
	v_add_f64 v[38:39], v[46:47], -v[38:39]
	v_ldexp_f64 v[46:47], v[32:33], 1
	v_mul_f64 v[30:31], v[30:31], v[36:37]
	v_add_f64 v[32:33], v[46:47], v[30:31]
	v_add_f64 v[36:37], v[32:33], -v[46:47]
	v_ldexp_f64 v[28:29], v[28:29], 1
	v_add_f64 v[30:31], v[30:31], -v[36:37]
	v_add_f64 v[28:29], v[28:29], v[30:31]
	v_add_f64 v[30:31], v[32:33], v[28:29]
	v_add_f64 v[32:33], v[30:31], -v[32:33]
	v_add_f64 v[28:29], v[28:29], -v[32:33]
	v_add_f64 v[32:33], v[34:35], v[30:31]
	v_add_f64 v[36:37], v[32:33], -v[34:35]
	v_add_f64 v[46:47], v[32:33], -v[36:37]
	;; [unrolled: 1-line block ×4, first 2 shown]
	v_add_f64 v[30:31], v[30:31], v[34:35]
	v_add_f64 v[34:35], v[38:39], v[28:29]
	v_add_f64 v[36:37], v[34:35], -v[38:39]
	v_add_f64 v[30:31], v[34:35], v[30:31]
	v_add_f64 v[46:47], v[34:35], -v[36:37]
	;; [unrolled: 2-line block ×3, first 2 shown]
	v_add_f64 v[28:29], v[28:29], -v[36:37]
	v_add_f64 v[32:33], v[34:35], -v[32:33]
	v_add_f64 v[28:29], v[28:29], v[38:39]
	v_add_f64 v[30:31], v[30:31], -v[32:33]
	s_mov_b32 s20, 0
	v_add_f64 v[28:29], v[28:29], v[30:31]
	s_mov_b32 s21, 0x7ff00000
	v_add_f64 v[28:29], v[34:35], v[28:29]
	v_cmp_eq_f64_e64 s[20:21], s[20:21], v[24:25]
	v_cndmask_b32_e64 v1, v28, v24, s[20:21]
	v_cndmask_b32_e64 v28, v29, v25, s[20:21]
	v_mov_b32_e32 v29, 0x7ff80000
	v_cmp_ngt_f64_e64 s[20:21], -1.0, v[24:25]
	v_cndmask_b32_e64 v29, v29, v28, s[20:21]
	v_cmp_nge_f64_e64 s[20:21], -1.0, v[24:25]
	v_cndmask_b32_e64 v28, 0, v1, s[20:21]
	v_mov_b32_e32 v1, 0xfff00000
	v_cmp_neq_f64_e64 s[20:21], -1.0, v[24:25]
	v_cndmask_b32_e64 v29, v1, v29, s[20:21]
	v_add_f64 v[46:47], v[22:23], v[28:29]
.LBB39_22:
	s_or_b64 exec, exec, s[24:25]
	v_max_f64 v[22:23], v[18:19], v[18:19]
	v_max_f64 v[24:25], v[46:47], v[46:47]
	v_min_f64 v[28:29], v[24:25], v[22:23]
	v_cmp_u_f64_e64 s[22:23], v[46:47], v[46:47]
	v_cndmask_b32_e64 v1, v28, v46, s[22:23]
	v_cndmask_b32_e64 v28, v29, v47, s[22:23]
	v_cmp_u_f64_e64 s[20:21], v[18:19], v[18:19]
	v_max_f64 v[24:25], v[24:25], v[22:23]
	v_cndmask_b32_e64 v29, v28, v19, s[20:21]
	v_cndmask_b32_e64 v28, v1, v18, s[20:21]
	v_cndmask_b32_e64 v1, v24, v46, s[22:23]
	v_cndmask_b32_e64 v24, v25, v47, s[22:23]
	v_cndmask_b32_e64 v25, v24, v19, s[20:21]
	v_cndmask_b32_e64 v24, v1, v18, s[20:21]
	v_cmp_neq_f64_e64 s[22:23], v[28:29], v[24:25]
	v_cmp_class_f64_e64 s[24:25], v[28:29], s30
	s_or_b64 s[22:23], s[22:23], s[24:25]
	s_and_saveexec_b64 s[26:27], s[22:23]
	s_cbranch_execz .LBB39_24
; %bb.23:
	s_mov_b32 s22, 0x652b82fe
	v_add_f64 v[28:29], v[28:29], -v[24:25]
	s_mov_b32 s23, 0x3ff71547
	v_mul_f64 v[30:31], v[28:29], s[22:23]
	v_rndne_f64_e32 v[30:31], v[30:31]
	s_mov_b32 s29, 0xbfe62e42
	s_mov_b32 s28, 0xfefa39ef
	v_fma_f64 v[32:33], s[28:29], v[30:31], v[28:29]
	s_mov_b32 s31, 0xbc7abc9e
	s_mov_b32 s30, 0x3b39803f
	;; [unrolled: 1-line block ×3, first 2 shown]
	v_fmac_f64_e32 v[32:33], s[30:31], v[30:31]
	v_mov_b32_e32 v34, 0xfca7ab0c
	v_mov_b32_e32 v35, 0x3e928af3
	s_mov_b32 s23, 0x3e5ade15
	v_fmac_f64_e32 v[34:35], s[22:23], v[32:33]
	v_mov_b32_e32 v36, 0x623fde64
	v_mov_b32_e32 v37, 0x3ec71dee
	v_fmac_f64_e32 v[36:37], v[32:33], v[34:35]
	v_mov_b32_e32 v34, 0x7c89e6b0
	v_mov_b32_e32 v35, 0x3efa0199
	;; [unrolled: 3-line block ×8, first 2 shown]
	v_fmac_f64_e32 v[34:35], v[32:33], v[36:37]
	v_fma_f64 v[34:35], v[32:33], v[34:35], 1.0
	s_mov_b32 s22, 0
	s_mov_b32 s24, 0
	v_fma_f64 v[32:33], v[32:33], v[34:35], 1.0
	v_cvt_i32_f64_e32 v1, v[30:31]
	s_mov_b32 s23, 0x40900000
	s_mov_b32 s25, 0xc090cc00
	v_ldexp_f64 v[30:31], v[32:33], v1
	v_mov_b32_e32 v1, 0x7ff00000
	v_cmp_nlt_f64_e64 s[22:23], s[22:23], v[28:29]
	v_cmp_ngt_f64_e64 s[24:25], s[24:25], v[28:29]
	v_cndmask_b32_e64 v1, v1, v31, s[22:23]
	s_and_b64 s[22:23], s[24:25], s[22:23]
	v_cndmask_b32_e64 v29, 0, v1, s[24:25]
	v_cndmask_b32_e64 v28, 0, v30, s[22:23]
	v_add_f64 v[30:31], v[28:29], 1.0
	v_add_f64 v[32:33], v[30:31], -1.0
	v_add_f64 v[34:35], v[32:33], -v[30:31]
	v_add_f64 v[34:35], v[34:35], 1.0
	v_add_f64 v[32:33], v[28:29], -v[32:33]
	s_mov_b32 s22, 0x55555555
	v_add_f64 v[32:33], v[32:33], v[34:35]
	v_frexp_mant_f64_e32 v[34:35], v[30:31]
	s_mov_b32 s23, 0x3fe55555
	v_frexp_exp_i32_f64_e32 v1, v[30:31]
	v_cmp_gt_f64_e64 s[22:23], s[22:23], v[34:35]
	v_subbrev_co_u32_e64 v1, s[22:23], 0, v1, s[22:23]
	v_sub_u32_e32 v34, 0, v1
	v_ldexp_f64 v[30:31], v[30:31], v34
	v_ldexp_f64 v[32:33], v[32:33], v34
	v_add_f64 v[34:35], v[30:31], -1.0
	v_add_f64 v[46:47], v[30:31], 1.0
	v_add_f64 v[36:37], v[34:35], 1.0
	v_add_f64 v[48:49], v[46:47], -1.0
	v_add_f64 v[36:37], v[30:31], -v[36:37]
	v_add_f64 v[30:31], v[30:31], -v[48:49]
	v_add_f64 v[30:31], v[32:33], v[30:31]
	v_add_f64 v[36:37], v[32:33], v[36:37]
	;; [unrolled: 1-line block ×3, first 2 shown]
	v_rcp_f64_e32 v[48:49], v[32:33]
	v_add_f64 v[38:39], v[34:35], v[36:37]
	v_add_f64 v[34:35], v[38:39], -v[34:35]
	v_add_f64 v[34:35], v[36:37], -v[34:35]
	;; [unrolled: 1-line block ×4, first 2 shown]
	v_fma_f64 v[36:37], -v[32:33], v[48:49], 1.0
	v_fmac_f64_e32 v[48:49], v[36:37], v[48:49]
	v_fma_f64 v[36:37], -v[32:33], v[48:49], 1.0
	v_fmac_f64_e32 v[48:49], v[36:37], v[48:49]
	v_mul_f64 v[36:37], v[38:39], v[48:49]
	v_mul_f64 v[46:47], v[32:33], v[36:37]
	v_fma_f64 v[50:51], v[36:37], v[32:33], -v[46:47]
	v_fmac_f64_e32 v[50:51], v[36:37], v[30:31]
	v_add_f64 v[52:53], v[46:47], v[50:51]
	v_add_f64 v[56:57], v[38:39], -v[52:53]
	v_add_f64 v[38:39], v[38:39], -v[56:57]
	;; [unrolled: 1-line block ×4, first 2 shown]
	v_add_f64 v[34:35], v[34:35], v[38:39]
	v_add_f64 v[38:39], v[46:47], -v[50:51]
	v_add_f64 v[34:35], v[38:39], v[34:35]
	v_add_f64 v[38:39], v[56:57], v[34:35]
	v_add_f64 v[46:47], v[56:57], -v[38:39]
	v_add_f64 v[34:35], v[34:35], v[46:47]
	v_mul_f64 v[46:47], v[48:49], v[38:39]
	v_mul_f64 v[50:51], v[32:33], v[46:47]
	v_fma_f64 v[32:33], v[46:47], v[32:33], -v[50:51]
	v_fmac_f64_e32 v[32:33], v[46:47], v[30:31]
	v_add_f64 v[30:31], v[50:51], v[32:33]
	v_add_f64 v[52:53], v[38:39], -v[30:31]
	v_add_f64 v[38:39], v[38:39], -v[52:53]
	v_add_f64 v[50:51], v[30:31], -v[50:51]
	v_add_f64 v[30:31], v[38:39], -v[30:31]
	v_add_f64 v[30:31], v[34:35], v[30:31]
	v_add_f64 v[32:33], v[50:51], -v[32:33]
	v_add_f64 v[30:31], v[32:33], v[30:31]
	v_add_f64 v[32:33], v[36:37], v[46:47]
	;; [unrolled: 1-line block ×3, first 2 shown]
	v_add_f64 v[34:35], v[32:33], -v[36:37]
	v_mul_f64 v[30:31], v[48:49], v[30:31]
	v_add_f64 v[34:35], v[46:47], -v[34:35]
	v_add_f64 v[30:31], v[34:35], v[30:31]
	v_add_f64 v[34:35], v[32:33], v[30:31]
	v_add_f64 v[32:33], v[34:35], -v[32:33]
	s_mov_b32 s22, 0xbf559e2b
	v_add_f64 v[30:31], v[30:31], -v[32:33]
	v_mul_f64 v[32:33], v[34:35], v[34:35]
	v_mov_b32_e32 v36, 0x6b47b09a
	v_mov_b32_e32 v37, 0x3fc38538
	s_mov_b32 s23, 0x3fc3ab76
	v_fmac_f64_e32 v[36:37], s[22:23], v[32:33]
	v_mov_b32_e32 v38, 0xd7f4df2e
	v_mov_b32_e32 v39, 0x3fc7474d
	v_fmac_f64_e32 v[38:39], v[32:33], v[36:37]
	v_mov_b32_e32 v36, 0x16291751
	v_mov_b32_e32 v37, 0x3fcc71c0
	;; [unrolled: 3-line block ×5, first 2 shown]
	v_fmac_f64_e32 v[38:39], v[32:33], v[36:37]
	v_cvt_f64_i32_e32 v[36:37], v1
	s_mov_b32 s29, 0x3fe62e42
	v_mul_f64 v[46:47], v[36:37], s[28:29]
	v_fma_f64 v[48:49], v[36:37], s[28:29], -v[46:47]
	s_mov_b32 s31, 0x3c7abc9e
	v_fmac_f64_e32 v[48:49], s[30:31], v[36:37]
	v_add_f64 v[36:37], v[46:47], v[48:49]
	v_add_f64 v[46:47], v[36:37], -v[46:47]
	v_mul_f64 v[32:33], v[34:35], v[32:33]
	v_add_f64 v[46:47], v[48:49], -v[46:47]
	v_ldexp_f64 v[48:49], v[34:35], 1
	v_mul_f64 v[32:33], v[32:33], v[38:39]
	v_add_f64 v[34:35], v[48:49], v[32:33]
	v_add_f64 v[38:39], v[34:35], -v[48:49]
	v_ldexp_f64 v[30:31], v[30:31], 1
	v_add_f64 v[32:33], v[32:33], -v[38:39]
	v_add_f64 v[30:31], v[30:31], v[32:33]
	v_add_f64 v[32:33], v[34:35], v[30:31]
	v_add_f64 v[34:35], v[32:33], -v[34:35]
	v_add_f64 v[30:31], v[30:31], -v[34:35]
	v_add_f64 v[34:35], v[36:37], v[32:33]
	v_add_f64 v[38:39], v[34:35], -v[36:37]
	v_add_f64 v[48:49], v[34:35], -v[38:39]
	;; [unrolled: 1-line block ×4, first 2 shown]
	v_add_f64 v[32:33], v[32:33], v[36:37]
	v_add_f64 v[36:37], v[46:47], v[30:31]
	v_add_f64 v[38:39], v[36:37], -v[46:47]
	v_add_f64 v[32:33], v[36:37], v[32:33]
	v_add_f64 v[48:49], v[36:37], -v[38:39]
	;; [unrolled: 2-line block ×3, first 2 shown]
	v_add_f64 v[30:31], v[30:31], -v[38:39]
	v_add_f64 v[34:35], v[36:37], -v[34:35]
	v_add_f64 v[30:31], v[30:31], v[46:47]
	v_add_f64 v[32:33], v[32:33], -v[34:35]
	s_mov_b32 s22, 0
	v_add_f64 v[30:31], v[30:31], v[32:33]
	s_mov_b32 s23, 0x7ff00000
	v_add_f64 v[30:31], v[36:37], v[30:31]
	v_cmp_eq_f64_e64 s[22:23], s[22:23], v[28:29]
	v_cndmask_b32_e64 v1, v30, v28, s[22:23]
	v_cndmask_b32_e64 v30, v31, v29, s[22:23]
	v_mov_b32_e32 v31, 0x7ff80000
	v_cmp_ngt_f64_e64 s[22:23], -1.0, v[28:29]
	v_cndmask_b32_e64 v31, v31, v30, s[22:23]
	v_cmp_nge_f64_e64 s[22:23], -1.0, v[28:29]
	v_cndmask_b32_e64 v30, 0, v1, s[22:23]
	v_mov_b32_e32 v1, 0xfff00000
	v_cmp_neq_f64_e64 s[22:23], -1.0, v[28:29]
	v_cndmask_b32_e64 v31, v1, v31, s[22:23]
	v_add_f64 v[46:47], v[24:25], v[30:31]
.LBB39_24:
	s_or_b64 exec, exec, s[26:27]
	v_max_f64 v[24:25], v[20:21], v[20:21]
	v_max_f64 v[28:29], v[46:47], v[46:47]
	v_min_f64 v[30:31], v[28:29], v[24:25]
	v_cmp_u_f64_e64 s[24:25], v[46:47], v[46:47]
	v_cndmask_b32_e64 v1, v30, v46, s[24:25]
	v_cndmask_b32_e64 v30, v31, v47, s[24:25]
	v_cmp_u_f64_e64 s[22:23], v[20:21], v[20:21]
	v_max_f64 v[28:29], v[28:29], v[24:25]
	v_cndmask_b32_e64 v31, v30, v21, s[22:23]
	v_cndmask_b32_e64 v30, v1, v20, s[22:23]
	;; [unrolled: 1-line block ×6, first 2 shown]
	s_movk_i32 s33, 0x1f8
	v_cmp_neq_f64_e64 s[24:25], v[30:31], v[28:29]
	v_cmp_class_f64_e64 s[26:27], v[30:31], s33
	s_or_b64 s[24:25], s[24:25], s[26:27]
	s_and_saveexec_b64 s[28:29], s[24:25]
	s_cbranch_execz .LBB39_26
; %bb.25:
	s_mov_b32 s24, 0x652b82fe
	v_add_f64 v[30:31], v[30:31], -v[28:29]
	s_mov_b32 s25, 0x3ff71547
	v_mul_f64 v[32:33], v[30:31], s[24:25]
	v_rndne_f64_e32 v[32:33], v[32:33]
	s_mov_b32 s31, 0xbfe62e42
	s_mov_b32 s30, 0xfefa39ef
	v_fma_f64 v[34:35], s[30:31], v[32:33], v[30:31]
	s_mov_b32 s35, 0xbc7abc9e
	s_mov_b32 s34, 0x3b39803f
	;; [unrolled: 1-line block ×3, first 2 shown]
	v_fmac_f64_e32 v[34:35], s[34:35], v[32:33]
	v_mov_b32_e32 v36, 0xfca7ab0c
	v_mov_b32_e32 v37, 0x3e928af3
	s_mov_b32 s25, 0x3e5ade15
	v_fmac_f64_e32 v[36:37], s[24:25], v[34:35]
	v_mov_b32_e32 v38, 0x623fde64
	v_mov_b32_e32 v39, 0x3ec71dee
	v_fmac_f64_e32 v[38:39], v[34:35], v[36:37]
	v_mov_b32_e32 v36, 0x7c89e6b0
	v_mov_b32_e32 v37, 0x3efa0199
	;; [unrolled: 3-line block ×8, first 2 shown]
	v_fmac_f64_e32 v[36:37], v[34:35], v[38:39]
	v_fma_f64 v[36:37], v[34:35], v[36:37], 1.0
	s_mov_b32 s24, 0
	s_mov_b32 s26, 0
	v_fma_f64 v[34:35], v[34:35], v[36:37], 1.0
	v_cvt_i32_f64_e32 v1, v[32:33]
	s_mov_b32 s25, 0x40900000
	s_mov_b32 s27, 0xc090cc00
	v_ldexp_f64 v[32:33], v[34:35], v1
	v_mov_b32_e32 v1, 0x7ff00000
	v_cmp_nlt_f64_e64 s[24:25], s[24:25], v[30:31]
	v_cmp_ngt_f64_e64 s[26:27], s[26:27], v[30:31]
	v_cndmask_b32_e64 v1, v1, v33, s[24:25]
	s_and_b64 s[24:25], s[26:27], s[24:25]
	v_cndmask_b32_e64 v31, 0, v1, s[26:27]
	v_cndmask_b32_e64 v30, 0, v32, s[24:25]
	v_add_f64 v[32:33], v[30:31], 1.0
	v_add_f64 v[34:35], v[32:33], -1.0
	v_add_f64 v[36:37], v[34:35], -v[32:33]
	v_add_f64 v[36:37], v[36:37], 1.0
	v_add_f64 v[34:35], v[30:31], -v[34:35]
	s_mov_b32 s24, 0x55555555
	v_add_f64 v[34:35], v[34:35], v[36:37]
	v_frexp_mant_f64_e32 v[36:37], v[32:33]
	s_mov_b32 s25, 0x3fe55555
	v_frexp_exp_i32_f64_e32 v1, v[32:33]
	v_cmp_gt_f64_e64 s[24:25], s[24:25], v[36:37]
	v_subbrev_co_u32_e64 v1, s[24:25], 0, v1, s[24:25]
	v_sub_u32_e32 v36, 0, v1
	v_ldexp_f64 v[32:33], v[32:33], v36
	v_ldexp_f64 v[34:35], v[34:35], v36
	v_add_f64 v[36:37], v[32:33], -1.0
	v_add_f64 v[48:49], v[32:33], 1.0
	v_add_f64 v[38:39], v[36:37], 1.0
	v_add_f64 v[50:51], v[48:49], -1.0
	v_add_f64 v[38:39], v[32:33], -v[38:39]
	v_add_f64 v[32:33], v[32:33], -v[50:51]
	v_add_f64 v[32:33], v[34:35], v[32:33]
	v_add_f64 v[38:39], v[34:35], v[38:39]
	v_add_f64 v[34:35], v[48:49], v[32:33]
	v_rcp_f64_e32 v[50:51], v[34:35]
	v_add_f64 v[46:47], v[36:37], v[38:39]
	v_add_f64 v[36:37], v[46:47], -v[36:37]
	v_add_f64 v[36:37], v[38:39], -v[36:37]
	;; [unrolled: 1-line block ×4, first 2 shown]
	v_fma_f64 v[38:39], -v[34:35], v[50:51], 1.0
	v_fmac_f64_e32 v[50:51], v[38:39], v[50:51]
	v_fma_f64 v[38:39], -v[34:35], v[50:51], 1.0
	v_fmac_f64_e32 v[50:51], v[38:39], v[50:51]
	v_mul_f64 v[38:39], v[46:47], v[50:51]
	v_mul_f64 v[48:49], v[34:35], v[38:39]
	v_fma_f64 v[52:53], v[38:39], v[34:35], -v[48:49]
	v_fmac_f64_e32 v[52:53], v[38:39], v[32:33]
	v_add_f64 v[56:57], v[48:49], v[52:53]
	v_add_f64 v[58:59], v[46:47], -v[56:57]
	v_add_f64 v[46:47], v[46:47], -v[58:59]
	;; [unrolled: 1-line block ×4, first 2 shown]
	v_add_f64 v[36:37], v[36:37], v[46:47]
	v_add_f64 v[46:47], v[48:49], -v[52:53]
	v_add_f64 v[36:37], v[46:47], v[36:37]
	v_add_f64 v[46:47], v[58:59], v[36:37]
	v_add_f64 v[48:49], v[58:59], -v[46:47]
	v_add_f64 v[36:37], v[36:37], v[48:49]
	v_mul_f64 v[48:49], v[50:51], v[46:47]
	v_mul_f64 v[52:53], v[34:35], v[48:49]
	v_fma_f64 v[34:35], v[48:49], v[34:35], -v[52:53]
	v_fmac_f64_e32 v[34:35], v[48:49], v[32:33]
	v_add_f64 v[32:33], v[52:53], v[34:35]
	v_add_f64 v[56:57], v[46:47], -v[32:33]
	v_add_f64 v[46:47], v[46:47], -v[56:57]
	;; [unrolled: 1-line block ×4, first 2 shown]
	v_add_f64 v[32:33], v[36:37], v[32:33]
	v_add_f64 v[34:35], v[52:53], -v[34:35]
	v_add_f64 v[32:33], v[34:35], v[32:33]
	v_add_f64 v[34:35], v[38:39], v[48:49]
	;; [unrolled: 1-line block ×3, first 2 shown]
	v_add_f64 v[36:37], v[34:35], -v[38:39]
	v_mul_f64 v[32:33], v[50:51], v[32:33]
	v_add_f64 v[36:37], v[48:49], -v[36:37]
	v_add_f64 v[32:33], v[36:37], v[32:33]
	v_add_f64 v[36:37], v[34:35], v[32:33]
	v_add_f64 v[34:35], v[36:37], -v[34:35]
	s_mov_b32 s24, 0xbf559e2b
	v_add_f64 v[32:33], v[32:33], -v[34:35]
	v_mul_f64 v[34:35], v[36:37], v[36:37]
	v_mov_b32_e32 v38, 0x6b47b09a
	v_mov_b32_e32 v39, 0x3fc38538
	s_mov_b32 s25, 0x3fc3ab76
	v_fmac_f64_e32 v[38:39], s[24:25], v[34:35]
	v_mov_b32_e32 v46, 0xd7f4df2e
	v_mov_b32_e32 v47, 0x3fc7474d
	v_fmac_f64_e32 v[46:47], v[34:35], v[38:39]
	v_mov_b32_e32 v38, 0x16291751
	v_mov_b32_e32 v39, 0x3fcc71c0
	;; [unrolled: 3-line block ×5, first 2 shown]
	v_fmac_f64_e32 v[46:47], v[34:35], v[38:39]
	v_cvt_f64_i32_e32 v[38:39], v1
	s_mov_b32 s31, 0x3fe62e42
	v_mul_f64 v[48:49], v[38:39], s[30:31]
	v_fma_f64 v[50:51], v[38:39], s[30:31], -v[48:49]
	s_mov_b32 s35, 0x3c7abc9e
	v_fmac_f64_e32 v[50:51], s[34:35], v[38:39]
	v_add_f64 v[38:39], v[48:49], v[50:51]
	v_add_f64 v[48:49], v[38:39], -v[48:49]
	v_mul_f64 v[34:35], v[36:37], v[34:35]
	v_add_f64 v[48:49], v[50:51], -v[48:49]
	v_ldexp_f64 v[50:51], v[36:37], 1
	v_mul_f64 v[34:35], v[34:35], v[46:47]
	v_add_f64 v[36:37], v[50:51], v[34:35]
	v_add_f64 v[46:47], v[36:37], -v[50:51]
	v_ldexp_f64 v[32:33], v[32:33], 1
	v_add_f64 v[34:35], v[34:35], -v[46:47]
	v_add_f64 v[32:33], v[32:33], v[34:35]
	v_add_f64 v[34:35], v[36:37], v[32:33]
	v_add_f64 v[36:37], v[34:35], -v[36:37]
	v_add_f64 v[32:33], v[32:33], -v[36:37]
	v_add_f64 v[36:37], v[38:39], v[34:35]
	v_add_f64 v[46:47], v[36:37], -v[38:39]
	v_add_f64 v[50:51], v[36:37], -v[46:47]
	;; [unrolled: 1-line block ×4, first 2 shown]
	v_add_f64 v[34:35], v[34:35], v[38:39]
	v_add_f64 v[38:39], v[48:49], v[32:33]
	v_add_f64 v[46:47], v[38:39], -v[48:49]
	v_add_f64 v[34:35], v[38:39], v[34:35]
	v_add_f64 v[50:51], v[38:39], -v[46:47]
	v_add_f64 v[38:39], v[36:37], v[34:35]
	v_add_f64 v[48:49], v[48:49], -v[50:51]
	v_add_f64 v[32:33], v[32:33], -v[46:47]
	v_add_f64 v[36:37], v[38:39], -v[36:37]
	v_add_f64 v[32:33], v[32:33], v[48:49]
	v_add_f64 v[34:35], v[34:35], -v[36:37]
	s_mov_b32 s24, 0
	v_add_f64 v[32:33], v[32:33], v[34:35]
	s_mov_b32 s25, 0x7ff00000
	v_add_f64 v[32:33], v[38:39], v[32:33]
	v_cmp_eq_f64_e64 s[24:25], s[24:25], v[30:31]
	v_cndmask_b32_e64 v1, v32, v30, s[24:25]
	v_cndmask_b32_e64 v32, v33, v31, s[24:25]
	v_mov_b32_e32 v33, 0x7ff80000
	v_cmp_ngt_f64_e64 s[24:25], -1.0, v[30:31]
	v_cndmask_b32_e64 v33, v33, v32, s[24:25]
	v_cmp_nge_f64_e64 s[24:25], -1.0, v[30:31]
	v_cndmask_b32_e64 v32, 0, v1, s[24:25]
	v_mov_b32_e32 v1, 0xfff00000
	v_cmp_neq_f64_e64 s[24:25], -1.0, v[30:31]
	v_cndmask_b32_e64 v33, v1, v33, s[24:25]
	v_add_f64 v[46:47], v[28:29], v[32:33]
.LBB39_26:
	s_or_b64 exec, exec, s[28:29]
	v_max_f64 v[28:29], v[14:15], v[14:15]
	v_max_f64 v[30:31], v[46:47], v[46:47]
	v_min_f64 v[32:33], v[30:31], v[28:29]
	v_cmp_u_f64_e64 s[26:27], v[46:47], v[46:47]
	v_cndmask_b32_e64 v1, v32, v46, s[26:27]
	v_cndmask_b32_e64 v32, v33, v47, s[26:27]
	v_cmp_u_f64_e64 s[24:25], v[14:15], v[14:15]
	v_max_f64 v[30:31], v[30:31], v[28:29]
	v_cndmask_b32_e64 v33, v32, v15, s[24:25]
	v_cndmask_b32_e64 v32, v1, v14, s[24:25]
	;; [unrolled: 1-line block ×6, first 2 shown]
	v_cmp_neq_f64_e64 s[26:27], v[32:33], v[30:31]
	v_cmp_class_f64_e64 s[28:29], v[32:33], s33
	s_or_b64 s[26:27], s[26:27], s[28:29]
	s_and_saveexec_b64 s[30:31], s[26:27]
	s_cbranch_execz .LBB39_28
; %bb.27:
	s_mov_b32 s26, 0x652b82fe
	v_add_f64 v[32:33], v[32:33], -v[30:31]
	s_mov_b32 s27, 0x3ff71547
	v_mul_f64 v[34:35], v[32:33], s[26:27]
	v_rndne_f64_e32 v[34:35], v[34:35]
	s_mov_b32 s35, 0xbfe62e42
	s_mov_b32 s34, 0xfefa39ef
	v_fma_f64 v[36:37], s[34:35], v[34:35], v[32:33]
	s_mov_b32 s37, 0xbc7abc9e
	s_mov_b32 s36, 0x3b39803f
	;; [unrolled: 1-line block ×3, first 2 shown]
	v_fmac_f64_e32 v[36:37], s[36:37], v[34:35]
	v_mov_b32_e32 v38, 0xfca7ab0c
	v_mov_b32_e32 v39, 0x3e928af3
	s_mov_b32 s27, 0x3e5ade15
	v_fmac_f64_e32 v[38:39], s[26:27], v[36:37]
	v_mov_b32_e32 v46, 0x623fde64
	v_mov_b32_e32 v47, 0x3ec71dee
	v_fmac_f64_e32 v[46:47], v[36:37], v[38:39]
	v_mov_b32_e32 v38, 0x7c89e6b0
	v_mov_b32_e32 v39, 0x3efa0199
	;; [unrolled: 3-line block ×8, first 2 shown]
	v_fmac_f64_e32 v[38:39], v[36:37], v[46:47]
	v_fma_f64 v[38:39], v[36:37], v[38:39], 1.0
	s_mov_b32 s26, 0
	s_mov_b32 s28, 0
	v_fma_f64 v[36:37], v[36:37], v[38:39], 1.0
	v_cvt_i32_f64_e32 v1, v[34:35]
	s_mov_b32 s27, 0x40900000
	s_mov_b32 s29, 0xc090cc00
	v_ldexp_f64 v[34:35], v[36:37], v1
	v_mov_b32_e32 v1, 0x7ff00000
	v_cmp_nlt_f64_e64 s[26:27], s[26:27], v[32:33]
	v_cmp_ngt_f64_e64 s[28:29], s[28:29], v[32:33]
	v_cndmask_b32_e64 v1, v1, v35, s[26:27]
	s_and_b64 s[26:27], s[28:29], s[26:27]
	v_cndmask_b32_e64 v33, 0, v1, s[28:29]
	v_cndmask_b32_e64 v32, 0, v34, s[26:27]
	v_add_f64 v[34:35], v[32:33], 1.0
	v_add_f64 v[36:37], v[34:35], -1.0
	v_add_f64 v[38:39], v[36:37], -v[34:35]
	v_add_f64 v[38:39], v[38:39], 1.0
	v_add_f64 v[36:37], v[32:33], -v[36:37]
	s_mov_b32 s26, 0x55555555
	v_add_f64 v[36:37], v[36:37], v[38:39]
	v_frexp_mant_f64_e32 v[38:39], v[34:35]
	s_mov_b32 s27, 0x3fe55555
	v_frexp_exp_i32_f64_e32 v1, v[34:35]
	v_cmp_gt_f64_e64 s[26:27], s[26:27], v[38:39]
	v_subbrev_co_u32_e64 v1, s[26:27], 0, v1, s[26:27]
	v_sub_u32_e32 v38, 0, v1
	v_ldexp_f64 v[34:35], v[34:35], v38
	v_ldexp_f64 v[36:37], v[36:37], v38
	v_add_f64 v[38:39], v[34:35], -1.0
	v_add_f64 v[50:51], v[34:35], 1.0
	v_add_f64 v[46:47], v[38:39], 1.0
	v_add_f64 v[52:53], v[50:51], -1.0
	v_add_f64 v[46:47], v[34:35], -v[46:47]
	v_add_f64 v[34:35], v[34:35], -v[52:53]
	v_add_f64 v[34:35], v[36:37], v[34:35]
	v_add_f64 v[46:47], v[36:37], v[46:47]
	;; [unrolled: 1-line block ×3, first 2 shown]
	v_rcp_f64_e32 v[52:53], v[36:37]
	v_add_f64 v[48:49], v[38:39], v[46:47]
	v_add_f64 v[38:39], v[48:49], -v[38:39]
	v_add_f64 v[38:39], v[46:47], -v[38:39]
	;; [unrolled: 1-line block ×4, first 2 shown]
	v_fma_f64 v[46:47], -v[36:37], v[52:53], 1.0
	v_fmac_f64_e32 v[52:53], v[46:47], v[52:53]
	v_fma_f64 v[46:47], -v[36:37], v[52:53], 1.0
	v_fmac_f64_e32 v[52:53], v[46:47], v[52:53]
	v_mul_f64 v[46:47], v[48:49], v[52:53]
	v_mul_f64 v[50:51], v[36:37], v[46:47]
	v_fma_f64 v[56:57], v[46:47], v[36:37], -v[50:51]
	v_fmac_f64_e32 v[56:57], v[46:47], v[34:35]
	v_add_f64 v[58:59], v[50:51], v[56:57]
	v_add_f64 v[60:61], v[48:49], -v[58:59]
	v_add_f64 v[48:49], v[48:49], -v[60:61]
	;; [unrolled: 1-line block ×4, first 2 shown]
	v_add_f64 v[38:39], v[38:39], v[48:49]
	v_add_f64 v[48:49], v[50:51], -v[56:57]
	v_add_f64 v[38:39], v[48:49], v[38:39]
	v_add_f64 v[48:49], v[60:61], v[38:39]
	v_add_f64 v[50:51], v[60:61], -v[48:49]
	v_add_f64 v[38:39], v[38:39], v[50:51]
	v_mul_f64 v[50:51], v[52:53], v[48:49]
	v_mul_f64 v[56:57], v[36:37], v[50:51]
	v_fma_f64 v[36:37], v[50:51], v[36:37], -v[56:57]
	v_fmac_f64_e32 v[36:37], v[50:51], v[34:35]
	v_add_f64 v[34:35], v[56:57], v[36:37]
	v_add_f64 v[58:59], v[48:49], -v[34:35]
	v_add_f64 v[48:49], v[48:49], -v[58:59]
	;; [unrolled: 1-line block ×4, first 2 shown]
	v_add_f64 v[34:35], v[38:39], v[34:35]
	v_add_f64 v[36:37], v[56:57], -v[36:37]
	v_add_f64 v[34:35], v[36:37], v[34:35]
	v_add_f64 v[36:37], v[46:47], v[50:51]
	;; [unrolled: 1-line block ×3, first 2 shown]
	v_add_f64 v[38:39], v[36:37], -v[46:47]
	v_mul_f64 v[34:35], v[52:53], v[34:35]
	v_add_f64 v[38:39], v[50:51], -v[38:39]
	v_add_f64 v[34:35], v[38:39], v[34:35]
	v_add_f64 v[38:39], v[36:37], v[34:35]
	v_add_f64 v[36:37], v[38:39], -v[36:37]
	s_mov_b32 s26, 0xbf559e2b
	v_add_f64 v[34:35], v[34:35], -v[36:37]
	v_mul_f64 v[36:37], v[38:39], v[38:39]
	v_mov_b32_e32 v46, 0x6b47b09a
	v_mov_b32_e32 v47, 0x3fc38538
	s_mov_b32 s27, 0x3fc3ab76
	v_fmac_f64_e32 v[46:47], s[26:27], v[36:37]
	v_mov_b32_e32 v48, 0xd7f4df2e
	v_mov_b32_e32 v49, 0x3fc7474d
	v_fmac_f64_e32 v[48:49], v[36:37], v[46:47]
	v_mov_b32_e32 v46, 0x16291751
	v_mov_b32_e32 v47, 0x3fcc71c0
	;; [unrolled: 3-line block ×5, first 2 shown]
	v_fmac_f64_e32 v[48:49], v[36:37], v[46:47]
	v_cvt_f64_i32_e32 v[46:47], v1
	s_mov_b32 s35, 0x3fe62e42
	v_mul_f64 v[50:51], v[46:47], s[34:35]
	v_fma_f64 v[52:53], v[46:47], s[34:35], -v[50:51]
	s_mov_b32 s37, 0x3c7abc9e
	v_fmac_f64_e32 v[52:53], s[36:37], v[46:47]
	v_add_f64 v[46:47], v[50:51], v[52:53]
	v_add_f64 v[50:51], v[46:47], -v[50:51]
	v_mul_f64 v[36:37], v[38:39], v[36:37]
	v_add_f64 v[50:51], v[52:53], -v[50:51]
	v_ldexp_f64 v[52:53], v[38:39], 1
	v_mul_f64 v[36:37], v[36:37], v[48:49]
	v_add_f64 v[38:39], v[52:53], v[36:37]
	v_add_f64 v[48:49], v[38:39], -v[52:53]
	v_ldexp_f64 v[34:35], v[34:35], 1
	v_add_f64 v[36:37], v[36:37], -v[48:49]
	v_add_f64 v[34:35], v[34:35], v[36:37]
	v_add_f64 v[36:37], v[38:39], v[34:35]
	v_add_f64 v[38:39], v[36:37], -v[38:39]
	v_add_f64 v[34:35], v[34:35], -v[38:39]
	v_add_f64 v[38:39], v[46:47], v[36:37]
	v_add_f64 v[48:49], v[38:39], -v[46:47]
	v_add_f64 v[52:53], v[38:39], -v[48:49]
	;; [unrolled: 1-line block ×4, first 2 shown]
	v_add_f64 v[36:37], v[36:37], v[46:47]
	v_add_f64 v[46:47], v[50:51], v[34:35]
	v_add_f64 v[48:49], v[46:47], -v[50:51]
	v_add_f64 v[36:37], v[46:47], v[36:37]
	v_add_f64 v[52:53], v[46:47], -v[48:49]
	v_add_f64 v[46:47], v[38:39], v[36:37]
	v_add_f64 v[50:51], v[50:51], -v[52:53]
	v_add_f64 v[34:35], v[34:35], -v[48:49]
	v_add_f64 v[38:39], v[46:47], -v[38:39]
	v_add_f64 v[34:35], v[34:35], v[50:51]
	v_add_f64 v[36:37], v[36:37], -v[38:39]
	s_mov_b32 s26, 0
	v_add_f64 v[34:35], v[34:35], v[36:37]
	s_mov_b32 s27, 0x7ff00000
	v_add_f64 v[34:35], v[46:47], v[34:35]
	v_cmp_eq_f64_e64 s[26:27], s[26:27], v[32:33]
	v_cndmask_b32_e64 v1, v34, v32, s[26:27]
	v_cndmask_b32_e64 v34, v35, v33, s[26:27]
	v_mov_b32_e32 v35, 0x7ff80000
	v_cmp_ngt_f64_e64 s[26:27], -1.0, v[32:33]
	v_cndmask_b32_e64 v35, v35, v34, s[26:27]
	v_cmp_nge_f64_e64 s[26:27], -1.0, v[32:33]
	v_cndmask_b32_e64 v34, 0, v1, s[26:27]
	v_mov_b32_e32 v1, 0xfff00000
	v_cmp_neq_f64_e64 s[26:27], -1.0, v[32:33]
	v_cndmask_b32_e64 v35, v1, v35, s[26:27]
	v_add_f64 v[46:47], v[30:31], v[34:35]
.LBB39_28:
	s_or_b64 exec, exec, s[30:31]
	v_max_f64 v[30:31], v[16:17], v[16:17]
	v_max_f64 v[32:33], v[46:47], v[46:47]
	v_min_f64 v[34:35], v[32:33], v[30:31]
	v_cmp_u_f64_e64 s[28:29], v[46:47], v[46:47]
	v_cndmask_b32_e64 v1, v34, v46, s[28:29]
	v_cndmask_b32_e64 v34, v35, v47, s[28:29]
	v_cmp_u_f64_e64 s[26:27], v[16:17], v[16:17]
	v_max_f64 v[32:33], v[32:33], v[30:31]
	v_cndmask_b32_e64 v35, v34, v17, s[26:27]
	v_cndmask_b32_e64 v34, v1, v16, s[26:27]
	;; [unrolled: 1-line block ×6, first 2 shown]
	v_cmp_neq_f64_e64 s[28:29], v[34:35], v[32:33]
	v_cmp_class_f64_e64 s[30:31], v[34:35], s33
	s_or_b64 s[28:29], s[28:29], s[30:31]
	s_and_saveexec_b64 s[34:35], s[28:29]
	s_cbranch_execz .LBB39_30
; %bb.29:
	s_mov_b32 s28, 0x652b82fe
	v_add_f64 v[34:35], v[34:35], -v[32:33]
	s_mov_b32 s29, 0x3ff71547
	v_mul_f64 v[36:37], v[34:35], s[28:29]
	v_rndne_f64_e32 v[36:37], v[36:37]
	s_mov_b32 s37, 0xbfe62e42
	s_mov_b32 s36, 0xfefa39ef
	v_fma_f64 v[38:39], s[36:37], v[36:37], v[34:35]
	s_mov_b32 s43, 0xbc7abc9e
	s_mov_b32 s42, 0x3b39803f
	;; [unrolled: 1-line block ×3, first 2 shown]
	v_fmac_f64_e32 v[38:39], s[42:43], v[36:37]
	v_mov_b32_e32 v46, 0xfca7ab0c
	v_mov_b32_e32 v47, 0x3e928af3
	s_mov_b32 s29, 0x3e5ade15
	v_fmac_f64_e32 v[46:47], s[28:29], v[38:39]
	v_mov_b32_e32 v48, 0x623fde64
	v_mov_b32_e32 v49, 0x3ec71dee
	v_fmac_f64_e32 v[48:49], v[38:39], v[46:47]
	v_mov_b32_e32 v46, 0x7c89e6b0
	v_mov_b32_e32 v47, 0x3efa0199
	;; [unrolled: 3-line block ×8, first 2 shown]
	v_fmac_f64_e32 v[46:47], v[38:39], v[48:49]
	v_fma_f64 v[46:47], v[38:39], v[46:47], 1.0
	s_mov_b32 s28, 0
	s_mov_b32 s30, 0
	v_fma_f64 v[38:39], v[38:39], v[46:47], 1.0
	v_cvt_i32_f64_e32 v1, v[36:37]
	s_mov_b32 s29, 0x40900000
	s_mov_b32 s31, 0xc090cc00
	v_ldexp_f64 v[36:37], v[38:39], v1
	v_mov_b32_e32 v1, 0x7ff00000
	v_cmp_nlt_f64_e64 s[28:29], s[28:29], v[34:35]
	v_cmp_ngt_f64_e64 s[30:31], s[30:31], v[34:35]
	v_cndmask_b32_e64 v1, v1, v37, s[28:29]
	s_and_b64 s[28:29], s[30:31], s[28:29]
	v_cndmask_b32_e64 v35, 0, v1, s[30:31]
	v_cndmask_b32_e64 v34, 0, v36, s[28:29]
	v_add_f64 v[36:37], v[34:35], 1.0
	v_add_f64 v[38:39], v[36:37], -1.0
	v_add_f64 v[46:47], v[38:39], -v[36:37]
	v_add_f64 v[46:47], v[46:47], 1.0
	v_add_f64 v[38:39], v[34:35], -v[38:39]
	s_mov_b32 s28, 0x55555555
	v_add_f64 v[38:39], v[38:39], v[46:47]
	v_frexp_mant_f64_e32 v[46:47], v[36:37]
	s_mov_b32 s29, 0x3fe55555
	v_frexp_exp_i32_f64_e32 v1, v[36:37]
	v_cmp_gt_f64_e64 s[28:29], s[28:29], v[46:47]
	v_subbrev_co_u32_e64 v1, s[28:29], 0, v1, s[28:29]
	v_sub_u32_e32 v46, 0, v1
	v_ldexp_f64 v[36:37], v[36:37], v46
	v_ldexp_f64 v[38:39], v[38:39], v46
	v_add_f64 v[46:47], v[36:37], -1.0
	v_add_f64 v[52:53], v[36:37], 1.0
	v_add_f64 v[48:49], v[46:47], 1.0
	v_add_f64 v[56:57], v[52:53], -1.0
	v_add_f64 v[48:49], v[36:37], -v[48:49]
	v_add_f64 v[36:37], v[36:37], -v[56:57]
	v_add_f64 v[36:37], v[38:39], v[36:37]
	v_add_f64 v[48:49], v[38:39], v[48:49]
	;; [unrolled: 1-line block ×3, first 2 shown]
	v_rcp_f64_e32 v[56:57], v[38:39]
	v_add_f64 v[50:51], v[46:47], v[48:49]
	v_add_f64 v[46:47], v[50:51], -v[46:47]
	v_add_f64 v[46:47], v[48:49], -v[46:47]
	v_add_f64 v[48:49], v[38:39], -v[52:53]
	v_add_f64 v[36:37], v[36:37], -v[48:49]
	v_fma_f64 v[48:49], -v[38:39], v[56:57], 1.0
	v_fmac_f64_e32 v[56:57], v[48:49], v[56:57]
	v_fma_f64 v[48:49], -v[38:39], v[56:57], 1.0
	v_fmac_f64_e32 v[56:57], v[48:49], v[56:57]
	v_mul_f64 v[48:49], v[50:51], v[56:57]
	v_mul_f64 v[52:53], v[38:39], v[48:49]
	v_fma_f64 v[58:59], v[48:49], v[38:39], -v[52:53]
	v_fmac_f64_e32 v[58:59], v[48:49], v[36:37]
	v_add_f64 v[60:61], v[52:53], v[58:59]
	v_add_f64 v[62:63], v[50:51], -v[60:61]
	v_add_f64 v[50:51], v[50:51], -v[62:63]
	;; [unrolled: 1-line block ×4, first 2 shown]
	v_add_f64 v[46:47], v[46:47], v[50:51]
	v_add_f64 v[50:51], v[52:53], -v[58:59]
	v_add_f64 v[46:47], v[50:51], v[46:47]
	v_add_f64 v[50:51], v[62:63], v[46:47]
	v_add_f64 v[52:53], v[62:63], -v[50:51]
	v_add_f64 v[46:47], v[46:47], v[52:53]
	v_mul_f64 v[52:53], v[56:57], v[50:51]
	v_mul_f64 v[58:59], v[38:39], v[52:53]
	v_fma_f64 v[38:39], v[52:53], v[38:39], -v[58:59]
	v_fmac_f64_e32 v[38:39], v[52:53], v[36:37]
	v_add_f64 v[36:37], v[58:59], v[38:39]
	v_add_f64 v[60:61], v[50:51], -v[36:37]
	v_add_f64 v[50:51], v[50:51], -v[60:61]
	;; [unrolled: 1-line block ×4, first 2 shown]
	v_add_f64 v[36:37], v[46:47], v[36:37]
	v_add_f64 v[38:39], v[58:59], -v[38:39]
	v_add_f64 v[36:37], v[38:39], v[36:37]
	v_add_f64 v[38:39], v[48:49], v[52:53]
	v_add_f64 v[36:37], v[60:61], v[36:37]
	v_add_f64 v[46:47], v[38:39], -v[48:49]
	v_mul_f64 v[36:37], v[56:57], v[36:37]
	v_add_f64 v[46:47], v[52:53], -v[46:47]
	v_add_f64 v[36:37], v[46:47], v[36:37]
	v_add_f64 v[46:47], v[38:39], v[36:37]
	v_add_f64 v[38:39], v[46:47], -v[38:39]
	s_mov_b32 s28, 0xbf559e2b
	v_add_f64 v[36:37], v[36:37], -v[38:39]
	v_mul_f64 v[38:39], v[46:47], v[46:47]
	v_mov_b32_e32 v48, 0x6b47b09a
	v_mov_b32_e32 v49, 0x3fc38538
	s_mov_b32 s29, 0x3fc3ab76
	v_fmac_f64_e32 v[48:49], s[28:29], v[38:39]
	v_mov_b32_e32 v50, 0xd7f4df2e
	v_mov_b32_e32 v51, 0x3fc7474d
	v_fmac_f64_e32 v[50:51], v[38:39], v[48:49]
	v_mov_b32_e32 v48, 0x16291751
	v_mov_b32_e32 v49, 0x3fcc71c0
	;; [unrolled: 3-line block ×5, first 2 shown]
	v_fmac_f64_e32 v[50:51], v[38:39], v[48:49]
	v_cvt_f64_i32_e32 v[48:49], v1
	s_mov_b32 s37, 0x3fe62e42
	v_mul_f64 v[52:53], v[48:49], s[36:37]
	v_fma_f64 v[56:57], v[48:49], s[36:37], -v[52:53]
	s_mov_b32 s43, 0x3c7abc9e
	v_fmac_f64_e32 v[56:57], s[42:43], v[48:49]
	v_add_f64 v[48:49], v[52:53], v[56:57]
	v_add_f64 v[52:53], v[48:49], -v[52:53]
	v_mul_f64 v[38:39], v[46:47], v[38:39]
	v_add_f64 v[52:53], v[56:57], -v[52:53]
	v_ldexp_f64 v[56:57], v[46:47], 1
	v_mul_f64 v[38:39], v[38:39], v[50:51]
	v_add_f64 v[46:47], v[56:57], v[38:39]
	v_add_f64 v[50:51], v[46:47], -v[56:57]
	v_ldexp_f64 v[36:37], v[36:37], 1
	v_add_f64 v[38:39], v[38:39], -v[50:51]
	v_add_f64 v[36:37], v[36:37], v[38:39]
	v_add_f64 v[38:39], v[46:47], v[36:37]
	v_add_f64 v[46:47], v[38:39], -v[46:47]
	v_add_f64 v[36:37], v[36:37], -v[46:47]
	v_add_f64 v[46:47], v[48:49], v[38:39]
	v_add_f64 v[50:51], v[46:47], -v[48:49]
	v_add_f64 v[56:57], v[46:47], -v[50:51]
	;; [unrolled: 1-line block ×4, first 2 shown]
	v_add_f64 v[38:39], v[38:39], v[48:49]
	v_add_f64 v[48:49], v[52:53], v[36:37]
	v_add_f64 v[50:51], v[48:49], -v[52:53]
	v_add_f64 v[38:39], v[48:49], v[38:39]
	v_add_f64 v[56:57], v[48:49], -v[50:51]
	;; [unrolled: 2-line block ×3, first 2 shown]
	v_add_f64 v[36:37], v[36:37], -v[50:51]
	v_add_f64 v[46:47], v[48:49], -v[46:47]
	v_add_f64 v[36:37], v[36:37], v[52:53]
	v_add_f64 v[38:39], v[38:39], -v[46:47]
	s_mov_b32 s28, 0
	v_add_f64 v[36:37], v[36:37], v[38:39]
	s_mov_b32 s29, 0x7ff00000
	v_add_f64 v[36:37], v[48:49], v[36:37]
	v_cmp_eq_f64_e64 s[28:29], s[28:29], v[34:35]
	v_cndmask_b32_e64 v1, v36, v34, s[28:29]
	v_cndmask_b32_e64 v36, v37, v35, s[28:29]
	v_mov_b32_e32 v37, 0x7ff80000
	v_cmp_ngt_f64_e64 s[28:29], -1.0, v[34:35]
	v_cndmask_b32_e64 v37, v37, v36, s[28:29]
	v_cmp_nge_f64_e64 s[28:29], -1.0, v[34:35]
	v_cndmask_b32_e64 v36, 0, v1, s[28:29]
	v_mov_b32_e32 v1, 0xfff00000
	v_cmp_neq_f64_e64 s[28:29], -1.0, v[34:35]
	v_cndmask_b32_e64 v37, v1, v37, s[28:29]
	v_add_f64 v[46:47], v[32:33], v[36:37]
.LBB39_30:
	s_or_b64 exec, exec, s[34:35]
	v_max_f64 v[32:33], v[10:11], v[10:11]
	v_max_f64 v[34:35], v[46:47], v[46:47]
	v_min_f64 v[36:37], v[34:35], v[32:33]
	v_cmp_u_f64_e64 s[30:31], v[46:47], v[46:47]
	v_cndmask_b32_e64 v1, v36, v46, s[30:31]
	v_cndmask_b32_e64 v36, v37, v47, s[30:31]
	v_cmp_u_f64_e64 s[28:29], v[10:11], v[10:11]
	v_max_f64 v[34:35], v[34:35], v[32:33]
	v_cndmask_b32_e64 v37, v36, v11, s[28:29]
	v_cndmask_b32_e64 v36, v1, v10, s[28:29]
	v_cndmask_b32_e64 v1, v34, v46, s[30:31]
	v_cndmask_b32_e64 v34, v35, v47, s[30:31]
	v_cndmask_b32_e64 v35, v34, v11, s[28:29]
	v_cndmask_b32_e64 v34, v1, v10, s[28:29]
	v_cmp_neq_f64_e64 s[30:31], v[36:37], v[34:35]
	v_cmp_class_f64_e64 s[34:35], v[36:37], s33
	s_or_b64 s[30:31], s[30:31], s[34:35]
	s_and_saveexec_b64 s[36:37], s[30:31]
	s_cbranch_execz .LBB39_32
; %bb.31:
	s_mov_b32 s30, 0x652b82fe
	v_add_f64 v[36:37], v[36:37], -v[34:35]
	s_mov_b32 s31, 0x3ff71547
	v_mul_f64 v[38:39], v[36:37], s[30:31]
	v_rndne_f64_e32 v[38:39], v[38:39]
	s_mov_b32 s43, 0xbfe62e42
	s_mov_b32 s42, 0xfefa39ef
	v_fma_f64 v[46:47], s[42:43], v[38:39], v[36:37]
	s_mov_b32 s45, 0xbc7abc9e
	s_mov_b32 s44, 0x3b39803f
	;; [unrolled: 1-line block ×3, first 2 shown]
	v_fmac_f64_e32 v[46:47], s[44:45], v[38:39]
	v_mov_b32_e32 v48, 0xfca7ab0c
	v_mov_b32_e32 v49, 0x3e928af3
	s_mov_b32 s31, 0x3e5ade15
	v_fmac_f64_e32 v[48:49], s[30:31], v[46:47]
	v_mov_b32_e32 v50, 0x623fde64
	v_mov_b32_e32 v51, 0x3ec71dee
	v_fmac_f64_e32 v[50:51], v[46:47], v[48:49]
	v_mov_b32_e32 v48, 0x7c89e6b0
	v_mov_b32_e32 v49, 0x3efa0199
	;; [unrolled: 3-line block ×8, first 2 shown]
	v_fmac_f64_e32 v[48:49], v[46:47], v[50:51]
	v_fma_f64 v[48:49], v[46:47], v[48:49], 1.0
	s_mov_b32 s30, 0
	s_mov_b32 s34, 0
	v_fma_f64 v[46:47], v[46:47], v[48:49], 1.0
	v_cvt_i32_f64_e32 v1, v[38:39]
	s_mov_b32 s31, 0x40900000
	s_mov_b32 s35, 0xc090cc00
	v_ldexp_f64 v[38:39], v[46:47], v1
	v_mov_b32_e32 v1, 0x7ff00000
	v_cmp_nlt_f64_e64 s[30:31], s[30:31], v[36:37]
	v_cmp_ngt_f64_e64 s[34:35], s[34:35], v[36:37]
	v_cndmask_b32_e64 v1, v1, v39, s[30:31]
	s_and_b64 s[30:31], s[34:35], s[30:31]
	v_cndmask_b32_e64 v37, 0, v1, s[34:35]
	v_cndmask_b32_e64 v36, 0, v38, s[30:31]
	v_add_f64 v[38:39], v[36:37], 1.0
	v_add_f64 v[46:47], v[38:39], -1.0
	v_add_f64 v[48:49], v[46:47], -v[38:39]
	v_add_f64 v[48:49], v[48:49], 1.0
	v_add_f64 v[46:47], v[36:37], -v[46:47]
	s_mov_b32 s30, 0x55555555
	v_add_f64 v[46:47], v[46:47], v[48:49]
	v_frexp_mant_f64_e32 v[48:49], v[38:39]
	s_mov_b32 s31, 0x3fe55555
	v_frexp_exp_i32_f64_e32 v1, v[38:39]
	v_cmp_gt_f64_e64 s[30:31], s[30:31], v[48:49]
	v_subbrev_co_u32_e64 v1, s[30:31], 0, v1, s[30:31]
	v_sub_u32_e32 v48, 0, v1
	v_ldexp_f64 v[38:39], v[38:39], v48
	v_ldexp_f64 v[46:47], v[46:47], v48
	v_add_f64 v[48:49], v[38:39], -1.0
	v_add_f64 v[56:57], v[38:39], 1.0
	v_add_f64 v[50:51], v[48:49], 1.0
	v_add_f64 v[58:59], v[56:57], -1.0
	v_add_f64 v[50:51], v[38:39], -v[50:51]
	v_add_f64 v[38:39], v[38:39], -v[58:59]
	v_add_f64 v[38:39], v[46:47], v[38:39]
	v_add_f64 v[50:51], v[46:47], v[50:51]
	;; [unrolled: 1-line block ×3, first 2 shown]
	v_rcp_f64_e32 v[58:59], v[46:47]
	v_add_f64 v[52:53], v[48:49], v[50:51]
	v_add_f64 v[48:49], v[52:53], -v[48:49]
	v_add_f64 v[48:49], v[50:51], -v[48:49]
	;; [unrolled: 1-line block ×4, first 2 shown]
	v_fma_f64 v[50:51], -v[46:47], v[58:59], 1.0
	v_fmac_f64_e32 v[58:59], v[50:51], v[58:59]
	v_fma_f64 v[50:51], -v[46:47], v[58:59], 1.0
	v_fmac_f64_e32 v[58:59], v[50:51], v[58:59]
	v_mul_f64 v[50:51], v[52:53], v[58:59]
	v_mul_f64 v[56:57], v[46:47], v[50:51]
	v_fma_f64 v[60:61], v[50:51], v[46:47], -v[56:57]
	v_fmac_f64_e32 v[60:61], v[50:51], v[38:39]
	v_add_f64 v[62:63], v[56:57], v[60:61]
	v_add_f64 v[64:65], v[52:53], -v[62:63]
	v_add_f64 v[52:53], v[52:53], -v[64:65]
	;; [unrolled: 1-line block ×4, first 2 shown]
	v_add_f64 v[48:49], v[48:49], v[52:53]
	v_add_f64 v[52:53], v[56:57], -v[60:61]
	v_add_f64 v[48:49], v[52:53], v[48:49]
	v_add_f64 v[52:53], v[64:65], v[48:49]
	v_add_f64 v[56:57], v[64:65], -v[52:53]
	v_add_f64 v[48:49], v[48:49], v[56:57]
	v_mul_f64 v[56:57], v[58:59], v[52:53]
	v_mul_f64 v[60:61], v[46:47], v[56:57]
	v_fma_f64 v[46:47], v[56:57], v[46:47], -v[60:61]
	v_fmac_f64_e32 v[46:47], v[56:57], v[38:39]
	v_add_f64 v[38:39], v[60:61], v[46:47]
	v_add_f64 v[62:63], v[52:53], -v[38:39]
	v_add_f64 v[52:53], v[52:53], -v[62:63]
	;; [unrolled: 1-line block ×4, first 2 shown]
	v_add_f64 v[38:39], v[48:49], v[38:39]
	v_add_f64 v[46:47], v[60:61], -v[46:47]
	v_add_f64 v[38:39], v[46:47], v[38:39]
	v_add_f64 v[46:47], v[50:51], v[56:57]
	;; [unrolled: 1-line block ×3, first 2 shown]
	v_add_f64 v[48:49], v[46:47], -v[50:51]
	v_mul_f64 v[38:39], v[58:59], v[38:39]
	v_add_f64 v[48:49], v[56:57], -v[48:49]
	v_add_f64 v[38:39], v[48:49], v[38:39]
	v_add_f64 v[48:49], v[46:47], v[38:39]
	v_add_f64 v[46:47], v[48:49], -v[46:47]
	s_mov_b32 s30, 0xbf559e2b
	v_add_f64 v[38:39], v[38:39], -v[46:47]
	v_mul_f64 v[46:47], v[48:49], v[48:49]
	v_mov_b32_e32 v50, 0x6b47b09a
	v_mov_b32_e32 v51, 0x3fc38538
	s_mov_b32 s31, 0x3fc3ab76
	v_fmac_f64_e32 v[50:51], s[30:31], v[46:47]
	v_mov_b32_e32 v52, 0xd7f4df2e
	v_mov_b32_e32 v53, 0x3fc7474d
	v_fmac_f64_e32 v[52:53], v[46:47], v[50:51]
	v_mov_b32_e32 v50, 0x16291751
	v_mov_b32_e32 v51, 0x3fcc71c0
	;; [unrolled: 3-line block ×5, first 2 shown]
	v_fmac_f64_e32 v[52:53], v[46:47], v[50:51]
	v_cvt_f64_i32_e32 v[50:51], v1
	s_mov_b32 s43, 0x3fe62e42
	v_mul_f64 v[56:57], v[50:51], s[42:43]
	v_fma_f64 v[58:59], v[50:51], s[42:43], -v[56:57]
	s_mov_b32 s45, 0x3c7abc9e
	v_fmac_f64_e32 v[58:59], s[44:45], v[50:51]
	v_add_f64 v[50:51], v[56:57], v[58:59]
	v_add_f64 v[56:57], v[50:51], -v[56:57]
	v_mul_f64 v[46:47], v[48:49], v[46:47]
	v_add_f64 v[56:57], v[58:59], -v[56:57]
	v_ldexp_f64 v[58:59], v[48:49], 1
	v_mul_f64 v[46:47], v[46:47], v[52:53]
	v_add_f64 v[48:49], v[58:59], v[46:47]
	v_add_f64 v[52:53], v[48:49], -v[58:59]
	v_ldexp_f64 v[38:39], v[38:39], 1
	v_add_f64 v[46:47], v[46:47], -v[52:53]
	v_add_f64 v[38:39], v[38:39], v[46:47]
	v_add_f64 v[46:47], v[48:49], v[38:39]
	v_add_f64 v[48:49], v[46:47], -v[48:49]
	v_add_f64 v[38:39], v[38:39], -v[48:49]
	v_add_f64 v[48:49], v[50:51], v[46:47]
	v_add_f64 v[52:53], v[48:49], -v[50:51]
	v_add_f64 v[58:59], v[48:49], -v[52:53]
	;; [unrolled: 1-line block ×4, first 2 shown]
	v_add_f64 v[46:47], v[46:47], v[50:51]
	v_add_f64 v[50:51], v[56:57], v[38:39]
	v_add_f64 v[52:53], v[50:51], -v[56:57]
	v_add_f64 v[46:47], v[50:51], v[46:47]
	v_add_f64 v[58:59], v[50:51], -v[52:53]
	;; [unrolled: 2-line block ×3, first 2 shown]
	v_add_f64 v[38:39], v[38:39], -v[52:53]
	v_add_f64 v[48:49], v[50:51], -v[48:49]
	v_add_f64 v[38:39], v[38:39], v[56:57]
	v_add_f64 v[46:47], v[46:47], -v[48:49]
	s_mov_b32 s30, 0
	v_add_f64 v[38:39], v[38:39], v[46:47]
	s_mov_b32 s31, 0x7ff00000
	v_add_f64 v[38:39], v[50:51], v[38:39]
	v_cmp_eq_f64_e64 s[30:31], s[30:31], v[36:37]
	v_cndmask_b32_e64 v1, v38, v36, s[30:31]
	v_cndmask_b32_e64 v38, v39, v37, s[30:31]
	v_mov_b32_e32 v39, 0x7ff80000
	v_cmp_ngt_f64_e64 s[30:31], -1.0, v[36:37]
	v_cndmask_b32_e64 v39, v39, v38, s[30:31]
	v_cmp_nge_f64_e64 s[30:31], -1.0, v[36:37]
	v_cndmask_b32_e64 v38, 0, v1, s[30:31]
	v_mov_b32_e32 v1, 0xfff00000
	v_cmp_neq_f64_e64 s[30:31], -1.0, v[36:37]
	v_cndmask_b32_e64 v39, v1, v39, s[30:31]
	v_add_f64 v[46:47], v[34:35], v[38:39]
.LBB39_32:
	s_or_b64 exec, exec, s[36:37]
	v_max_f64 v[34:35], v[12:13], v[12:13]
	v_max_f64 v[36:37], v[46:47], v[46:47]
	v_min_f64 v[38:39], v[36:37], v[34:35]
	v_cmp_u_f64_e64 s[34:35], v[46:47], v[46:47]
	v_cndmask_b32_e64 v1, v38, v46, s[34:35]
	v_cndmask_b32_e64 v38, v39, v47, s[34:35]
	v_cmp_u_f64_e64 s[30:31], v[12:13], v[12:13]
	v_max_f64 v[36:37], v[36:37], v[34:35]
	v_cndmask_b32_e64 v39, v38, v13, s[30:31]
	v_cndmask_b32_e64 v38, v1, v12, s[30:31]
	v_cndmask_b32_e64 v1, v36, v46, s[34:35]
	v_cndmask_b32_e64 v36, v37, v47, s[34:35]
	v_cndmask_b32_e64 v37, v36, v13, s[30:31]
	v_cndmask_b32_e64 v36, v1, v12, s[30:31]
	v_cmp_neq_f64_e64 s[34:35], v[38:39], v[36:37]
	v_cmp_class_f64_e64 s[36:37], v[38:39], s33
	s_or_b64 s[34:35], s[34:35], s[36:37]
	s_and_saveexec_b64 s[42:43], s[34:35]
	s_cbranch_execz .LBB39_34
; %bb.33:
	s_mov_b32 s34, 0x652b82fe
	v_add_f64 v[38:39], v[38:39], -v[36:37]
	s_mov_b32 s35, 0x3ff71547
	v_mul_f64 v[46:47], v[38:39], s[34:35]
	v_rndne_f64_e32 v[46:47], v[46:47]
	s_mov_b32 s45, 0xbfe62e42
	s_mov_b32 s44, 0xfefa39ef
	v_fma_f64 v[48:49], s[44:45], v[46:47], v[38:39]
	s_mov_b32 s47, 0xbc7abc9e
	s_mov_b32 s46, 0x3b39803f
	;; [unrolled: 1-line block ×3, first 2 shown]
	v_fmac_f64_e32 v[48:49], s[46:47], v[46:47]
	v_mov_b32_e32 v50, 0xfca7ab0c
	v_mov_b32_e32 v51, 0x3e928af3
	s_mov_b32 s35, 0x3e5ade15
	v_fmac_f64_e32 v[50:51], s[34:35], v[48:49]
	v_mov_b32_e32 v52, 0x623fde64
	v_mov_b32_e32 v53, 0x3ec71dee
	v_fmac_f64_e32 v[52:53], v[48:49], v[50:51]
	v_mov_b32_e32 v50, 0x7c89e6b0
	v_mov_b32_e32 v51, 0x3efa0199
	v_fmac_f64_e32 v[50:51], v[48:49], v[52:53]
	v_mov_b32_e32 v52, 0x14761f6e
	v_mov_b32_e32 v53, 0x3f2a01a0
	v_fmac_f64_e32 v[52:53], v[48:49], v[50:51]
	v_mov_b32_e32 v50, 0x1852b7b0
	v_mov_b32_e32 v51, 0x3f56c16c
	v_fmac_f64_e32 v[50:51], v[48:49], v[52:53]
	v_mov_b32_e32 v52, 0x11122322
	v_mov_b32_e32 v53, 0x3f811111
	v_fmac_f64_e32 v[52:53], v[48:49], v[50:51]
	v_mov_b32_e32 v50, 0x555502a1
	v_mov_b32_e32 v51, 0x3fa55555
	v_fmac_f64_e32 v[50:51], v[48:49], v[52:53]
	v_mov_b32_e32 v52, 0x55555511
	v_mov_b32_e32 v53, 0x3fc55555
	v_fmac_f64_e32 v[52:53], v[48:49], v[50:51]
	v_mov_b32_e32 v50, 11
	v_mov_b32_e32 v51, 0x3fe00000
	v_fmac_f64_e32 v[50:51], v[48:49], v[52:53]
	v_fma_f64 v[50:51], v[48:49], v[50:51], 1.0
	s_mov_b32 s34, 0
	s_mov_b32 s36, 0
	v_fma_f64 v[48:49], v[48:49], v[50:51], 1.0
	v_cvt_i32_f64_e32 v1, v[46:47]
	s_mov_b32 s35, 0x40900000
	s_mov_b32 s37, 0xc090cc00
	v_ldexp_f64 v[46:47], v[48:49], v1
	v_mov_b32_e32 v1, 0x7ff00000
	v_cmp_nlt_f64_e64 s[34:35], s[34:35], v[38:39]
	v_cmp_ngt_f64_e64 s[36:37], s[36:37], v[38:39]
	v_cndmask_b32_e64 v1, v1, v47, s[34:35]
	s_and_b64 s[34:35], s[36:37], s[34:35]
	v_cndmask_b32_e64 v39, 0, v1, s[36:37]
	v_cndmask_b32_e64 v38, 0, v46, s[34:35]
	v_add_f64 v[46:47], v[38:39], 1.0
	v_add_f64 v[48:49], v[46:47], -1.0
	v_add_f64 v[50:51], v[48:49], -v[46:47]
	v_add_f64 v[50:51], v[50:51], 1.0
	v_add_f64 v[48:49], v[38:39], -v[48:49]
	s_mov_b32 s34, 0x55555555
	v_add_f64 v[48:49], v[48:49], v[50:51]
	v_frexp_mant_f64_e32 v[50:51], v[46:47]
	s_mov_b32 s35, 0x3fe55555
	v_frexp_exp_i32_f64_e32 v1, v[46:47]
	v_cmp_gt_f64_e64 s[34:35], s[34:35], v[50:51]
	v_subbrev_co_u32_e64 v1, s[34:35], 0, v1, s[34:35]
	v_sub_u32_e32 v50, 0, v1
	v_ldexp_f64 v[46:47], v[46:47], v50
	v_ldexp_f64 v[48:49], v[48:49], v50
	v_add_f64 v[50:51], v[46:47], -1.0
	v_add_f64 v[58:59], v[46:47], 1.0
	v_add_f64 v[52:53], v[50:51], 1.0
	v_add_f64 v[60:61], v[58:59], -1.0
	v_add_f64 v[52:53], v[46:47], -v[52:53]
	v_add_f64 v[46:47], v[46:47], -v[60:61]
	v_add_f64 v[46:47], v[48:49], v[46:47]
	v_add_f64 v[52:53], v[48:49], v[52:53]
	;; [unrolled: 1-line block ×3, first 2 shown]
	v_rcp_f64_e32 v[60:61], v[48:49]
	v_add_f64 v[56:57], v[50:51], v[52:53]
	v_add_f64 v[50:51], v[56:57], -v[50:51]
	v_add_f64 v[50:51], v[52:53], -v[50:51]
	;; [unrolled: 1-line block ×4, first 2 shown]
	v_fma_f64 v[52:53], -v[48:49], v[60:61], 1.0
	v_fmac_f64_e32 v[60:61], v[52:53], v[60:61]
	v_fma_f64 v[52:53], -v[48:49], v[60:61], 1.0
	v_fmac_f64_e32 v[60:61], v[52:53], v[60:61]
	v_mul_f64 v[52:53], v[56:57], v[60:61]
	v_mul_f64 v[58:59], v[48:49], v[52:53]
	v_fma_f64 v[62:63], v[52:53], v[48:49], -v[58:59]
	v_fmac_f64_e32 v[62:63], v[52:53], v[46:47]
	v_add_f64 v[64:65], v[58:59], v[62:63]
	v_add_f64 v[66:67], v[56:57], -v[64:65]
	v_add_f64 v[56:57], v[56:57], -v[66:67]
	;; [unrolled: 1-line block ×4, first 2 shown]
	v_add_f64 v[50:51], v[50:51], v[56:57]
	v_add_f64 v[56:57], v[58:59], -v[62:63]
	v_add_f64 v[50:51], v[56:57], v[50:51]
	v_add_f64 v[56:57], v[66:67], v[50:51]
	v_add_f64 v[58:59], v[66:67], -v[56:57]
	v_add_f64 v[50:51], v[50:51], v[58:59]
	v_mul_f64 v[58:59], v[60:61], v[56:57]
	v_mul_f64 v[62:63], v[48:49], v[58:59]
	v_fma_f64 v[48:49], v[58:59], v[48:49], -v[62:63]
	v_fmac_f64_e32 v[48:49], v[58:59], v[46:47]
	v_add_f64 v[46:47], v[62:63], v[48:49]
	v_add_f64 v[64:65], v[56:57], -v[46:47]
	v_add_f64 v[56:57], v[56:57], -v[64:65]
	;; [unrolled: 1-line block ×4, first 2 shown]
	v_add_f64 v[46:47], v[50:51], v[46:47]
	v_add_f64 v[48:49], v[62:63], -v[48:49]
	v_add_f64 v[46:47], v[48:49], v[46:47]
	v_add_f64 v[48:49], v[52:53], v[58:59]
	;; [unrolled: 1-line block ×3, first 2 shown]
	v_add_f64 v[50:51], v[48:49], -v[52:53]
	v_mul_f64 v[46:47], v[60:61], v[46:47]
	v_add_f64 v[50:51], v[58:59], -v[50:51]
	v_add_f64 v[46:47], v[50:51], v[46:47]
	v_add_f64 v[50:51], v[48:49], v[46:47]
	v_add_f64 v[48:49], v[50:51], -v[48:49]
	s_mov_b32 s34, 0xbf559e2b
	v_add_f64 v[46:47], v[46:47], -v[48:49]
	v_mul_f64 v[48:49], v[50:51], v[50:51]
	v_mov_b32_e32 v52, 0x6b47b09a
	v_mov_b32_e32 v53, 0x3fc38538
	s_mov_b32 s35, 0x3fc3ab76
	v_fmac_f64_e32 v[52:53], s[34:35], v[48:49]
	v_mov_b32_e32 v56, 0xd7f4df2e
	v_mov_b32_e32 v57, 0x3fc7474d
	v_fmac_f64_e32 v[56:57], v[48:49], v[52:53]
	v_mov_b32_e32 v52, 0x16291751
	v_mov_b32_e32 v53, 0x3fcc71c0
	v_fmac_f64_e32 v[52:53], v[48:49], v[56:57]
	v_mov_b32_e32 v56, 0x9b27acf1
	v_mov_b32_e32 v57, 0x3fd24924
	v_fmac_f64_e32 v[56:57], v[48:49], v[52:53]
	v_mov_b32_e32 v52, 0x998ef7b6
	v_mov_b32_e32 v53, 0x3fd99999
	v_fmac_f64_e32 v[52:53], v[48:49], v[56:57]
	v_mov_b32_e32 v56, 0x55555780
	v_mov_b32_e32 v57, 0x3fe55555
	v_fmac_f64_e32 v[56:57], v[48:49], v[52:53]
	v_cvt_f64_i32_e32 v[52:53], v1
	s_mov_b32 s45, 0x3fe62e42
	v_mul_f64 v[58:59], v[52:53], s[44:45]
	v_fma_f64 v[60:61], v[52:53], s[44:45], -v[58:59]
	s_mov_b32 s47, 0x3c7abc9e
	v_fmac_f64_e32 v[60:61], s[46:47], v[52:53]
	v_add_f64 v[52:53], v[58:59], v[60:61]
	v_add_f64 v[58:59], v[52:53], -v[58:59]
	v_mul_f64 v[48:49], v[50:51], v[48:49]
	v_add_f64 v[58:59], v[60:61], -v[58:59]
	v_ldexp_f64 v[60:61], v[50:51], 1
	v_mul_f64 v[48:49], v[48:49], v[56:57]
	v_add_f64 v[50:51], v[60:61], v[48:49]
	v_add_f64 v[56:57], v[50:51], -v[60:61]
	v_ldexp_f64 v[46:47], v[46:47], 1
	v_add_f64 v[48:49], v[48:49], -v[56:57]
	v_add_f64 v[46:47], v[46:47], v[48:49]
	v_add_f64 v[48:49], v[50:51], v[46:47]
	v_add_f64 v[50:51], v[48:49], -v[50:51]
	v_add_f64 v[46:47], v[46:47], -v[50:51]
	v_add_f64 v[50:51], v[52:53], v[48:49]
	v_add_f64 v[56:57], v[50:51], -v[52:53]
	v_add_f64 v[60:61], v[50:51], -v[56:57]
	;; [unrolled: 1-line block ×4, first 2 shown]
	v_add_f64 v[48:49], v[48:49], v[52:53]
	v_add_f64 v[52:53], v[58:59], v[46:47]
	v_add_f64 v[56:57], v[52:53], -v[58:59]
	v_add_f64 v[48:49], v[52:53], v[48:49]
	v_add_f64 v[60:61], v[52:53], -v[56:57]
	;; [unrolled: 2-line block ×3, first 2 shown]
	v_add_f64 v[46:47], v[46:47], -v[56:57]
	v_add_f64 v[50:51], v[52:53], -v[50:51]
	v_add_f64 v[46:47], v[46:47], v[58:59]
	v_add_f64 v[48:49], v[48:49], -v[50:51]
	s_mov_b32 s34, 0
	v_add_f64 v[46:47], v[46:47], v[48:49]
	s_mov_b32 s35, 0x7ff00000
	v_add_f64 v[46:47], v[52:53], v[46:47]
	v_cmp_eq_f64_e64 s[34:35], s[34:35], v[38:39]
	v_cndmask_b32_e64 v1, v46, v38, s[34:35]
	v_cndmask_b32_e64 v46, v47, v39, s[34:35]
	v_mov_b32_e32 v47, 0x7ff80000
	v_cmp_ngt_f64_e64 s[34:35], -1.0, v[38:39]
	v_cndmask_b32_e64 v47, v47, v46, s[34:35]
	v_cmp_nge_f64_e64 s[34:35], -1.0, v[38:39]
	v_cndmask_b32_e64 v46, 0, v1, s[34:35]
	v_mov_b32_e32 v1, 0xfff00000
	v_cmp_neq_f64_e64 s[34:35], -1.0, v[38:39]
	v_cndmask_b32_e64 v47, v1, v47, s[34:35]
	v_add_f64 v[46:47], v[36:37], v[46:47]
.LBB39_34:
	s_or_b64 exec, exec, s[42:43]
	v_max_f64 v[36:37], v[6:7], v[6:7]
	v_max_f64 v[38:39], v[46:47], v[46:47]
	v_min_f64 v[48:49], v[38:39], v[36:37]
	v_cmp_u_f64_e64 s[36:37], v[46:47], v[46:47]
	v_cndmask_b32_e64 v1, v48, v46, s[36:37]
	v_cndmask_b32_e64 v48, v49, v47, s[36:37]
	v_cmp_u_f64_e64 s[34:35], v[6:7], v[6:7]
	v_max_f64 v[38:39], v[38:39], v[36:37]
	v_cndmask_b32_e64 v49, v48, v7, s[34:35]
	v_cndmask_b32_e64 v48, v1, v6, s[34:35]
	;; [unrolled: 1-line block ×6, first 2 shown]
	v_cmp_neq_f64_e64 s[36:37], v[48:49], v[38:39]
	v_cmp_class_f64_e64 s[42:43], v[48:49], s33
	s_or_b64 s[36:37], s[36:37], s[42:43]
	s_and_saveexec_b64 s[44:45], s[36:37]
	s_cbranch_execz .LBB39_36
; %bb.35:
	s_mov_b32 s36, 0x652b82fe
	v_add_f64 v[46:47], v[48:49], -v[38:39]
	s_mov_b32 s37, 0x3ff71547
	v_mul_f64 v[48:49], v[46:47], s[36:37]
	v_rndne_f64_e32 v[48:49], v[48:49]
	s_mov_b32 s47, 0xbfe62e42
	s_mov_b32 s46, 0xfefa39ef
	v_fma_f64 v[50:51], s[46:47], v[48:49], v[46:47]
	s_mov_b32 s49, 0xbc7abc9e
	s_mov_b32 s48, 0x3b39803f
	s_mov_b32 s36, 0x6a5dcb37
	v_fmac_f64_e32 v[50:51], s[48:49], v[48:49]
	v_mov_b32_e32 v52, 0xfca7ab0c
	v_mov_b32_e32 v53, 0x3e928af3
	s_mov_b32 s37, 0x3e5ade15
	v_fmac_f64_e32 v[52:53], s[36:37], v[50:51]
	v_mov_b32_e32 v56, 0x623fde64
	v_mov_b32_e32 v57, 0x3ec71dee
	v_fmac_f64_e32 v[56:57], v[50:51], v[52:53]
	v_mov_b32_e32 v52, 0x7c89e6b0
	v_mov_b32_e32 v53, 0x3efa0199
	;; [unrolled: 3-line block ×8, first 2 shown]
	v_fmac_f64_e32 v[52:53], v[50:51], v[56:57]
	v_fma_f64 v[52:53], v[50:51], v[52:53], 1.0
	s_mov_b32 s36, 0
	s_mov_b32 s42, 0
	v_fma_f64 v[50:51], v[50:51], v[52:53], 1.0
	v_cvt_i32_f64_e32 v1, v[48:49]
	s_mov_b32 s37, 0x40900000
	s_mov_b32 s43, 0xc090cc00
	v_ldexp_f64 v[48:49], v[50:51], v1
	v_mov_b32_e32 v1, 0x7ff00000
	v_cmp_nlt_f64_e64 s[36:37], s[36:37], v[46:47]
	v_cmp_ngt_f64_e64 s[42:43], s[42:43], v[46:47]
	v_cndmask_b32_e64 v1, v1, v49, s[36:37]
	s_and_b64 s[36:37], s[42:43], s[36:37]
	v_cndmask_b32_e64 v47, 0, v1, s[42:43]
	v_cndmask_b32_e64 v46, 0, v48, s[36:37]
	v_add_f64 v[48:49], v[46:47], 1.0
	v_add_f64 v[50:51], v[48:49], -1.0
	v_add_f64 v[52:53], v[50:51], -v[48:49]
	v_add_f64 v[52:53], v[52:53], 1.0
	v_add_f64 v[50:51], v[46:47], -v[50:51]
	s_mov_b32 s36, 0x55555555
	v_add_f64 v[50:51], v[50:51], v[52:53]
	v_frexp_mant_f64_e32 v[52:53], v[48:49]
	s_mov_b32 s37, 0x3fe55555
	v_frexp_exp_i32_f64_e32 v1, v[48:49]
	v_cmp_gt_f64_e64 s[36:37], s[36:37], v[52:53]
	v_subbrev_co_u32_e64 v1, s[36:37], 0, v1, s[36:37]
	v_sub_u32_e32 v52, 0, v1
	v_ldexp_f64 v[48:49], v[48:49], v52
	v_ldexp_f64 v[50:51], v[50:51], v52
	v_add_f64 v[52:53], v[48:49], -1.0
	v_add_f64 v[60:61], v[48:49], 1.0
	v_add_f64 v[56:57], v[52:53], 1.0
	v_add_f64 v[62:63], v[60:61], -1.0
	v_add_f64 v[56:57], v[48:49], -v[56:57]
	v_add_f64 v[48:49], v[48:49], -v[62:63]
	v_add_f64 v[48:49], v[50:51], v[48:49]
	v_add_f64 v[56:57], v[50:51], v[56:57]
	;; [unrolled: 1-line block ×3, first 2 shown]
	v_rcp_f64_e32 v[62:63], v[50:51]
	v_add_f64 v[58:59], v[52:53], v[56:57]
	v_add_f64 v[52:53], v[58:59], -v[52:53]
	v_add_f64 v[52:53], v[56:57], -v[52:53]
	;; [unrolled: 1-line block ×4, first 2 shown]
	v_fma_f64 v[56:57], -v[50:51], v[62:63], 1.0
	v_fmac_f64_e32 v[62:63], v[56:57], v[62:63]
	v_fma_f64 v[56:57], -v[50:51], v[62:63], 1.0
	v_fmac_f64_e32 v[62:63], v[56:57], v[62:63]
	v_mul_f64 v[56:57], v[58:59], v[62:63]
	v_mul_f64 v[60:61], v[50:51], v[56:57]
	v_fma_f64 v[64:65], v[56:57], v[50:51], -v[60:61]
	v_fmac_f64_e32 v[64:65], v[56:57], v[48:49]
	v_add_f64 v[66:67], v[60:61], v[64:65]
	v_add_f64 v[68:69], v[58:59], -v[66:67]
	v_add_f64 v[58:59], v[58:59], -v[68:69]
	;; [unrolled: 1-line block ×4, first 2 shown]
	v_add_f64 v[52:53], v[52:53], v[58:59]
	v_add_f64 v[58:59], v[60:61], -v[64:65]
	v_add_f64 v[52:53], v[58:59], v[52:53]
	v_add_f64 v[58:59], v[68:69], v[52:53]
	v_add_f64 v[60:61], v[68:69], -v[58:59]
	v_add_f64 v[52:53], v[52:53], v[60:61]
	v_mul_f64 v[60:61], v[62:63], v[58:59]
	v_mul_f64 v[64:65], v[50:51], v[60:61]
	v_fma_f64 v[50:51], v[60:61], v[50:51], -v[64:65]
	v_fmac_f64_e32 v[50:51], v[60:61], v[48:49]
	v_add_f64 v[48:49], v[64:65], v[50:51]
	v_add_f64 v[66:67], v[58:59], -v[48:49]
	v_add_f64 v[58:59], v[58:59], -v[66:67]
	;; [unrolled: 1-line block ×4, first 2 shown]
	v_add_f64 v[48:49], v[52:53], v[48:49]
	v_add_f64 v[50:51], v[64:65], -v[50:51]
	v_add_f64 v[48:49], v[50:51], v[48:49]
	v_add_f64 v[50:51], v[56:57], v[60:61]
	;; [unrolled: 1-line block ×3, first 2 shown]
	v_add_f64 v[52:53], v[50:51], -v[56:57]
	v_mul_f64 v[48:49], v[62:63], v[48:49]
	v_add_f64 v[52:53], v[60:61], -v[52:53]
	v_add_f64 v[48:49], v[52:53], v[48:49]
	v_add_f64 v[52:53], v[50:51], v[48:49]
	v_add_f64 v[50:51], v[52:53], -v[50:51]
	s_mov_b32 s36, 0xbf559e2b
	v_add_f64 v[48:49], v[48:49], -v[50:51]
	v_mul_f64 v[50:51], v[52:53], v[52:53]
	v_mov_b32_e32 v56, 0x6b47b09a
	v_mov_b32_e32 v57, 0x3fc38538
	s_mov_b32 s37, 0x3fc3ab76
	v_fmac_f64_e32 v[56:57], s[36:37], v[50:51]
	v_mov_b32_e32 v58, 0xd7f4df2e
	v_mov_b32_e32 v59, 0x3fc7474d
	v_fmac_f64_e32 v[58:59], v[50:51], v[56:57]
	v_mov_b32_e32 v56, 0x16291751
	v_mov_b32_e32 v57, 0x3fcc71c0
	;; [unrolled: 3-line block ×5, first 2 shown]
	v_fmac_f64_e32 v[58:59], v[50:51], v[56:57]
	v_cvt_f64_i32_e32 v[56:57], v1
	s_mov_b32 s47, 0x3fe62e42
	v_mul_f64 v[60:61], v[56:57], s[46:47]
	v_fma_f64 v[62:63], v[56:57], s[46:47], -v[60:61]
	s_mov_b32 s49, 0x3c7abc9e
	v_fmac_f64_e32 v[62:63], s[48:49], v[56:57]
	v_add_f64 v[56:57], v[60:61], v[62:63]
	v_add_f64 v[60:61], v[56:57], -v[60:61]
	v_mul_f64 v[50:51], v[52:53], v[50:51]
	v_add_f64 v[60:61], v[62:63], -v[60:61]
	v_ldexp_f64 v[62:63], v[52:53], 1
	v_mul_f64 v[50:51], v[50:51], v[58:59]
	v_add_f64 v[52:53], v[62:63], v[50:51]
	v_add_f64 v[58:59], v[52:53], -v[62:63]
	v_ldexp_f64 v[48:49], v[48:49], 1
	v_add_f64 v[50:51], v[50:51], -v[58:59]
	v_add_f64 v[48:49], v[48:49], v[50:51]
	v_add_f64 v[50:51], v[52:53], v[48:49]
	v_add_f64 v[52:53], v[50:51], -v[52:53]
	v_add_f64 v[48:49], v[48:49], -v[52:53]
	v_add_f64 v[52:53], v[56:57], v[50:51]
	v_add_f64 v[58:59], v[52:53], -v[56:57]
	v_add_f64 v[62:63], v[52:53], -v[58:59]
	;; [unrolled: 1-line block ×4, first 2 shown]
	v_add_f64 v[50:51], v[50:51], v[56:57]
	v_add_f64 v[56:57], v[60:61], v[48:49]
	v_add_f64 v[58:59], v[56:57], -v[60:61]
	v_add_f64 v[50:51], v[56:57], v[50:51]
	v_add_f64 v[62:63], v[56:57], -v[58:59]
	;; [unrolled: 2-line block ×3, first 2 shown]
	v_add_f64 v[48:49], v[48:49], -v[58:59]
	v_add_f64 v[52:53], v[56:57], -v[52:53]
	v_add_f64 v[48:49], v[48:49], v[60:61]
	v_add_f64 v[50:51], v[50:51], -v[52:53]
	s_mov_b32 s36, 0
	v_add_f64 v[48:49], v[48:49], v[50:51]
	s_mov_b32 s37, 0x7ff00000
	v_add_f64 v[48:49], v[56:57], v[48:49]
	v_cmp_eq_f64_e64 s[36:37], s[36:37], v[46:47]
	v_cndmask_b32_e64 v1, v48, v46, s[36:37]
	v_cndmask_b32_e64 v48, v49, v47, s[36:37]
	v_mov_b32_e32 v49, 0x7ff80000
	v_cmp_ngt_f64_e64 s[36:37], -1.0, v[46:47]
	v_cndmask_b32_e64 v49, v49, v48, s[36:37]
	v_cmp_nge_f64_e64 s[36:37], -1.0, v[46:47]
	v_cndmask_b32_e64 v48, 0, v1, s[36:37]
	v_mov_b32_e32 v1, 0xfff00000
	v_cmp_neq_f64_e64 s[36:37], -1.0, v[46:47]
	v_cndmask_b32_e64 v49, v1, v49, s[36:37]
	v_add_f64 v[46:47], v[38:39], v[48:49]
.LBB39_36:
	s_or_b64 exec, exec, s[44:45]
	v_max_f64 v[38:39], v[8:9], v[8:9]
	v_max_f64 v[48:49], v[46:47], v[46:47]
	v_min_f64 v[50:51], v[48:49], v[38:39]
	v_cmp_u_f64_e64 s[42:43], v[46:47], v[46:47]
	v_cndmask_b32_e64 v1, v50, v46, s[42:43]
	v_cndmask_b32_e64 v50, v51, v47, s[42:43]
	v_cmp_u_f64_e64 s[36:37], v[8:9], v[8:9]
	v_max_f64 v[48:49], v[48:49], v[38:39]
	v_cndmask_b32_e64 v51, v50, v9, s[36:37]
	v_cndmask_b32_e64 v50, v1, v8, s[36:37]
	;; [unrolled: 1-line block ×6, first 2 shown]
	v_cmp_neq_f64_e64 s[42:43], v[50:51], v[48:49]
	v_cmp_class_f64_e64 s[44:45], v[50:51], s33
	s_or_b64 s[42:43], s[42:43], s[44:45]
	s_and_saveexec_b64 s[46:47], s[42:43]
	s_cbranch_execz .LBB39_38
; %bb.37:
	s_mov_b32 s42, 0x652b82fe
	v_add_f64 v[46:47], v[50:51], -v[48:49]
	s_mov_b32 s43, 0x3ff71547
	v_mul_f64 v[50:51], v[46:47], s[42:43]
	v_rndne_f64_e32 v[50:51], v[50:51]
	s_mov_b32 s49, 0xbfe62e42
	s_mov_b32 s48, 0xfefa39ef
	v_fma_f64 v[52:53], s[48:49], v[50:51], v[46:47]
	s_mov_b32 s51, 0xbc7abc9e
	s_mov_b32 s50, 0x3b39803f
	;; [unrolled: 1-line block ×3, first 2 shown]
	v_fmac_f64_e32 v[52:53], s[50:51], v[50:51]
	v_mov_b32_e32 v56, 0xfca7ab0c
	v_mov_b32_e32 v57, 0x3e928af3
	s_mov_b32 s43, 0x3e5ade15
	v_fmac_f64_e32 v[56:57], s[42:43], v[52:53]
	v_mov_b32_e32 v58, 0x623fde64
	v_mov_b32_e32 v59, 0x3ec71dee
	v_fmac_f64_e32 v[58:59], v[52:53], v[56:57]
	v_mov_b32_e32 v56, 0x7c89e6b0
	v_mov_b32_e32 v57, 0x3efa0199
	;; [unrolled: 3-line block ×8, first 2 shown]
	v_fmac_f64_e32 v[56:57], v[52:53], v[58:59]
	v_fma_f64 v[56:57], v[52:53], v[56:57], 1.0
	s_mov_b32 s42, 0
	s_mov_b32 s44, 0
	v_fma_f64 v[52:53], v[52:53], v[56:57], 1.0
	v_cvt_i32_f64_e32 v1, v[50:51]
	s_mov_b32 s43, 0x40900000
	s_mov_b32 s45, 0xc090cc00
	v_ldexp_f64 v[50:51], v[52:53], v1
	v_mov_b32_e32 v1, 0x7ff00000
	v_cmp_nlt_f64_e64 s[42:43], s[42:43], v[46:47]
	v_cmp_ngt_f64_e64 s[44:45], s[44:45], v[46:47]
	v_cndmask_b32_e64 v1, v1, v51, s[42:43]
	s_and_b64 s[42:43], s[44:45], s[42:43]
	v_cndmask_b32_e64 v47, 0, v1, s[44:45]
	v_cndmask_b32_e64 v46, 0, v50, s[42:43]
	v_add_f64 v[50:51], v[46:47], 1.0
	v_add_f64 v[52:53], v[50:51], -1.0
	v_add_f64 v[56:57], v[52:53], -v[50:51]
	v_add_f64 v[56:57], v[56:57], 1.0
	v_add_f64 v[52:53], v[46:47], -v[52:53]
	s_mov_b32 s42, 0x55555555
	v_add_f64 v[52:53], v[52:53], v[56:57]
	v_frexp_mant_f64_e32 v[56:57], v[50:51]
	s_mov_b32 s43, 0x3fe55555
	v_frexp_exp_i32_f64_e32 v1, v[50:51]
	v_cmp_gt_f64_e64 s[42:43], s[42:43], v[56:57]
	v_subbrev_co_u32_e64 v1, s[42:43], 0, v1, s[42:43]
	v_sub_u32_e32 v55, 0, v1
	v_ldexp_f64 v[50:51], v[50:51], v55
	v_add_f64 v[56:57], v[50:51], -1.0
	v_add_f64 v[62:63], v[50:51], 1.0
	v_add_f64 v[58:59], v[56:57], 1.0
	v_add_f64 v[64:65], v[62:63], -1.0
	v_ldexp_f64 v[52:53], v[52:53], v55
	v_add_f64 v[58:59], v[50:51], -v[58:59]
	v_add_f64 v[50:51], v[50:51], -v[64:65]
	v_add_f64 v[50:51], v[52:53], v[50:51]
	v_add_f64 v[58:59], v[52:53], v[58:59]
	;; [unrolled: 1-line block ×3, first 2 shown]
	v_rcp_f64_e32 v[64:65], v[52:53]
	v_add_f64 v[60:61], v[56:57], v[58:59]
	v_add_f64 v[56:57], v[60:61], -v[56:57]
	v_add_f64 v[56:57], v[58:59], -v[56:57]
	;; [unrolled: 1-line block ×4, first 2 shown]
	v_fma_f64 v[58:59], -v[52:53], v[64:65], 1.0
	v_fmac_f64_e32 v[64:65], v[58:59], v[64:65]
	v_fma_f64 v[58:59], -v[52:53], v[64:65], 1.0
	v_fmac_f64_e32 v[64:65], v[58:59], v[64:65]
	v_mul_f64 v[58:59], v[60:61], v[64:65]
	v_mul_f64 v[62:63], v[52:53], v[58:59]
	v_fma_f64 v[66:67], v[58:59], v[52:53], -v[62:63]
	v_fmac_f64_e32 v[66:67], v[58:59], v[50:51]
	v_add_f64 v[68:69], v[62:63], v[66:67]
	v_add_f64 v[70:71], v[60:61], -v[68:69]
	v_add_f64 v[60:61], v[60:61], -v[70:71]
	;; [unrolled: 1-line block ×4, first 2 shown]
	v_add_f64 v[56:57], v[56:57], v[60:61]
	v_add_f64 v[60:61], v[62:63], -v[66:67]
	v_add_f64 v[56:57], v[60:61], v[56:57]
	v_add_f64 v[60:61], v[70:71], v[56:57]
	v_add_f64 v[62:63], v[70:71], -v[60:61]
	v_add_f64 v[56:57], v[56:57], v[62:63]
	v_mul_f64 v[62:63], v[64:65], v[60:61]
	v_mul_f64 v[66:67], v[52:53], v[62:63]
	v_fma_f64 v[52:53], v[62:63], v[52:53], -v[66:67]
	v_fmac_f64_e32 v[52:53], v[62:63], v[50:51]
	v_add_f64 v[50:51], v[66:67], v[52:53]
	v_add_f64 v[68:69], v[60:61], -v[50:51]
	v_add_f64 v[60:61], v[60:61], -v[68:69]
	;; [unrolled: 1-line block ×4, first 2 shown]
	v_add_f64 v[50:51], v[56:57], v[50:51]
	v_add_f64 v[52:53], v[66:67], -v[52:53]
	v_add_f64 v[50:51], v[52:53], v[50:51]
	v_add_f64 v[52:53], v[58:59], v[62:63]
	;; [unrolled: 1-line block ×3, first 2 shown]
	v_add_f64 v[56:57], v[52:53], -v[58:59]
	v_mul_f64 v[50:51], v[64:65], v[50:51]
	v_add_f64 v[56:57], v[62:63], -v[56:57]
	v_add_f64 v[50:51], v[56:57], v[50:51]
	v_add_f64 v[56:57], v[52:53], v[50:51]
	v_add_f64 v[52:53], v[56:57], -v[52:53]
	s_mov_b32 s42, 0xbf559e2b
	v_add_f64 v[50:51], v[50:51], -v[52:53]
	v_mul_f64 v[52:53], v[56:57], v[56:57]
	v_mov_b32_e32 v58, 0x6b47b09a
	v_mov_b32_e32 v59, 0x3fc38538
	s_mov_b32 s43, 0x3fc3ab76
	v_fmac_f64_e32 v[58:59], s[42:43], v[52:53]
	v_mov_b32_e32 v60, 0xd7f4df2e
	v_mov_b32_e32 v61, 0x3fc7474d
	v_fmac_f64_e32 v[60:61], v[52:53], v[58:59]
	v_mov_b32_e32 v58, 0x16291751
	v_mov_b32_e32 v59, 0x3fcc71c0
	;; [unrolled: 3-line block ×5, first 2 shown]
	v_fmac_f64_e32 v[60:61], v[52:53], v[58:59]
	v_cvt_f64_i32_e32 v[58:59], v1
	s_mov_b32 s49, 0x3fe62e42
	v_mul_f64 v[62:63], v[58:59], s[48:49]
	v_fma_f64 v[64:65], v[58:59], s[48:49], -v[62:63]
	s_mov_b32 s51, 0x3c7abc9e
	v_fmac_f64_e32 v[64:65], s[50:51], v[58:59]
	v_add_f64 v[58:59], v[62:63], v[64:65]
	v_add_f64 v[62:63], v[58:59], -v[62:63]
	v_mul_f64 v[52:53], v[56:57], v[52:53]
	v_add_f64 v[62:63], v[64:65], -v[62:63]
	v_ldexp_f64 v[64:65], v[56:57], 1
	v_mul_f64 v[52:53], v[52:53], v[60:61]
	v_add_f64 v[56:57], v[64:65], v[52:53]
	v_add_f64 v[60:61], v[56:57], -v[64:65]
	v_ldexp_f64 v[50:51], v[50:51], 1
	v_add_f64 v[52:53], v[52:53], -v[60:61]
	v_add_f64 v[50:51], v[50:51], v[52:53]
	v_add_f64 v[52:53], v[56:57], v[50:51]
	v_add_f64 v[56:57], v[52:53], -v[56:57]
	v_add_f64 v[50:51], v[50:51], -v[56:57]
	v_add_f64 v[56:57], v[58:59], v[52:53]
	v_add_f64 v[60:61], v[56:57], -v[58:59]
	v_add_f64 v[64:65], v[56:57], -v[60:61]
	;; [unrolled: 1-line block ×4, first 2 shown]
	v_add_f64 v[52:53], v[52:53], v[58:59]
	v_add_f64 v[58:59], v[62:63], v[50:51]
	v_add_f64 v[60:61], v[58:59], -v[62:63]
	v_add_f64 v[52:53], v[58:59], v[52:53]
	v_add_f64 v[64:65], v[58:59], -v[60:61]
	;; [unrolled: 2-line block ×3, first 2 shown]
	v_add_f64 v[50:51], v[50:51], -v[60:61]
	v_add_f64 v[56:57], v[58:59], -v[56:57]
	v_add_f64 v[50:51], v[50:51], v[62:63]
	v_add_f64 v[52:53], v[52:53], -v[56:57]
	s_mov_b32 s42, 0
	v_add_f64 v[50:51], v[50:51], v[52:53]
	s_mov_b32 s43, 0x7ff00000
	v_add_f64 v[50:51], v[58:59], v[50:51]
	v_cmp_eq_f64_e64 s[42:43], s[42:43], v[46:47]
	v_cndmask_b32_e64 v1, v50, v46, s[42:43]
	v_cndmask_b32_e64 v50, v51, v47, s[42:43]
	v_mov_b32_e32 v51, 0x7ff80000
	v_cmp_ngt_f64_e64 s[42:43], -1.0, v[46:47]
	v_cndmask_b32_e64 v51, v51, v50, s[42:43]
	v_cmp_nge_f64_e64 s[42:43], -1.0, v[46:47]
	v_cndmask_b32_e64 v50, 0, v1, s[42:43]
	v_mov_b32_e32 v1, 0xfff00000
	v_cmp_neq_f64_e64 s[42:43], -1.0, v[46:47]
	v_cndmask_b32_e64 v51, v1, v51, s[42:43]
	v_add_f64 v[46:47], v[48:49], v[50:51]
.LBB39_38:
	s_or_b64 exec, exec, s[46:47]
	s_load_dwordx2 s[44:45], s[4:5], 0x20
	v_mbcnt_lo_u32_b32 v1, -1, 0
	v_mbcnt_hi_u32_b32 v1, -1, v1
	v_and_b32_e32 v52, 15, v1
	v_mov_b32_dpp v48, v46 row_shr:1 row_mask:0xf bank_mask:0xf
	v_mov_b32_dpp v49, v47 row_shr:1 row_mask:0xf bank_mask:0xf
	v_cmp_ne_u32_e64 s[4:5], 0, v52
	v_mov_b32_e32 v50, v46
	v_mov_b32_e32 v51, v47
	s_and_saveexec_b64 s[46:47], s[4:5]
	s_cbranch_execz .LBB39_42
; %bb.39:
	v_max_f64 v[56:57], v[48:49], v[48:49]
	v_max_f64 v[58:59], v[46:47], v[46:47]
	v_min_f64 v[50:51], v[56:57], v[58:59]
	v_cmp_u_f64_e64 s[4:5], v[48:49], v[48:49]
	v_max_f64 v[56:57], v[56:57], v[58:59]
	v_cndmask_b32_e64 v50, v50, v48, s[4:5]
	v_cndmask_b32_e64 v51, v51, v49, s[4:5]
	v_cmp_u_f64_e64 s[42:43], v[46:47], v[46:47]
	v_cndmask_b32_e64 v53, v56, v48, s[4:5]
	v_cndmask_b32_e64 v55, v57, v49, s[4:5]
	;; [unrolled: 1-line block ×6, first 2 shown]
	v_cmp_neq_f64_e64 s[4:5], v[50:51], v[46:47]
	v_cmp_class_f64_e64 s[42:43], v[50:51], s33
	s_or_b64 s[4:5], s[4:5], s[42:43]
	s_and_saveexec_b64 s[48:49], s[4:5]
	s_cbranch_execz .LBB39_41
; %bb.40:
	s_mov_b32 s4, 0x652b82fe
	v_add_f64 v[48:49], v[50:51], -v[46:47]
	s_mov_b32 s5, 0x3ff71547
	v_mul_f64 v[50:51], v[48:49], s[4:5]
	v_rndne_f64_e32 v[50:51], v[50:51]
	s_mov_b32 s51, 0xbfe62e42
	s_mov_b32 s50, 0xfefa39ef
	v_fma_f64 v[56:57], s[50:51], v[50:51], v[48:49]
	s_mov_b32 s53, 0xbc7abc9e
	s_mov_b32 s52, 0x3b39803f
	;; [unrolled: 1-line block ×3, first 2 shown]
	v_fmac_f64_e32 v[56:57], s[52:53], v[50:51]
	v_mov_b32_e32 v58, 0xfca7ab0c
	v_mov_b32_e32 v59, 0x3e928af3
	s_mov_b32 s5, 0x3e5ade15
	v_fmac_f64_e32 v[58:59], s[4:5], v[56:57]
	v_mov_b32_e32 v60, 0x623fde64
	v_mov_b32_e32 v61, 0x3ec71dee
	v_fmac_f64_e32 v[60:61], v[56:57], v[58:59]
	v_mov_b32_e32 v58, 0x7c89e6b0
	v_mov_b32_e32 v59, 0x3efa0199
	;; [unrolled: 3-line block ×8, first 2 shown]
	v_fmac_f64_e32 v[58:59], v[56:57], v[60:61]
	v_fma_f64 v[58:59], v[56:57], v[58:59], 1.0
	s_mov_b32 s4, 0
	s_mov_b32 s42, 0
	v_fma_f64 v[56:57], v[56:57], v[58:59], 1.0
	v_cvt_i32_f64_e32 v50, v[50:51]
	s_mov_b32 s5, 0x40900000
	s_mov_b32 s43, 0xc090cc00
	v_ldexp_f64 v[50:51], v[56:57], v50
	v_mov_b32_e32 v53, 0x7ff00000
	v_cmp_nlt_f64_e64 s[4:5], s[4:5], v[48:49]
	v_cmp_ngt_f64_e64 s[42:43], s[42:43], v[48:49]
	v_cndmask_b32_e64 v51, v53, v51, s[4:5]
	s_and_b64 s[4:5], s[42:43], s[4:5]
	v_cndmask_b32_e64 v49, 0, v51, s[42:43]
	v_cndmask_b32_e64 v48, 0, v50, s[4:5]
	v_add_f64 v[50:51], v[48:49], 1.0
	v_add_f64 v[56:57], v[50:51], -1.0
	v_add_f64 v[58:59], v[56:57], -v[50:51]
	v_add_f64 v[58:59], v[58:59], 1.0
	v_add_f64 v[56:57], v[48:49], -v[56:57]
	s_mov_b32 s4, 0x55555555
	v_add_f64 v[56:57], v[56:57], v[58:59]
	v_frexp_mant_f64_e32 v[58:59], v[50:51]
	s_mov_b32 s5, 0x3fe55555
	v_frexp_exp_i32_f64_e32 v53, v[50:51]
	v_cmp_gt_f64_e64 s[4:5], s[4:5], v[58:59]
	v_subbrev_co_u32_e64 v53, s[4:5], 0, v53, s[4:5]
	v_sub_u32_e32 v55, 0, v53
	v_ldexp_f64 v[50:51], v[50:51], v55
	v_add_f64 v[58:59], v[50:51], -1.0
	v_add_f64 v[64:65], v[50:51], 1.0
	v_add_f64 v[60:61], v[58:59], 1.0
	v_add_f64 v[66:67], v[64:65], -1.0
	v_ldexp_f64 v[56:57], v[56:57], v55
	v_add_f64 v[60:61], v[50:51], -v[60:61]
	v_add_f64 v[50:51], v[50:51], -v[66:67]
	v_add_f64 v[50:51], v[56:57], v[50:51]
	v_add_f64 v[60:61], v[56:57], v[60:61]
	;; [unrolled: 1-line block ×3, first 2 shown]
	v_rcp_f64_e32 v[66:67], v[56:57]
	v_add_f64 v[62:63], v[58:59], v[60:61]
	v_add_f64 v[58:59], v[62:63], -v[58:59]
	v_add_f64 v[58:59], v[60:61], -v[58:59]
	;; [unrolled: 1-line block ×4, first 2 shown]
	v_fma_f64 v[60:61], -v[56:57], v[66:67], 1.0
	v_fmac_f64_e32 v[66:67], v[60:61], v[66:67]
	v_fma_f64 v[60:61], -v[56:57], v[66:67], 1.0
	v_fmac_f64_e32 v[66:67], v[60:61], v[66:67]
	v_mul_f64 v[60:61], v[62:63], v[66:67]
	v_mul_f64 v[64:65], v[56:57], v[60:61]
	v_fma_f64 v[68:69], v[60:61], v[56:57], -v[64:65]
	v_fmac_f64_e32 v[68:69], v[60:61], v[50:51]
	v_add_f64 v[70:71], v[64:65], v[68:69]
	v_add_f64 v[72:73], v[62:63], -v[70:71]
	v_add_f64 v[62:63], v[62:63], -v[72:73]
	;; [unrolled: 1-line block ×4, first 2 shown]
	v_add_f64 v[58:59], v[58:59], v[62:63]
	v_add_f64 v[62:63], v[64:65], -v[68:69]
	v_add_f64 v[58:59], v[62:63], v[58:59]
	v_add_f64 v[62:63], v[72:73], v[58:59]
	v_add_f64 v[64:65], v[72:73], -v[62:63]
	v_add_f64 v[58:59], v[58:59], v[64:65]
	v_mul_f64 v[64:65], v[66:67], v[62:63]
	v_mul_f64 v[68:69], v[56:57], v[64:65]
	v_fma_f64 v[56:57], v[64:65], v[56:57], -v[68:69]
	v_fmac_f64_e32 v[56:57], v[64:65], v[50:51]
	v_add_f64 v[50:51], v[68:69], v[56:57]
	v_add_f64 v[70:71], v[62:63], -v[50:51]
	v_add_f64 v[62:63], v[62:63], -v[70:71]
	;; [unrolled: 1-line block ×4, first 2 shown]
	v_add_f64 v[50:51], v[58:59], v[50:51]
	v_add_f64 v[56:57], v[68:69], -v[56:57]
	v_add_f64 v[50:51], v[56:57], v[50:51]
	v_add_f64 v[56:57], v[60:61], v[64:65]
	;; [unrolled: 1-line block ×3, first 2 shown]
	v_add_f64 v[58:59], v[56:57], -v[60:61]
	v_mul_f64 v[50:51], v[66:67], v[50:51]
	v_add_f64 v[58:59], v[64:65], -v[58:59]
	v_add_f64 v[50:51], v[58:59], v[50:51]
	v_add_f64 v[58:59], v[56:57], v[50:51]
	v_add_f64 v[56:57], v[58:59], -v[56:57]
	s_mov_b32 s4, 0xbf559e2b
	v_add_f64 v[50:51], v[50:51], -v[56:57]
	v_mul_f64 v[56:57], v[58:59], v[58:59]
	v_mov_b32_e32 v60, 0x6b47b09a
	v_mov_b32_e32 v61, 0x3fc38538
	s_mov_b32 s5, 0x3fc3ab76
	v_fmac_f64_e32 v[60:61], s[4:5], v[56:57]
	v_mov_b32_e32 v62, 0xd7f4df2e
	v_mov_b32_e32 v63, 0x3fc7474d
	v_fmac_f64_e32 v[62:63], v[56:57], v[60:61]
	v_mov_b32_e32 v60, 0x16291751
	v_mov_b32_e32 v61, 0x3fcc71c0
	;; [unrolled: 3-line block ×5, first 2 shown]
	v_fmac_f64_e32 v[62:63], v[56:57], v[60:61]
	v_cvt_f64_i32_e32 v[60:61], v53
	s_mov_b32 s51, 0x3fe62e42
	v_mul_f64 v[64:65], v[60:61], s[50:51]
	v_fma_f64 v[66:67], v[60:61], s[50:51], -v[64:65]
	s_mov_b32 s53, 0x3c7abc9e
	v_fmac_f64_e32 v[66:67], s[52:53], v[60:61]
	v_add_f64 v[60:61], v[64:65], v[66:67]
	v_add_f64 v[64:65], v[60:61], -v[64:65]
	v_mul_f64 v[56:57], v[58:59], v[56:57]
	v_add_f64 v[64:65], v[66:67], -v[64:65]
	v_ldexp_f64 v[66:67], v[58:59], 1
	v_mul_f64 v[56:57], v[56:57], v[62:63]
	v_add_f64 v[58:59], v[66:67], v[56:57]
	v_add_f64 v[62:63], v[58:59], -v[66:67]
	v_ldexp_f64 v[50:51], v[50:51], 1
	v_add_f64 v[56:57], v[56:57], -v[62:63]
	v_add_f64 v[50:51], v[50:51], v[56:57]
	v_add_f64 v[56:57], v[58:59], v[50:51]
	v_add_f64 v[58:59], v[56:57], -v[58:59]
	v_add_f64 v[50:51], v[50:51], -v[58:59]
	v_add_f64 v[58:59], v[60:61], v[56:57]
	v_add_f64 v[62:63], v[58:59], -v[60:61]
	v_add_f64 v[66:67], v[58:59], -v[62:63]
	;; [unrolled: 1-line block ×4, first 2 shown]
	v_add_f64 v[56:57], v[56:57], v[60:61]
	v_add_f64 v[60:61], v[64:65], v[50:51]
	v_add_f64 v[62:63], v[60:61], -v[64:65]
	v_add_f64 v[56:57], v[60:61], v[56:57]
	v_add_f64 v[66:67], v[60:61], -v[62:63]
	;; [unrolled: 2-line block ×3, first 2 shown]
	v_add_f64 v[50:51], v[50:51], -v[62:63]
	v_add_f64 v[58:59], v[60:61], -v[58:59]
	v_add_f64 v[50:51], v[50:51], v[64:65]
	v_add_f64 v[56:57], v[56:57], -v[58:59]
	s_mov_b32 s4, 0
	v_add_f64 v[50:51], v[50:51], v[56:57]
	s_mov_b32 s5, 0x7ff00000
	v_add_f64 v[50:51], v[60:61], v[50:51]
	v_cmp_eq_f64_e64 s[4:5], s[4:5], v[48:49]
	v_cndmask_b32_e64 v50, v50, v48, s[4:5]
	v_cndmask_b32_e64 v51, v51, v49, s[4:5]
	v_mov_b32_e32 v53, 0x7ff80000
	v_cmp_ngt_f64_e64 s[4:5], -1.0, v[48:49]
	v_cndmask_b32_e64 v51, v53, v51, s[4:5]
	v_cmp_nge_f64_e64 s[4:5], -1.0, v[48:49]
	v_cndmask_b32_e64 v50, 0, v50, s[4:5]
	v_mov_b32_e32 v53, 0xfff00000
	v_cmp_neq_f64_e64 s[4:5], -1.0, v[48:49]
	v_cndmask_b32_e64 v51, v53, v51, s[4:5]
	v_add_f64 v[48:49], v[46:47], v[50:51]
.LBB39_41:
	s_or_b64 exec, exec, s[48:49]
	v_mov_b32_e32 v50, v48
	v_mov_b32_e32 v51, v49
	v_pk_mov_b32 v[46:47], v[48:49], v[48:49] op_sel:[0,1]
.LBB39_42:
	s_or_b64 exec, exec, s[46:47]
	v_mul_u32_u24_e32 v55, 0x48, v0
	v_mov_b32_dpp v48, v50 row_shr:2 row_mask:0xf bank_mask:0xf
	v_mov_b32_dpp v49, v51 row_shr:2 row_mask:0xf bank_mask:0xf
	v_cmp_lt_u32_e64 s[4:5], 1, v52
	s_and_saveexec_b64 s[46:47], s[4:5]
	s_cbranch_execz .LBB39_46
; %bb.43:
	v_max_f64 v[56:57], v[48:49], v[48:49]
	v_max_f64 v[58:59], v[46:47], v[46:47]
	v_min_f64 v[50:51], v[56:57], v[58:59]
	v_cmp_u_f64_e64 s[4:5], v[48:49], v[48:49]
	v_max_f64 v[56:57], v[56:57], v[58:59]
	v_cndmask_b32_e64 v50, v50, v48, s[4:5]
	v_cndmask_b32_e64 v51, v51, v49, s[4:5]
	v_cmp_u_f64_e64 s[42:43], v[46:47], v[46:47]
	v_cndmask_b32_e64 v53, v56, v48, s[4:5]
	v_cndmask_b32_e64 v56, v57, v49, s[4:5]
	v_cndmask_b32_e64 v51, v51, v47, s[42:43]
	v_cndmask_b32_e64 v50, v50, v46, s[42:43]
	v_cndmask_b32_e64 v47, v56, v47, s[42:43]
	v_cndmask_b32_e64 v46, v53, v46, s[42:43]
	v_cmp_neq_f64_e64 s[4:5], v[50:51], v[46:47]
	v_cmp_class_f64_e64 s[42:43], v[50:51], s33
	s_or_b64 s[4:5], s[4:5], s[42:43]
	s_and_saveexec_b64 s[48:49], s[4:5]
	s_cbranch_execz .LBB39_45
; %bb.44:
	s_mov_b32 s4, 0x652b82fe
	v_add_f64 v[48:49], v[50:51], -v[46:47]
	s_mov_b32 s5, 0x3ff71547
	v_mul_f64 v[50:51], v[48:49], s[4:5]
	v_rndne_f64_e32 v[50:51], v[50:51]
	s_mov_b32 s51, 0xbfe62e42
	s_mov_b32 s50, 0xfefa39ef
	v_fma_f64 v[56:57], s[50:51], v[50:51], v[48:49]
	s_mov_b32 s53, 0xbc7abc9e
	s_mov_b32 s52, 0x3b39803f
	;; [unrolled: 1-line block ×3, first 2 shown]
	v_fmac_f64_e32 v[56:57], s[52:53], v[50:51]
	v_mov_b32_e32 v58, 0xfca7ab0c
	v_mov_b32_e32 v59, 0x3e928af3
	s_mov_b32 s5, 0x3e5ade15
	v_fmac_f64_e32 v[58:59], s[4:5], v[56:57]
	v_mov_b32_e32 v60, 0x623fde64
	v_mov_b32_e32 v61, 0x3ec71dee
	v_fmac_f64_e32 v[60:61], v[56:57], v[58:59]
	v_mov_b32_e32 v58, 0x7c89e6b0
	v_mov_b32_e32 v59, 0x3efa0199
	;; [unrolled: 3-line block ×8, first 2 shown]
	v_fmac_f64_e32 v[58:59], v[56:57], v[60:61]
	v_fma_f64 v[58:59], v[56:57], v[58:59], 1.0
	s_mov_b32 s4, 0
	s_mov_b32 s42, 0
	v_fma_f64 v[56:57], v[56:57], v[58:59], 1.0
	v_cvt_i32_f64_e32 v50, v[50:51]
	s_mov_b32 s5, 0x40900000
	s_mov_b32 s43, 0xc090cc00
	v_ldexp_f64 v[50:51], v[56:57], v50
	v_mov_b32_e32 v53, 0x7ff00000
	v_cmp_nlt_f64_e64 s[4:5], s[4:5], v[48:49]
	v_cmp_ngt_f64_e64 s[42:43], s[42:43], v[48:49]
	v_cndmask_b32_e64 v51, v53, v51, s[4:5]
	s_and_b64 s[4:5], s[42:43], s[4:5]
	v_cndmask_b32_e64 v49, 0, v51, s[42:43]
	v_cndmask_b32_e64 v48, 0, v50, s[4:5]
	v_add_f64 v[50:51], v[48:49], 1.0
	v_add_f64 v[56:57], v[50:51], -1.0
	v_add_f64 v[58:59], v[56:57], -v[50:51]
	v_add_f64 v[58:59], v[58:59], 1.0
	v_add_f64 v[56:57], v[48:49], -v[56:57]
	s_mov_b32 s4, 0x55555555
	v_add_f64 v[56:57], v[56:57], v[58:59]
	v_frexp_mant_f64_e32 v[58:59], v[50:51]
	s_mov_b32 s5, 0x3fe55555
	v_frexp_exp_i32_f64_e32 v53, v[50:51]
	v_cmp_gt_f64_e64 s[4:5], s[4:5], v[58:59]
	v_subbrev_co_u32_e64 v53, s[4:5], 0, v53, s[4:5]
	v_sub_u32_e32 v58, 0, v53
	v_ldexp_f64 v[50:51], v[50:51], v58
	v_ldexp_f64 v[56:57], v[56:57], v58
	v_add_f64 v[58:59], v[50:51], -1.0
	v_add_f64 v[64:65], v[50:51], 1.0
	v_add_f64 v[60:61], v[58:59], 1.0
	v_add_f64 v[66:67], v[64:65], -1.0
	v_add_f64 v[60:61], v[50:51], -v[60:61]
	v_add_f64 v[50:51], v[50:51], -v[66:67]
	v_add_f64 v[50:51], v[56:57], v[50:51]
	v_add_f64 v[60:61], v[56:57], v[60:61]
	;; [unrolled: 1-line block ×3, first 2 shown]
	v_rcp_f64_e32 v[66:67], v[56:57]
	v_add_f64 v[62:63], v[58:59], v[60:61]
	v_add_f64 v[58:59], v[62:63], -v[58:59]
	v_add_f64 v[58:59], v[60:61], -v[58:59]
	;; [unrolled: 1-line block ×4, first 2 shown]
	v_fma_f64 v[60:61], -v[56:57], v[66:67], 1.0
	v_fmac_f64_e32 v[66:67], v[60:61], v[66:67]
	v_fma_f64 v[60:61], -v[56:57], v[66:67], 1.0
	v_fmac_f64_e32 v[66:67], v[60:61], v[66:67]
	v_mul_f64 v[60:61], v[62:63], v[66:67]
	v_mul_f64 v[64:65], v[56:57], v[60:61]
	v_fma_f64 v[68:69], v[60:61], v[56:57], -v[64:65]
	v_fmac_f64_e32 v[68:69], v[60:61], v[50:51]
	v_add_f64 v[70:71], v[64:65], v[68:69]
	v_add_f64 v[72:73], v[62:63], -v[70:71]
	v_add_f64 v[62:63], v[62:63], -v[72:73]
	;; [unrolled: 1-line block ×4, first 2 shown]
	v_add_f64 v[58:59], v[58:59], v[62:63]
	v_add_f64 v[62:63], v[64:65], -v[68:69]
	v_add_f64 v[58:59], v[62:63], v[58:59]
	v_add_f64 v[62:63], v[72:73], v[58:59]
	v_add_f64 v[64:65], v[72:73], -v[62:63]
	v_add_f64 v[58:59], v[58:59], v[64:65]
	v_mul_f64 v[64:65], v[66:67], v[62:63]
	v_mul_f64 v[68:69], v[56:57], v[64:65]
	v_fma_f64 v[56:57], v[64:65], v[56:57], -v[68:69]
	v_fmac_f64_e32 v[56:57], v[64:65], v[50:51]
	v_add_f64 v[50:51], v[68:69], v[56:57]
	v_add_f64 v[70:71], v[62:63], -v[50:51]
	v_add_f64 v[62:63], v[62:63], -v[70:71]
	;; [unrolled: 1-line block ×4, first 2 shown]
	v_add_f64 v[50:51], v[58:59], v[50:51]
	v_add_f64 v[56:57], v[68:69], -v[56:57]
	v_add_f64 v[50:51], v[56:57], v[50:51]
	v_add_f64 v[56:57], v[60:61], v[64:65]
	;; [unrolled: 1-line block ×3, first 2 shown]
	v_add_f64 v[58:59], v[56:57], -v[60:61]
	v_mul_f64 v[50:51], v[66:67], v[50:51]
	v_add_f64 v[58:59], v[64:65], -v[58:59]
	v_add_f64 v[50:51], v[58:59], v[50:51]
	v_add_f64 v[58:59], v[56:57], v[50:51]
	v_add_f64 v[56:57], v[58:59], -v[56:57]
	s_mov_b32 s4, 0xbf559e2b
	v_add_f64 v[50:51], v[50:51], -v[56:57]
	v_mul_f64 v[56:57], v[58:59], v[58:59]
	v_mov_b32_e32 v60, 0x6b47b09a
	v_mov_b32_e32 v61, 0x3fc38538
	s_mov_b32 s5, 0x3fc3ab76
	v_fmac_f64_e32 v[60:61], s[4:5], v[56:57]
	v_mov_b32_e32 v62, 0xd7f4df2e
	v_mov_b32_e32 v63, 0x3fc7474d
	v_fmac_f64_e32 v[62:63], v[56:57], v[60:61]
	v_mov_b32_e32 v60, 0x16291751
	v_mov_b32_e32 v61, 0x3fcc71c0
	;; [unrolled: 3-line block ×5, first 2 shown]
	v_fmac_f64_e32 v[62:63], v[56:57], v[60:61]
	v_cvt_f64_i32_e32 v[60:61], v53
	s_mov_b32 s51, 0x3fe62e42
	v_mul_f64 v[64:65], v[60:61], s[50:51]
	v_fma_f64 v[66:67], v[60:61], s[50:51], -v[64:65]
	s_mov_b32 s53, 0x3c7abc9e
	v_fmac_f64_e32 v[66:67], s[52:53], v[60:61]
	v_add_f64 v[60:61], v[64:65], v[66:67]
	v_add_f64 v[64:65], v[60:61], -v[64:65]
	v_mul_f64 v[56:57], v[58:59], v[56:57]
	v_add_f64 v[64:65], v[66:67], -v[64:65]
	v_ldexp_f64 v[66:67], v[58:59], 1
	v_mul_f64 v[56:57], v[56:57], v[62:63]
	v_add_f64 v[58:59], v[66:67], v[56:57]
	v_add_f64 v[62:63], v[58:59], -v[66:67]
	v_ldexp_f64 v[50:51], v[50:51], 1
	v_add_f64 v[56:57], v[56:57], -v[62:63]
	v_add_f64 v[50:51], v[50:51], v[56:57]
	v_add_f64 v[56:57], v[58:59], v[50:51]
	v_add_f64 v[58:59], v[56:57], -v[58:59]
	v_add_f64 v[50:51], v[50:51], -v[58:59]
	v_add_f64 v[58:59], v[60:61], v[56:57]
	v_add_f64 v[62:63], v[58:59], -v[60:61]
	v_add_f64 v[66:67], v[58:59], -v[62:63]
	;; [unrolled: 1-line block ×4, first 2 shown]
	v_add_f64 v[56:57], v[56:57], v[60:61]
	v_add_f64 v[60:61], v[64:65], v[50:51]
	v_add_f64 v[62:63], v[60:61], -v[64:65]
	v_add_f64 v[56:57], v[60:61], v[56:57]
	v_add_f64 v[66:67], v[60:61], -v[62:63]
	;; [unrolled: 2-line block ×3, first 2 shown]
	v_add_f64 v[50:51], v[50:51], -v[62:63]
	v_add_f64 v[58:59], v[60:61], -v[58:59]
	v_add_f64 v[50:51], v[50:51], v[64:65]
	v_add_f64 v[56:57], v[56:57], -v[58:59]
	s_mov_b32 s4, 0
	v_add_f64 v[50:51], v[50:51], v[56:57]
	s_mov_b32 s5, 0x7ff00000
	v_add_f64 v[50:51], v[60:61], v[50:51]
	v_cmp_eq_f64_e64 s[4:5], s[4:5], v[48:49]
	v_cndmask_b32_e64 v50, v50, v48, s[4:5]
	v_cndmask_b32_e64 v51, v51, v49, s[4:5]
	v_mov_b32_e32 v53, 0x7ff80000
	v_cmp_ngt_f64_e64 s[4:5], -1.0, v[48:49]
	v_cndmask_b32_e64 v51, v53, v51, s[4:5]
	v_cmp_nge_f64_e64 s[4:5], -1.0, v[48:49]
	v_cndmask_b32_e64 v50, 0, v50, s[4:5]
	v_mov_b32_e32 v53, 0xfff00000
	v_cmp_neq_f64_e64 s[4:5], -1.0, v[48:49]
	v_cndmask_b32_e64 v51, v53, v51, s[4:5]
	v_add_f64 v[48:49], v[46:47], v[50:51]
.LBB39_45:
	s_or_b64 exec, exec, s[48:49]
	v_pk_mov_b32 v[46:47], v[48:49], v[48:49] op_sel:[0,1]
	v_mov_b32_e32 v50, v48
	v_mov_b32_e32 v51, v49
.LBB39_46:
	s_or_b64 exec, exec, s[46:47]
	v_mov_b32_dpp v48, v50 row_shr:4 row_mask:0xf bank_mask:0xf
	v_mov_b32_dpp v49, v51 row_shr:4 row_mask:0xf bank_mask:0xf
	v_cmp_lt_u32_e64 s[4:5], 3, v52
	s_and_saveexec_b64 s[46:47], s[4:5]
	s_cbranch_execz .LBB39_50
; %bb.47:
	v_max_f64 v[56:57], v[48:49], v[48:49]
	v_max_f64 v[58:59], v[46:47], v[46:47]
	v_min_f64 v[50:51], v[56:57], v[58:59]
	v_cmp_u_f64_e64 s[4:5], v[48:49], v[48:49]
	v_max_f64 v[56:57], v[56:57], v[58:59]
	v_cndmask_b32_e64 v50, v50, v48, s[4:5]
	v_cndmask_b32_e64 v51, v51, v49, s[4:5]
	v_cmp_u_f64_e64 s[42:43], v[46:47], v[46:47]
	v_cndmask_b32_e64 v53, v56, v48, s[4:5]
	v_cndmask_b32_e64 v56, v57, v49, s[4:5]
	;; [unrolled: 1-line block ×6, first 2 shown]
	v_cmp_neq_f64_e64 s[4:5], v[50:51], v[46:47]
	v_cmp_class_f64_e64 s[42:43], v[50:51], s33
	s_or_b64 s[4:5], s[4:5], s[42:43]
	s_and_saveexec_b64 s[48:49], s[4:5]
	s_cbranch_execz .LBB39_49
; %bb.48:
	s_mov_b32 s4, 0x652b82fe
	v_add_f64 v[48:49], v[50:51], -v[46:47]
	s_mov_b32 s5, 0x3ff71547
	v_mul_f64 v[50:51], v[48:49], s[4:5]
	v_rndne_f64_e32 v[50:51], v[50:51]
	s_mov_b32 s51, 0xbfe62e42
	s_mov_b32 s50, 0xfefa39ef
	v_fma_f64 v[56:57], s[50:51], v[50:51], v[48:49]
	s_mov_b32 s53, 0xbc7abc9e
	s_mov_b32 s52, 0x3b39803f
	s_mov_b32 s4, 0x6a5dcb37
	v_fmac_f64_e32 v[56:57], s[52:53], v[50:51]
	v_mov_b32_e32 v58, 0xfca7ab0c
	v_mov_b32_e32 v59, 0x3e928af3
	s_mov_b32 s5, 0x3e5ade15
	v_fmac_f64_e32 v[58:59], s[4:5], v[56:57]
	v_mov_b32_e32 v60, 0x623fde64
	v_mov_b32_e32 v61, 0x3ec71dee
	v_fmac_f64_e32 v[60:61], v[56:57], v[58:59]
	v_mov_b32_e32 v58, 0x7c89e6b0
	v_mov_b32_e32 v59, 0x3efa0199
	;; [unrolled: 3-line block ×8, first 2 shown]
	v_fmac_f64_e32 v[58:59], v[56:57], v[60:61]
	v_fma_f64 v[58:59], v[56:57], v[58:59], 1.0
	s_mov_b32 s4, 0
	s_mov_b32 s42, 0
	v_fma_f64 v[56:57], v[56:57], v[58:59], 1.0
	v_cvt_i32_f64_e32 v50, v[50:51]
	s_mov_b32 s5, 0x40900000
	s_mov_b32 s43, 0xc090cc00
	v_ldexp_f64 v[50:51], v[56:57], v50
	v_mov_b32_e32 v53, 0x7ff00000
	v_cmp_nlt_f64_e64 s[4:5], s[4:5], v[48:49]
	v_cmp_ngt_f64_e64 s[42:43], s[42:43], v[48:49]
	v_cndmask_b32_e64 v51, v53, v51, s[4:5]
	s_and_b64 s[4:5], s[42:43], s[4:5]
	v_cndmask_b32_e64 v49, 0, v51, s[42:43]
	v_cndmask_b32_e64 v48, 0, v50, s[4:5]
	v_add_f64 v[50:51], v[48:49], 1.0
	v_add_f64 v[56:57], v[50:51], -1.0
	v_add_f64 v[58:59], v[56:57], -v[50:51]
	v_add_f64 v[58:59], v[58:59], 1.0
	v_add_f64 v[56:57], v[48:49], -v[56:57]
	s_mov_b32 s4, 0x55555555
	v_add_f64 v[56:57], v[56:57], v[58:59]
	v_frexp_mant_f64_e32 v[58:59], v[50:51]
	s_mov_b32 s5, 0x3fe55555
	v_frexp_exp_i32_f64_e32 v53, v[50:51]
	v_cmp_gt_f64_e64 s[4:5], s[4:5], v[58:59]
	v_subbrev_co_u32_e64 v53, s[4:5], 0, v53, s[4:5]
	v_sub_u32_e32 v58, 0, v53
	v_ldexp_f64 v[50:51], v[50:51], v58
	v_ldexp_f64 v[56:57], v[56:57], v58
	v_add_f64 v[58:59], v[50:51], -1.0
	v_add_f64 v[64:65], v[50:51], 1.0
	v_add_f64 v[60:61], v[58:59], 1.0
	v_add_f64 v[66:67], v[64:65], -1.0
	v_add_f64 v[60:61], v[50:51], -v[60:61]
	v_add_f64 v[50:51], v[50:51], -v[66:67]
	v_add_f64 v[50:51], v[56:57], v[50:51]
	v_add_f64 v[60:61], v[56:57], v[60:61]
	;; [unrolled: 1-line block ×3, first 2 shown]
	v_rcp_f64_e32 v[66:67], v[56:57]
	v_add_f64 v[62:63], v[58:59], v[60:61]
	v_add_f64 v[58:59], v[62:63], -v[58:59]
	v_add_f64 v[58:59], v[60:61], -v[58:59]
	;; [unrolled: 1-line block ×4, first 2 shown]
	v_fma_f64 v[60:61], -v[56:57], v[66:67], 1.0
	v_fmac_f64_e32 v[66:67], v[60:61], v[66:67]
	v_fma_f64 v[60:61], -v[56:57], v[66:67], 1.0
	v_fmac_f64_e32 v[66:67], v[60:61], v[66:67]
	v_mul_f64 v[60:61], v[62:63], v[66:67]
	v_mul_f64 v[64:65], v[56:57], v[60:61]
	v_fma_f64 v[68:69], v[60:61], v[56:57], -v[64:65]
	v_fmac_f64_e32 v[68:69], v[60:61], v[50:51]
	v_add_f64 v[70:71], v[64:65], v[68:69]
	v_add_f64 v[72:73], v[62:63], -v[70:71]
	v_add_f64 v[62:63], v[62:63], -v[72:73]
	;; [unrolled: 1-line block ×4, first 2 shown]
	v_add_f64 v[58:59], v[58:59], v[62:63]
	v_add_f64 v[62:63], v[64:65], -v[68:69]
	v_add_f64 v[58:59], v[62:63], v[58:59]
	v_add_f64 v[62:63], v[72:73], v[58:59]
	v_add_f64 v[64:65], v[72:73], -v[62:63]
	v_add_f64 v[58:59], v[58:59], v[64:65]
	v_mul_f64 v[64:65], v[66:67], v[62:63]
	v_mul_f64 v[68:69], v[56:57], v[64:65]
	v_fma_f64 v[56:57], v[64:65], v[56:57], -v[68:69]
	v_fmac_f64_e32 v[56:57], v[64:65], v[50:51]
	v_add_f64 v[50:51], v[68:69], v[56:57]
	v_add_f64 v[70:71], v[62:63], -v[50:51]
	v_add_f64 v[62:63], v[62:63], -v[70:71]
	v_add_f64 v[68:69], v[50:51], -v[68:69]
	v_add_f64 v[50:51], v[62:63], -v[50:51]
	v_add_f64 v[50:51], v[58:59], v[50:51]
	v_add_f64 v[56:57], v[68:69], -v[56:57]
	v_add_f64 v[50:51], v[56:57], v[50:51]
	v_add_f64 v[56:57], v[60:61], v[64:65]
	;; [unrolled: 1-line block ×3, first 2 shown]
	v_add_f64 v[58:59], v[56:57], -v[60:61]
	v_mul_f64 v[50:51], v[66:67], v[50:51]
	v_add_f64 v[58:59], v[64:65], -v[58:59]
	v_add_f64 v[50:51], v[58:59], v[50:51]
	v_add_f64 v[58:59], v[56:57], v[50:51]
	v_add_f64 v[56:57], v[58:59], -v[56:57]
	s_mov_b32 s4, 0xbf559e2b
	v_add_f64 v[50:51], v[50:51], -v[56:57]
	v_mul_f64 v[56:57], v[58:59], v[58:59]
	v_mov_b32_e32 v60, 0x6b47b09a
	v_mov_b32_e32 v61, 0x3fc38538
	s_mov_b32 s5, 0x3fc3ab76
	v_fmac_f64_e32 v[60:61], s[4:5], v[56:57]
	v_mov_b32_e32 v62, 0xd7f4df2e
	v_mov_b32_e32 v63, 0x3fc7474d
	v_fmac_f64_e32 v[62:63], v[56:57], v[60:61]
	v_mov_b32_e32 v60, 0x16291751
	v_mov_b32_e32 v61, 0x3fcc71c0
	;; [unrolled: 3-line block ×5, first 2 shown]
	v_fmac_f64_e32 v[62:63], v[56:57], v[60:61]
	v_cvt_f64_i32_e32 v[60:61], v53
	s_mov_b32 s51, 0x3fe62e42
	v_mul_f64 v[64:65], v[60:61], s[50:51]
	v_fma_f64 v[66:67], v[60:61], s[50:51], -v[64:65]
	s_mov_b32 s53, 0x3c7abc9e
	v_fmac_f64_e32 v[66:67], s[52:53], v[60:61]
	v_add_f64 v[60:61], v[64:65], v[66:67]
	v_add_f64 v[64:65], v[60:61], -v[64:65]
	v_mul_f64 v[56:57], v[58:59], v[56:57]
	v_add_f64 v[64:65], v[66:67], -v[64:65]
	v_ldexp_f64 v[66:67], v[58:59], 1
	v_mul_f64 v[56:57], v[56:57], v[62:63]
	v_add_f64 v[58:59], v[66:67], v[56:57]
	v_add_f64 v[62:63], v[58:59], -v[66:67]
	v_ldexp_f64 v[50:51], v[50:51], 1
	v_add_f64 v[56:57], v[56:57], -v[62:63]
	v_add_f64 v[50:51], v[50:51], v[56:57]
	v_add_f64 v[56:57], v[58:59], v[50:51]
	v_add_f64 v[58:59], v[56:57], -v[58:59]
	v_add_f64 v[50:51], v[50:51], -v[58:59]
	v_add_f64 v[58:59], v[60:61], v[56:57]
	v_add_f64 v[62:63], v[58:59], -v[60:61]
	v_add_f64 v[66:67], v[58:59], -v[62:63]
	;; [unrolled: 1-line block ×4, first 2 shown]
	v_add_f64 v[56:57], v[56:57], v[60:61]
	v_add_f64 v[60:61], v[64:65], v[50:51]
	v_add_f64 v[62:63], v[60:61], -v[64:65]
	v_add_f64 v[56:57], v[60:61], v[56:57]
	v_add_f64 v[66:67], v[60:61], -v[62:63]
	;; [unrolled: 2-line block ×3, first 2 shown]
	v_add_f64 v[50:51], v[50:51], -v[62:63]
	v_add_f64 v[58:59], v[60:61], -v[58:59]
	v_add_f64 v[50:51], v[50:51], v[64:65]
	v_add_f64 v[56:57], v[56:57], -v[58:59]
	s_mov_b32 s4, 0
	v_add_f64 v[50:51], v[50:51], v[56:57]
	s_mov_b32 s5, 0x7ff00000
	v_add_f64 v[50:51], v[60:61], v[50:51]
	v_cmp_eq_f64_e64 s[4:5], s[4:5], v[48:49]
	v_cndmask_b32_e64 v50, v50, v48, s[4:5]
	v_cndmask_b32_e64 v51, v51, v49, s[4:5]
	v_mov_b32_e32 v53, 0x7ff80000
	v_cmp_ngt_f64_e64 s[4:5], -1.0, v[48:49]
	v_cndmask_b32_e64 v51, v53, v51, s[4:5]
	v_cmp_nge_f64_e64 s[4:5], -1.0, v[48:49]
	v_cndmask_b32_e64 v50, 0, v50, s[4:5]
	v_mov_b32_e32 v53, 0xfff00000
	v_cmp_neq_f64_e64 s[4:5], -1.0, v[48:49]
	v_cndmask_b32_e64 v51, v53, v51, s[4:5]
	v_add_f64 v[48:49], v[46:47], v[50:51]
.LBB39_49:
	s_or_b64 exec, exec, s[48:49]
	v_pk_mov_b32 v[46:47], v[48:49], v[48:49] op_sel:[0,1]
	v_mov_b32_e32 v50, v48
	v_mov_b32_e32 v51, v49
.LBB39_50:
	s_or_b64 exec, exec, s[46:47]
	v_mov_b32_dpp v48, v50 row_shr:8 row_mask:0xf bank_mask:0xf
	v_mov_b32_dpp v49, v51 row_shr:8 row_mask:0xf bank_mask:0xf
	v_cmp_lt_u32_e64 s[4:5], 7, v52
	s_and_saveexec_b64 s[46:47], s[4:5]
	s_cbranch_execz .LBB39_54
; %bb.51:
	v_max_f64 v[52:53], v[48:49], v[48:49]
	v_max_f64 v[56:57], v[46:47], v[46:47]
	v_min_f64 v[50:51], v[52:53], v[56:57]
	v_cmp_u_f64_e64 s[4:5], v[48:49], v[48:49]
	v_max_f64 v[52:53], v[52:53], v[56:57]
	v_cndmask_b32_e64 v50, v50, v48, s[4:5]
	v_cndmask_b32_e64 v51, v51, v49, s[4:5]
	v_cmp_u_f64_e64 s[42:43], v[46:47], v[46:47]
	v_cndmask_b32_e64 v52, v52, v48, s[4:5]
	v_cndmask_b32_e64 v53, v53, v49, s[4:5]
	;; [unrolled: 1-line block ×6, first 2 shown]
	v_cmp_neq_f64_e64 s[4:5], v[50:51], v[46:47]
	v_cmp_class_f64_e64 s[42:43], v[50:51], s33
	s_or_b64 s[4:5], s[4:5], s[42:43]
	s_and_saveexec_b64 s[48:49], s[4:5]
	s_cbranch_execz .LBB39_53
; %bb.52:
	s_mov_b32 s4, 0x652b82fe
	v_add_f64 v[48:49], v[50:51], -v[46:47]
	s_mov_b32 s5, 0x3ff71547
	v_mul_f64 v[50:51], v[48:49], s[4:5]
	v_rndne_f64_e32 v[50:51], v[50:51]
	s_mov_b32 s51, 0xbfe62e42
	s_mov_b32 s50, 0xfefa39ef
	v_fma_f64 v[52:53], s[50:51], v[50:51], v[48:49]
	s_mov_b32 s53, 0xbc7abc9e
	s_mov_b32 s52, 0x3b39803f
	;; [unrolled: 1-line block ×3, first 2 shown]
	v_fmac_f64_e32 v[52:53], s[52:53], v[50:51]
	v_mov_b32_e32 v56, 0xfca7ab0c
	v_mov_b32_e32 v57, 0x3e928af3
	s_mov_b32 s5, 0x3e5ade15
	v_fmac_f64_e32 v[56:57], s[4:5], v[52:53]
	v_mov_b32_e32 v58, 0x623fde64
	v_mov_b32_e32 v59, 0x3ec71dee
	v_fmac_f64_e32 v[58:59], v[52:53], v[56:57]
	v_mov_b32_e32 v56, 0x7c89e6b0
	v_mov_b32_e32 v57, 0x3efa0199
	;; [unrolled: 3-line block ×8, first 2 shown]
	v_fmac_f64_e32 v[56:57], v[52:53], v[58:59]
	v_fma_f64 v[56:57], v[52:53], v[56:57], 1.0
	s_mov_b32 s4, 0
	s_mov_b32 s42, 0
	v_fma_f64 v[52:53], v[52:53], v[56:57], 1.0
	v_cvt_i32_f64_e32 v50, v[50:51]
	s_mov_b32 s5, 0x40900000
	s_mov_b32 s43, 0xc090cc00
	v_ldexp_f64 v[50:51], v[52:53], v50
	v_mov_b32_e32 v52, 0x7ff00000
	v_cmp_nlt_f64_e64 s[4:5], s[4:5], v[48:49]
	v_cmp_ngt_f64_e64 s[42:43], s[42:43], v[48:49]
	v_cndmask_b32_e64 v51, v52, v51, s[4:5]
	s_and_b64 s[4:5], s[42:43], s[4:5]
	v_cndmask_b32_e64 v49, 0, v51, s[42:43]
	v_cndmask_b32_e64 v48, 0, v50, s[4:5]
	v_add_f64 v[50:51], v[48:49], 1.0
	v_add_f64 v[52:53], v[50:51], -1.0
	v_add_f64 v[56:57], v[52:53], -v[50:51]
	v_add_f64 v[56:57], v[56:57], 1.0
	v_add_f64 v[52:53], v[48:49], -v[52:53]
	s_mov_b32 s4, 0x55555555
	v_add_f64 v[52:53], v[52:53], v[56:57]
	v_frexp_mant_f64_e32 v[56:57], v[50:51]
	s_mov_b32 s5, 0x3fe55555
	v_frexp_exp_i32_f64_e32 v58, v[50:51]
	v_cmp_gt_f64_e64 s[4:5], s[4:5], v[56:57]
	v_subbrev_co_u32_e64 v72, s[4:5], 0, v58, s[4:5]
	v_sub_u32_e32 v56, 0, v72
	v_ldexp_f64 v[50:51], v[50:51], v56
	v_ldexp_f64 v[52:53], v[52:53], v56
	v_add_f64 v[56:57], v[50:51], -1.0
	v_add_f64 v[62:63], v[50:51], 1.0
	v_add_f64 v[58:59], v[56:57], 1.0
	v_add_f64 v[64:65], v[62:63], -1.0
	v_add_f64 v[58:59], v[50:51], -v[58:59]
	v_add_f64 v[50:51], v[50:51], -v[64:65]
	v_add_f64 v[50:51], v[52:53], v[50:51]
	v_add_f64 v[58:59], v[52:53], v[58:59]
	v_add_f64 v[52:53], v[62:63], v[50:51]
	v_rcp_f64_e32 v[64:65], v[52:53]
	v_add_f64 v[60:61], v[56:57], v[58:59]
	v_add_f64 v[56:57], v[60:61], -v[56:57]
	v_add_f64 v[56:57], v[58:59], -v[56:57]
	;; [unrolled: 1-line block ×4, first 2 shown]
	v_fma_f64 v[58:59], -v[52:53], v[64:65], 1.0
	v_fmac_f64_e32 v[64:65], v[58:59], v[64:65]
	v_fma_f64 v[58:59], -v[52:53], v[64:65], 1.0
	v_fmac_f64_e32 v[64:65], v[58:59], v[64:65]
	v_mul_f64 v[58:59], v[60:61], v[64:65]
	v_mul_f64 v[62:63], v[52:53], v[58:59]
	v_fma_f64 v[66:67], v[58:59], v[52:53], -v[62:63]
	v_fmac_f64_e32 v[66:67], v[58:59], v[50:51]
	v_add_f64 v[68:69], v[62:63], v[66:67]
	v_add_f64 v[70:71], v[60:61], -v[68:69]
	v_add_f64 v[60:61], v[60:61], -v[70:71]
	;; [unrolled: 1-line block ×4, first 2 shown]
	v_add_f64 v[56:57], v[56:57], v[60:61]
	v_add_f64 v[60:61], v[62:63], -v[66:67]
	v_add_f64 v[56:57], v[60:61], v[56:57]
	v_add_f64 v[60:61], v[70:71], v[56:57]
	v_add_f64 v[62:63], v[70:71], -v[60:61]
	v_add_f64 v[56:57], v[56:57], v[62:63]
	v_mul_f64 v[62:63], v[64:65], v[60:61]
	v_mul_f64 v[66:67], v[52:53], v[62:63]
	v_fma_f64 v[52:53], v[62:63], v[52:53], -v[66:67]
	v_fmac_f64_e32 v[52:53], v[62:63], v[50:51]
	v_add_f64 v[50:51], v[66:67], v[52:53]
	v_add_f64 v[68:69], v[60:61], -v[50:51]
	v_add_f64 v[60:61], v[60:61], -v[68:69]
	;; [unrolled: 1-line block ×4, first 2 shown]
	v_add_f64 v[50:51], v[56:57], v[50:51]
	v_add_f64 v[52:53], v[66:67], -v[52:53]
	v_add_f64 v[50:51], v[52:53], v[50:51]
	v_add_f64 v[52:53], v[58:59], v[62:63]
	;; [unrolled: 1-line block ×3, first 2 shown]
	v_add_f64 v[56:57], v[52:53], -v[58:59]
	v_mul_f64 v[50:51], v[64:65], v[50:51]
	v_add_f64 v[56:57], v[62:63], -v[56:57]
	v_add_f64 v[50:51], v[56:57], v[50:51]
	v_add_f64 v[56:57], v[52:53], v[50:51]
	v_add_f64 v[52:53], v[56:57], -v[52:53]
	s_mov_b32 s4, 0xbf559e2b
	v_add_f64 v[50:51], v[50:51], -v[52:53]
	v_mul_f64 v[52:53], v[56:57], v[56:57]
	v_mov_b32_e32 v58, 0x6b47b09a
	v_mov_b32_e32 v59, 0x3fc38538
	s_mov_b32 s5, 0x3fc3ab76
	v_fmac_f64_e32 v[58:59], s[4:5], v[52:53]
	v_mov_b32_e32 v60, 0xd7f4df2e
	v_mov_b32_e32 v61, 0x3fc7474d
	v_fmac_f64_e32 v[60:61], v[52:53], v[58:59]
	v_mov_b32_e32 v58, 0x16291751
	v_mov_b32_e32 v59, 0x3fcc71c0
	;; [unrolled: 3-line block ×5, first 2 shown]
	v_fmac_f64_e32 v[60:61], v[52:53], v[58:59]
	v_cvt_f64_i32_e32 v[58:59], v72
	s_mov_b32 s51, 0x3fe62e42
	v_mul_f64 v[62:63], v[58:59], s[50:51]
	v_fma_f64 v[64:65], v[58:59], s[50:51], -v[62:63]
	s_mov_b32 s53, 0x3c7abc9e
	v_fmac_f64_e32 v[64:65], s[52:53], v[58:59]
	v_add_f64 v[58:59], v[62:63], v[64:65]
	v_add_f64 v[62:63], v[58:59], -v[62:63]
	v_mul_f64 v[52:53], v[56:57], v[52:53]
	v_add_f64 v[62:63], v[64:65], -v[62:63]
	v_ldexp_f64 v[64:65], v[56:57], 1
	v_mul_f64 v[52:53], v[52:53], v[60:61]
	v_add_f64 v[56:57], v[64:65], v[52:53]
	v_add_f64 v[60:61], v[56:57], -v[64:65]
	v_ldexp_f64 v[50:51], v[50:51], 1
	v_add_f64 v[52:53], v[52:53], -v[60:61]
	v_add_f64 v[50:51], v[50:51], v[52:53]
	v_add_f64 v[52:53], v[56:57], v[50:51]
	v_add_f64 v[56:57], v[52:53], -v[56:57]
	v_add_f64 v[50:51], v[50:51], -v[56:57]
	v_add_f64 v[56:57], v[58:59], v[52:53]
	v_add_f64 v[60:61], v[56:57], -v[58:59]
	v_add_f64 v[64:65], v[56:57], -v[60:61]
	;; [unrolled: 1-line block ×4, first 2 shown]
	v_add_f64 v[52:53], v[52:53], v[58:59]
	v_add_f64 v[58:59], v[62:63], v[50:51]
	v_add_f64 v[60:61], v[58:59], -v[62:63]
	v_add_f64 v[52:53], v[58:59], v[52:53]
	v_add_f64 v[64:65], v[58:59], -v[60:61]
	;; [unrolled: 2-line block ×3, first 2 shown]
	v_add_f64 v[50:51], v[50:51], -v[60:61]
	v_add_f64 v[56:57], v[58:59], -v[56:57]
	v_add_f64 v[50:51], v[50:51], v[62:63]
	v_add_f64 v[52:53], v[52:53], -v[56:57]
	s_mov_b32 s4, 0
	v_add_f64 v[50:51], v[50:51], v[52:53]
	s_mov_b32 s5, 0x7ff00000
	v_add_f64 v[50:51], v[58:59], v[50:51]
	v_cmp_eq_f64_e64 s[4:5], s[4:5], v[48:49]
	v_cndmask_b32_e64 v50, v50, v48, s[4:5]
	v_cndmask_b32_e64 v51, v51, v49, s[4:5]
	v_mov_b32_e32 v52, 0x7ff80000
	v_cmp_ngt_f64_e64 s[4:5], -1.0, v[48:49]
	v_cndmask_b32_e64 v51, v52, v51, s[4:5]
	v_cmp_nge_f64_e64 s[4:5], -1.0, v[48:49]
	v_cndmask_b32_e64 v50, 0, v50, s[4:5]
	v_mov_b32_e32 v52, 0xfff00000
	v_cmp_neq_f64_e64 s[4:5], -1.0, v[48:49]
	v_cndmask_b32_e64 v51, v52, v51, s[4:5]
	v_add_f64 v[48:49], v[46:47], v[50:51]
.LBB39_53:
	s_or_b64 exec, exec, s[48:49]
	v_pk_mov_b32 v[46:47], v[48:49], v[48:49] op_sel:[0,1]
	v_mov_b32_e32 v50, v48
	v_mov_b32_e32 v51, v49
.LBB39_54:
	s_or_b64 exec, exec, s[46:47]
	v_and_b32_e32 v52, 16, v1
	v_mov_b32_dpp v48, v50 row_bcast:15 row_mask:0xf bank_mask:0xf
	v_mov_b32_dpp v49, v51 row_bcast:15 row_mask:0xf bank_mask:0xf
	v_cmp_ne_u32_e64 s[4:5], 0, v52
	s_and_saveexec_b64 s[46:47], s[4:5]
	s_cbranch_execz .LBB39_58
; %bb.55:
	v_max_f64 v[52:53], v[48:49], v[48:49]
	v_max_f64 v[56:57], v[46:47], v[46:47]
	v_min_f64 v[50:51], v[52:53], v[56:57]
	v_cmp_u_f64_e64 s[4:5], v[48:49], v[48:49]
	v_max_f64 v[52:53], v[52:53], v[56:57]
	v_cndmask_b32_e64 v50, v50, v48, s[4:5]
	v_cndmask_b32_e64 v51, v51, v49, s[4:5]
	v_cmp_u_f64_e64 s[42:43], v[46:47], v[46:47]
	v_cndmask_b32_e64 v52, v52, v48, s[4:5]
	v_cndmask_b32_e64 v53, v53, v49, s[4:5]
	;; [unrolled: 1-line block ×6, first 2 shown]
	v_cmp_neq_f64_e64 s[4:5], v[50:51], v[46:47]
	v_cmp_class_f64_e64 s[42:43], v[50:51], s33
	s_or_b64 s[4:5], s[4:5], s[42:43]
	s_and_saveexec_b64 s[48:49], s[4:5]
	s_cbranch_execz .LBB39_57
; %bb.56:
	s_mov_b32 s4, 0x652b82fe
	v_add_f64 v[48:49], v[50:51], -v[46:47]
	s_mov_b32 s5, 0x3ff71547
	v_mul_f64 v[50:51], v[48:49], s[4:5]
	v_rndne_f64_e32 v[50:51], v[50:51]
	s_mov_b32 s51, 0xbfe62e42
	s_mov_b32 s50, 0xfefa39ef
	v_fma_f64 v[52:53], s[50:51], v[50:51], v[48:49]
	s_mov_b32 s53, 0xbc7abc9e
	s_mov_b32 s52, 0x3b39803f
	;; [unrolled: 1-line block ×3, first 2 shown]
	v_fmac_f64_e32 v[52:53], s[52:53], v[50:51]
	v_mov_b32_e32 v56, 0xfca7ab0c
	v_mov_b32_e32 v57, 0x3e928af3
	s_mov_b32 s5, 0x3e5ade15
	v_fmac_f64_e32 v[56:57], s[4:5], v[52:53]
	v_mov_b32_e32 v58, 0x623fde64
	v_mov_b32_e32 v59, 0x3ec71dee
	v_fmac_f64_e32 v[58:59], v[52:53], v[56:57]
	v_mov_b32_e32 v56, 0x7c89e6b0
	v_mov_b32_e32 v57, 0x3efa0199
	;; [unrolled: 3-line block ×8, first 2 shown]
	v_fmac_f64_e32 v[56:57], v[52:53], v[58:59]
	v_fma_f64 v[56:57], v[52:53], v[56:57], 1.0
	s_mov_b32 s4, 0
	s_mov_b32 s42, 0
	v_fma_f64 v[52:53], v[52:53], v[56:57], 1.0
	v_cvt_i32_f64_e32 v50, v[50:51]
	s_mov_b32 s5, 0x40900000
	s_mov_b32 s43, 0xc090cc00
	v_ldexp_f64 v[50:51], v[52:53], v50
	v_mov_b32_e32 v52, 0x7ff00000
	v_cmp_nlt_f64_e64 s[4:5], s[4:5], v[48:49]
	v_cmp_ngt_f64_e64 s[42:43], s[42:43], v[48:49]
	v_cndmask_b32_e64 v51, v52, v51, s[4:5]
	s_and_b64 s[4:5], s[42:43], s[4:5]
	v_cndmask_b32_e64 v49, 0, v51, s[42:43]
	v_cndmask_b32_e64 v48, 0, v50, s[4:5]
	v_add_f64 v[50:51], v[48:49], 1.0
	v_add_f64 v[52:53], v[50:51], -1.0
	v_add_f64 v[56:57], v[52:53], -v[50:51]
	v_add_f64 v[56:57], v[56:57], 1.0
	v_add_f64 v[52:53], v[48:49], -v[52:53]
	s_mov_b32 s4, 0x55555555
	v_add_f64 v[52:53], v[52:53], v[56:57]
	v_frexp_mant_f64_e32 v[56:57], v[50:51]
	s_mov_b32 s5, 0x3fe55555
	v_frexp_exp_i32_f64_e32 v58, v[50:51]
	v_cmp_gt_f64_e64 s[4:5], s[4:5], v[56:57]
	v_subbrev_co_u32_e64 v72, s[4:5], 0, v58, s[4:5]
	v_sub_u32_e32 v56, 0, v72
	v_ldexp_f64 v[50:51], v[50:51], v56
	v_ldexp_f64 v[52:53], v[52:53], v56
	v_add_f64 v[56:57], v[50:51], -1.0
	v_add_f64 v[62:63], v[50:51], 1.0
	v_add_f64 v[58:59], v[56:57], 1.0
	v_add_f64 v[64:65], v[62:63], -1.0
	v_add_f64 v[58:59], v[50:51], -v[58:59]
	v_add_f64 v[50:51], v[50:51], -v[64:65]
	v_add_f64 v[50:51], v[52:53], v[50:51]
	v_add_f64 v[58:59], v[52:53], v[58:59]
	;; [unrolled: 1-line block ×3, first 2 shown]
	v_rcp_f64_e32 v[64:65], v[52:53]
	v_add_f64 v[60:61], v[56:57], v[58:59]
	v_add_f64 v[56:57], v[60:61], -v[56:57]
	v_add_f64 v[56:57], v[58:59], -v[56:57]
	;; [unrolled: 1-line block ×4, first 2 shown]
	v_fma_f64 v[58:59], -v[52:53], v[64:65], 1.0
	v_fmac_f64_e32 v[64:65], v[58:59], v[64:65]
	v_fma_f64 v[58:59], -v[52:53], v[64:65], 1.0
	v_fmac_f64_e32 v[64:65], v[58:59], v[64:65]
	v_mul_f64 v[58:59], v[60:61], v[64:65]
	v_mul_f64 v[62:63], v[52:53], v[58:59]
	v_fma_f64 v[66:67], v[58:59], v[52:53], -v[62:63]
	v_fmac_f64_e32 v[66:67], v[58:59], v[50:51]
	v_add_f64 v[68:69], v[62:63], v[66:67]
	v_add_f64 v[70:71], v[60:61], -v[68:69]
	v_add_f64 v[60:61], v[60:61], -v[70:71]
	;; [unrolled: 1-line block ×4, first 2 shown]
	v_add_f64 v[56:57], v[56:57], v[60:61]
	v_add_f64 v[60:61], v[62:63], -v[66:67]
	v_add_f64 v[56:57], v[60:61], v[56:57]
	v_add_f64 v[60:61], v[70:71], v[56:57]
	v_add_f64 v[62:63], v[70:71], -v[60:61]
	v_add_f64 v[56:57], v[56:57], v[62:63]
	v_mul_f64 v[62:63], v[64:65], v[60:61]
	v_mul_f64 v[66:67], v[52:53], v[62:63]
	v_fma_f64 v[52:53], v[62:63], v[52:53], -v[66:67]
	v_fmac_f64_e32 v[52:53], v[62:63], v[50:51]
	v_add_f64 v[50:51], v[66:67], v[52:53]
	v_add_f64 v[68:69], v[60:61], -v[50:51]
	v_add_f64 v[60:61], v[60:61], -v[68:69]
	;; [unrolled: 1-line block ×4, first 2 shown]
	v_add_f64 v[50:51], v[56:57], v[50:51]
	v_add_f64 v[52:53], v[66:67], -v[52:53]
	v_add_f64 v[50:51], v[52:53], v[50:51]
	v_add_f64 v[52:53], v[58:59], v[62:63]
	;; [unrolled: 1-line block ×3, first 2 shown]
	v_add_f64 v[56:57], v[52:53], -v[58:59]
	v_mul_f64 v[50:51], v[64:65], v[50:51]
	v_add_f64 v[56:57], v[62:63], -v[56:57]
	v_add_f64 v[50:51], v[56:57], v[50:51]
	v_add_f64 v[56:57], v[52:53], v[50:51]
	v_add_f64 v[52:53], v[56:57], -v[52:53]
	s_mov_b32 s4, 0xbf559e2b
	v_add_f64 v[50:51], v[50:51], -v[52:53]
	v_mul_f64 v[52:53], v[56:57], v[56:57]
	v_mov_b32_e32 v58, 0x6b47b09a
	v_mov_b32_e32 v59, 0x3fc38538
	s_mov_b32 s5, 0x3fc3ab76
	v_fmac_f64_e32 v[58:59], s[4:5], v[52:53]
	v_mov_b32_e32 v60, 0xd7f4df2e
	v_mov_b32_e32 v61, 0x3fc7474d
	v_fmac_f64_e32 v[60:61], v[52:53], v[58:59]
	v_mov_b32_e32 v58, 0x16291751
	v_mov_b32_e32 v59, 0x3fcc71c0
	v_fmac_f64_e32 v[58:59], v[52:53], v[60:61]
	v_mov_b32_e32 v60, 0x9b27acf1
	v_mov_b32_e32 v61, 0x3fd24924
	v_fmac_f64_e32 v[60:61], v[52:53], v[58:59]
	v_mov_b32_e32 v58, 0x998ef7b6
	v_mov_b32_e32 v59, 0x3fd99999
	v_fmac_f64_e32 v[58:59], v[52:53], v[60:61]
	v_mov_b32_e32 v60, 0x55555780
	v_mov_b32_e32 v61, 0x3fe55555
	v_fmac_f64_e32 v[60:61], v[52:53], v[58:59]
	v_cvt_f64_i32_e32 v[58:59], v72
	s_mov_b32 s51, 0x3fe62e42
	v_mul_f64 v[62:63], v[58:59], s[50:51]
	v_fma_f64 v[64:65], v[58:59], s[50:51], -v[62:63]
	s_mov_b32 s53, 0x3c7abc9e
	v_fmac_f64_e32 v[64:65], s[52:53], v[58:59]
	v_add_f64 v[58:59], v[62:63], v[64:65]
	v_add_f64 v[62:63], v[58:59], -v[62:63]
	v_mul_f64 v[52:53], v[56:57], v[52:53]
	v_add_f64 v[62:63], v[64:65], -v[62:63]
	v_ldexp_f64 v[64:65], v[56:57], 1
	v_mul_f64 v[52:53], v[52:53], v[60:61]
	v_add_f64 v[56:57], v[64:65], v[52:53]
	v_add_f64 v[60:61], v[56:57], -v[64:65]
	v_ldexp_f64 v[50:51], v[50:51], 1
	v_add_f64 v[52:53], v[52:53], -v[60:61]
	v_add_f64 v[50:51], v[50:51], v[52:53]
	v_add_f64 v[52:53], v[56:57], v[50:51]
	v_add_f64 v[56:57], v[52:53], -v[56:57]
	v_add_f64 v[50:51], v[50:51], -v[56:57]
	v_add_f64 v[56:57], v[58:59], v[52:53]
	v_add_f64 v[60:61], v[56:57], -v[58:59]
	v_add_f64 v[64:65], v[56:57], -v[60:61]
	;; [unrolled: 1-line block ×4, first 2 shown]
	v_add_f64 v[52:53], v[52:53], v[58:59]
	v_add_f64 v[58:59], v[62:63], v[50:51]
	v_add_f64 v[60:61], v[58:59], -v[62:63]
	v_add_f64 v[52:53], v[58:59], v[52:53]
	v_add_f64 v[64:65], v[58:59], -v[60:61]
	;; [unrolled: 2-line block ×3, first 2 shown]
	v_add_f64 v[50:51], v[50:51], -v[60:61]
	v_add_f64 v[56:57], v[58:59], -v[56:57]
	v_add_f64 v[50:51], v[50:51], v[62:63]
	v_add_f64 v[52:53], v[52:53], -v[56:57]
	s_mov_b32 s4, 0
	v_add_f64 v[50:51], v[50:51], v[52:53]
	s_mov_b32 s5, 0x7ff00000
	v_add_f64 v[50:51], v[58:59], v[50:51]
	v_cmp_eq_f64_e64 s[4:5], s[4:5], v[48:49]
	v_cndmask_b32_e64 v50, v50, v48, s[4:5]
	v_cndmask_b32_e64 v51, v51, v49, s[4:5]
	v_mov_b32_e32 v52, 0x7ff80000
	v_cmp_ngt_f64_e64 s[4:5], -1.0, v[48:49]
	v_cndmask_b32_e64 v51, v52, v51, s[4:5]
	v_cmp_nge_f64_e64 s[4:5], -1.0, v[48:49]
	v_cndmask_b32_e64 v50, 0, v50, s[4:5]
	v_mov_b32_e32 v52, 0xfff00000
	v_cmp_neq_f64_e64 s[4:5], -1.0, v[48:49]
	v_cndmask_b32_e64 v51, v52, v51, s[4:5]
	v_add_f64 v[48:49], v[46:47], v[50:51]
.LBB39_57:
	s_or_b64 exec, exec, s[48:49]
	v_mov_b32_e32 v50, v48
	v_mov_b32_e32 v51, v49
	v_pk_mov_b32 v[46:47], v[48:49], v[48:49] op_sel:[0,1]
.LBB39_58:
	s_or_b64 exec, exec, s[46:47]
	v_mov_b32_dpp v48, v50 row_bcast:31 row_mask:0xf bank_mask:0xf
	v_mov_b32_dpp v49, v51 row_bcast:31 row_mask:0xf bank_mask:0xf
	v_cmp_lt_u32_e64 s[4:5], 31, v1
	s_and_saveexec_b64 s[46:47], s[4:5]
	s_cbranch_execz .LBB39_62
; %bb.59:
	v_max_f64 v[52:53], v[48:49], v[48:49]
	v_max_f64 v[56:57], v[46:47], v[46:47]
	v_min_f64 v[50:51], v[52:53], v[56:57]
	v_cmp_u_f64_e64 s[4:5], v[48:49], v[48:49]
	v_max_f64 v[52:53], v[52:53], v[56:57]
	v_cndmask_b32_e64 v50, v50, v48, s[4:5]
	v_cndmask_b32_e64 v51, v51, v49, s[4:5]
	v_cmp_u_f64_e64 s[42:43], v[46:47], v[46:47]
	v_cndmask_b32_e64 v52, v52, v48, s[4:5]
	v_cndmask_b32_e64 v53, v53, v49, s[4:5]
	;; [unrolled: 1-line block ×6, first 2 shown]
	v_cmp_neq_f64_e64 s[4:5], v[50:51], v[46:47]
	v_cmp_class_f64_e64 s[42:43], v[50:51], s33
	s_or_b64 s[4:5], s[4:5], s[42:43]
	s_and_saveexec_b64 s[48:49], s[4:5]
	s_cbranch_execz .LBB39_61
; %bb.60:
	s_mov_b32 s4, 0x652b82fe
	v_add_f64 v[48:49], v[50:51], -v[46:47]
	s_mov_b32 s5, 0x3ff71547
	v_mul_f64 v[50:51], v[48:49], s[4:5]
	v_rndne_f64_e32 v[50:51], v[50:51]
	s_mov_b32 s51, 0xbfe62e42
	s_mov_b32 s50, 0xfefa39ef
	v_fma_f64 v[52:53], s[50:51], v[50:51], v[48:49]
	s_mov_b32 s53, 0xbc7abc9e
	s_mov_b32 s52, 0x3b39803f
	;; [unrolled: 1-line block ×3, first 2 shown]
	v_fmac_f64_e32 v[52:53], s[52:53], v[50:51]
	v_mov_b32_e32 v56, 0xfca7ab0c
	v_mov_b32_e32 v57, 0x3e928af3
	s_mov_b32 s5, 0x3e5ade15
	v_fmac_f64_e32 v[56:57], s[4:5], v[52:53]
	v_mov_b32_e32 v58, 0x623fde64
	v_mov_b32_e32 v59, 0x3ec71dee
	v_fmac_f64_e32 v[58:59], v[52:53], v[56:57]
	v_mov_b32_e32 v56, 0x7c89e6b0
	v_mov_b32_e32 v57, 0x3efa0199
	v_fmac_f64_e32 v[56:57], v[52:53], v[58:59]
	v_mov_b32_e32 v58, 0x14761f6e
	v_mov_b32_e32 v59, 0x3f2a01a0
	v_fmac_f64_e32 v[58:59], v[52:53], v[56:57]
	v_mov_b32_e32 v56, 0x1852b7b0
	v_mov_b32_e32 v57, 0x3f56c16c
	v_fmac_f64_e32 v[56:57], v[52:53], v[58:59]
	v_mov_b32_e32 v58, 0x11122322
	v_mov_b32_e32 v59, 0x3f811111
	v_fmac_f64_e32 v[58:59], v[52:53], v[56:57]
	v_mov_b32_e32 v56, 0x555502a1
	v_mov_b32_e32 v57, 0x3fa55555
	v_fmac_f64_e32 v[56:57], v[52:53], v[58:59]
	v_mov_b32_e32 v58, 0x55555511
	v_mov_b32_e32 v59, 0x3fc55555
	v_fmac_f64_e32 v[58:59], v[52:53], v[56:57]
	v_mov_b32_e32 v56, 11
	v_mov_b32_e32 v57, 0x3fe00000
	v_fmac_f64_e32 v[56:57], v[52:53], v[58:59]
	v_fma_f64 v[56:57], v[52:53], v[56:57], 1.0
	s_mov_b32 s4, 0
	s_mov_b32 s42, 0
	v_fma_f64 v[52:53], v[52:53], v[56:57], 1.0
	v_cvt_i32_f64_e32 v50, v[50:51]
	s_mov_b32 s5, 0x40900000
	s_mov_b32 s43, 0xc090cc00
	v_ldexp_f64 v[50:51], v[52:53], v50
	v_mov_b32_e32 v52, 0x7ff00000
	v_cmp_nlt_f64_e64 s[4:5], s[4:5], v[48:49]
	v_cmp_ngt_f64_e64 s[42:43], s[42:43], v[48:49]
	v_cndmask_b32_e64 v51, v52, v51, s[4:5]
	s_and_b64 s[4:5], s[42:43], s[4:5]
	v_cndmask_b32_e64 v49, 0, v51, s[42:43]
	v_cndmask_b32_e64 v48, 0, v50, s[4:5]
	v_add_f64 v[50:51], v[48:49], 1.0
	v_add_f64 v[52:53], v[50:51], -1.0
	v_add_f64 v[56:57], v[52:53], -v[50:51]
	v_add_f64 v[56:57], v[56:57], 1.0
	v_add_f64 v[52:53], v[48:49], -v[52:53]
	s_mov_b32 s4, 0x55555555
	v_add_f64 v[52:53], v[52:53], v[56:57]
	v_frexp_mant_f64_e32 v[56:57], v[50:51]
	s_mov_b32 s5, 0x3fe55555
	v_frexp_exp_i32_f64_e32 v58, v[50:51]
	v_cmp_gt_f64_e64 s[4:5], s[4:5], v[56:57]
	v_subbrev_co_u32_e64 v72, s[4:5], 0, v58, s[4:5]
	v_sub_u32_e32 v56, 0, v72
	v_ldexp_f64 v[50:51], v[50:51], v56
	v_ldexp_f64 v[52:53], v[52:53], v56
	v_add_f64 v[56:57], v[50:51], -1.0
	v_add_f64 v[62:63], v[50:51], 1.0
	v_add_f64 v[58:59], v[56:57], 1.0
	v_add_f64 v[64:65], v[62:63], -1.0
	v_add_f64 v[58:59], v[50:51], -v[58:59]
	v_add_f64 v[50:51], v[50:51], -v[64:65]
	v_add_f64 v[50:51], v[52:53], v[50:51]
	v_add_f64 v[58:59], v[52:53], v[58:59]
	;; [unrolled: 1-line block ×3, first 2 shown]
	v_rcp_f64_e32 v[64:65], v[52:53]
	v_add_f64 v[60:61], v[56:57], v[58:59]
	v_add_f64 v[56:57], v[60:61], -v[56:57]
	v_add_f64 v[56:57], v[58:59], -v[56:57]
	;; [unrolled: 1-line block ×4, first 2 shown]
	v_fma_f64 v[58:59], -v[52:53], v[64:65], 1.0
	v_fmac_f64_e32 v[64:65], v[58:59], v[64:65]
	v_fma_f64 v[58:59], -v[52:53], v[64:65], 1.0
	v_fmac_f64_e32 v[64:65], v[58:59], v[64:65]
	v_mul_f64 v[58:59], v[60:61], v[64:65]
	v_mul_f64 v[62:63], v[52:53], v[58:59]
	v_fma_f64 v[66:67], v[58:59], v[52:53], -v[62:63]
	v_fmac_f64_e32 v[66:67], v[58:59], v[50:51]
	v_add_f64 v[68:69], v[62:63], v[66:67]
	v_add_f64 v[70:71], v[60:61], -v[68:69]
	v_add_f64 v[60:61], v[60:61], -v[70:71]
	;; [unrolled: 1-line block ×4, first 2 shown]
	v_add_f64 v[56:57], v[56:57], v[60:61]
	v_add_f64 v[60:61], v[62:63], -v[66:67]
	v_add_f64 v[56:57], v[60:61], v[56:57]
	v_add_f64 v[60:61], v[70:71], v[56:57]
	v_add_f64 v[62:63], v[70:71], -v[60:61]
	v_add_f64 v[56:57], v[56:57], v[62:63]
	v_mul_f64 v[62:63], v[64:65], v[60:61]
	v_mul_f64 v[66:67], v[52:53], v[62:63]
	v_fma_f64 v[52:53], v[62:63], v[52:53], -v[66:67]
	v_fmac_f64_e32 v[52:53], v[62:63], v[50:51]
	v_add_f64 v[50:51], v[66:67], v[52:53]
	v_add_f64 v[68:69], v[60:61], -v[50:51]
	v_add_f64 v[60:61], v[60:61], -v[68:69]
	;; [unrolled: 1-line block ×4, first 2 shown]
	v_add_f64 v[50:51], v[56:57], v[50:51]
	v_add_f64 v[52:53], v[66:67], -v[52:53]
	v_add_f64 v[50:51], v[52:53], v[50:51]
	v_add_f64 v[52:53], v[58:59], v[62:63]
	;; [unrolled: 1-line block ×3, first 2 shown]
	v_add_f64 v[56:57], v[52:53], -v[58:59]
	v_mul_f64 v[50:51], v[64:65], v[50:51]
	v_add_f64 v[56:57], v[62:63], -v[56:57]
	v_add_f64 v[50:51], v[56:57], v[50:51]
	v_add_f64 v[56:57], v[52:53], v[50:51]
	v_add_f64 v[52:53], v[56:57], -v[52:53]
	s_mov_b32 s4, 0xbf559e2b
	v_add_f64 v[50:51], v[50:51], -v[52:53]
	v_mul_f64 v[52:53], v[56:57], v[56:57]
	v_mov_b32_e32 v58, 0x6b47b09a
	v_mov_b32_e32 v59, 0x3fc38538
	s_mov_b32 s5, 0x3fc3ab76
	v_fmac_f64_e32 v[58:59], s[4:5], v[52:53]
	v_mov_b32_e32 v60, 0xd7f4df2e
	v_mov_b32_e32 v61, 0x3fc7474d
	v_fmac_f64_e32 v[60:61], v[52:53], v[58:59]
	v_mov_b32_e32 v58, 0x16291751
	v_mov_b32_e32 v59, 0x3fcc71c0
	;; [unrolled: 3-line block ×5, first 2 shown]
	v_fmac_f64_e32 v[60:61], v[52:53], v[58:59]
	v_cvt_f64_i32_e32 v[58:59], v72
	s_mov_b32 s51, 0x3fe62e42
	v_mul_f64 v[62:63], v[58:59], s[50:51]
	v_fma_f64 v[64:65], v[58:59], s[50:51], -v[62:63]
	s_mov_b32 s53, 0x3c7abc9e
	v_fmac_f64_e32 v[64:65], s[52:53], v[58:59]
	v_add_f64 v[58:59], v[62:63], v[64:65]
	v_add_f64 v[62:63], v[58:59], -v[62:63]
	v_mul_f64 v[52:53], v[56:57], v[52:53]
	v_add_f64 v[62:63], v[64:65], -v[62:63]
	v_ldexp_f64 v[64:65], v[56:57], 1
	v_mul_f64 v[52:53], v[52:53], v[60:61]
	v_add_f64 v[56:57], v[64:65], v[52:53]
	v_add_f64 v[60:61], v[56:57], -v[64:65]
	v_ldexp_f64 v[50:51], v[50:51], 1
	v_add_f64 v[52:53], v[52:53], -v[60:61]
	v_add_f64 v[50:51], v[50:51], v[52:53]
	v_add_f64 v[52:53], v[56:57], v[50:51]
	v_add_f64 v[56:57], v[52:53], -v[56:57]
	v_add_f64 v[50:51], v[50:51], -v[56:57]
	v_add_f64 v[56:57], v[58:59], v[52:53]
	v_add_f64 v[60:61], v[56:57], -v[58:59]
	v_add_f64 v[64:65], v[56:57], -v[60:61]
	;; [unrolled: 1-line block ×4, first 2 shown]
	v_add_f64 v[52:53], v[52:53], v[58:59]
	v_add_f64 v[58:59], v[62:63], v[50:51]
	v_add_f64 v[60:61], v[58:59], -v[62:63]
	v_add_f64 v[52:53], v[58:59], v[52:53]
	v_add_f64 v[64:65], v[58:59], -v[60:61]
	v_add_f64 v[58:59], v[56:57], v[52:53]
	v_add_f64 v[62:63], v[62:63], -v[64:65]
	v_add_f64 v[50:51], v[50:51], -v[60:61]
	v_add_f64 v[56:57], v[58:59], -v[56:57]
	v_add_f64 v[50:51], v[50:51], v[62:63]
	v_add_f64 v[52:53], v[52:53], -v[56:57]
	s_mov_b32 s4, 0
	v_add_f64 v[50:51], v[50:51], v[52:53]
	s_mov_b32 s5, 0x7ff00000
	v_add_f64 v[50:51], v[58:59], v[50:51]
	v_cmp_eq_f64_e64 s[4:5], s[4:5], v[48:49]
	v_cndmask_b32_e64 v50, v50, v48, s[4:5]
	v_cndmask_b32_e64 v51, v51, v49, s[4:5]
	v_mov_b32_e32 v52, 0x7ff80000
	v_cmp_ngt_f64_e64 s[4:5], -1.0, v[48:49]
	v_cndmask_b32_e64 v51, v52, v51, s[4:5]
	v_cmp_nge_f64_e64 s[4:5], -1.0, v[48:49]
	v_cndmask_b32_e64 v50, 0, v50, s[4:5]
	v_mov_b32_e32 v52, 0xfff00000
	v_cmp_neq_f64_e64 s[4:5], -1.0, v[48:49]
	v_cndmask_b32_e64 v51, v52, v51, s[4:5]
	v_add_f64 v[48:49], v[46:47], v[50:51]
.LBB39_61:
	s_or_b64 exec, exec, s[48:49]
	v_pk_mov_b32 v[46:47], v[48:49], v[48:49] op_sel:[0,1]
.LBB39_62:
	s_or_b64 exec, exec, s[46:47]
	v_or_b32_e32 v48, 63, v0
	v_lshrrev_b32_e32 v56, 6, v0
	v_cmp_eq_u32_e64 s[4:5], v48, v0
	s_and_saveexec_b64 s[42:43], s[4:5]
	s_cbranch_execz .LBB39_64
; %bb.63:
	v_lshlrev_b32_e32 v48, 3, v56
	ds_write_b64 v48, v[46:47]
.LBB39_64:
	s_or_b64 exec, exec, s[42:43]
	v_cmp_gt_u32_e64 s[4:5], 2, v0
	s_waitcnt lgkmcnt(0)
	s_barrier
	s_and_saveexec_b64 s[46:47], s[4:5]
	s_cbranch_execz .LBB39_70
; %bb.65:
	ds_read_b64 v[48:49], v54
	v_and_b32_e32 v52, 1, v1
	v_cmp_eq_u32_e64 s[4:5], 1, v52
	s_waitcnt lgkmcnt(0)
	v_mov_b32_dpp v50, v48 row_shr:1 row_mask:0xf bank_mask:0xf
	v_mov_b32_dpp v51, v49 row_shr:1 row_mask:0xf bank_mask:0xf
	s_and_saveexec_b64 s[48:49], s[4:5]
	s_cbranch_execz .LBB39_69
; %bb.66:
	v_max_f64 v[58:59], v[50:51], v[50:51]
	v_max_f64 v[60:61], v[48:49], v[48:49]
	v_min_f64 v[52:53], v[58:59], v[60:61]
	v_cmp_u_f64_e64 s[4:5], v[50:51], v[50:51]
	v_max_f64 v[58:59], v[58:59], v[60:61]
	v_cndmask_b32_e64 v52, v52, v50, s[4:5]
	v_cndmask_b32_e64 v53, v53, v51, s[4:5]
	v_cmp_u_f64_e64 s[42:43], v[48:49], v[48:49]
	v_cndmask_b32_e64 v57, v58, v50, s[4:5]
	v_cndmask_b32_e64 v58, v59, v51, s[4:5]
	;; [unrolled: 1-line block ×6, first 2 shown]
	v_cmp_neq_f64_e64 s[4:5], v[52:53], v[48:49]
	v_cmp_class_f64_e64 s[42:43], v[52:53], s33
	s_or_b64 s[4:5], s[4:5], s[42:43]
	s_and_saveexec_b64 s[50:51], s[4:5]
	s_cbranch_execz .LBB39_68
; %bb.67:
	s_mov_b32 s4, 0x652b82fe
	v_add_f64 v[50:51], v[52:53], -v[48:49]
	s_mov_b32 s5, 0x3ff71547
	v_mul_f64 v[52:53], v[50:51], s[4:5]
	v_rndne_f64_e32 v[52:53], v[52:53]
	s_mov_b32 s53, 0xbfe62e42
	s_mov_b32 s52, 0xfefa39ef
	v_fma_f64 v[58:59], s[52:53], v[52:53], v[50:51]
	s_mov_b32 s55, 0xbc7abc9e
	s_mov_b32 s54, 0x3b39803f
	;; [unrolled: 1-line block ×3, first 2 shown]
	v_fmac_f64_e32 v[58:59], s[54:55], v[52:53]
	v_mov_b32_e32 v60, 0xfca7ab0c
	v_mov_b32_e32 v61, 0x3e928af3
	s_mov_b32 s5, 0x3e5ade15
	v_fmac_f64_e32 v[60:61], s[4:5], v[58:59]
	v_mov_b32_e32 v62, 0x623fde64
	v_mov_b32_e32 v63, 0x3ec71dee
	v_fmac_f64_e32 v[62:63], v[58:59], v[60:61]
	v_mov_b32_e32 v60, 0x7c89e6b0
	v_mov_b32_e32 v61, 0x3efa0199
	;; [unrolled: 3-line block ×8, first 2 shown]
	v_fmac_f64_e32 v[60:61], v[58:59], v[62:63]
	v_fma_f64 v[60:61], v[58:59], v[60:61], 1.0
	s_mov_b32 s4, 0
	s_mov_b32 s42, 0
	v_fma_f64 v[58:59], v[58:59], v[60:61], 1.0
	v_cvt_i32_f64_e32 v52, v[52:53]
	s_mov_b32 s5, 0x40900000
	s_mov_b32 s43, 0xc090cc00
	v_ldexp_f64 v[52:53], v[58:59], v52
	v_mov_b32_e32 v57, 0x7ff00000
	v_cmp_nlt_f64_e64 s[4:5], s[4:5], v[50:51]
	v_cmp_ngt_f64_e64 s[42:43], s[42:43], v[50:51]
	v_cndmask_b32_e64 v53, v57, v53, s[4:5]
	s_and_b64 s[4:5], s[42:43], s[4:5]
	v_cndmask_b32_e64 v51, 0, v53, s[42:43]
	v_cndmask_b32_e64 v50, 0, v52, s[4:5]
	v_add_f64 v[52:53], v[50:51], 1.0
	v_add_f64 v[58:59], v[52:53], -1.0
	v_add_f64 v[60:61], v[58:59], -v[52:53]
	v_add_f64 v[60:61], v[60:61], 1.0
	v_add_f64 v[58:59], v[50:51], -v[58:59]
	s_mov_b32 s4, 0x55555555
	v_add_f64 v[58:59], v[58:59], v[60:61]
	v_frexp_mant_f64_e32 v[60:61], v[52:53]
	s_mov_b32 s5, 0x3fe55555
	v_frexp_exp_i32_f64_e32 v57, v[52:53]
	v_cmp_gt_f64_e64 s[4:5], s[4:5], v[60:61]
	v_subbrev_co_u32_e64 v57, s[4:5], 0, v57, s[4:5]
	v_sub_u32_e32 v60, 0, v57
	v_ldexp_f64 v[52:53], v[52:53], v60
	v_ldexp_f64 v[58:59], v[58:59], v60
	v_add_f64 v[60:61], v[52:53], -1.0
	v_add_f64 v[66:67], v[52:53], 1.0
	v_add_f64 v[62:63], v[60:61], 1.0
	v_add_f64 v[68:69], v[66:67], -1.0
	v_add_f64 v[62:63], v[52:53], -v[62:63]
	v_add_f64 v[52:53], v[52:53], -v[68:69]
	v_add_f64 v[52:53], v[58:59], v[52:53]
	v_add_f64 v[62:63], v[58:59], v[62:63]
	v_add_f64 v[58:59], v[66:67], v[52:53]
	v_rcp_f64_e32 v[68:69], v[58:59]
	v_add_f64 v[64:65], v[60:61], v[62:63]
	v_add_f64 v[60:61], v[64:65], -v[60:61]
	v_add_f64 v[60:61], v[62:63], -v[60:61]
	;; [unrolled: 1-line block ×4, first 2 shown]
	v_fma_f64 v[62:63], -v[58:59], v[68:69], 1.0
	v_fmac_f64_e32 v[68:69], v[62:63], v[68:69]
	v_fma_f64 v[62:63], -v[58:59], v[68:69], 1.0
	v_fmac_f64_e32 v[68:69], v[62:63], v[68:69]
	v_mul_f64 v[62:63], v[64:65], v[68:69]
	v_mul_f64 v[66:67], v[58:59], v[62:63]
	v_fma_f64 v[70:71], v[62:63], v[58:59], -v[66:67]
	v_fmac_f64_e32 v[70:71], v[62:63], v[52:53]
	v_add_f64 v[72:73], v[66:67], v[70:71]
	v_add_f64 v[74:75], v[64:65], -v[72:73]
	v_add_f64 v[64:65], v[64:65], -v[74:75]
	;; [unrolled: 1-line block ×4, first 2 shown]
	v_add_f64 v[60:61], v[60:61], v[64:65]
	v_add_f64 v[64:65], v[66:67], -v[70:71]
	v_add_f64 v[60:61], v[64:65], v[60:61]
	v_add_f64 v[64:65], v[74:75], v[60:61]
	v_add_f64 v[66:67], v[74:75], -v[64:65]
	v_add_f64 v[60:61], v[60:61], v[66:67]
	v_mul_f64 v[66:67], v[68:69], v[64:65]
	v_mul_f64 v[70:71], v[58:59], v[66:67]
	v_fma_f64 v[58:59], v[66:67], v[58:59], -v[70:71]
	v_fmac_f64_e32 v[58:59], v[66:67], v[52:53]
	v_add_f64 v[52:53], v[70:71], v[58:59]
	v_add_f64 v[72:73], v[64:65], -v[52:53]
	v_add_f64 v[64:65], v[64:65], -v[72:73]
	;; [unrolled: 1-line block ×4, first 2 shown]
	v_add_f64 v[52:53], v[60:61], v[52:53]
	v_add_f64 v[58:59], v[70:71], -v[58:59]
	v_add_f64 v[52:53], v[58:59], v[52:53]
	v_add_f64 v[58:59], v[62:63], v[66:67]
	;; [unrolled: 1-line block ×3, first 2 shown]
	v_add_f64 v[60:61], v[58:59], -v[62:63]
	v_mul_f64 v[52:53], v[68:69], v[52:53]
	v_add_f64 v[60:61], v[66:67], -v[60:61]
	v_add_f64 v[52:53], v[60:61], v[52:53]
	v_add_f64 v[60:61], v[58:59], v[52:53]
	v_add_f64 v[58:59], v[60:61], -v[58:59]
	s_mov_b32 s4, 0xbf559e2b
	v_add_f64 v[52:53], v[52:53], -v[58:59]
	v_mul_f64 v[58:59], v[60:61], v[60:61]
	v_mov_b32_e32 v62, 0x6b47b09a
	v_mov_b32_e32 v63, 0x3fc38538
	s_mov_b32 s5, 0x3fc3ab76
	v_fmac_f64_e32 v[62:63], s[4:5], v[58:59]
	v_mov_b32_e32 v64, 0xd7f4df2e
	v_mov_b32_e32 v65, 0x3fc7474d
	v_fmac_f64_e32 v[64:65], v[58:59], v[62:63]
	v_mov_b32_e32 v62, 0x16291751
	v_mov_b32_e32 v63, 0x3fcc71c0
	;; [unrolled: 3-line block ×5, first 2 shown]
	v_fmac_f64_e32 v[64:65], v[58:59], v[62:63]
	v_cvt_f64_i32_e32 v[62:63], v57
	s_mov_b32 s53, 0x3fe62e42
	v_mul_f64 v[66:67], v[62:63], s[52:53]
	v_fma_f64 v[68:69], v[62:63], s[52:53], -v[66:67]
	s_mov_b32 s55, 0x3c7abc9e
	v_fmac_f64_e32 v[68:69], s[54:55], v[62:63]
	v_add_f64 v[62:63], v[66:67], v[68:69]
	v_add_f64 v[66:67], v[62:63], -v[66:67]
	v_mul_f64 v[58:59], v[60:61], v[58:59]
	v_add_f64 v[66:67], v[68:69], -v[66:67]
	v_ldexp_f64 v[68:69], v[60:61], 1
	v_mul_f64 v[58:59], v[58:59], v[64:65]
	v_add_f64 v[60:61], v[68:69], v[58:59]
	v_add_f64 v[64:65], v[60:61], -v[68:69]
	v_ldexp_f64 v[52:53], v[52:53], 1
	v_add_f64 v[58:59], v[58:59], -v[64:65]
	v_add_f64 v[52:53], v[52:53], v[58:59]
	v_add_f64 v[58:59], v[60:61], v[52:53]
	v_add_f64 v[60:61], v[58:59], -v[60:61]
	v_add_f64 v[52:53], v[52:53], -v[60:61]
	v_add_f64 v[60:61], v[62:63], v[58:59]
	v_add_f64 v[64:65], v[60:61], -v[62:63]
	v_add_f64 v[68:69], v[60:61], -v[64:65]
	;; [unrolled: 1-line block ×4, first 2 shown]
	v_add_f64 v[58:59], v[58:59], v[62:63]
	v_add_f64 v[62:63], v[66:67], v[52:53]
	v_add_f64 v[64:65], v[62:63], -v[66:67]
	v_add_f64 v[58:59], v[62:63], v[58:59]
	v_add_f64 v[68:69], v[62:63], -v[64:65]
	;; [unrolled: 2-line block ×3, first 2 shown]
	v_add_f64 v[52:53], v[52:53], -v[64:65]
	v_add_f64 v[60:61], v[62:63], -v[60:61]
	v_add_f64 v[52:53], v[52:53], v[66:67]
	v_add_f64 v[58:59], v[58:59], -v[60:61]
	s_mov_b32 s4, 0
	v_add_f64 v[52:53], v[52:53], v[58:59]
	s_mov_b32 s5, 0x7ff00000
	v_add_f64 v[52:53], v[62:63], v[52:53]
	v_cmp_eq_f64_e64 s[4:5], s[4:5], v[50:51]
	v_cndmask_b32_e64 v52, v52, v50, s[4:5]
	v_cndmask_b32_e64 v53, v53, v51, s[4:5]
	v_mov_b32_e32 v57, 0x7ff80000
	v_cmp_ngt_f64_e64 s[4:5], -1.0, v[50:51]
	v_cndmask_b32_e64 v53, v57, v53, s[4:5]
	v_cmp_nge_f64_e64 s[4:5], -1.0, v[50:51]
	v_cndmask_b32_e64 v52, 0, v52, s[4:5]
	v_mov_b32_e32 v57, 0xfff00000
	v_cmp_neq_f64_e64 s[4:5], -1.0, v[50:51]
	v_cndmask_b32_e64 v53, v57, v53, s[4:5]
	v_add_f64 v[50:51], v[48:49], v[52:53]
.LBB39_68:
	s_or_b64 exec, exec, s[50:51]
	v_pk_mov_b32 v[48:49], v[50:51], v[50:51] op_sel:[0,1]
.LBB39_69:
	s_or_b64 exec, exec, s[48:49]
	ds_write_b64 v54, v[48:49]
.LBB39_70:
	s_or_b64 exec, exec, s[46:47]
	v_cmp_lt_u32_e64 s[4:5], 63, v0
	s_waitcnt lgkmcnt(0)
	s_barrier
	s_waitcnt lgkmcnt(0)
                                        ; implicit-def: $vgpr48_vgpr49
	s_and_saveexec_b64 s[46:47], s[4:5]
	s_cbranch_execz .LBB39_74
; %bb.71:
	v_lshl_add_u32 v48, v56, 3, -8
	ds_read_b64 v[48:49], v48
	v_max_f64 v[50:51], v[46:47], v[46:47]
	v_cmp_u_f64_e64 s[42:43], v[46:47], v[46:47]
	s_waitcnt lgkmcnt(0)
	v_max_f64 v[56:57], v[48:49], v[48:49]
	v_min_f64 v[52:53], v[56:57], v[50:51]
	v_cmp_u_f64_e64 s[4:5], v[48:49], v[48:49]
	v_max_f64 v[50:51], v[56:57], v[50:51]
	v_cndmask_b32_e64 v52, v52, v48, s[4:5]
	v_cndmask_b32_e64 v53, v53, v49, s[4:5]
	;; [unrolled: 1-line block ×8, first 2 shown]
	v_cmp_neq_f64_e64 s[4:5], v[52:53], v[50:51]
	v_cmp_class_f64_e64 s[42:43], v[52:53], s33
	s_or_b64 s[4:5], s[4:5], s[42:43]
	v_pk_mov_b32 v[46:47], v[48:49], v[48:49] op_sel:[0,1]
	s_and_saveexec_b64 s[48:49], s[4:5]
	s_cbranch_execz .LBB39_73
; %bb.72:
	s_mov_b32 s4, 0x652b82fe
	v_add_f64 v[46:47], v[52:53], -v[50:51]
	s_mov_b32 s5, 0x3ff71547
	v_mul_f64 v[52:53], v[46:47], s[4:5]
	v_rndne_f64_e32 v[52:53], v[52:53]
	s_mov_b32 s51, 0xbfe62e42
	s_mov_b32 s50, 0xfefa39ef
	v_fma_f64 v[56:57], s[50:51], v[52:53], v[46:47]
	s_mov_b32 s53, 0xbc7abc9e
	s_mov_b32 s52, 0x3b39803f
	;; [unrolled: 1-line block ×3, first 2 shown]
	v_fmac_f64_e32 v[56:57], s[52:53], v[52:53]
	v_mov_b32_e32 v58, 0xfca7ab0c
	v_mov_b32_e32 v59, 0x3e928af3
	s_mov_b32 s5, 0x3e5ade15
	v_fmac_f64_e32 v[58:59], s[4:5], v[56:57]
	v_mov_b32_e32 v60, 0x623fde64
	v_mov_b32_e32 v61, 0x3ec71dee
	v_fmac_f64_e32 v[60:61], v[56:57], v[58:59]
	v_mov_b32_e32 v58, 0x7c89e6b0
	v_mov_b32_e32 v59, 0x3efa0199
	;; [unrolled: 3-line block ×8, first 2 shown]
	v_fmac_f64_e32 v[58:59], v[56:57], v[60:61]
	v_fma_f64 v[58:59], v[56:57], v[58:59], 1.0
	s_mov_b32 s4, 0
	s_mov_b32 s42, 0
	v_fma_f64 v[56:57], v[56:57], v[58:59], 1.0
	v_cvt_i32_f64_e32 v52, v[52:53]
	s_mov_b32 s5, 0x40900000
	s_mov_b32 s43, 0xc090cc00
	v_ldexp_f64 v[52:53], v[56:57], v52
	v_mov_b32_e32 v56, 0x7ff00000
	v_cmp_nlt_f64_e64 s[4:5], s[4:5], v[46:47]
	v_cmp_ngt_f64_e64 s[42:43], s[42:43], v[46:47]
	v_cndmask_b32_e64 v53, v56, v53, s[4:5]
	s_and_b64 s[4:5], s[42:43], s[4:5]
	v_cndmask_b32_e64 v47, 0, v53, s[42:43]
	v_cndmask_b32_e64 v46, 0, v52, s[4:5]
	v_add_f64 v[52:53], v[46:47], 1.0
	v_add_f64 v[56:57], v[52:53], -1.0
	v_add_f64 v[58:59], v[56:57], -v[52:53]
	v_add_f64 v[58:59], v[58:59], 1.0
	v_add_f64 v[56:57], v[46:47], -v[56:57]
	s_mov_b32 s4, 0x55555555
	v_add_f64 v[56:57], v[56:57], v[58:59]
	v_frexp_mant_f64_e32 v[58:59], v[52:53]
	s_mov_b32 s5, 0x3fe55555
	v_frexp_exp_i32_f64_e32 v60, v[52:53]
	v_cmp_gt_f64_e64 s[4:5], s[4:5], v[58:59]
	v_subbrev_co_u32_e64 v74, s[4:5], 0, v60, s[4:5]
	v_sub_u32_e32 v58, 0, v74
	v_ldexp_f64 v[52:53], v[52:53], v58
	v_ldexp_f64 v[56:57], v[56:57], v58
	v_add_f64 v[58:59], v[52:53], -1.0
	v_add_f64 v[64:65], v[52:53], 1.0
	v_add_f64 v[60:61], v[58:59], 1.0
	v_add_f64 v[66:67], v[64:65], -1.0
	v_add_f64 v[60:61], v[52:53], -v[60:61]
	v_add_f64 v[52:53], v[52:53], -v[66:67]
	v_add_f64 v[52:53], v[56:57], v[52:53]
	v_add_f64 v[60:61], v[56:57], v[60:61]
	;; [unrolled: 1-line block ×3, first 2 shown]
	v_rcp_f64_e32 v[66:67], v[56:57]
	v_add_f64 v[62:63], v[58:59], v[60:61]
	v_add_f64 v[58:59], v[62:63], -v[58:59]
	v_add_f64 v[58:59], v[60:61], -v[58:59]
	;; [unrolled: 1-line block ×4, first 2 shown]
	v_fma_f64 v[60:61], -v[56:57], v[66:67], 1.0
	v_fmac_f64_e32 v[66:67], v[60:61], v[66:67]
	v_fma_f64 v[60:61], -v[56:57], v[66:67], 1.0
	v_fmac_f64_e32 v[66:67], v[60:61], v[66:67]
	v_mul_f64 v[60:61], v[62:63], v[66:67]
	v_mul_f64 v[64:65], v[56:57], v[60:61]
	v_fma_f64 v[68:69], v[60:61], v[56:57], -v[64:65]
	v_fmac_f64_e32 v[68:69], v[60:61], v[52:53]
	v_add_f64 v[70:71], v[64:65], v[68:69]
	v_add_f64 v[72:73], v[62:63], -v[70:71]
	v_add_f64 v[62:63], v[62:63], -v[72:73]
	;; [unrolled: 1-line block ×4, first 2 shown]
	v_add_f64 v[58:59], v[58:59], v[62:63]
	v_add_f64 v[62:63], v[64:65], -v[68:69]
	v_add_f64 v[58:59], v[62:63], v[58:59]
	v_add_f64 v[62:63], v[72:73], v[58:59]
	v_add_f64 v[64:65], v[72:73], -v[62:63]
	v_add_f64 v[58:59], v[58:59], v[64:65]
	v_mul_f64 v[64:65], v[66:67], v[62:63]
	v_mul_f64 v[68:69], v[56:57], v[64:65]
	v_fma_f64 v[56:57], v[64:65], v[56:57], -v[68:69]
	v_fmac_f64_e32 v[56:57], v[64:65], v[52:53]
	v_add_f64 v[52:53], v[68:69], v[56:57]
	v_add_f64 v[70:71], v[62:63], -v[52:53]
	v_add_f64 v[62:63], v[62:63], -v[70:71]
	;; [unrolled: 1-line block ×4, first 2 shown]
	v_add_f64 v[52:53], v[58:59], v[52:53]
	v_add_f64 v[56:57], v[68:69], -v[56:57]
	v_add_f64 v[52:53], v[56:57], v[52:53]
	v_add_f64 v[56:57], v[60:61], v[64:65]
	v_add_f64 v[52:53], v[70:71], v[52:53]
	v_add_f64 v[58:59], v[56:57], -v[60:61]
	v_mul_f64 v[52:53], v[66:67], v[52:53]
	v_add_f64 v[58:59], v[64:65], -v[58:59]
	v_add_f64 v[52:53], v[58:59], v[52:53]
	v_add_f64 v[58:59], v[56:57], v[52:53]
	v_add_f64 v[56:57], v[58:59], -v[56:57]
	s_mov_b32 s4, 0xbf559e2b
	v_add_f64 v[52:53], v[52:53], -v[56:57]
	v_mul_f64 v[56:57], v[58:59], v[58:59]
	v_mov_b32_e32 v60, 0x6b47b09a
	v_mov_b32_e32 v61, 0x3fc38538
	s_mov_b32 s5, 0x3fc3ab76
	v_fmac_f64_e32 v[60:61], s[4:5], v[56:57]
	v_mov_b32_e32 v62, 0xd7f4df2e
	v_mov_b32_e32 v63, 0x3fc7474d
	v_fmac_f64_e32 v[62:63], v[56:57], v[60:61]
	v_mov_b32_e32 v60, 0x16291751
	v_mov_b32_e32 v61, 0x3fcc71c0
	;; [unrolled: 3-line block ×5, first 2 shown]
	v_fmac_f64_e32 v[62:63], v[56:57], v[60:61]
	v_cvt_f64_i32_e32 v[60:61], v74
	s_mov_b32 s51, 0x3fe62e42
	v_mul_f64 v[64:65], v[60:61], s[50:51]
	v_fma_f64 v[66:67], v[60:61], s[50:51], -v[64:65]
	s_mov_b32 s53, 0x3c7abc9e
	v_fmac_f64_e32 v[66:67], s[52:53], v[60:61]
	v_add_f64 v[60:61], v[64:65], v[66:67]
	v_add_f64 v[64:65], v[60:61], -v[64:65]
	v_mul_f64 v[56:57], v[58:59], v[56:57]
	v_add_f64 v[64:65], v[66:67], -v[64:65]
	v_ldexp_f64 v[66:67], v[58:59], 1
	v_mul_f64 v[56:57], v[56:57], v[62:63]
	v_add_f64 v[58:59], v[66:67], v[56:57]
	v_add_f64 v[62:63], v[58:59], -v[66:67]
	v_ldexp_f64 v[52:53], v[52:53], 1
	v_add_f64 v[56:57], v[56:57], -v[62:63]
	v_add_f64 v[52:53], v[52:53], v[56:57]
	v_add_f64 v[56:57], v[58:59], v[52:53]
	v_add_f64 v[58:59], v[56:57], -v[58:59]
	v_add_f64 v[52:53], v[52:53], -v[58:59]
	v_add_f64 v[58:59], v[60:61], v[56:57]
	v_add_f64 v[62:63], v[58:59], -v[60:61]
	v_add_f64 v[66:67], v[58:59], -v[62:63]
	;; [unrolled: 1-line block ×4, first 2 shown]
	v_add_f64 v[56:57], v[56:57], v[60:61]
	v_add_f64 v[60:61], v[64:65], v[52:53]
	v_add_f64 v[62:63], v[60:61], -v[64:65]
	v_add_f64 v[56:57], v[60:61], v[56:57]
	v_add_f64 v[66:67], v[60:61], -v[62:63]
	;; [unrolled: 2-line block ×3, first 2 shown]
	v_add_f64 v[52:53], v[52:53], -v[62:63]
	v_add_f64 v[58:59], v[60:61], -v[58:59]
	v_add_f64 v[52:53], v[52:53], v[64:65]
	v_add_f64 v[56:57], v[56:57], -v[58:59]
	s_mov_b32 s4, 0
	v_add_f64 v[52:53], v[52:53], v[56:57]
	s_mov_b32 s5, 0x7ff00000
	v_add_f64 v[52:53], v[60:61], v[52:53]
	v_cmp_eq_f64_e64 s[4:5], s[4:5], v[46:47]
	v_cndmask_b32_e64 v52, v52, v46, s[4:5]
	v_cndmask_b32_e64 v53, v53, v47, s[4:5]
	v_mov_b32_e32 v56, 0x7ff80000
	v_cmp_ngt_f64_e64 s[4:5], -1.0, v[46:47]
	v_cndmask_b32_e64 v53, v56, v53, s[4:5]
	v_cmp_nge_f64_e64 s[4:5], -1.0, v[46:47]
	v_cndmask_b32_e64 v52, 0, v52, s[4:5]
	v_mov_b32_e32 v56, 0xfff00000
	v_cmp_neq_f64_e64 s[4:5], -1.0, v[46:47]
	v_cndmask_b32_e64 v53, v56, v53, s[4:5]
	v_add_f64 v[46:47], v[50:51], v[52:53]
.LBB39_73:
	s_or_b64 exec, exec, s[48:49]
.LBB39_74:
	s_or_b64 exec, exec, s[46:47]
	v_add_u32_e32 v50, -1, v1
	v_and_b32_e32 v51, 64, v1
	v_cmp_lt_i32_e64 s[4:5], v50, v51
	v_cndmask_b32_e64 v50, v50, v1, s[4:5]
	v_lshlrev_b32_e32 v50, 2, v50
	ds_bpermute_b32 v46, v50, v46
	ds_bpermute_b32 v47, v50, v47
	v_cmp_ne_u32_e64 s[4:5], 0, v0
	s_and_saveexec_b64 s[42:43], s[4:5]
	s_cbranch_execz .LBB39_78
; %bb.75:
	v_cmp_eq_u32_e64 s[4:5], 0, v1
	s_waitcnt lgkmcnt(0)
	v_cndmask_b32_e64 v47, v47, v49, s[4:5]
	v_cndmask_b32_e64 v46, v46, v48, s[4:5]
	v_max_f64 v[0:1], v[46:47], v[46:47]
	v_min_f64 v[42:43], v[0:1], v[40:41]
	v_cmp_u_f64_e64 s[4:5], v[46:47], v[46:47]
	v_max_f64 v[0:1], v[0:1], v[40:41]
	v_cndmask_b32_e64 v42, v42, v46, s[4:5]
	v_cndmask_b32_e64 v43, v43, v47, s[4:5]
	;; [unrolled: 1-line block ×8, first 2 shown]
	v_cmp_neq_f64_e64 s[4:5], v[42:43], v[0:1]
	v_cmp_class_f64_e64 s[38:39], v[42:43], s33
	s_or_b64 s[4:5], s[4:5], s[38:39]
	s_and_saveexec_b64 s[46:47], s[4:5]
	s_cbranch_execz .LBB39_77
; %bb.76:
	s_mov_b32 s4, 0x652b82fe
	v_add_f64 v[2:3], v[42:43], -v[0:1]
	s_mov_b32 s5, 0x3ff71547
	v_mul_f64 v[40:41], v[2:3], s[4:5]
	v_rndne_f64_e32 v[40:41], v[40:41]
	s_mov_b32 s49, 0xbfe62e42
	s_mov_b32 s48, 0xfefa39ef
	v_fma_f64 v[42:43], s[48:49], v[40:41], v[2:3]
	s_mov_b32 s51, 0xbc7abc9e
	s_mov_b32 s50, 0x3b39803f
	;; [unrolled: 1-line block ×3, first 2 shown]
	v_fmac_f64_e32 v[42:43], s[50:51], v[40:41]
	v_mov_b32_e32 v44, 0xfca7ab0c
	v_mov_b32_e32 v45, 0x3e928af3
	s_mov_b32 s5, 0x3e5ade15
	v_fmac_f64_e32 v[44:45], s[4:5], v[42:43]
	v_mov_b32_e32 v46, 0x623fde64
	v_mov_b32_e32 v47, 0x3ec71dee
	v_fmac_f64_e32 v[46:47], v[42:43], v[44:45]
	v_mov_b32_e32 v44, 0x7c89e6b0
	v_mov_b32_e32 v45, 0x3efa0199
	;; [unrolled: 3-line block ×8, first 2 shown]
	v_fmac_f64_e32 v[44:45], v[42:43], v[46:47]
	v_fma_f64 v[44:45], v[42:43], v[44:45], 1.0
	s_mov_b32 s4, 0
	s_mov_b32 s38, 0
	v_fma_f64 v[42:43], v[42:43], v[44:45], 1.0
	v_cvt_i32_f64_e32 v40, v[40:41]
	s_mov_b32 s5, 0x40900000
	s_mov_b32 s39, 0xc090cc00
	v_ldexp_f64 v[40:41], v[42:43], v40
	v_mov_b32_e32 v42, 0x7ff00000
	v_cmp_nlt_f64_e64 s[4:5], s[4:5], v[2:3]
	v_cmp_ngt_f64_e64 s[38:39], s[38:39], v[2:3]
	v_cndmask_b32_e64 v41, v42, v41, s[4:5]
	s_and_b64 s[4:5], s[38:39], s[4:5]
	v_cndmask_b32_e64 v3, 0, v41, s[38:39]
	v_cndmask_b32_e64 v2, 0, v40, s[4:5]
	v_add_f64 v[40:41], v[2:3], 1.0
	v_add_f64 v[42:43], v[40:41], -1.0
	v_add_f64 v[44:45], v[42:43], -v[40:41]
	v_add_f64 v[44:45], v[44:45], 1.0
	v_add_f64 v[42:43], v[2:3], -v[42:43]
	s_mov_b32 s4, 0x55555555
	v_add_f64 v[42:43], v[42:43], v[44:45]
	v_frexp_mant_f64_e32 v[44:45], v[40:41]
	s_mov_b32 s5, 0x3fe55555
	v_frexp_exp_i32_f64_e32 v46, v[40:41]
	v_cmp_gt_f64_e64 s[4:5], s[4:5], v[44:45]
	v_subbrev_co_u32_e64 v62, s[4:5], 0, v46, s[4:5]
	v_sub_u32_e32 v44, 0, v62
	v_ldexp_f64 v[40:41], v[40:41], v44
	v_ldexp_f64 v[42:43], v[42:43], v44
	v_add_f64 v[44:45], v[40:41], -1.0
	v_add_f64 v[50:51], v[40:41], 1.0
	v_add_f64 v[46:47], v[44:45], 1.0
	v_add_f64 v[52:53], v[50:51], -1.0
	v_add_f64 v[46:47], v[40:41], -v[46:47]
	v_add_f64 v[40:41], v[40:41], -v[52:53]
	v_add_f64 v[40:41], v[42:43], v[40:41]
	v_add_f64 v[46:47], v[42:43], v[46:47]
	;; [unrolled: 1-line block ×3, first 2 shown]
	v_rcp_f64_e32 v[52:53], v[42:43]
	v_add_f64 v[48:49], v[44:45], v[46:47]
	v_add_f64 v[44:45], v[48:49], -v[44:45]
	v_add_f64 v[44:45], v[46:47], -v[44:45]
	;; [unrolled: 1-line block ×4, first 2 shown]
	v_fma_f64 v[46:47], -v[42:43], v[52:53], 1.0
	v_fmac_f64_e32 v[52:53], v[46:47], v[52:53]
	v_fma_f64 v[46:47], -v[42:43], v[52:53], 1.0
	v_fmac_f64_e32 v[52:53], v[46:47], v[52:53]
	v_mul_f64 v[46:47], v[48:49], v[52:53]
	v_mul_f64 v[50:51], v[42:43], v[46:47]
	v_fma_f64 v[56:57], v[46:47], v[42:43], -v[50:51]
	v_fmac_f64_e32 v[56:57], v[46:47], v[40:41]
	v_add_f64 v[58:59], v[50:51], v[56:57]
	v_add_f64 v[60:61], v[48:49], -v[58:59]
	v_add_f64 v[48:49], v[48:49], -v[60:61]
	;; [unrolled: 1-line block ×4, first 2 shown]
	v_add_f64 v[44:45], v[44:45], v[48:49]
	v_add_f64 v[48:49], v[50:51], -v[56:57]
	v_add_f64 v[44:45], v[48:49], v[44:45]
	v_add_f64 v[48:49], v[60:61], v[44:45]
	v_add_f64 v[50:51], v[60:61], -v[48:49]
	v_add_f64 v[44:45], v[44:45], v[50:51]
	v_mul_f64 v[50:51], v[52:53], v[48:49]
	v_mul_f64 v[56:57], v[42:43], v[50:51]
	v_fma_f64 v[42:43], v[50:51], v[42:43], -v[56:57]
	v_fmac_f64_e32 v[42:43], v[50:51], v[40:41]
	v_add_f64 v[40:41], v[56:57], v[42:43]
	v_add_f64 v[58:59], v[48:49], -v[40:41]
	v_add_f64 v[48:49], v[48:49], -v[58:59]
	;; [unrolled: 1-line block ×4, first 2 shown]
	v_add_f64 v[40:41], v[44:45], v[40:41]
	v_add_f64 v[42:43], v[56:57], -v[42:43]
	v_add_f64 v[40:41], v[42:43], v[40:41]
	v_add_f64 v[42:43], v[46:47], v[50:51]
	v_add_f64 v[40:41], v[58:59], v[40:41]
	v_add_f64 v[44:45], v[42:43], -v[46:47]
	v_mul_f64 v[40:41], v[52:53], v[40:41]
	v_add_f64 v[44:45], v[50:51], -v[44:45]
	v_add_f64 v[40:41], v[44:45], v[40:41]
	v_add_f64 v[44:45], v[42:43], v[40:41]
	v_add_f64 v[42:43], v[44:45], -v[42:43]
	s_mov_b32 s4, 0xbf559e2b
	v_add_f64 v[40:41], v[40:41], -v[42:43]
	v_mul_f64 v[42:43], v[44:45], v[44:45]
	v_mov_b32_e32 v46, 0x6b47b09a
	v_mov_b32_e32 v47, 0x3fc38538
	s_mov_b32 s5, 0x3fc3ab76
	v_fmac_f64_e32 v[46:47], s[4:5], v[42:43]
	v_mov_b32_e32 v48, 0xd7f4df2e
	v_mov_b32_e32 v49, 0x3fc7474d
	v_fmac_f64_e32 v[48:49], v[42:43], v[46:47]
	v_mov_b32_e32 v46, 0x16291751
	v_mov_b32_e32 v47, 0x3fcc71c0
	;; [unrolled: 3-line block ×5, first 2 shown]
	v_fmac_f64_e32 v[48:49], v[42:43], v[46:47]
	v_cvt_f64_i32_e32 v[46:47], v62
	s_mov_b32 s49, 0x3fe62e42
	v_mul_f64 v[50:51], v[46:47], s[48:49]
	v_fma_f64 v[52:53], v[46:47], s[48:49], -v[50:51]
	s_mov_b32 s51, 0x3c7abc9e
	v_fmac_f64_e32 v[52:53], s[50:51], v[46:47]
	v_add_f64 v[46:47], v[50:51], v[52:53]
	v_add_f64 v[50:51], v[46:47], -v[50:51]
	v_mul_f64 v[42:43], v[44:45], v[42:43]
	v_add_f64 v[50:51], v[52:53], -v[50:51]
	v_ldexp_f64 v[52:53], v[44:45], 1
	v_mul_f64 v[42:43], v[42:43], v[48:49]
	v_add_f64 v[44:45], v[52:53], v[42:43]
	v_add_f64 v[48:49], v[44:45], -v[52:53]
	v_ldexp_f64 v[40:41], v[40:41], 1
	v_add_f64 v[42:43], v[42:43], -v[48:49]
	v_add_f64 v[40:41], v[40:41], v[42:43]
	v_add_f64 v[42:43], v[44:45], v[40:41]
	v_add_f64 v[44:45], v[42:43], -v[44:45]
	v_add_f64 v[40:41], v[40:41], -v[44:45]
	v_add_f64 v[44:45], v[46:47], v[42:43]
	v_add_f64 v[48:49], v[44:45], -v[46:47]
	v_add_f64 v[52:53], v[44:45], -v[48:49]
	;; [unrolled: 1-line block ×4, first 2 shown]
	v_add_f64 v[42:43], v[42:43], v[46:47]
	v_add_f64 v[46:47], v[50:51], v[40:41]
	v_add_f64 v[48:49], v[46:47], -v[50:51]
	v_add_f64 v[42:43], v[46:47], v[42:43]
	v_add_f64 v[52:53], v[46:47], -v[48:49]
	;; [unrolled: 2-line block ×3, first 2 shown]
	v_add_f64 v[40:41], v[40:41], -v[48:49]
	v_add_f64 v[44:45], v[46:47], -v[44:45]
	v_add_f64 v[40:41], v[40:41], v[50:51]
	v_add_f64 v[42:43], v[42:43], -v[44:45]
	s_mov_b32 s4, 0
	v_add_f64 v[40:41], v[40:41], v[42:43]
	s_mov_b32 s5, 0x7ff00000
	v_add_f64 v[40:41], v[46:47], v[40:41]
	v_cmp_eq_f64_e64 s[4:5], s[4:5], v[2:3]
	v_cndmask_b32_e64 v40, v40, v2, s[4:5]
	v_cndmask_b32_e64 v41, v41, v3, s[4:5]
	v_mov_b32_e32 v42, 0x7ff80000
	v_cmp_ngt_f64_e64 s[4:5], -1.0, v[2:3]
	v_cndmask_b32_e64 v41, v42, v41, s[4:5]
	v_cmp_nge_f64_e64 s[4:5], -1.0, v[2:3]
	v_cndmask_b32_e64 v40, 0, v40, s[4:5]
	v_mov_b32_e32 v42, 0xfff00000
	v_cmp_neq_f64_e64 s[4:5], -1.0, v[2:3]
	v_cndmask_b32_e64 v41, v42, v41, s[4:5]
	v_add_f64 v[46:47], v[0:1], v[40:41]
.LBB39_77:
	s_or_b64 exec, exec, s[46:47]
	v_max_f64 v[0:1], v[46:47], v[46:47]
	v_min_f64 v[42:43], v[0:1], v[26:27]
	v_max_f64 v[44:45], v[0:1], v[26:27]
	v_pk_mov_b32 v[2:3], v[46:47], v[46:47] op_sel:[0,1]
	;;#ASMSTART
	;;#ASMEND
.LBB39_78:
	s_or_b64 exec, exec, s[42:43]
	v_cmp_u_f64_e64 s[4:5], v[2:3], v[2:3]
	v_cndmask_b32_e64 v0, v42, v2, s[4:5]
	v_cndmask_b32_e64 v1, v43, v3, s[4:5]
	;; [unrolled: 1-line block ×8, first 2 shown]
	v_cmp_neq_f64_e64 s[4:5], v[26:27], v[0:1]
	v_cmp_class_f64_e64 s[18:19], v[26:27], s33
	s_or_b64 s[4:5], s[4:5], s[18:19]
	v_pk_mov_b32 v[4:5], v[2:3], v[2:3] op_sel:[0,1]
	s_and_saveexec_b64 s[38:39], s[4:5]
	s_cbranch_execz .LBB39_80
; %bb.79:
	s_mov_b32 s4, 0x652b82fe
	v_add_f64 v[4:5], v[26:27], -v[0:1]
	s_mov_b32 s5, 0x3ff71547
	v_mul_f64 v[26:27], v[4:5], s[4:5]
	v_rndne_f64_e32 v[26:27], v[26:27]
	s_mov_b32 s43, 0xbfe62e42
	s_mov_b32 s42, 0xfefa39ef
	v_fma_f64 v[40:41], s[42:43], v[26:27], v[4:5]
	s_mov_b32 s47, 0xbc7abc9e
	s_mov_b32 s46, 0x3b39803f
	;; [unrolled: 1-line block ×3, first 2 shown]
	v_fmac_f64_e32 v[40:41], s[46:47], v[26:27]
	v_mov_b32_e32 v42, 0xfca7ab0c
	v_mov_b32_e32 v43, 0x3e928af3
	s_mov_b32 s5, 0x3e5ade15
	v_fmac_f64_e32 v[42:43], s[4:5], v[40:41]
	v_mov_b32_e32 v44, 0x623fde64
	v_mov_b32_e32 v45, 0x3ec71dee
	v_fmac_f64_e32 v[44:45], v[40:41], v[42:43]
	v_mov_b32_e32 v42, 0x7c89e6b0
	v_mov_b32_e32 v43, 0x3efa0199
	;; [unrolled: 3-line block ×8, first 2 shown]
	v_fmac_f64_e32 v[42:43], v[40:41], v[44:45]
	v_fma_f64 v[42:43], v[40:41], v[42:43], 1.0
	s_mov_b32 s4, 0
	s_mov_b32 s18, 0
	v_fma_f64 v[40:41], v[40:41], v[42:43], 1.0
	v_cvt_i32_f64_e32 v26, v[26:27]
	s_mov_b32 s5, 0x40900000
	s_mov_b32 s19, 0xc090cc00
	v_ldexp_f64 v[26:27], v[40:41], v26
	v_mov_b32_e32 v40, 0x7ff00000
	v_cmp_nlt_f64_e64 s[4:5], s[4:5], v[4:5]
	v_cmp_ngt_f64_e64 s[18:19], s[18:19], v[4:5]
	v_cndmask_b32_e64 v27, v40, v27, s[4:5]
	s_and_b64 s[4:5], s[18:19], s[4:5]
	v_cndmask_b32_e64 v5, 0, v27, s[18:19]
	v_cndmask_b32_e64 v4, 0, v26, s[4:5]
	v_add_f64 v[26:27], v[4:5], 1.0
	v_add_f64 v[40:41], v[26:27], -1.0
	v_add_f64 v[42:43], v[40:41], -v[26:27]
	v_add_f64 v[42:43], v[42:43], 1.0
	v_add_f64 v[40:41], v[4:5], -v[40:41]
	s_mov_b32 s4, 0x55555555
	v_add_f64 v[40:41], v[40:41], v[42:43]
	v_frexp_mant_f64_e32 v[42:43], v[26:27]
	s_mov_b32 s5, 0x3fe55555
	v_frexp_exp_i32_f64_e32 v44, v[26:27]
	v_cmp_gt_f64_e64 s[4:5], s[4:5], v[42:43]
	v_subbrev_co_u32_e64 v60, s[4:5], 0, v44, s[4:5]
	v_sub_u32_e32 v42, 0, v60
	v_ldexp_f64 v[26:27], v[26:27], v42
	v_ldexp_f64 v[40:41], v[40:41], v42
	v_add_f64 v[42:43], v[26:27], -1.0
	v_add_f64 v[48:49], v[26:27], 1.0
	v_add_f64 v[44:45], v[42:43], 1.0
	v_add_f64 v[50:51], v[48:49], -1.0
	v_add_f64 v[44:45], v[26:27], -v[44:45]
	v_add_f64 v[26:27], v[26:27], -v[50:51]
	v_add_f64 v[26:27], v[40:41], v[26:27]
	v_add_f64 v[44:45], v[40:41], v[44:45]
	;; [unrolled: 1-line block ×3, first 2 shown]
	v_rcp_f64_e32 v[50:51], v[40:41]
	s_waitcnt lgkmcnt(0)
	v_add_f64 v[46:47], v[42:43], v[44:45]
	v_add_f64 v[42:43], v[46:47], -v[42:43]
	v_add_f64 v[42:43], v[44:45], -v[42:43]
	;; [unrolled: 1-line block ×4, first 2 shown]
	v_fma_f64 v[44:45], -v[40:41], v[50:51], 1.0
	v_fmac_f64_e32 v[50:51], v[44:45], v[50:51]
	v_fma_f64 v[44:45], -v[40:41], v[50:51], 1.0
	v_fmac_f64_e32 v[50:51], v[44:45], v[50:51]
	v_mul_f64 v[44:45], v[46:47], v[50:51]
	v_mul_f64 v[48:49], v[40:41], v[44:45]
	v_fma_f64 v[52:53], v[44:45], v[40:41], -v[48:49]
	v_fmac_f64_e32 v[52:53], v[44:45], v[26:27]
	v_add_f64 v[56:57], v[48:49], v[52:53]
	v_add_f64 v[58:59], v[46:47], -v[56:57]
	v_add_f64 v[46:47], v[46:47], -v[58:59]
	;; [unrolled: 1-line block ×4, first 2 shown]
	v_add_f64 v[42:43], v[42:43], v[46:47]
	v_add_f64 v[46:47], v[48:49], -v[52:53]
	v_add_f64 v[42:43], v[46:47], v[42:43]
	v_add_f64 v[46:47], v[58:59], v[42:43]
	v_add_f64 v[48:49], v[58:59], -v[46:47]
	v_add_f64 v[42:43], v[42:43], v[48:49]
	v_mul_f64 v[48:49], v[50:51], v[46:47]
	v_mul_f64 v[52:53], v[40:41], v[48:49]
	v_fma_f64 v[40:41], v[48:49], v[40:41], -v[52:53]
	v_fmac_f64_e32 v[40:41], v[48:49], v[26:27]
	v_add_f64 v[26:27], v[52:53], v[40:41]
	v_add_f64 v[56:57], v[46:47], -v[26:27]
	v_add_f64 v[46:47], v[46:47], -v[56:57]
	;; [unrolled: 1-line block ×4, first 2 shown]
	v_add_f64 v[26:27], v[42:43], v[26:27]
	v_add_f64 v[40:41], v[52:53], -v[40:41]
	v_add_f64 v[26:27], v[40:41], v[26:27]
	v_add_f64 v[40:41], v[44:45], v[48:49]
	;; [unrolled: 1-line block ×3, first 2 shown]
	v_add_f64 v[42:43], v[40:41], -v[44:45]
	v_mul_f64 v[26:27], v[50:51], v[26:27]
	v_add_f64 v[42:43], v[48:49], -v[42:43]
	v_add_f64 v[26:27], v[42:43], v[26:27]
	v_add_f64 v[42:43], v[40:41], v[26:27]
	v_add_f64 v[40:41], v[42:43], -v[40:41]
	s_mov_b32 s4, 0xbf559e2b
	v_add_f64 v[26:27], v[26:27], -v[40:41]
	v_mul_f64 v[40:41], v[42:43], v[42:43]
	v_mov_b32_e32 v44, 0x6b47b09a
	v_mov_b32_e32 v45, 0x3fc38538
	s_mov_b32 s5, 0x3fc3ab76
	v_fmac_f64_e32 v[44:45], s[4:5], v[40:41]
	v_mov_b32_e32 v46, 0xd7f4df2e
	v_mov_b32_e32 v47, 0x3fc7474d
	v_fmac_f64_e32 v[46:47], v[40:41], v[44:45]
	v_mov_b32_e32 v44, 0x16291751
	v_mov_b32_e32 v45, 0x3fcc71c0
	;; [unrolled: 3-line block ×5, first 2 shown]
	v_fmac_f64_e32 v[46:47], v[40:41], v[44:45]
	v_cvt_f64_i32_e32 v[44:45], v60
	s_mov_b32 s43, 0x3fe62e42
	v_mul_f64 v[48:49], v[44:45], s[42:43]
	v_fma_f64 v[50:51], v[44:45], s[42:43], -v[48:49]
	s_mov_b32 s47, 0x3c7abc9e
	v_fmac_f64_e32 v[50:51], s[46:47], v[44:45]
	v_add_f64 v[44:45], v[48:49], v[50:51]
	v_add_f64 v[48:49], v[44:45], -v[48:49]
	v_mul_f64 v[40:41], v[42:43], v[40:41]
	v_add_f64 v[48:49], v[50:51], -v[48:49]
	v_ldexp_f64 v[50:51], v[42:43], 1
	v_mul_f64 v[40:41], v[40:41], v[46:47]
	v_add_f64 v[42:43], v[50:51], v[40:41]
	v_add_f64 v[46:47], v[42:43], -v[50:51]
	v_ldexp_f64 v[26:27], v[26:27], 1
	v_add_f64 v[40:41], v[40:41], -v[46:47]
	v_add_f64 v[26:27], v[26:27], v[40:41]
	v_add_f64 v[40:41], v[42:43], v[26:27]
	v_add_f64 v[42:43], v[40:41], -v[42:43]
	v_add_f64 v[26:27], v[26:27], -v[42:43]
	v_add_f64 v[42:43], v[44:45], v[40:41]
	v_add_f64 v[46:47], v[42:43], -v[44:45]
	v_add_f64 v[50:51], v[42:43], -v[46:47]
	;; [unrolled: 1-line block ×4, first 2 shown]
	v_add_f64 v[40:41], v[40:41], v[44:45]
	v_add_f64 v[44:45], v[48:49], v[26:27]
	v_add_f64 v[46:47], v[44:45], -v[48:49]
	v_add_f64 v[40:41], v[44:45], v[40:41]
	v_add_f64 v[50:51], v[44:45], -v[46:47]
	;; [unrolled: 2-line block ×3, first 2 shown]
	v_add_f64 v[26:27], v[26:27], -v[46:47]
	v_add_f64 v[42:43], v[44:45], -v[42:43]
	v_add_f64 v[26:27], v[26:27], v[48:49]
	v_add_f64 v[40:41], v[40:41], -v[42:43]
	s_mov_b32 s4, 0
	v_add_f64 v[26:27], v[26:27], v[40:41]
	s_mov_b32 s5, 0x7ff00000
	v_add_f64 v[26:27], v[44:45], v[26:27]
	v_cmp_eq_f64_e64 s[4:5], s[4:5], v[4:5]
	v_cndmask_b32_e64 v26, v26, v4, s[4:5]
	v_cndmask_b32_e64 v27, v27, v5, s[4:5]
	v_mov_b32_e32 v40, 0x7ff80000
	v_cmp_ngt_f64_e64 s[4:5], -1.0, v[4:5]
	v_cndmask_b32_e64 v27, v40, v27, s[4:5]
	v_cmp_nge_f64_e64 s[4:5], -1.0, v[4:5]
	v_cndmask_b32_e64 v26, 0, v26, s[4:5]
	v_mov_b32_e32 v40, 0xfff00000
	v_cmp_neq_f64_e64 s[4:5], -1.0, v[4:5]
	v_cndmask_b32_e64 v27, v40, v27, s[4:5]
	v_add_f64 v[4:5], v[0:1], v[26:27]
.LBB39_80:
	s_or_b64 exec, exec, s[38:39]
	v_max_f64 v[0:1], v[4:5], v[4:5]
	v_min_f64 v[26:27], v[0:1], v[22:23]
	v_cmp_u_f64_e64 s[4:5], v[4:5], v[4:5]
	v_max_f64 v[0:1], v[0:1], v[22:23]
	v_cndmask_b32_e64 v26, v26, v4, s[4:5]
	v_cndmask_b32_e64 v27, v27, v5, s[4:5]
	v_cndmask_b32_e64 v0, v0, v4, s[4:5]
	v_cndmask_b32_e64 v1, v1, v5, s[4:5]
	v_cndmask_b32_e64 v27, v27, v19, s[20:21]
	v_cndmask_b32_e64 v26, v26, v18, s[20:21]
	v_cndmask_b32_e64 v1, v1, v19, s[20:21]
	v_cndmask_b32_e64 v0, v0, v18, s[20:21]
	v_cmp_neq_f64_e64 s[4:5], v[26:27], v[0:1]
	v_cmp_class_f64_e64 s[18:19], v[26:27], s33
	s_or_b64 s[4:5], s[4:5], s[18:19]
	v_pk_mov_b32 v[18:19], v[4:5], v[4:5] op_sel:[0,1]
	s_and_saveexec_b64 s[20:21], s[4:5]
	s_cbranch_execz .LBB39_82
; %bb.81:
	s_mov_b32 s4, 0x652b82fe
	v_add_f64 v[18:19], v[26:27], -v[0:1]
	s_mov_b32 s5, 0x3ff71547
	v_mul_f64 v[22:23], v[18:19], s[4:5]
	v_rndne_f64_e32 v[22:23], v[22:23]
	s_mov_b32 s39, 0xbfe62e42
	s_mov_b32 s38, 0xfefa39ef
	v_fma_f64 v[26:27], s[38:39], v[22:23], v[18:19]
	s_mov_b32 s43, 0xbc7abc9e
	s_mov_b32 s42, 0x3b39803f
	;; [unrolled: 1-line block ×3, first 2 shown]
	v_fmac_f64_e32 v[26:27], s[42:43], v[22:23]
	v_mov_b32_e32 v40, 0xfca7ab0c
	v_mov_b32_e32 v41, 0x3e928af3
	s_mov_b32 s5, 0x3e5ade15
	v_fmac_f64_e32 v[40:41], s[4:5], v[26:27]
	v_mov_b32_e32 v42, 0x623fde64
	v_mov_b32_e32 v43, 0x3ec71dee
	v_fmac_f64_e32 v[42:43], v[26:27], v[40:41]
	v_mov_b32_e32 v40, 0x7c89e6b0
	v_mov_b32_e32 v41, 0x3efa0199
	;; [unrolled: 3-line block ×8, first 2 shown]
	v_fmac_f64_e32 v[40:41], v[26:27], v[42:43]
	v_fma_f64 v[40:41], v[26:27], v[40:41], 1.0
	s_mov_b32 s4, 0
	s_mov_b32 s18, 0
	v_fma_f64 v[26:27], v[26:27], v[40:41], 1.0
	v_cvt_i32_f64_e32 v22, v[22:23]
	s_mov_b32 s5, 0x40900000
	s_mov_b32 s19, 0xc090cc00
	v_ldexp_f64 v[22:23], v[26:27], v22
	v_mov_b32_e32 v26, 0x7ff00000
	v_cmp_nlt_f64_e64 s[4:5], s[4:5], v[18:19]
	v_cmp_ngt_f64_e64 s[18:19], s[18:19], v[18:19]
	v_cndmask_b32_e64 v23, v26, v23, s[4:5]
	s_and_b64 s[4:5], s[18:19], s[4:5]
	v_cndmask_b32_e64 v19, 0, v23, s[18:19]
	v_cndmask_b32_e64 v18, 0, v22, s[4:5]
	v_add_f64 v[22:23], v[18:19], 1.0
	v_add_f64 v[26:27], v[22:23], -1.0
	v_add_f64 v[40:41], v[26:27], -v[22:23]
	v_add_f64 v[40:41], v[40:41], 1.0
	v_add_f64 v[26:27], v[18:19], -v[26:27]
	s_mov_b32 s4, 0x55555555
	v_add_f64 v[26:27], v[26:27], v[40:41]
	v_frexp_mant_f64_e32 v[40:41], v[22:23]
	s_mov_b32 s5, 0x3fe55555
	v_frexp_exp_i32_f64_e32 v42, v[22:23]
	v_cmp_gt_f64_e64 s[4:5], s[4:5], v[40:41]
	v_subbrev_co_u32_e64 v58, s[4:5], 0, v42, s[4:5]
	v_sub_u32_e32 v40, 0, v58
	v_ldexp_f64 v[22:23], v[22:23], v40
	v_ldexp_f64 v[26:27], v[26:27], v40
	v_add_f64 v[40:41], v[22:23], -1.0
	s_waitcnt lgkmcnt(0)
	v_add_f64 v[46:47], v[22:23], 1.0
	v_add_f64 v[42:43], v[40:41], 1.0
	v_add_f64 v[48:49], v[46:47], -1.0
	v_add_f64 v[42:43], v[22:23], -v[42:43]
	v_add_f64 v[22:23], v[22:23], -v[48:49]
	v_add_f64 v[22:23], v[26:27], v[22:23]
	v_add_f64 v[42:43], v[26:27], v[42:43]
	;; [unrolled: 1-line block ×3, first 2 shown]
	v_rcp_f64_e32 v[48:49], v[26:27]
	v_add_f64 v[44:45], v[40:41], v[42:43]
	v_add_f64 v[40:41], v[44:45], -v[40:41]
	v_add_f64 v[40:41], v[42:43], -v[40:41]
	;; [unrolled: 1-line block ×4, first 2 shown]
	v_fma_f64 v[42:43], -v[26:27], v[48:49], 1.0
	v_fmac_f64_e32 v[48:49], v[42:43], v[48:49]
	v_fma_f64 v[42:43], -v[26:27], v[48:49], 1.0
	v_fmac_f64_e32 v[48:49], v[42:43], v[48:49]
	v_mul_f64 v[42:43], v[44:45], v[48:49]
	v_mul_f64 v[46:47], v[26:27], v[42:43]
	v_fma_f64 v[50:51], v[42:43], v[26:27], -v[46:47]
	v_fmac_f64_e32 v[50:51], v[42:43], v[22:23]
	v_add_f64 v[52:53], v[46:47], v[50:51]
	v_add_f64 v[56:57], v[44:45], -v[52:53]
	v_add_f64 v[44:45], v[44:45], -v[56:57]
	;; [unrolled: 1-line block ×4, first 2 shown]
	v_add_f64 v[40:41], v[40:41], v[44:45]
	v_add_f64 v[44:45], v[46:47], -v[50:51]
	v_add_f64 v[40:41], v[44:45], v[40:41]
	v_add_f64 v[44:45], v[56:57], v[40:41]
	v_add_f64 v[46:47], v[56:57], -v[44:45]
	v_add_f64 v[40:41], v[40:41], v[46:47]
	v_mul_f64 v[46:47], v[48:49], v[44:45]
	v_mul_f64 v[50:51], v[26:27], v[46:47]
	v_fma_f64 v[26:27], v[46:47], v[26:27], -v[50:51]
	v_fmac_f64_e32 v[26:27], v[46:47], v[22:23]
	v_add_f64 v[22:23], v[50:51], v[26:27]
	v_add_f64 v[52:53], v[44:45], -v[22:23]
	v_add_f64 v[44:45], v[44:45], -v[52:53]
	;; [unrolled: 1-line block ×4, first 2 shown]
	v_add_f64 v[22:23], v[40:41], v[22:23]
	v_add_f64 v[26:27], v[50:51], -v[26:27]
	v_add_f64 v[22:23], v[26:27], v[22:23]
	v_add_f64 v[26:27], v[42:43], v[46:47]
	;; [unrolled: 1-line block ×3, first 2 shown]
	v_add_f64 v[40:41], v[26:27], -v[42:43]
	v_mul_f64 v[22:23], v[48:49], v[22:23]
	v_add_f64 v[40:41], v[46:47], -v[40:41]
	v_add_f64 v[22:23], v[40:41], v[22:23]
	v_add_f64 v[40:41], v[26:27], v[22:23]
	v_add_f64 v[26:27], v[40:41], -v[26:27]
	s_mov_b32 s4, 0xbf559e2b
	v_add_f64 v[22:23], v[22:23], -v[26:27]
	v_mul_f64 v[26:27], v[40:41], v[40:41]
	v_mov_b32_e32 v42, 0x6b47b09a
	v_mov_b32_e32 v43, 0x3fc38538
	s_mov_b32 s5, 0x3fc3ab76
	v_fmac_f64_e32 v[42:43], s[4:5], v[26:27]
	v_mov_b32_e32 v44, 0xd7f4df2e
	v_mov_b32_e32 v45, 0x3fc7474d
	v_fmac_f64_e32 v[44:45], v[26:27], v[42:43]
	v_mov_b32_e32 v42, 0x16291751
	v_mov_b32_e32 v43, 0x3fcc71c0
	;; [unrolled: 3-line block ×5, first 2 shown]
	v_fmac_f64_e32 v[44:45], v[26:27], v[42:43]
	v_cvt_f64_i32_e32 v[42:43], v58
	s_mov_b32 s39, 0x3fe62e42
	v_mul_f64 v[46:47], v[42:43], s[38:39]
	v_fma_f64 v[48:49], v[42:43], s[38:39], -v[46:47]
	s_mov_b32 s43, 0x3c7abc9e
	v_fmac_f64_e32 v[48:49], s[42:43], v[42:43]
	v_add_f64 v[42:43], v[46:47], v[48:49]
	v_add_f64 v[46:47], v[42:43], -v[46:47]
	v_mul_f64 v[26:27], v[40:41], v[26:27]
	v_add_f64 v[46:47], v[48:49], -v[46:47]
	v_ldexp_f64 v[48:49], v[40:41], 1
	v_mul_f64 v[26:27], v[26:27], v[44:45]
	v_add_f64 v[40:41], v[48:49], v[26:27]
	v_add_f64 v[44:45], v[40:41], -v[48:49]
	v_ldexp_f64 v[22:23], v[22:23], 1
	v_add_f64 v[26:27], v[26:27], -v[44:45]
	v_add_f64 v[22:23], v[22:23], v[26:27]
	v_add_f64 v[26:27], v[40:41], v[22:23]
	v_add_f64 v[40:41], v[26:27], -v[40:41]
	v_add_f64 v[22:23], v[22:23], -v[40:41]
	v_add_f64 v[40:41], v[42:43], v[26:27]
	v_add_f64 v[44:45], v[40:41], -v[42:43]
	v_add_f64 v[48:49], v[40:41], -v[44:45]
	;; [unrolled: 1-line block ×4, first 2 shown]
	v_add_f64 v[26:27], v[26:27], v[42:43]
	v_add_f64 v[42:43], v[46:47], v[22:23]
	v_add_f64 v[44:45], v[42:43], -v[46:47]
	v_add_f64 v[26:27], v[42:43], v[26:27]
	v_add_f64 v[48:49], v[42:43], -v[44:45]
	;; [unrolled: 2-line block ×3, first 2 shown]
	v_add_f64 v[22:23], v[22:23], -v[44:45]
	v_add_f64 v[40:41], v[42:43], -v[40:41]
	v_add_f64 v[22:23], v[22:23], v[46:47]
	v_add_f64 v[26:27], v[26:27], -v[40:41]
	s_mov_b32 s4, 0
	v_add_f64 v[22:23], v[22:23], v[26:27]
	s_mov_b32 s5, 0x7ff00000
	v_add_f64 v[22:23], v[42:43], v[22:23]
	v_cmp_eq_f64_e64 s[4:5], s[4:5], v[18:19]
	v_cndmask_b32_e64 v22, v22, v18, s[4:5]
	v_cndmask_b32_e64 v23, v23, v19, s[4:5]
	v_mov_b32_e32 v26, 0x7ff80000
	v_cmp_ngt_f64_e64 s[4:5], -1.0, v[18:19]
	v_cndmask_b32_e64 v23, v26, v23, s[4:5]
	v_cmp_nge_f64_e64 s[4:5], -1.0, v[18:19]
	v_cndmask_b32_e64 v22, 0, v22, s[4:5]
	v_mov_b32_e32 v26, 0xfff00000
	v_cmp_neq_f64_e64 s[4:5], -1.0, v[18:19]
	v_cndmask_b32_e64 v23, v26, v23, s[4:5]
	v_add_f64 v[18:19], v[0:1], v[22:23]
.LBB39_82:
	s_or_b64 exec, exec, s[20:21]
	v_max_f64 v[0:1], v[18:19], v[18:19]
	v_min_f64 v[22:23], v[0:1], v[24:25]
	v_cmp_u_f64_e64 s[4:5], v[18:19], v[18:19]
	v_max_f64 v[0:1], v[0:1], v[24:25]
	v_cndmask_b32_e64 v22, v22, v18, s[4:5]
	v_cndmask_b32_e64 v23, v23, v19, s[4:5]
	;; [unrolled: 1-line block ×8, first 2 shown]
	v_cmp_neq_f64_e64 s[4:5], v[22:23], v[0:1]
	v_cmp_class_f64_e64 s[18:19], v[22:23], s33
	s_or_b64 s[4:5], s[4:5], s[18:19]
	v_pk_mov_b32 v[20:21], v[18:19], v[18:19] op_sel:[0,1]
	s_and_saveexec_b64 s[20:21], s[4:5]
	s_cbranch_execz .LBB39_84
; %bb.83:
	s_mov_b32 s4, 0x652b82fe
	v_add_f64 v[20:21], v[22:23], -v[0:1]
	s_mov_b32 s5, 0x3ff71547
	v_mul_f64 v[22:23], v[20:21], s[4:5]
	v_rndne_f64_e32 v[22:23], v[22:23]
	s_mov_b32 s23, 0xbfe62e42
	s_mov_b32 s22, 0xfefa39ef
	v_fma_f64 v[24:25], s[22:23], v[22:23], v[20:21]
	s_mov_b32 s39, 0xbc7abc9e
	s_mov_b32 s38, 0x3b39803f
	s_mov_b32 s4, 0x6a5dcb37
	v_fmac_f64_e32 v[24:25], s[38:39], v[22:23]
	v_mov_b32_e32 v26, 0xfca7ab0c
	v_mov_b32_e32 v27, 0x3e928af3
	s_mov_b32 s5, 0x3e5ade15
	v_fmac_f64_e32 v[26:27], s[4:5], v[24:25]
	v_mov_b32_e32 v40, 0x623fde64
	v_mov_b32_e32 v41, 0x3ec71dee
	v_fmac_f64_e32 v[40:41], v[24:25], v[26:27]
	v_mov_b32_e32 v26, 0x7c89e6b0
	v_mov_b32_e32 v27, 0x3efa0199
	;; [unrolled: 3-line block ×8, first 2 shown]
	v_fmac_f64_e32 v[26:27], v[24:25], v[40:41]
	v_fma_f64 v[26:27], v[24:25], v[26:27], 1.0
	s_mov_b32 s4, 0
	s_mov_b32 s18, 0
	v_fma_f64 v[24:25], v[24:25], v[26:27], 1.0
	v_cvt_i32_f64_e32 v22, v[22:23]
	s_mov_b32 s5, 0x40900000
	s_mov_b32 s19, 0xc090cc00
	v_ldexp_f64 v[22:23], v[24:25], v22
	v_mov_b32_e32 v24, 0x7ff00000
	v_cmp_nlt_f64_e64 s[4:5], s[4:5], v[20:21]
	v_cmp_ngt_f64_e64 s[18:19], s[18:19], v[20:21]
	v_cndmask_b32_e64 v23, v24, v23, s[4:5]
	s_and_b64 s[4:5], s[18:19], s[4:5]
	v_cndmask_b32_e64 v21, 0, v23, s[18:19]
	v_cndmask_b32_e64 v20, 0, v22, s[4:5]
	v_add_f64 v[22:23], v[20:21], 1.0
	v_add_f64 v[24:25], v[22:23], -1.0
	v_add_f64 v[26:27], v[24:25], -v[22:23]
	v_add_f64 v[26:27], v[26:27], 1.0
	v_add_f64 v[24:25], v[20:21], -v[24:25]
	s_mov_b32 s4, 0x55555555
	v_add_f64 v[24:25], v[24:25], v[26:27]
	v_frexp_mant_f64_e32 v[26:27], v[22:23]
	s_mov_b32 s5, 0x3fe55555
	v_frexp_exp_i32_f64_e32 v40, v[22:23]
	v_cmp_gt_f64_e64 s[4:5], s[4:5], v[26:27]
	v_subbrev_co_u32_e64 v56, s[4:5], 0, v40, s[4:5]
	v_sub_u32_e32 v26, 0, v56
	v_ldexp_f64 v[22:23], v[22:23], v26
	v_ldexp_f64 v[24:25], v[24:25], v26
	v_add_f64 v[26:27], v[22:23], -1.0
	v_add_f64 v[44:45], v[22:23], 1.0
	v_add_f64 v[40:41], v[26:27], 1.0
	s_waitcnt lgkmcnt(0)
	v_add_f64 v[46:47], v[44:45], -1.0
	v_add_f64 v[40:41], v[22:23], -v[40:41]
	v_add_f64 v[22:23], v[22:23], -v[46:47]
	v_add_f64 v[22:23], v[24:25], v[22:23]
	v_add_f64 v[40:41], v[24:25], v[40:41]
	;; [unrolled: 1-line block ×3, first 2 shown]
	v_rcp_f64_e32 v[46:47], v[24:25]
	v_add_f64 v[42:43], v[26:27], v[40:41]
	v_add_f64 v[26:27], v[42:43], -v[26:27]
	v_add_f64 v[26:27], v[40:41], -v[26:27]
	;; [unrolled: 1-line block ×4, first 2 shown]
	v_fma_f64 v[40:41], -v[24:25], v[46:47], 1.0
	v_fmac_f64_e32 v[46:47], v[40:41], v[46:47]
	v_fma_f64 v[40:41], -v[24:25], v[46:47], 1.0
	v_fmac_f64_e32 v[46:47], v[40:41], v[46:47]
	v_mul_f64 v[40:41], v[42:43], v[46:47]
	v_mul_f64 v[44:45], v[24:25], v[40:41]
	v_fma_f64 v[48:49], v[40:41], v[24:25], -v[44:45]
	v_fmac_f64_e32 v[48:49], v[40:41], v[22:23]
	v_add_f64 v[50:51], v[44:45], v[48:49]
	v_add_f64 v[52:53], v[42:43], -v[50:51]
	v_add_f64 v[42:43], v[42:43], -v[52:53]
	v_add_f64 v[44:45], v[50:51], -v[44:45]
	v_add_f64 v[42:43], v[42:43], -v[50:51]
	v_add_f64 v[26:27], v[26:27], v[42:43]
	v_add_f64 v[42:43], v[44:45], -v[48:49]
	v_add_f64 v[26:27], v[42:43], v[26:27]
	v_add_f64 v[42:43], v[52:53], v[26:27]
	v_add_f64 v[44:45], v[52:53], -v[42:43]
	v_add_f64 v[26:27], v[26:27], v[44:45]
	v_mul_f64 v[44:45], v[46:47], v[42:43]
	v_mul_f64 v[48:49], v[24:25], v[44:45]
	v_fma_f64 v[24:25], v[44:45], v[24:25], -v[48:49]
	v_fmac_f64_e32 v[24:25], v[44:45], v[22:23]
	v_add_f64 v[22:23], v[48:49], v[24:25]
	v_add_f64 v[50:51], v[42:43], -v[22:23]
	v_add_f64 v[42:43], v[42:43], -v[50:51]
	;; [unrolled: 1-line block ×4, first 2 shown]
	v_add_f64 v[22:23], v[26:27], v[22:23]
	v_add_f64 v[24:25], v[48:49], -v[24:25]
	v_add_f64 v[22:23], v[24:25], v[22:23]
	v_add_f64 v[24:25], v[40:41], v[44:45]
	v_add_f64 v[22:23], v[50:51], v[22:23]
	v_add_f64 v[26:27], v[24:25], -v[40:41]
	v_mul_f64 v[22:23], v[46:47], v[22:23]
	v_add_f64 v[26:27], v[44:45], -v[26:27]
	v_add_f64 v[22:23], v[26:27], v[22:23]
	v_add_f64 v[26:27], v[24:25], v[22:23]
	v_add_f64 v[24:25], v[26:27], -v[24:25]
	s_mov_b32 s4, 0xbf559e2b
	v_add_f64 v[22:23], v[22:23], -v[24:25]
	v_mul_f64 v[24:25], v[26:27], v[26:27]
	v_mov_b32_e32 v40, 0x6b47b09a
	v_mov_b32_e32 v41, 0x3fc38538
	s_mov_b32 s5, 0x3fc3ab76
	v_fmac_f64_e32 v[40:41], s[4:5], v[24:25]
	v_mov_b32_e32 v42, 0xd7f4df2e
	v_mov_b32_e32 v43, 0x3fc7474d
	v_fmac_f64_e32 v[42:43], v[24:25], v[40:41]
	v_mov_b32_e32 v40, 0x16291751
	v_mov_b32_e32 v41, 0x3fcc71c0
	;; [unrolled: 3-line block ×5, first 2 shown]
	v_fmac_f64_e32 v[42:43], v[24:25], v[40:41]
	v_cvt_f64_i32_e32 v[40:41], v56
	s_mov_b32 s23, 0x3fe62e42
	v_mul_f64 v[44:45], v[40:41], s[22:23]
	v_fma_f64 v[46:47], v[40:41], s[22:23], -v[44:45]
	s_mov_b32 s39, 0x3c7abc9e
	v_fmac_f64_e32 v[46:47], s[38:39], v[40:41]
	v_add_f64 v[40:41], v[44:45], v[46:47]
	v_add_f64 v[44:45], v[40:41], -v[44:45]
	v_mul_f64 v[24:25], v[26:27], v[24:25]
	v_add_f64 v[44:45], v[46:47], -v[44:45]
	v_ldexp_f64 v[46:47], v[26:27], 1
	v_mul_f64 v[24:25], v[24:25], v[42:43]
	v_add_f64 v[26:27], v[46:47], v[24:25]
	v_add_f64 v[42:43], v[26:27], -v[46:47]
	v_ldexp_f64 v[22:23], v[22:23], 1
	v_add_f64 v[24:25], v[24:25], -v[42:43]
	v_add_f64 v[22:23], v[22:23], v[24:25]
	v_add_f64 v[24:25], v[26:27], v[22:23]
	v_add_f64 v[26:27], v[24:25], -v[26:27]
	v_add_f64 v[22:23], v[22:23], -v[26:27]
	v_add_f64 v[26:27], v[40:41], v[24:25]
	v_add_f64 v[42:43], v[26:27], -v[40:41]
	v_add_f64 v[46:47], v[26:27], -v[42:43]
	;; [unrolled: 1-line block ×4, first 2 shown]
	v_add_f64 v[24:25], v[24:25], v[40:41]
	v_add_f64 v[40:41], v[44:45], v[22:23]
	v_add_f64 v[42:43], v[40:41], -v[44:45]
	v_add_f64 v[24:25], v[40:41], v[24:25]
	v_add_f64 v[46:47], v[40:41], -v[42:43]
	;; [unrolled: 2-line block ×3, first 2 shown]
	v_add_f64 v[22:23], v[22:23], -v[42:43]
	v_add_f64 v[26:27], v[40:41], -v[26:27]
	v_add_f64 v[22:23], v[22:23], v[44:45]
	v_add_f64 v[24:25], v[24:25], -v[26:27]
	s_mov_b32 s4, 0
	v_add_f64 v[22:23], v[22:23], v[24:25]
	s_mov_b32 s5, 0x7ff00000
	v_add_f64 v[22:23], v[40:41], v[22:23]
	v_cmp_eq_f64_e64 s[4:5], s[4:5], v[20:21]
	v_cndmask_b32_e64 v22, v22, v20, s[4:5]
	v_cndmask_b32_e64 v23, v23, v21, s[4:5]
	v_mov_b32_e32 v24, 0x7ff80000
	v_cmp_ngt_f64_e64 s[4:5], -1.0, v[20:21]
	v_cndmask_b32_e64 v23, v24, v23, s[4:5]
	v_cmp_nge_f64_e64 s[4:5], -1.0, v[20:21]
	v_cndmask_b32_e64 v22, 0, v22, s[4:5]
	v_mov_b32_e32 v24, 0xfff00000
	v_cmp_neq_f64_e64 s[4:5], -1.0, v[20:21]
	v_cndmask_b32_e64 v23, v24, v23, s[4:5]
	v_add_f64 v[20:21], v[0:1], v[22:23]
.LBB39_84:
	s_or_b64 exec, exec, s[20:21]
	v_max_f64 v[0:1], v[20:21], v[20:21]
	v_min_f64 v[22:23], v[0:1], v[28:29]
	v_cmp_u_f64_e64 s[4:5], v[20:21], v[20:21]
	v_max_f64 v[0:1], v[0:1], v[28:29]
	v_cndmask_b32_e64 v22, v22, v20, s[4:5]
	v_cndmask_b32_e64 v23, v23, v21, s[4:5]
	;; [unrolled: 1-line block ×8, first 2 shown]
	v_cmp_neq_f64_e64 s[4:5], v[22:23], v[0:1]
	v_cmp_class_f64_e64 s[18:19], v[22:23], s33
	s_or_b64 s[4:5], s[4:5], s[18:19]
	v_pk_mov_b32 v[14:15], v[20:21], v[20:21] op_sel:[0,1]
	s_and_saveexec_b64 s[20:21], s[4:5]
	s_cbranch_execz .LBB39_86
; %bb.85:
	s_mov_b32 s4, 0x652b82fe
	v_add_f64 v[14:15], v[22:23], -v[0:1]
	s_mov_b32 s5, 0x3ff71547
	v_mul_f64 v[22:23], v[14:15], s[4:5]
	v_rndne_f64_e32 v[22:23], v[22:23]
	s_mov_b32 s23, 0xbfe62e42
	s_mov_b32 s22, 0xfefa39ef
	v_fma_f64 v[24:25], s[22:23], v[22:23], v[14:15]
	s_mov_b32 s25, 0xbc7abc9e
	s_mov_b32 s24, 0x3b39803f
	s_mov_b32 s4, 0x6a5dcb37
	v_fmac_f64_e32 v[24:25], s[24:25], v[22:23]
	v_mov_b32_e32 v26, 0xfca7ab0c
	v_mov_b32_e32 v27, 0x3e928af3
	s_mov_b32 s5, 0x3e5ade15
	v_fmac_f64_e32 v[26:27], s[4:5], v[24:25]
	v_mov_b32_e32 v28, 0x623fde64
	v_mov_b32_e32 v29, 0x3ec71dee
	v_fmac_f64_e32 v[28:29], v[24:25], v[26:27]
	v_mov_b32_e32 v26, 0x7c89e6b0
	v_mov_b32_e32 v27, 0x3efa0199
	;; [unrolled: 3-line block ×8, first 2 shown]
	v_fmac_f64_e32 v[26:27], v[24:25], v[28:29]
	v_fma_f64 v[26:27], v[24:25], v[26:27], 1.0
	s_mov_b32 s4, 0
	s_mov_b32 s18, 0
	v_fma_f64 v[24:25], v[24:25], v[26:27], 1.0
	v_cvt_i32_f64_e32 v22, v[22:23]
	s_mov_b32 s5, 0x40900000
	s_mov_b32 s19, 0xc090cc00
	v_ldexp_f64 v[22:23], v[24:25], v22
	v_mov_b32_e32 v24, 0x7ff00000
	v_cmp_nlt_f64_e64 s[4:5], s[4:5], v[14:15]
	v_cmp_ngt_f64_e64 s[18:19], s[18:19], v[14:15]
	v_cndmask_b32_e64 v23, v24, v23, s[4:5]
	s_and_b64 s[4:5], s[18:19], s[4:5]
	v_cndmask_b32_e64 v15, 0, v23, s[18:19]
	v_cndmask_b32_e64 v14, 0, v22, s[4:5]
	v_add_f64 v[22:23], v[14:15], 1.0
	v_add_f64 v[24:25], v[22:23], -1.0
	v_add_f64 v[26:27], v[24:25], -v[22:23]
	v_add_f64 v[26:27], v[26:27], 1.0
	v_add_f64 v[24:25], v[14:15], -v[24:25]
	s_mov_b32 s4, 0x55555555
	v_add_f64 v[24:25], v[24:25], v[26:27]
	v_frexp_mant_f64_e32 v[26:27], v[22:23]
	s_mov_b32 s5, 0x3fe55555
	v_frexp_exp_i32_f64_e32 v28, v[22:23]
	v_cmp_gt_f64_e64 s[4:5], s[4:5], v[26:27]
	v_subbrev_co_u32_e64 v52, s[4:5], 0, v28, s[4:5]
	v_sub_u32_e32 v26, 0, v52
	v_ldexp_f64 v[22:23], v[22:23], v26
	v_ldexp_f64 v[24:25], v[24:25], v26
	v_add_f64 v[26:27], v[22:23], -1.0
	v_add_f64 v[42:43], v[22:23], 1.0
	v_add_f64 v[28:29], v[26:27], 1.0
	v_add_f64 v[44:45], v[42:43], -1.0
	v_add_f64 v[28:29], v[22:23], -v[28:29]
	v_add_f64 v[22:23], v[22:23], -v[44:45]
	v_add_f64 v[22:23], v[24:25], v[22:23]
	v_add_f64 v[28:29], v[24:25], v[28:29]
	;; [unrolled: 1-line block ×3, first 2 shown]
	v_rcp_f64_e32 v[44:45], v[24:25]
	v_add_f64 v[40:41], v[26:27], v[28:29]
	v_add_f64 v[26:27], v[40:41], -v[26:27]
	v_add_f64 v[26:27], v[28:29], -v[26:27]
	;; [unrolled: 1-line block ×4, first 2 shown]
	v_fma_f64 v[28:29], -v[24:25], v[44:45], 1.0
	v_fmac_f64_e32 v[44:45], v[28:29], v[44:45]
	v_fma_f64 v[28:29], -v[24:25], v[44:45], 1.0
	v_fmac_f64_e32 v[44:45], v[28:29], v[44:45]
	v_mul_f64 v[28:29], v[40:41], v[44:45]
	v_mul_f64 v[42:43], v[24:25], v[28:29]
	s_waitcnt lgkmcnt(0)
	v_fma_f64 v[46:47], v[28:29], v[24:25], -v[42:43]
	v_fmac_f64_e32 v[46:47], v[28:29], v[22:23]
	v_add_f64 v[48:49], v[42:43], v[46:47]
	v_add_f64 v[50:51], v[40:41], -v[48:49]
	v_add_f64 v[40:41], v[40:41], -v[50:51]
	;; [unrolled: 1-line block ×4, first 2 shown]
	v_add_f64 v[26:27], v[26:27], v[40:41]
	v_add_f64 v[40:41], v[42:43], -v[46:47]
	v_add_f64 v[26:27], v[40:41], v[26:27]
	v_add_f64 v[40:41], v[50:51], v[26:27]
	v_add_f64 v[42:43], v[50:51], -v[40:41]
	v_add_f64 v[26:27], v[26:27], v[42:43]
	v_mul_f64 v[42:43], v[44:45], v[40:41]
	v_mul_f64 v[46:47], v[24:25], v[42:43]
	v_fma_f64 v[24:25], v[42:43], v[24:25], -v[46:47]
	v_fmac_f64_e32 v[24:25], v[42:43], v[22:23]
	v_add_f64 v[22:23], v[46:47], v[24:25]
	v_add_f64 v[48:49], v[40:41], -v[22:23]
	v_add_f64 v[40:41], v[40:41], -v[48:49]
	;; [unrolled: 1-line block ×4, first 2 shown]
	v_add_f64 v[22:23], v[26:27], v[22:23]
	v_add_f64 v[24:25], v[46:47], -v[24:25]
	v_add_f64 v[22:23], v[24:25], v[22:23]
	v_add_f64 v[24:25], v[28:29], v[42:43]
	;; [unrolled: 1-line block ×3, first 2 shown]
	v_add_f64 v[26:27], v[24:25], -v[28:29]
	v_mul_f64 v[22:23], v[44:45], v[22:23]
	v_add_f64 v[26:27], v[42:43], -v[26:27]
	v_add_f64 v[22:23], v[26:27], v[22:23]
	v_add_f64 v[26:27], v[24:25], v[22:23]
	v_add_f64 v[24:25], v[26:27], -v[24:25]
	s_mov_b32 s4, 0xbf559e2b
	v_add_f64 v[22:23], v[22:23], -v[24:25]
	v_mul_f64 v[24:25], v[26:27], v[26:27]
	v_mov_b32_e32 v28, 0x6b47b09a
	v_mov_b32_e32 v29, 0x3fc38538
	s_mov_b32 s5, 0x3fc3ab76
	v_fmac_f64_e32 v[28:29], s[4:5], v[24:25]
	v_mov_b32_e32 v40, 0xd7f4df2e
	v_mov_b32_e32 v41, 0x3fc7474d
	v_fmac_f64_e32 v[40:41], v[24:25], v[28:29]
	v_mov_b32_e32 v28, 0x16291751
	v_mov_b32_e32 v29, 0x3fcc71c0
	;; [unrolled: 3-line block ×5, first 2 shown]
	v_fmac_f64_e32 v[40:41], v[24:25], v[28:29]
	v_cvt_f64_i32_e32 v[28:29], v52
	s_mov_b32 s23, 0x3fe62e42
	v_mul_f64 v[42:43], v[28:29], s[22:23]
	v_fma_f64 v[44:45], v[28:29], s[22:23], -v[42:43]
	s_mov_b32 s25, 0x3c7abc9e
	v_fmac_f64_e32 v[44:45], s[24:25], v[28:29]
	v_add_f64 v[28:29], v[42:43], v[44:45]
	v_add_f64 v[42:43], v[28:29], -v[42:43]
	v_mul_f64 v[24:25], v[26:27], v[24:25]
	v_add_f64 v[42:43], v[44:45], -v[42:43]
	v_ldexp_f64 v[44:45], v[26:27], 1
	v_mul_f64 v[24:25], v[24:25], v[40:41]
	v_add_f64 v[26:27], v[44:45], v[24:25]
	v_add_f64 v[40:41], v[26:27], -v[44:45]
	v_ldexp_f64 v[22:23], v[22:23], 1
	v_add_f64 v[24:25], v[24:25], -v[40:41]
	v_add_f64 v[22:23], v[22:23], v[24:25]
	v_add_f64 v[24:25], v[26:27], v[22:23]
	v_add_f64 v[26:27], v[24:25], -v[26:27]
	v_add_f64 v[22:23], v[22:23], -v[26:27]
	v_add_f64 v[26:27], v[28:29], v[24:25]
	v_add_f64 v[40:41], v[26:27], -v[28:29]
	v_add_f64 v[44:45], v[26:27], -v[40:41]
	;; [unrolled: 1-line block ×4, first 2 shown]
	v_add_f64 v[24:25], v[24:25], v[28:29]
	v_add_f64 v[28:29], v[42:43], v[22:23]
	v_add_f64 v[40:41], v[28:29], -v[42:43]
	v_add_f64 v[24:25], v[28:29], v[24:25]
	v_add_f64 v[44:45], v[28:29], -v[40:41]
	;; [unrolled: 2-line block ×3, first 2 shown]
	v_add_f64 v[22:23], v[22:23], -v[40:41]
	v_add_f64 v[26:27], v[28:29], -v[26:27]
	v_add_f64 v[22:23], v[22:23], v[42:43]
	v_add_f64 v[24:25], v[24:25], -v[26:27]
	s_mov_b32 s4, 0
	v_add_f64 v[22:23], v[22:23], v[24:25]
	s_mov_b32 s5, 0x7ff00000
	v_add_f64 v[22:23], v[28:29], v[22:23]
	v_cmp_eq_f64_e64 s[4:5], s[4:5], v[14:15]
	v_cndmask_b32_e64 v22, v22, v14, s[4:5]
	v_cndmask_b32_e64 v23, v23, v15, s[4:5]
	v_mov_b32_e32 v24, 0x7ff80000
	v_cmp_ngt_f64_e64 s[4:5], -1.0, v[14:15]
	v_cndmask_b32_e64 v23, v24, v23, s[4:5]
	v_cmp_nge_f64_e64 s[4:5], -1.0, v[14:15]
	v_cndmask_b32_e64 v22, 0, v22, s[4:5]
	v_mov_b32_e32 v24, 0xfff00000
	v_cmp_neq_f64_e64 s[4:5], -1.0, v[14:15]
	v_cndmask_b32_e64 v23, v24, v23, s[4:5]
	v_add_f64 v[14:15], v[0:1], v[22:23]
.LBB39_86:
	s_or_b64 exec, exec, s[20:21]
	v_max_f64 v[0:1], v[14:15], v[14:15]
	v_min_f64 v[22:23], v[0:1], v[30:31]
	v_cmp_u_f64_e64 s[4:5], v[14:15], v[14:15]
	v_max_f64 v[0:1], v[0:1], v[30:31]
	v_cndmask_b32_e64 v22, v22, v14, s[4:5]
	v_cndmask_b32_e64 v23, v23, v15, s[4:5]
	;; [unrolled: 1-line block ×8, first 2 shown]
	s_movk_i32 s26, 0x1f8
	v_cmp_neq_f64_e64 s[4:5], v[22:23], v[0:1]
	v_cmp_class_f64_e64 s[18:19], v[22:23], s26
	s_or_b64 s[4:5], s[4:5], s[18:19]
	v_pk_mov_b32 v[16:17], v[14:15], v[14:15] op_sel:[0,1]
	s_and_saveexec_b64 s[20:21], s[4:5]
	s_cbranch_execz .LBB39_88
; %bb.87:
	s_mov_b32 s4, 0x652b82fe
	v_add_f64 v[16:17], v[22:23], -v[0:1]
	s_mov_b32 s5, 0x3ff71547
	v_mul_f64 v[22:23], v[16:17], s[4:5]
	v_rndne_f64_e32 v[22:23], v[22:23]
	s_mov_b32 s23, 0xbfe62e42
	s_mov_b32 s22, 0xfefa39ef
	v_fma_f64 v[24:25], s[22:23], v[22:23], v[16:17]
	s_mov_b32 s25, 0xbc7abc9e
	s_mov_b32 s24, 0x3b39803f
	;; [unrolled: 1-line block ×3, first 2 shown]
	v_fmac_f64_e32 v[24:25], s[24:25], v[22:23]
	v_mov_b32_e32 v26, 0xfca7ab0c
	v_mov_b32_e32 v27, 0x3e928af3
	s_mov_b32 s5, 0x3e5ade15
	v_fmac_f64_e32 v[26:27], s[4:5], v[24:25]
	v_mov_b32_e32 v28, 0x623fde64
	v_mov_b32_e32 v29, 0x3ec71dee
	v_fmac_f64_e32 v[28:29], v[24:25], v[26:27]
	v_mov_b32_e32 v26, 0x7c89e6b0
	v_mov_b32_e32 v27, 0x3efa0199
	;; [unrolled: 3-line block ×8, first 2 shown]
	v_fmac_f64_e32 v[26:27], v[24:25], v[28:29]
	v_fma_f64 v[26:27], v[24:25], v[26:27], 1.0
	s_mov_b32 s4, 0
	s_mov_b32 s18, 0
	v_fma_f64 v[24:25], v[24:25], v[26:27], 1.0
	v_cvt_i32_f64_e32 v22, v[22:23]
	s_mov_b32 s5, 0x40900000
	s_mov_b32 s19, 0xc090cc00
	v_ldexp_f64 v[22:23], v[24:25], v22
	v_mov_b32_e32 v24, 0x7ff00000
	v_cmp_nlt_f64_e64 s[4:5], s[4:5], v[16:17]
	v_cmp_ngt_f64_e64 s[18:19], s[18:19], v[16:17]
	v_cndmask_b32_e64 v23, v24, v23, s[4:5]
	s_and_b64 s[4:5], s[18:19], s[4:5]
	v_cndmask_b32_e64 v17, 0, v23, s[18:19]
	v_cndmask_b32_e64 v16, 0, v22, s[4:5]
	v_add_f64 v[22:23], v[16:17], 1.0
	v_add_f64 v[24:25], v[22:23], -1.0
	v_add_f64 v[26:27], v[24:25], -v[22:23]
	v_add_f64 v[26:27], v[26:27], 1.0
	v_add_f64 v[24:25], v[16:17], -v[24:25]
	s_mov_b32 s4, 0x55555555
	v_add_f64 v[24:25], v[24:25], v[26:27]
	v_frexp_mant_f64_e32 v[26:27], v[22:23]
	s_mov_b32 s5, 0x3fe55555
	v_frexp_exp_i32_f64_e32 v28, v[22:23]
	v_cmp_gt_f64_e64 s[4:5], s[4:5], v[26:27]
	v_subbrev_co_u32_e64 v50, s[4:5], 0, v28, s[4:5]
	v_sub_u32_e32 v26, 0, v50
	v_ldexp_f64 v[22:23], v[22:23], v26
	v_ldexp_f64 v[24:25], v[24:25], v26
	v_add_f64 v[26:27], v[22:23], -1.0
	v_add_f64 v[40:41], v[22:23], 1.0
	v_add_f64 v[28:29], v[26:27], 1.0
	v_add_f64 v[42:43], v[40:41], -1.0
	v_add_f64 v[28:29], v[22:23], -v[28:29]
	v_add_f64 v[22:23], v[22:23], -v[42:43]
	v_add_f64 v[22:23], v[24:25], v[22:23]
	v_add_f64 v[28:29], v[24:25], v[28:29]
	;; [unrolled: 1-line block ×3, first 2 shown]
	v_rcp_f64_e32 v[42:43], v[24:25]
	v_add_f64 v[30:31], v[26:27], v[28:29]
	v_add_f64 v[26:27], v[30:31], -v[26:27]
	v_add_f64 v[26:27], v[28:29], -v[26:27]
	;; [unrolled: 1-line block ×4, first 2 shown]
	v_fma_f64 v[28:29], -v[24:25], v[42:43], 1.0
	v_fmac_f64_e32 v[42:43], v[28:29], v[42:43]
	v_fma_f64 v[28:29], -v[24:25], v[42:43], 1.0
	v_fmac_f64_e32 v[42:43], v[28:29], v[42:43]
	v_mul_f64 v[28:29], v[30:31], v[42:43]
	v_mul_f64 v[40:41], v[24:25], v[28:29]
	v_fma_f64 v[44:45], v[28:29], v[24:25], -v[40:41]
	v_fmac_f64_e32 v[44:45], v[28:29], v[22:23]
	s_waitcnt lgkmcnt(0)
	v_add_f64 v[46:47], v[40:41], v[44:45]
	v_add_f64 v[48:49], v[30:31], -v[46:47]
	v_add_f64 v[30:31], v[30:31], -v[48:49]
	;; [unrolled: 1-line block ×4, first 2 shown]
	v_add_f64 v[26:27], v[26:27], v[30:31]
	v_add_f64 v[30:31], v[40:41], -v[44:45]
	v_add_f64 v[26:27], v[30:31], v[26:27]
	v_add_f64 v[30:31], v[48:49], v[26:27]
	v_add_f64 v[40:41], v[48:49], -v[30:31]
	v_add_f64 v[26:27], v[26:27], v[40:41]
	v_mul_f64 v[40:41], v[42:43], v[30:31]
	v_mul_f64 v[44:45], v[24:25], v[40:41]
	v_fma_f64 v[24:25], v[40:41], v[24:25], -v[44:45]
	v_fmac_f64_e32 v[24:25], v[40:41], v[22:23]
	v_add_f64 v[22:23], v[44:45], v[24:25]
	v_add_f64 v[46:47], v[30:31], -v[22:23]
	v_add_f64 v[30:31], v[30:31], -v[46:47]
	v_add_f64 v[44:45], v[22:23], -v[44:45]
	v_add_f64 v[22:23], v[30:31], -v[22:23]
	v_add_f64 v[22:23], v[26:27], v[22:23]
	v_add_f64 v[24:25], v[44:45], -v[24:25]
	v_add_f64 v[22:23], v[24:25], v[22:23]
	v_add_f64 v[24:25], v[28:29], v[40:41]
	;; [unrolled: 1-line block ×3, first 2 shown]
	v_add_f64 v[26:27], v[24:25], -v[28:29]
	v_mul_f64 v[22:23], v[42:43], v[22:23]
	v_add_f64 v[26:27], v[40:41], -v[26:27]
	v_add_f64 v[22:23], v[26:27], v[22:23]
	v_add_f64 v[26:27], v[24:25], v[22:23]
	v_add_f64 v[24:25], v[26:27], -v[24:25]
	s_mov_b32 s4, 0xbf559e2b
	v_add_f64 v[22:23], v[22:23], -v[24:25]
	v_mul_f64 v[24:25], v[26:27], v[26:27]
	v_mov_b32_e32 v28, 0x6b47b09a
	v_mov_b32_e32 v29, 0x3fc38538
	s_mov_b32 s5, 0x3fc3ab76
	v_fmac_f64_e32 v[28:29], s[4:5], v[24:25]
	v_mov_b32_e32 v30, 0xd7f4df2e
	v_mov_b32_e32 v31, 0x3fc7474d
	v_fmac_f64_e32 v[30:31], v[24:25], v[28:29]
	v_mov_b32_e32 v28, 0x16291751
	v_mov_b32_e32 v29, 0x3fcc71c0
	;; [unrolled: 3-line block ×5, first 2 shown]
	v_fmac_f64_e32 v[30:31], v[24:25], v[28:29]
	v_cvt_f64_i32_e32 v[28:29], v50
	s_mov_b32 s23, 0x3fe62e42
	v_mul_f64 v[40:41], v[28:29], s[22:23]
	v_fma_f64 v[42:43], v[28:29], s[22:23], -v[40:41]
	s_mov_b32 s25, 0x3c7abc9e
	v_fmac_f64_e32 v[42:43], s[24:25], v[28:29]
	v_add_f64 v[28:29], v[40:41], v[42:43]
	v_add_f64 v[40:41], v[28:29], -v[40:41]
	v_mul_f64 v[24:25], v[26:27], v[24:25]
	v_add_f64 v[40:41], v[42:43], -v[40:41]
	v_ldexp_f64 v[42:43], v[26:27], 1
	v_mul_f64 v[24:25], v[24:25], v[30:31]
	v_add_f64 v[26:27], v[42:43], v[24:25]
	v_add_f64 v[30:31], v[26:27], -v[42:43]
	v_ldexp_f64 v[22:23], v[22:23], 1
	v_add_f64 v[24:25], v[24:25], -v[30:31]
	v_add_f64 v[22:23], v[22:23], v[24:25]
	v_add_f64 v[24:25], v[26:27], v[22:23]
	v_add_f64 v[26:27], v[24:25], -v[26:27]
	v_add_f64 v[22:23], v[22:23], -v[26:27]
	v_add_f64 v[26:27], v[28:29], v[24:25]
	v_add_f64 v[30:31], v[26:27], -v[28:29]
	v_add_f64 v[42:43], v[26:27], -v[30:31]
	;; [unrolled: 1-line block ×4, first 2 shown]
	v_add_f64 v[24:25], v[24:25], v[28:29]
	v_add_f64 v[28:29], v[40:41], v[22:23]
	v_add_f64 v[30:31], v[28:29], -v[40:41]
	v_add_f64 v[24:25], v[28:29], v[24:25]
	v_add_f64 v[42:43], v[28:29], -v[30:31]
	;; [unrolled: 2-line block ×3, first 2 shown]
	v_add_f64 v[22:23], v[22:23], -v[30:31]
	v_add_f64 v[26:27], v[28:29], -v[26:27]
	v_add_f64 v[22:23], v[22:23], v[40:41]
	v_add_f64 v[24:25], v[24:25], -v[26:27]
	s_mov_b32 s4, 0
	v_add_f64 v[22:23], v[22:23], v[24:25]
	s_mov_b32 s5, 0x7ff00000
	v_add_f64 v[22:23], v[28:29], v[22:23]
	v_cmp_eq_f64_e64 s[4:5], s[4:5], v[16:17]
	v_cndmask_b32_e64 v22, v22, v16, s[4:5]
	v_cndmask_b32_e64 v23, v23, v17, s[4:5]
	v_mov_b32_e32 v24, 0x7ff80000
	v_cmp_ngt_f64_e64 s[4:5], -1.0, v[16:17]
	v_cndmask_b32_e64 v23, v24, v23, s[4:5]
	v_cmp_nge_f64_e64 s[4:5], -1.0, v[16:17]
	v_cndmask_b32_e64 v22, 0, v22, s[4:5]
	v_mov_b32_e32 v24, 0xfff00000
	v_cmp_neq_f64_e64 s[4:5], -1.0, v[16:17]
	v_cndmask_b32_e64 v23, v24, v23, s[4:5]
	v_add_f64 v[16:17], v[0:1], v[22:23]
.LBB39_88:
	s_or_b64 exec, exec, s[20:21]
	v_max_f64 v[0:1], v[16:17], v[16:17]
	v_min_f64 v[22:23], v[0:1], v[32:33]
	v_cmp_u_f64_e64 s[4:5], v[16:17], v[16:17]
	v_max_f64 v[0:1], v[0:1], v[32:33]
	v_cndmask_b32_e64 v22, v22, v16, s[4:5]
	v_cndmask_b32_e64 v23, v23, v17, s[4:5]
	;; [unrolled: 1-line block ×8, first 2 shown]
	v_cmp_neq_f64_e64 s[4:5], v[22:23], v[0:1]
	v_cmp_class_f64_e64 s[18:19], v[22:23], s26
	s_or_b64 s[4:5], s[4:5], s[18:19]
	v_pk_mov_b32 v[10:11], v[16:17], v[16:17] op_sel:[0,1]
	s_and_saveexec_b64 s[20:21], s[4:5]
	s_cbranch_execz .LBB39_90
; %bb.89:
	s_mov_b32 s4, 0x652b82fe
	v_add_f64 v[10:11], v[22:23], -v[0:1]
	s_mov_b32 s5, 0x3ff71547
	v_mul_f64 v[22:23], v[10:11], s[4:5]
	v_rndne_f64_e32 v[22:23], v[22:23]
	s_mov_b32 s23, 0xbfe62e42
	s_mov_b32 s22, 0xfefa39ef
	v_fma_f64 v[24:25], s[22:23], v[22:23], v[10:11]
	s_mov_b32 s25, 0xbc7abc9e
	s_mov_b32 s24, 0x3b39803f
	s_mov_b32 s4, 0x6a5dcb37
	v_fmac_f64_e32 v[24:25], s[24:25], v[22:23]
	v_mov_b32_e32 v26, 0xfca7ab0c
	v_mov_b32_e32 v27, 0x3e928af3
	s_mov_b32 s5, 0x3e5ade15
	v_fmac_f64_e32 v[26:27], s[4:5], v[24:25]
	v_mov_b32_e32 v28, 0x623fde64
	v_mov_b32_e32 v29, 0x3ec71dee
	v_fmac_f64_e32 v[28:29], v[24:25], v[26:27]
	v_mov_b32_e32 v26, 0x7c89e6b0
	v_mov_b32_e32 v27, 0x3efa0199
	;; [unrolled: 3-line block ×8, first 2 shown]
	v_fmac_f64_e32 v[26:27], v[24:25], v[28:29]
	v_fma_f64 v[26:27], v[24:25], v[26:27], 1.0
	s_mov_b32 s4, 0
	s_mov_b32 s18, 0
	v_fma_f64 v[24:25], v[24:25], v[26:27], 1.0
	v_cvt_i32_f64_e32 v22, v[22:23]
	s_mov_b32 s5, 0x40900000
	s_mov_b32 s19, 0xc090cc00
	v_ldexp_f64 v[22:23], v[24:25], v22
	v_mov_b32_e32 v24, 0x7ff00000
	v_cmp_nlt_f64_e64 s[4:5], s[4:5], v[10:11]
	v_cmp_ngt_f64_e64 s[18:19], s[18:19], v[10:11]
	v_cndmask_b32_e64 v23, v24, v23, s[4:5]
	s_and_b64 s[4:5], s[18:19], s[4:5]
	v_cndmask_b32_e64 v11, 0, v23, s[18:19]
	v_cndmask_b32_e64 v10, 0, v22, s[4:5]
	v_add_f64 v[22:23], v[10:11], 1.0
	v_add_f64 v[24:25], v[22:23], -1.0
	v_add_f64 v[26:27], v[24:25], -v[22:23]
	v_add_f64 v[26:27], v[26:27], 1.0
	v_add_f64 v[24:25], v[10:11], -v[24:25]
	s_mov_b32 s4, 0x55555555
	v_add_f64 v[24:25], v[24:25], v[26:27]
	v_frexp_mant_f64_e32 v[26:27], v[22:23]
	s_mov_b32 s5, 0x3fe55555
	v_frexp_exp_i32_f64_e32 v28, v[22:23]
	v_cmp_gt_f64_e64 s[4:5], s[4:5], v[26:27]
	v_subbrev_co_u32_e64 v48, s[4:5], 0, v28, s[4:5]
	v_sub_u32_e32 v26, 0, v48
	v_ldexp_f64 v[22:23], v[22:23], v26
	v_ldexp_f64 v[24:25], v[24:25], v26
	v_add_f64 v[26:27], v[22:23], -1.0
	v_add_f64 v[32:33], v[22:23], 1.0
	v_add_f64 v[28:29], v[26:27], 1.0
	v_add_f64 v[40:41], v[32:33], -1.0
	v_add_f64 v[28:29], v[22:23], -v[28:29]
	v_add_f64 v[22:23], v[22:23], -v[40:41]
	v_add_f64 v[22:23], v[24:25], v[22:23]
	v_add_f64 v[28:29], v[24:25], v[28:29]
	;; [unrolled: 1-line block ×3, first 2 shown]
	v_rcp_f64_e32 v[40:41], v[24:25]
	v_add_f64 v[30:31], v[26:27], v[28:29]
	v_add_f64 v[26:27], v[30:31], -v[26:27]
	v_add_f64 v[26:27], v[28:29], -v[26:27]
	;; [unrolled: 1-line block ×4, first 2 shown]
	v_fma_f64 v[28:29], -v[24:25], v[40:41], 1.0
	v_fmac_f64_e32 v[40:41], v[28:29], v[40:41]
	v_fma_f64 v[28:29], -v[24:25], v[40:41], 1.0
	v_fmac_f64_e32 v[40:41], v[28:29], v[40:41]
	v_mul_f64 v[28:29], v[30:31], v[40:41]
	v_mul_f64 v[32:33], v[24:25], v[28:29]
	v_fma_f64 v[42:43], v[28:29], v[24:25], -v[32:33]
	v_fmac_f64_e32 v[42:43], v[28:29], v[22:23]
	v_add_f64 v[44:45], v[32:33], v[42:43]
	s_waitcnt lgkmcnt(0)
	v_add_f64 v[46:47], v[30:31], -v[44:45]
	v_add_f64 v[30:31], v[30:31], -v[46:47]
	;; [unrolled: 1-line block ×4, first 2 shown]
	v_add_f64 v[26:27], v[26:27], v[30:31]
	v_add_f64 v[30:31], v[32:33], -v[42:43]
	v_add_f64 v[26:27], v[30:31], v[26:27]
	v_add_f64 v[30:31], v[46:47], v[26:27]
	v_add_f64 v[32:33], v[46:47], -v[30:31]
	v_add_f64 v[26:27], v[26:27], v[32:33]
	v_mul_f64 v[32:33], v[40:41], v[30:31]
	v_mul_f64 v[42:43], v[24:25], v[32:33]
	v_fma_f64 v[24:25], v[32:33], v[24:25], -v[42:43]
	v_fmac_f64_e32 v[24:25], v[32:33], v[22:23]
	v_add_f64 v[22:23], v[42:43], v[24:25]
	v_add_f64 v[44:45], v[30:31], -v[22:23]
	v_add_f64 v[30:31], v[30:31], -v[44:45]
	;; [unrolled: 1-line block ×4, first 2 shown]
	v_add_f64 v[22:23], v[26:27], v[22:23]
	v_add_f64 v[24:25], v[42:43], -v[24:25]
	v_add_f64 v[22:23], v[24:25], v[22:23]
	v_add_f64 v[24:25], v[28:29], v[32:33]
	;; [unrolled: 1-line block ×3, first 2 shown]
	v_add_f64 v[26:27], v[24:25], -v[28:29]
	v_mul_f64 v[22:23], v[40:41], v[22:23]
	v_add_f64 v[26:27], v[32:33], -v[26:27]
	v_add_f64 v[22:23], v[26:27], v[22:23]
	v_add_f64 v[26:27], v[24:25], v[22:23]
	v_add_f64 v[24:25], v[26:27], -v[24:25]
	s_mov_b32 s4, 0xbf559e2b
	v_add_f64 v[22:23], v[22:23], -v[24:25]
	v_mul_f64 v[24:25], v[26:27], v[26:27]
	v_mov_b32_e32 v28, 0x6b47b09a
	v_mov_b32_e32 v29, 0x3fc38538
	s_mov_b32 s5, 0x3fc3ab76
	v_fmac_f64_e32 v[28:29], s[4:5], v[24:25]
	v_mov_b32_e32 v30, 0xd7f4df2e
	v_mov_b32_e32 v31, 0x3fc7474d
	v_fmac_f64_e32 v[30:31], v[24:25], v[28:29]
	v_mov_b32_e32 v28, 0x16291751
	v_mov_b32_e32 v29, 0x3fcc71c0
	;; [unrolled: 3-line block ×5, first 2 shown]
	v_fmac_f64_e32 v[30:31], v[24:25], v[28:29]
	v_cvt_f64_i32_e32 v[28:29], v48
	s_mov_b32 s23, 0x3fe62e42
	v_mul_f64 v[32:33], v[28:29], s[22:23]
	v_fma_f64 v[40:41], v[28:29], s[22:23], -v[32:33]
	s_mov_b32 s25, 0x3c7abc9e
	v_fmac_f64_e32 v[40:41], s[24:25], v[28:29]
	v_add_f64 v[28:29], v[32:33], v[40:41]
	v_add_f64 v[32:33], v[28:29], -v[32:33]
	v_mul_f64 v[24:25], v[26:27], v[24:25]
	v_add_f64 v[32:33], v[40:41], -v[32:33]
	v_ldexp_f64 v[40:41], v[26:27], 1
	v_mul_f64 v[24:25], v[24:25], v[30:31]
	v_add_f64 v[26:27], v[40:41], v[24:25]
	v_add_f64 v[30:31], v[26:27], -v[40:41]
	v_ldexp_f64 v[22:23], v[22:23], 1
	v_add_f64 v[24:25], v[24:25], -v[30:31]
	v_add_f64 v[22:23], v[22:23], v[24:25]
	v_add_f64 v[24:25], v[26:27], v[22:23]
	v_add_f64 v[26:27], v[24:25], -v[26:27]
	v_add_f64 v[22:23], v[22:23], -v[26:27]
	v_add_f64 v[26:27], v[28:29], v[24:25]
	v_add_f64 v[30:31], v[26:27], -v[28:29]
	v_add_f64 v[40:41], v[26:27], -v[30:31]
	;; [unrolled: 1-line block ×4, first 2 shown]
	v_add_f64 v[24:25], v[24:25], v[28:29]
	v_add_f64 v[28:29], v[32:33], v[22:23]
	v_add_f64 v[30:31], v[28:29], -v[32:33]
	v_add_f64 v[24:25], v[28:29], v[24:25]
	v_add_f64 v[40:41], v[28:29], -v[30:31]
	;; [unrolled: 2-line block ×3, first 2 shown]
	v_add_f64 v[22:23], v[22:23], -v[30:31]
	v_add_f64 v[26:27], v[28:29], -v[26:27]
	v_add_f64 v[22:23], v[22:23], v[32:33]
	v_add_f64 v[24:25], v[24:25], -v[26:27]
	s_mov_b32 s4, 0
	v_add_f64 v[22:23], v[22:23], v[24:25]
	s_mov_b32 s5, 0x7ff00000
	v_add_f64 v[22:23], v[28:29], v[22:23]
	v_cmp_eq_f64_e64 s[4:5], s[4:5], v[10:11]
	v_cndmask_b32_e64 v22, v22, v10, s[4:5]
	v_cndmask_b32_e64 v23, v23, v11, s[4:5]
	v_mov_b32_e32 v24, 0x7ff80000
	v_cmp_ngt_f64_e64 s[4:5], -1.0, v[10:11]
	v_cndmask_b32_e64 v23, v24, v23, s[4:5]
	v_cmp_nge_f64_e64 s[4:5], -1.0, v[10:11]
	v_cndmask_b32_e64 v22, 0, v22, s[4:5]
	v_mov_b32_e32 v24, 0xfff00000
	v_cmp_neq_f64_e64 s[4:5], -1.0, v[10:11]
	v_cndmask_b32_e64 v23, v24, v23, s[4:5]
	v_add_f64 v[10:11], v[0:1], v[22:23]
.LBB39_90:
	s_or_b64 exec, exec, s[20:21]
	v_max_f64 v[0:1], v[10:11], v[10:11]
	v_min_f64 v[22:23], v[0:1], v[34:35]
	v_cmp_u_f64_e64 s[4:5], v[10:11], v[10:11]
	v_max_f64 v[0:1], v[0:1], v[34:35]
	v_cndmask_b32_e64 v22, v22, v10, s[4:5]
	v_cndmask_b32_e64 v23, v23, v11, s[4:5]
	v_cndmask_b32_e64 v0, v0, v10, s[4:5]
	v_cndmask_b32_e64 v1, v1, v11, s[4:5]
	v_cndmask_b32_e64 v23, v23, v13, s[30:31]
	v_cndmask_b32_e64 v22, v22, v12, s[30:31]
	v_cndmask_b32_e64 v1, v1, v13, s[30:31]
	v_cndmask_b32_e64 v0, v0, v12, s[30:31]
	v_cmp_neq_f64_e64 s[4:5], v[22:23], v[0:1]
	v_cmp_class_f64_e64 s[18:19], v[22:23], s26
	s_or_b64 s[4:5], s[4:5], s[18:19]
	v_pk_mov_b32 v[12:13], v[10:11], v[10:11] op_sel:[0,1]
	s_and_saveexec_b64 s[20:21], s[4:5]
	s_cbranch_execz .LBB39_92
; %bb.91:
	s_mov_b32 s4, 0x652b82fe
	v_add_f64 v[12:13], v[22:23], -v[0:1]
	s_mov_b32 s5, 0x3ff71547
	v_mul_f64 v[22:23], v[12:13], s[4:5]
	v_rndne_f64_e32 v[22:23], v[22:23]
	s_mov_b32 s23, 0xbfe62e42
	s_mov_b32 s22, 0xfefa39ef
	v_fma_f64 v[24:25], s[22:23], v[22:23], v[12:13]
	s_mov_b32 s25, 0xbc7abc9e
	s_mov_b32 s24, 0x3b39803f
	;; [unrolled: 1-line block ×3, first 2 shown]
	v_fmac_f64_e32 v[24:25], s[24:25], v[22:23]
	v_mov_b32_e32 v26, 0xfca7ab0c
	v_mov_b32_e32 v27, 0x3e928af3
	s_mov_b32 s5, 0x3e5ade15
	v_fmac_f64_e32 v[26:27], s[4:5], v[24:25]
	v_mov_b32_e32 v28, 0x623fde64
	v_mov_b32_e32 v29, 0x3ec71dee
	v_fmac_f64_e32 v[28:29], v[24:25], v[26:27]
	v_mov_b32_e32 v26, 0x7c89e6b0
	v_mov_b32_e32 v27, 0x3efa0199
	;; [unrolled: 3-line block ×8, first 2 shown]
	v_fmac_f64_e32 v[26:27], v[24:25], v[28:29]
	v_fma_f64 v[26:27], v[24:25], v[26:27], 1.0
	s_mov_b32 s4, 0
	s_mov_b32 s18, 0
	v_fma_f64 v[24:25], v[24:25], v[26:27], 1.0
	v_cvt_i32_f64_e32 v22, v[22:23]
	s_mov_b32 s5, 0x40900000
	s_mov_b32 s19, 0xc090cc00
	v_ldexp_f64 v[22:23], v[24:25], v22
	v_mov_b32_e32 v24, 0x7ff00000
	v_cmp_nlt_f64_e64 s[4:5], s[4:5], v[12:13]
	v_cmp_ngt_f64_e64 s[18:19], s[18:19], v[12:13]
	v_cndmask_b32_e64 v23, v24, v23, s[4:5]
	s_and_b64 s[4:5], s[18:19], s[4:5]
	v_cndmask_b32_e64 v13, 0, v23, s[18:19]
	v_cndmask_b32_e64 v12, 0, v22, s[4:5]
	v_add_f64 v[22:23], v[12:13], 1.0
	v_add_f64 v[24:25], v[22:23], -1.0
	v_add_f64 v[26:27], v[24:25], -v[22:23]
	v_add_f64 v[26:27], v[26:27], 1.0
	v_add_f64 v[24:25], v[12:13], -v[24:25]
	s_mov_b32 s4, 0x55555555
	v_add_f64 v[24:25], v[24:25], v[26:27]
	v_frexp_mant_f64_e32 v[26:27], v[22:23]
	s_mov_b32 s5, 0x3fe55555
	v_frexp_exp_i32_f64_e32 v28, v[22:23]
	v_cmp_gt_f64_e64 s[4:5], s[4:5], v[26:27]
	s_waitcnt lgkmcnt(1)
	v_subbrev_co_u32_e64 v46, s[4:5], 0, v28, s[4:5]
	v_sub_u32_e32 v26, 0, v46
	v_ldexp_f64 v[22:23], v[22:23], v26
	v_ldexp_f64 v[24:25], v[24:25], v26
	v_add_f64 v[26:27], v[22:23], -1.0
	v_add_f64 v[32:33], v[22:23], 1.0
	v_add_f64 v[28:29], v[26:27], 1.0
	v_add_f64 v[34:35], v[32:33], -1.0
	v_add_f64 v[28:29], v[22:23], -v[28:29]
	v_add_f64 v[22:23], v[22:23], -v[34:35]
	v_add_f64 v[22:23], v[24:25], v[22:23]
	v_add_f64 v[28:29], v[24:25], v[28:29]
	;; [unrolled: 1-line block ×3, first 2 shown]
	v_rcp_f64_e32 v[34:35], v[24:25]
	v_add_f64 v[30:31], v[26:27], v[28:29]
	v_add_f64 v[26:27], v[30:31], -v[26:27]
	v_add_f64 v[26:27], v[28:29], -v[26:27]
	;; [unrolled: 1-line block ×4, first 2 shown]
	v_fma_f64 v[28:29], -v[24:25], v[34:35], 1.0
	v_fmac_f64_e32 v[34:35], v[28:29], v[34:35]
	v_fma_f64 v[28:29], -v[24:25], v[34:35], 1.0
	v_fmac_f64_e32 v[34:35], v[28:29], v[34:35]
	v_mul_f64 v[28:29], v[30:31], v[34:35]
	v_mul_f64 v[32:33], v[24:25], v[28:29]
	v_fma_f64 v[40:41], v[28:29], v[24:25], -v[32:33]
	v_fmac_f64_e32 v[40:41], v[28:29], v[22:23]
	v_add_f64 v[42:43], v[32:33], v[40:41]
	v_add_f64 v[44:45], v[30:31], -v[42:43]
	v_add_f64 v[30:31], v[30:31], -v[44:45]
	;; [unrolled: 1-line block ×4, first 2 shown]
	v_add_f64 v[26:27], v[26:27], v[30:31]
	v_add_f64 v[30:31], v[32:33], -v[40:41]
	v_add_f64 v[26:27], v[30:31], v[26:27]
	v_add_f64 v[30:31], v[44:45], v[26:27]
	v_add_f64 v[32:33], v[44:45], -v[30:31]
	v_add_f64 v[26:27], v[26:27], v[32:33]
	v_mul_f64 v[32:33], v[34:35], v[30:31]
	v_mul_f64 v[40:41], v[24:25], v[32:33]
	v_fma_f64 v[24:25], v[32:33], v[24:25], -v[40:41]
	v_fmac_f64_e32 v[24:25], v[32:33], v[22:23]
	v_add_f64 v[22:23], v[40:41], v[24:25]
	v_add_f64 v[42:43], v[30:31], -v[22:23]
	v_add_f64 v[30:31], v[30:31], -v[42:43]
	v_add_f64 v[40:41], v[22:23], -v[40:41]
	v_add_f64 v[22:23], v[30:31], -v[22:23]
	v_add_f64 v[22:23], v[26:27], v[22:23]
	v_add_f64 v[24:25], v[40:41], -v[24:25]
	v_add_f64 v[22:23], v[24:25], v[22:23]
	v_add_f64 v[24:25], v[28:29], v[32:33]
	;; [unrolled: 1-line block ×3, first 2 shown]
	v_add_f64 v[26:27], v[24:25], -v[28:29]
	v_mul_f64 v[22:23], v[34:35], v[22:23]
	v_add_f64 v[26:27], v[32:33], -v[26:27]
	v_add_f64 v[22:23], v[26:27], v[22:23]
	v_add_f64 v[26:27], v[24:25], v[22:23]
	v_add_f64 v[24:25], v[26:27], -v[24:25]
	s_mov_b32 s4, 0xbf559e2b
	v_add_f64 v[22:23], v[22:23], -v[24:25]
	v_mul_f64 v[24:25], v[26:27], v[26:27]
	v_mov_b32_e32 v28, 0x6b47b09a
	v_mov_b32_e32 v29, 0x3fc38538
	s_mov_b32 s5, 0x3fc3ab76
	v_fmac_f64_e32 v[28:29], s[4:5], v[24:25]
	v_mov_b32_e32 v30, 0xd7f4df2e
	v_mov_b32_e32 v31, 0x3fc7474d
	v_fmac_f64_e32 v[30:31], v[24:25], v[28:29]
	v_mov_b32_e32 v28, 0x16291751
	v_mov_b32_e32 v29, 0x3fcc71c0
	;; [unrolled: 3-line block ×5, first 2 shown]
	v_fmac_f64_e32 v[30:31], v[24:25], v[28:29]
	v_cvt_f64_i32_e32 v[28:29], v46
	s_mov_b32 s23, 0x3fe62e42
	v_mul_f64 v[32:33], v[28:29], s[22:23]
	v_fma_f64 v[34:35], v[28:29], s[22:23], -v[32:33]
	s_mov_b32 s25, 0x3c7abc9e
	v_fmac_f64_e32 v[34:35], s[24:25], v[28:29]
	v_add_f64 v[28:29], v[32:33], v[34:35]
	v_add_f64 v[32:33], v[28:29], -v[32:33]
	v_mul_f64 v[24:25], v[26:27], v[24:25]
	v_add_f64 v[32:33], v[34:35], -v[32:33]
	v_ldexp_f64 v[34:35], v[26:27], 1
	v_mul_f64 v[24:25], v[24:25], v[30:31]
	v_add_f64 v[26:27], v[34:35], v[24:25]
	v_add_f64 v[30:31], v[26:27], -v[34:35]
	v_ldexp_f64 v[22:23], v[22:23], 1
	v_add_f64 v[24:25], v[24:25], -v[30:31]
	v_add_f64 v[22:23], v[22:23], v[24:25]
	v_add_f64 v[24:25], v[26:27], v[22:23]
	v_add_f64 v[26:27], v[24:25], -v[26:27]
	v_add_f64 v[22:23], v[22:23], -v[26:27]
	v_add_f64 v[26:27], v[28:29], v[24:25]
	v_add_f64 v[30:31], v[26:27], -v[28:29]
	v_add_f64 v[34:35], v[26:27], -v[30:31]
	;; [unrolled: 1-line block ×4, first 2 shown]
	v_add_f64 v[24:25], v[24:25], v[28:29]
	v_add_f64 v[28:29], v[32:33], v[22:23]
	v_add_f64 v[30:31], v[28:29], -v[32:33]
	v_add_f64 v[24:25], v[28:29], v[24:25]
	v_add_f64 v[34:35], v[28:29], -v[30:31]
	;; [unrolled: 2-line block ×3, first 2 shown]
	v_add_f64 v[22:23], v[22:23], -v[30:31]
	v_add_f64 v[26:27], v[28:29], -v[26:27]
	v_add_f64 v[22:23], v[22:23], v[32:33]
	v_add_f64 v[24:25], v[24:25], -v[26:27]
	s_mov_b32 s4, 0
	v_add_f64 v[22:23], v[22:23], v[24:25]
	s_mov_b32 s5, 0x7ff00000
	v_add_f64 v[22:23], v[28:29], v[22:23]
	v_cmp_eq_f64_e64 s[4:5], s[4:5], v[12:13]
	v_cndmask_b32_e64 v22, v22, v12, s[4:5]
	v_cndmask_b32_e64 v23, v23, v13, s[4:5]
	v_mov_b32_e32 v24, 0x7ff80000
	v_cmp_ngt_f64_e64 s[4:5], -1.0, v[12:13]
	v_cndmask_b32_e64 v23, v24, v23, s[4:5]
	v_cmp_nge_f64_e64 s[4:5], -1.0, v[12:13]
	v_cndmask_b32_e64 v22, 0, v22, s[4:5]
	v_mov_b32_e32 v24, 0xfff00000
	v_cmp_neq_f64_e64 s[4:5], -1.0, v[12:13]
	v_cndmask_b32_e64 v23, v24, v23, s[4:5]
	v_add_f64 v[12:13], v[0:1], v[22:23]
.LBB39_92:
	s_or_b64 exec, exec, s[20:21]
	v_max_f64 v[0:1], v[12:13], v[12:13]
	v_min_f64 v[22:23], v[0:1], v[36:37]
	v_cmp_u_f64_e64 s[4:5], v[12:13], v[12:13]
	v_max_f64 v[0:1], v[0:1], v[36:37]
	v_cndmask_b32_e64 v22, v22, v12, s[4:5]
	v_cndmask_b32_e64 v23, v23, v13, s[4:5]
	;; [unrolled: 1-line block ×8, first 2 shown]
	v_cmp_neq_f64_e64 s[4:5], v[22:23], v[0:1]
	v_cmp_class_f64_e64 s[18:19], v[22:23], s26
	s_or_b64 s[4:5], s[4:5], s[18:19]
	v_pk_mov_b32 v[6:7], v[12:13], v[12:13] op_sel:[0,1]
	s_and_saveexec_b64 s[20:21], s[4:5]
	s_cbranch_execz .LBB39_94
; %bb.93:
	s_mov_b32 s4, 0x652b82fe
	v_add_f64 v[6:7], v[22:23], -v[0:1]
	s_mov_b32 s5, 0x3ff71547
	v_mul_f64 v[22:23], v[6:7], s[4:5]
	v_rndne_f64_e32 v[22:23], v[22:23]
	s_mov_b32 s23, 0xbfe62e42
	s_mov_b32 s22, 0xfefa39ef
	v_fma_f64 v[24:25], s[22:23], v[22:23], v[6:7]
	s_mov_b32 s25, 0xbc7abc9e
	s_mov_b32 s24, 0x3b39803f
	;; [unrolled: 1-line block ×3, first 2 shown]
	v_fmac_f64_e32 v[24:25], s[24:25], v[22:23]
	v_mov_b32_e32 v26, 0xfca7ab0c
	v_mov_b32_e32 v27, 0x3e928af3
	s_mov_b32 s5, 0x3e5ade15
	v_fmac_f64_e32 v[26:27], s[4:5], v[24:25]
	v_mov_b32_e32 v28, 0x623fde64
	v_mov_b32_e32 v29, 0x3ec71dee
	v_fmac_f64_e32 v[28:29], v[24:25], v[26:27]
	v_mov_b32_e32 v26, 0x7c89e6b0
	v_mov_b32_e32 v27, 0x3efa0199
	;; [unrolled: 3-line block ×8, first 2 shown]
	v_fmac_f64_e32 v[26:27], v[24:25], v[28:29]
	v_fma_f64 v[26:27], v[24:25], v[26:27], 1.0
	s_mov_b32 s4, 0
	s_mov_b32 s18, 0
	v_fma_f64 v[24:25], v[24:25], v[26:27], 1.0
	v_cvt_i32_f64_e32 v22, v[22:23]
	s_mov_b32 s5, 0x40900000
	s_mov_b32 s19, 0xc090cc00
	v_ldexp_f64 v[22:23], v[24:25], v22
	v_mov_b32_e32 v24, 0x7ff00000
	v_cmp_nlt_f64_e64 s[4:5], s[4:5], v[6:7]
	v_cmp_ngt_f64_e64 s[18:19], s[18:19], v[6:7]
	v_cndmask_b32_e64 v23, v24, v23, s[4:5]
	s_and_b64 s[4:5], s[18:19], s[4:5]
	v_cndmask_b32_e64 v7, 0, v23, s[18:19]
	v_cndmask_b32_e64 v6, 0, v22, s[4:5]
	v_add_f64 v[22:23], v[6:7], 1.0
	v_add_f64 v[24:25], v[22:23], -1.0
	v_add_f64 v[26:27], v[24:25], -v[22:23]
	v_add_f64 v[26:27], v[26:27], 1.0
	v_add_f64 v[24:25], v[6:7], -v[24:25]
	s_mov_b32 s4, 0x55555555
	v_add_f64 v[24:25], v[24:25], v[26:27]
	v_frexp_mant_f64_e32 v[26:27], v[22:23]
	s_mov_b32 s5, 0x3fe55555
	v_frexp_exp_i32_f64_e32 v28, v[22:23]
	v_cmp_gt_f64_e64 s[4:5], s[4:5], v[26:27]
	v_subbrev_co_u32_e64 v44, s[4:5], 0, v28, s[4:5]
	v_sub_u32_e32 v26, 0, v44
	v_ldexp_f64 v[22:23], v[22:23], v26
	v_ldexp_f64 v[24:25], v[24:25], v26
	v_add_f64 v[26:27], v[22:23], -1.0
	v_add_f64 v[32:33], v[22:23], 1.0
	v_add_f64 v[28:29], v[26:27], 1.0
	v_add_f64 v[34:35], v[32:33], -1.0
	v_add_f64 v[28:29], v[22:23], -v[28:29]
	v_add_f64 v[22:23], v[22:23], -v[34:35]
	v_add_f64 v[22:23], v[24:25], v[22:23]
	v_add_f64 v[28:29], v[24:25], v[28:29]
	v_add_f64 v[24:25], v[32:33], v[22:23]
	v_rcp_f64_e32 v[34:35], v[24:25]
	v_add_f64 v[30:31], v[26:27], v[28:29]
	v_add_f64 v[26:27], v[30:31], -v[26:27]
	v_add_f64 v[26:27], v[28:29], -v[26:27]
	;; [unrolled: 1-line block ×4, first 2 shown]
	v_fma_f64 v[28:29], -v[24:25], v[34:35], 1.0
	v_fmac_f64_e32 v[34:35], v[28:29], v[34:35]
	v_fma_f64 v[28:29], -v[24:25], v[34:35], 1.0
	v_fmac_f64_e32 v[34:35], v[28:29], v[34:35]
	v_mul_f64 v[28:29], v[30:31], v[34:35]
	v_mul_f64 v[32:33], v[24:25], v[28:29]
	v_fma_f64 v[36:37], v[28:29], v[24:25], -v[32:33]
	v_fmac_f64_e32 v[36:37], v[28:29], v[22:23]
	v_add_f64 v[40:41], v[32:33], v[36:37]
	v_add_f64 v[42:43], v[30:31], -v[40:41]
	v_add_f64 v[30:31], v[30:31], -v[42:43]
	;; [unrolled: 1-line block ×4, first 2 shown]
	v_add_f64 v[26:27], v[26:27], v[30:31]
	v_add_f64 v[30:31], v[32:33], -v[36:37]
	v_add_f64 v[26:27], v[30:31], v[26:27]
	v_add_f64 v[30:31], v[42:43], v[26:27]
	v_add_f64 v[32:33], v[42:43], -v[30:31]
	v_add_f64 v[26:27], v[26:27], v[32:33]
	v_mul_f64 v[32:33], v[34:35], v[30:31]
	v_mul_f64 v[36:37], v[24:25], v[32:33]
	v_fma_f64 v[24:25], v[32:33], v[24:25], -v[36:37]
	v_fmac_f64_e32 v[24:25], v[32:33], v[22:23]
	v_add_f64 v[22:23], v[36:37], v[24:25]
	v_add_f64 v[40:41], v[30:31], -v[22:23]
	v_add_f64 v[30:31], v[30:31], -v[40:41]
	;; [unrolled: 1-line block ×4, first 2 shown]
	v_add_f64 v[22:23], v[26:27], v[22:23]
	v_add_f64 v[24:25], v[36:37], -v[24:25]
	v_add_f64 v[22:23], v[24:25], v[22:23]
	v_add_f64 v[24:25], v[28:29], v[32:33]
	;; [unrolled: 1-line block ×3, first 2 shown]
	v_add_f64 v[26:27], v[24:25], -v[28:29]
	v_mul_f64 v[22:23], v[34:35], v[22:23]
	v_add_f64 v[26:27], v[32:33], -v[26:27]
	v_add_f64 v[22:23], v[26:27], v[22:23]
	v_add_f64 v[26:27], v[24:25], v[22:23]
	v_add_f64 v[24:25], v[26:27], -v[24:25]
	s_mov_b32 s4, 0xbf559e2b
	v_add_f64 v[22:23], v[22:23], -v[24:25]
	v_mul_f64 v[24:25], v[26:27], v[26:27]
	v_mov_b32_e32 v28, 0x6b47b09a
	v_mov_b32_e32 v29, 0x3fc38538
	s_mov_b32 s5, 0x3fc3ab76
	v_fmac_f64_e32 v[28:29], s[4:5], v[24:25]
	v_mov_b32_e32 v30, 0xd7f4df2e
	v_mov_b32_e32 v31, 0x3fc7474d
	v_fmac_f64_e32 v[30:31], v[24:25], v[28:29]
	v_mov_b32_e32 v28, 0x16291751
	v_mov_b32_e32 v29, 0x3fcc71c0
	;; [unrolled: 3-line block ×5, first 2 shown]
	v_fmac_f64_e32 v[30:31], v[24:25], v[28:29]
	v_cvt_f64_i32_e32 v[28:29], v44
	s_mov_b32 s23, 0x3fe62e42
	v_mul_f64 v[32:33], v[28:29], s[22:23]
	v_fma_f64 v[34:35], v[28:29], s[22:23], -v[32:33]
	s_mov_b32 s25, 0x3c7abc9e
	v_fmac_f64_e32 v[34:35], s[24:25], v[28:29]
	v_add_f64 v[28:29], v[32:33], v[34:35]
	v_add_f64 v[32:33], v[28:29], -v[32:33]
	v_mul_f64 v[24:25], v[26:27], v[24:25]
	v_add_f64 v[32:33], v[34:35], -v[32:33]
	v_ldexp_f64 v[34:35], v[26:27], 1
	v_mul_f64 v[24:25], v[24:25], v[30:31]
	v_add_f64 v[26:27], v[34:35], v[24:25]
	v_add_f64 v[30:31], v[26:27], -v[34:35]
	v_ldexp_f64 v[22:23], v[22:23], 1
	v_add_f64 v[24:25], v[24:25], -v[30:31]
	v_add_f64 v[22:23], v[22:23], v[24:25]
	v_add_f64 v[24:25], v[26:27], v[22:23]
	v_add_f64 v[26:27], v[24:25], -v[26:27]
	v_add_f64 v[22:23], v[22:23], -v[26:27]
	v_add_f64 v[26:27], v[28:29], v[24:25]
	v_add_f64 v[30:31], v[26:27], -v[28:29]
	v_add_f64 v[34:35], v[26:27], -v[30:31]
	;; [unrolled: 1-line block ×4, first 2 shown]
	v_add_f64 v[24:25], v[24:25], v[28:29]
	v_add_f64 v[28:29], v[32:33], v[22:23]
	v_add_f64 v[30:31], v[28:29], -v[32:33]
	v_add_f64 v[24:25], v[28:29], v[24:25]
	v_add_f64 v[34:35], v[28:29], -v[30:31]
	;; [unrolled: 2-line block ×3, first 2 shown]
	v_add_f64 v[22:23], v[22:23], -v[30:31]
	v_add_f64 v[26:27], v[28:29], -v[26:27]
	v_add_f64 v[22:23], v[22:23], v[32:33]
	v_add_f64 v[24:25], v[24:25], -v[26:27]
	s_mov_b32 s4, 0
	v_add_f64 v[22:23], v[22:23], v[24:25]
	s_mov_b32 s5, 0x7ff00000
	v_add_f64 v[22:23], v[28:29], v[22:23]
	v_cmp_eq_f64_e64 s[4:5], s[4:5], v[6:7]
	v_cndmask_b32_e64 v22, v22, v6, s[4:5]
	v_cndmask_b32_e64 v23, v23, v7, s[4:5]
	v_mov_b32_e32 v24, 0x7ff80000
	v_cmp_ngt_f64_e64 s[4:5], -1.0, v[6:7]
	v_cndmask_b32_e64 v23, v24, v23, s[4:5]
	v_cmp_nge_f64_e64 s[4:5], -1.0, v[6:7]
	v_cndmask_b32_e64 v22, 0, v22, s[4:5]
	v_mov_b32_e32 v24, 0xfff00000
	v_cmp_neq_f64_e64 s[4:5], -1.0, v[6:7]
	v_cndmask_b32_e64 v23, v24, v23, s[4:5]
	v_add_f64 v[6:7], v[0:1], v[22:23]
.LBB39_94:
	s_or_b64 exec, exec, s[20:21]
	v_max_f64 v[0:1], v[6:7], v[6:7]
	v_min_f64 v[22:23], v[0:1], v[38:39]
	v_cmp_u_f64_e64 s[4:5], v[6:7], v[6:7]
	v_max_f64 v[0:1], v[0:1], v[38:39]
	v_cndmask_b32_e64 v22, v22, v6, s[4:5]
	v_cndmask_b32_e64 v23, v23, v7, s[4:5]
	;; [unrolled: 1-line block ×8, first 2 shown]
	s_movk_i32 s18, 0x1f8
	v_cmp_neq_f64_e64 s[4:5], v[22:23], v[0:1]
	v_cmp_class_f64_e64 s[18:19], v[22:23], s18
	s_or_b64 s[4:5], s[4:5], s[18:19]
	v_pk_mov_b32 v[8:9], v[6:7], v[6:7] op_sel:[0,1]
	s_and_saveexec_b64 s[20:21], s[4:5]
	s_cbranch_execz .LBB39_96
; %bb.95:
	s_mov_b32 s4, 0x652b82fe
	v_add_f64 v[8:9], v[22:23], -v[0:1]
	s_mov_b32 s5, 0x3ff71547
	v_mul_f64 v[22:23], v[8:9], s[4:5]
	v_rndne_f64_e32 v[22:23], v[22:23]
	s_mov_b32 s23, 0xbfe62e42
	s_mov_b32 s22, 0xfefa39ef
	v_fma_f64 v[24:25], s[22:23], v[22:23], v[8:9]
	s_mov_b32 s25, 0xbc7abc9e
	s_mov_b32 s24, 0x3b39803f
	;; [unrolled: 1-line block ×3, first 2 shown]
	v_fmac_f64_e32 v[24:25], s[24:25], v[22:23]
	v_mov_b32_e32 v26, 0xfca7ab0c
	v_mov_b32_e32 v27, 0x3e928af3
	s_mov_b32 s5, 0x3e5ade15
	v_fmac_f64_e32 v[26:27], s[4:5], v[24:25]
	v_mov_b32_e32 v28, 0x623fde64
	v_mov_b32_e32 v29, 0x3ec71dee
	v_fmac_f64_e32 v[28:29], v[24:25], v[26:27]
	v_mov_b32_e32 v26, 0x7c89e6b0
	v_mov_b32_e32 v27, 0x3efa0199
	;; [unrolled: 3-line block ×8, first 2 shown]
	v_fmac_f64_e32 v[26:27], v[24:25], v[28:29]
	v_fma_f64 v[26:27], v[24:25], v[26:27], 1.0
	s_mov_b32 s4, 0
	s_mov_b32 s18, 0
	v_fma_f64 v[24:25], v[24:25], v[26:27], 1.0
	v_cvt_i32_f64_e32 v22, v[22:23]
	s_mov_b32 s5, 0x40900000
	s_mov_b32 s19, 0xc090cc00
	v_ldexp_f64 v[22:23], v[24:25], v22
	v_mov_b32_e32 v24, 0x7ff00000
	v_cmp_nlt_f64_e64 s[4:5], s[4:5], v[8:9]
	v_cmp_ngt_f64_e64 s[18:19], s[18:19], v[8:9]
	v_cndmask_b32_e64 v23, v24, v23, s[4:5]
	s_and_b64 s[4:5], s[18:19], s[4:5]
	v_cndmask_b32_e64 v9, 0, v23, s[18:19]
	v_cndmask_b32_e64 v8, 0, v22, s[4:5]
	v_add_f64 v[22:23], v[8:9], 1.0
	v_add_f64 v[24:25], v[22:23], -1.0
	v_add_f64 v[26:27], v[24:25], -v[22:23]
	v_add_f64 v[26:27], v[26:27], 1.0
	v_add_f64 v[24:25], v[8:9], -v[24:25]
	s_mov_b32 s4, 0x55555555
	v_add_f64 v[24:25], v[24:25], v[26:27]
	v_frexp_mant_f64_e32 v[26:27], v[22:23]
	s_mov_b32 s5, 0x3fe55555
	v_frexp_exp_i32_f64_e32 v28, v[22:23]
	v_cmp_gt_f64_e64 s[4:5], s[4:5], v[26:27]
	v_subbrev_co_u32_e64 v42, s[4:5], 0, v28, s[4:5]
	v_sub_u32_e32 v26, 0, v42
	v_ldexp_f64 v[22:23], v[22:23], v26
	v_ldexp_f64 v[24:25], v[24:25], v26
	v_add_f64 v[26:27], v[22:23], -1.0
	v_add_f64 v[32:33], v[22:23], 1.0
	v_add_f64 v[28:29], v[26:27], 1.0
	v_add_f64 v[34:35], v[32:33], -1.0
	v_add_f64 v[28:29], v[22:23], -v[28:29]
	v_add_f64 v[22:23], v[22:23], -v[34:35]
	v_add_f64 v[22:23], v[24:25], v[22:23]
	v_add_f64 v[28:29], v[24:25], v[28:29]
	;; [unrolled: 1-line block ×3, first 2 shown]
	v_rcp_f64_e32 v[34:35], v[24:25]
	v_add_f64 v[30:31], v[26:27], v[28:29]
	v_add_f64 v[26:27], v[30:31], -v[26:27]
	v_add_f64 v[26:27], v[28:29], -v[26:27]
	;; [unrolled: 1-line block ×4, first 2 shown]
	v_fma_f64 v[28:29], -v[24:25], v[34:35], 1.0
	v_fmac_f64_e32 v[34:35], v[28:29], v[34:35]
	v_fma_f64 v[28:29], -v[24:25], v[34:35], 1.0
	v_fmac_f64_e32 v[34:35], v[28:29], v[34:35]
	v_mul_f64 v[28:29], v[30:31], v[34:35]
	v_mul_f64 v[32:33], v[24:25], v[28:29]
	v_fma_f64 v[36:37], v[28:29], v[24:25], -v[32:33]
	v_fmac_f64_e32 v[36:37], v[28:29], v[22:23]
	v_add_f64 v[38:39], v[32:33], v[36:37]
	v_add_f64 v[40:41], v[30:31], -v[38:39]
	v_add_f64 v[30:31], v[30:31], -v[40:41]
	;; [unrolled: 1-line block ×4, first 2 shown]
	v_add_f64 v[26:27], v[26:27], v[30:31]
	v_add_f64 v[30:31], v[32:33], -v[36:37]
	v_add_f64 v[26:27], v[30:31], v[26:27]
	v_add_f64 v[30:31], v[40:41], v[26:27]
	v_add_f64 v[32:33], v[40:41], -v[30:31]
	v_add_f64 v[26:27], v[26:27], v[32:33]
	v_mul_f64 v[32:33], v[34:35], v[30:31]
	v_mul_f64 v[36:37], v[24:25], v[32:33]
	v_fma_f64 v[24:25], v[32:33], v[24:25], -v[36:37]
	v_fmac_f64_e32 v[24:25], v[32:33], v[22:23]
	v_add_f64 v[22:23], v[36:37], v[24:25]
	v_add_f64 v[38:39], v[30:31], -v[22:23]
	v_add_f64 v[30:31], v[30:31], -v[38:39]
	;; [unrolled: 1-line block ×4, first 2 shown]
	v_add_f64 v[22:23], v[26:27], v[22:23]
	v_add_f64 v[24:25], v[36:37], -v[24:25]
	v_add_f64 v[22:23], v[24:25], v[22:23]
	v_add_f64 v[24:25], v[28:29], v[32:33]
	;; [unrolled: 1-line block ×3, first 2 shown]
	v_add_f64 v[26:27], v[24:25], -v[28:29]
	v_mul_f64 v[22:23], v[34:35], v[22:23]
	v_add_f64 v[26:27], v[32:33], -v[26:27]
	v_add_f64 v[22:23], v[26:27], v[22:23]
	v_add_f64 v[26:27], v[24:25], v[22:23]
	v_add_f64 v[24:25], v[26:27], -v[24:25]
	s_mov_b32 s4, 0xbf559e2b
	v_add_f64 v[22:23], v[22:23], -v[24:25]
	v_mul_f64 v[24:25], v[26:27], v[26:27]
	v_mov_b32_e32 v28, 0x6b47b09a
	v_mov_b32_e32 v29, 0x3fc38538
	s_mov_b32 s5, 0x3fc3ab76
	v_fmac_f64_e32 v[28:29], s[4:5], v[24:25]
	v_mov_b32_e32 v30, 0xd7f4df2e
	v_mov_b32_e32 v31, 0x3fc7474d
	v_fmac_f64_e32 v[30:31], v[24:25], v[28:29]
	v_mov_b32_e32 v28, 0x16291751
	v_mov_b32_e32 v29, 0x3fcc71c0
	;; [unrolled: 3-line block ×5, first 2 shown]
	v_fmac_f64_e32 v[30:31], v[24:25], v[28:29]
	v_cvt_f64_i32_e32 v[28:29], v42
	s_mov_b32 s23, 0x3fe62e42
	v_mul_f64 v[32:33], v[28:29], s[22:23]
	v_fma_f64 v[34:35], v[28:29], s[22:23], -v[32:33]
	s_mov_b32 s25, 0x3c7abc9e
	v_fmac_f64_e32 v[34:35], s[24:25], v[28:29]
	v_add_f64 v[28:29], v[32:33], v[34:35]
	v_add_f64 v[32:33], v[28:29], -v[32:33]
	v_mul_f64 v[24:25], v[26:27], v[24:25]
	v_add_f64 v[32:33], v[34:35], -v[32:33]
	v_ldexp_f64 v[34:35], v[26:27], 1
	v_mul_f64 v[24:25], v[24:25], v[30:31]
	v_add_f64 v[26:27], v[34:35], v[24:25]
	v_add_f64 v[30:31], v[26:27], -v[34:35]
	v_ldexp_f64 v[22:23], v[22:23], 1
	v_add_f64 v[24:25], v[24:25], -v[30:31]
	v_add_f64 v[22:23], v[22:23], v[24:25]
	v_add_f64 v[24:25], v[26:27], v[22:23]
	v_add_f64 v[26:27], v[24:25], -v[26:27]
	v_add_f64 v[22:23], v[22:23], -v[26:27]
	v_add_f64 v[26:27], v[28:29], v[24:25]
	v_add_f64 v[30:31], v[26:27], -v[28:29]
	v_add_f64 v[34:35], v[26:27], -v[30:31]
	;; [unrolled: 1-line block ×4, first 2 shown]
	v_add_f64 v[24:25], v[24:25], v[28:29]
	v_add_f64 v[28:29], v[32:33], v[22:23]
	v_add_f64 v[30:31], v[28:29], -v[32:33]
	v_add_f64 v[24:25], v[28:29], v[24:25]
	v_add_f64 v[34:35], v[28:29], -v[30:31]
	;; [unrolled: 2-line block ×3, first 2 shown]
	v_add_f64 v[22:23], v[22:23], -v[30:31]
	v_add_f64 v[26:27], v[28:29], -v[26:27]
	v_add_f64 v[22:23], v[22:23], v[32:33]
	v_add_f64 v[24:25], v[24:25], -v[26:27]
	s_mov_b32 s4, 0
	v_add_f64 v[22:23], v[22:23], v[24:25]
	s_mov_b32 s5, 0x7ff00000
	v_add_f64 v[22:23], v[28:29], v[22:23]
	v_cmp_eq_f64_e64 s[4:5], s[4:5], v[8:9]
	v_cndmask_b32_e64 v22, v22, v8, s[4:5]
	v_cndmask_b32_e64 v23, v23, v9, s[4:5]
	v_mov_b32_e32 v24, 0x7ff80000
	v_cmp_ngt_f64_e64 s[4:5], -1.0, v[8:9]
	v_cndmask_b32_e64 v23, v24, v23, s[4:5]
	v_cmp_nge_f64_e64 s[4:5], -1.0, v[8:9]
	v_cndmask_b32_e64 v22, 0, v22, s[4:5]
	v_mov_b32_e32 v24, 0xfff00000
	v_cmp_neq_f64_e64 s[4:5], -1.0, v[8:9]
	v_cndmask_b32_e64 v23, v24, v23, s[4:5]
	v_add_f64 v[8:9], v[0:1], v[22:23]
.LBB39_96:
	s_or_b64 exec, exec, s[20:21]
	v_add_u32_e32 v0, v54, v55
	s_waitcnt lgkmcnt(0)
	s_barrier
	ds_write_b128 v0, v[2:5]
	ds_write_b128 v0, v[18:21] offset:16
	ds_write_b128 v0, v[14:17] offset:32
	;; [unrolled: 1-line block ×4, first 2 shown]
	s_waitcnt lgkmcnt(0)
	s_barrier
	ds_read2st64_b64 v[12:15], v54 offset0:2 offset1:4
	ds_read2st64_b64 v[8:11], v54 offset0:6 offset1:8
	;; [unrolled: 1-line block ×4, first 2 shown]
	ds_read_b64 v[16:17], v54 offset:9216
	v_mov_b32_e32 v19, s45
	v_add_co_u32_e64 v18, s[4:5], s44, v54
	v_addc_co_u32_e64 v19, s[4:5], 0, v19, s[4:5]
	s_and_saveexec_b64 s[4:5], vcc
	s_cbranch_execnz .LBB39_107
; %bb.97:
	s_or_b64 exec, exec, s[4:5]
	s_and_saveexec_b64 s[4:5], s[0:1]
	s_cbranch_execnz .LBB39_108
.LBB39_98:
	s_or_b64 exec, exec, s[4:5]
	s_and_saveexec_b64 s[0:1], s[2:3]
	s_cbranch_execnz .LBB39_109
.LBB39_99:
	s_or_b64 exec, exec, s[0:1]
	s_and_saveexec_b64 s[0:1], s[40:41]
	s_cbranch_execnz .LBB39_110
.LBB39_100:
	s_or_b64 exec, exec, s[0:1]
	s_and_saveexec_b64 s[0:1], s[6:7]
	s_cbranch_execnz .LBB39_111
.LBB39_101:
	s_or_b64 exec, exec, s[0:1]
	s_and_saveexec_b64 s[0:1], s[8:9]
	s_cbranch_execnz .LBB39_112
.LBB39_102:
	s_or_b64 exec, exec, s[0:1]
	s_and_saveexec_b64 s[0:1], s[10:11]
	s_cbranch_execnz .LBB39_113
.LBB39_103:
	s_or_b64 exec, exec, s[0:1]
	s_and_saveexec_b64 s[0:1], s[12:13]
	s_cbranch_execnz .LBB39_114
.LBB39_104:
	s_or_b64 exec, exec, s[0:1]
	s_and_saveexec_b64 s[0:1], s[14:15]
	s_cbranch_execnz .LBB39_115
.LBB39_105:
	s_or_b64 exec, exec, s[0:1]
	s_and_saveexec_b64 s[0:1], s[16:17]
	s_cbranch_execnz .LBB39_116
.LBB39_106:
	s_endpgm
.LBB39_107:
	ds_read_b64 v[20:21], v54
	s_waitcnt lgkmcnt(0)
	global_store_dwordx2 v[18:19], v[20:21], off
	s_or_b64 exec, exec, s[4:5]
	s_and_saveexec_b64 s[4:5], s[0:1]
	s_cbranch_execz .LBB39_98
.LBB39_108:
	s_waitcnt lgkmcnt(4)
	global_store_dwordx2 v[18:19], v[12:13], off offset:1024
	s_or_b64 exec, exec, s[4:5]
	s_and_saveexec_b64 s[0:1], s[2:3]
	s_cbranch_execz .LBB39_99
.LBB39_109:
	s_waitcnt lgkmcnt(4)
	global_store_dwordx2 v[18:19], v[14:15], off offset:2048
	s_or_b64 exec, exec, s[0:1]
	s_and_saveexec_b64 s[0:1], s[40:41]
	s_cbranch_execz .LBB39_100
.LBB39_110:
	s_waitcnt lgkmcnt(3)
	global_store_dwordx2 v[18:19], v[8:9], off offset:3072
	s_or_b64 exec, exec, s[0:1]
	s_and_saveexec_b64 s[0:1], s[6:7]
	s_cbranch_execz .LBB39_101
.LBB39_111:
	s_waitcnt lgkmcnt(3)
	v_add_co_u32_e32 v8, vcc, 0x1000, v18
	v_addc_co_u32_e32 v9, vcc, 0, v19, vcc
	global_store_dwordx2 v[8:9], v[10:11], off
	s_or_b64 exec, exec, s[0:1]
	s_and_saveexec_b64 s[0:1], s[8:9]
	s_cbranch_execz .LBB39_102
.LBB39_112:
	s_waitcnt lgkmcnt(3)
	v_add_co_u32_e32 v8, vcc, 0x1000, v18
	v_addc_co_u32_e32 v9, vcc, 0, v19, vcc
	s_waitcnt lgkmcnt(2)
	global_store_dwordx2 v[8:9], v[4:5], off offset:1024
	s_or_b64 exec, exec, s[0:1]
	s_and_saveexec_b64 s[0:1], s[10:11]
	s_cbranch_execz .LBB39_103
.LBB39_113:
	s_waitcnt lgkmcnt(2)
	v_add_co_u32_e32 v4, vcc, 0x1000, v18
	v_addc_co_u32_e32 v5, vcc, 0, v19, vcc
	global_store_dwordx2 v[4:5], v[6:7], off offset:2048
	s_or_b64 exec, exec, s[0:1]
	s_and_saveexec_b64 s[0:1], s[12:13]
	s_cbranch_execz .LBB39_104
.LBB39_114:
	s_waitcnt lgkmcnt(2)
	v_add_co_u32_e32 v4, vcc, 0x1000, v18
	v_addc_co_u32_e32 v5, vcc, 0, v19, vcc
	s_waitcnt lgkmcnt(1)
	global_store_dwordx2 v[4:5], v[0:1], off offset:3072
	s_or_b64 exec, exec, s[0:1]
	s_and_saveexec_b64 s[0:1], s[14:15]
	s_cbranch_execz .LBB39_105
.LBB39_115:
	s_waitcnt lgkmcnt(1)
	v_add_co_u32_e32 v0, vcc, 0x2000, v18
	v_addc_co_u32_e32 v1, vcc, 0, v19, vcc
	global_store_dwordx2 v[0:1], v[2:3], off
	s_or_b64 exec, exec, s[0:1]
	s_and_saveexec_b64 s[0:1], s[16:17]
	s_cbranch_execz .LBB39_106
.LBB39_116:
	s_waitcnt lgkmcnt(1)
	v_add_co_u32_e32 v0, vcc, 0x2000, v18
	v_addc_co_u32_e32 v1, vcc, 0, v19, vcc
	s_waitcnt lgkmcnt(0)
	global_store_dwordx2 v[0:1], v[16:17], off offset:1024
	s_endpgm
	.section	.rodata,"a",@progbits
	.p2align	6, 0x0
	.amdhsa_kernel _ZN7rocprim17ROCPRIM_400000_NS6detail17trampoline_kernelINS0_14default_configENS1_20scan_config_selectorIdEEZZNS1_9scan_implILNS1_25lookback_scan_determinismE0ELb0ELb0ES3_PKdPddZZZN2at6native31launch_logcumsumexp_cuda_kernelERKNSB_10TensorBaseESF_lENKUlvE_clEvENKUlvE_clEvEUlddE_dEEDaPvRmT3_T4_T5_mT6_P12ihipStream_tbENKUlT_T0_E_clISt17integral_constantIbLb1EESW_EEDaSR_SS_EUlSR_E0_NS1_11comp_targetILNS1_3genE4ELNS1_11target_archE910ELNS1_3gpuE8ELNS1_3repE0EEENS1_30default_config_static_selectorELNS0_4arch9wavefront6targetE1EEEvT1_
		.amdhsa_group_segment_fixed_size 10240
		.amdhsa_private_segment_fixed_size 0
		.amdhsa_kernarg_size 40
		.amdhsa_user_sgpr_count 6
		.amdhsa_user_sgpr_private_segment_buffer 1
		.amdhsa_user_sgpr_dispatch_ptr 0
		.amdhsa_user_sgpr_queue_ptr 0
		.amdhsa_user_sgpr_kernarg_segment_ptr 1
		.amdhsa_user_sgpr_dispatch_id 0
		.amdhsa_user_sgpr_flat_scratch_init 0
		.amdhsa_user_sgpr_kernarg_preload_length 0
		.amdhsa_user_sgpr_kernarg_preload_offset 0
		.amdhsa_user_sgpr_private_segment_size 0
		.amdhsa_uses_dynamic_stack 0
		.amdhsa_system_sgpr_private_segment_wavefront_offset 0
		.amdhsa_system_sgpr_workgroup_id_x 1
		.amdhsa_system_sgpr_workgroup_id_y 0
		.amdhsa_system_sgpr_workgroup_id_z 0
		.amdhsa_system_sgpr_workgroup_info 0
		.amdhsa_system_vgpr_workitem_id 0
		.amdhsa_next_free_vgpr 76
		.amdhsa_next_free_sgpr 56
		.amdhsa_accum_offset 76
		.amdhsa_reserve_vcc 1
		.amdhsa_reserve_flat_scratch 0
		.amdhsa_float_round_mode_32 0
		.amdhsa_float_round_mode_16_64 0
		.amdhsa_float_denorm_mode_32 3
		.amdhsa_float_denorm_mode_16_64 3
		.amdhsa_dx10_clamp 1
		.amdhsa_ieee_mode 1
		.amdhsa_fp16_overflow 0
		.amdhsa_tg_split 0
		.amdhsa_exception_fp_ieee_invalid_op 0
		.amdhsa_exception_fp_denorm_src 0
		.amdhsa_exception_fp_ieee_div_zero 0
		.amdhsa_exception_fp_ieee_overflow 0
		.amdhsa_exception_fp_ieee_underflow 0
		.amdhsa_exception_fp_ieee_inexact 0
		.amdhsa_exception_int_div_zero 0
	.end_amdhsa_kernel
	.section	.text._ZN7rocprim17ROCPRIM_400000_NS6detail17trampoline_kernelINS0_14default_configENS1_20scan_config_selectorIdEEZZNS1_9scan_implILNS1_25lookback_scan_determinismE0ELb0ELb0ES3_PKdPddZZZN2at6native31launch_logcumsumexp_cuda_kernelERKNSB_10TensorBaseESF_lENKUlvE_clEvENKUlvE_clEvEUlddE_dEEDaPvRmT3_T4_T5_mT6_P12ihipStream_tbENKUlT_T0_E_clISt17integral_constantIbLb1EESW_EEDaSR_SS_EUlSR_E0_NS1_11comp_targetILNS1_3genE4ELNS1_11target_archE910ELNS1_3gpuE8ELNS1_3repE0EEENS1_30default_config_static_selectorELNS0_4arch9wavefront6targetE1EEEvT1_,"axG",@progbits,_ZN7rocprim17ROCPRIM_400000_NS6detail17trampoline_kernelINS0_14default_configENS1_20scan_config_selectorIdEEZZNS1_9scan_implILNS1_25lookback_scan_determinismE0ELb0ELb0ES3_PKdPddZZZN2at6native31launch_logcumsumexp_cuda_kernelERKNSB_10TensorBaseESF_lENKUlvE_clEvENKUlvE_clEvEUlddE_dEEDaPvRmT3_T4_T5_mT6_P12ihipStream_tbENKUlT_T0_E_clISt17integral_constantIbLb1EESW_EEDaSR_SS_EUlSR_E0_NS1_11comp_targetILNS1_3genE4ELNS1_11target_archE910ELNS1_3gpuE8ELNS1_3repE0EEENS1_30default_config_static_selectorELNS0_4arch9wavefront6targetE1EEEvT1_,comdat
.Lfunc_end39:
	.size	_ZN7rocprim17ROCPRIM_400000_NS6detail17trampoline_kernelINS0_14default_configENS1_20scan_config_selectorIdEEZZNS1_9scan_implILNS1_25lookback_scan_determinismE0ELb0ELb0ES3_PKdPddZZZN2at6native31launch_logcumsumexp_cuda_kernelERKNSB_10TensorBaseESF_lENKUlvE_clEvENKUlvE_clEvEUlddE_dEEDaPvRmT3_T4_T5_mT6_P12ihipStream_tbENKUlT_T0_E_clISt17integral_constantIbLb1EESW_EEDaSR_SS_EUlSR_E0_NS1_11comp_targetILNS1_3genE4ELNS1_11target_archE910ELNS1_3gpuE8ELNS1_3repE0EEENS1_30default_config_static_selectorELNS0_4arch9wavefront6targetE1EEEvT1_, .Lfunc_end39-_ZN7rocprim17ROCPRIM_400000_NS6detail17trampoline_kernelINS0_14default_configENS1_20scan_config_selectorIdEEZZNS1_9scan_implILNS1_25lookback_scan_determinismE0ELb0ELb0ES3_PKdPddZZZN2at6native31launch_logcumsumexp_cuda_kernelERKNSB_10TensorBaseESF_lENKUlvE_clEvENKUlvE_clEvEUlddE_dEEDaPvRmT3_T4_T5_mT6_P12ihipStream_tbENKUlT_T0_E_clISt17integral_constantIbLb1EESW_EEDaSR_SS_EUlSR_E0_NS1_11comp_targetILNS1_3genE4ELNS1_11target_archE910ELNS1_3gpuE8ELNS1_3repE0EEENS1_30default_config_static_selectorELNS0_4arch9wavefront6targetE1EEEvT1_
                                        ; -- End function
	.section	.AMDGPU.csdata,"",@progbits
; Kernel info:
; codeLenInByte = 44864
; NumSgprs: 60
; NumVgprs: 76
; NumAgprs: 0
; TotalNumVgprs: 76
; ScratchSize: 0
; MemoryBound: 0
; FloatMode: 240
; IeeeMode: 1
; LDSByteSize: 10240 bytes/workgroup (compile time only)
; SGPRBlocks: 7
; VGPRBlocks: 9
; NumSGPRsForWavesPerEU: 60
; NumVGPRsForWavesPerEU: 76
; AccumOffset: 76
; Occupancy: 3
; WaveLimiterHint : 0
; COMPUTE_PGM_RSRC2:SCRATCH_EN: 0
; COMPUTE_PGM_RSRC2:USER_SGPR: 6
; COMPUTE_PGM_RSRC2:TRAP_HANDLER: 0
; COMPUTE_PGM_RSRC2:TGID_X_EN: 1
; COMPUTE_PGM_RSRC2:TGID_Y_EN: 0
; COMPUTE_PGM_RSRC2:TGID_Z_EN: 0
; COMPUTE_PGM_RSRC2:TIDIG_COMP_CNT: 0
; COMPUTE_PGM_RSRC3_GFX90A:ACCUM_OFFSET: 18
; COMPUTE_PGM_RSRC3_GFX90A:TG_SPLIT: 0
	.section	.text._ZN7rocprim17ROCPRIM_400000_NS6detail17trampoline_kernelINS0_14default_configENS1_20scan_config_selectorIdEEZZNS1_9scan_implILNS1_25lookback_scan_determinismE0ELb0ELb0ES3_PKdPddZZZN2at6native31launch_logcumsumexp_cuda_kernelERKNSB_10TensorBaseESF_lENKUlvE_clEvENKUlvE_clEvEUlddE_dEEDaPvRmT3_T4_T5_mT6_P12ihipStream_tbENKUlT_T0_E_clISt17integral_constantIbLb1EESW_EEDaSR_SS_EUlSR_E0_NS1_11comp_targetILNS1_3genE3ELNS1_11target_archE908ELNS1_3gpuE7ELNS1_3repE0EEENS1_30default_config_static_selectorELNS0_4arch9wavefront6targetE1EEEvT1_,"axG",@progbits,_ZN7rocprim17ROCPRIM_400000_NS6detail17trampoline_kernelINS0_14default_configENS1_20scan_config_selectorIdEEZZNS1_9scan_implILNS1_25lookback_scan_determinismE0ELb0ELb0ES3_PKdPddZZZN2at6native31launch_logcumsumexp_cuda_kernelERKNSB_10TensorBaseESF_lENKUlvE_clEvENKUlvE_clEvEUlddE_dEEDaPvRmT3_T4_T5_mT6_P12ihipStream_tbENKUlT_T0_E_clISt17integral_constantIbLb1EESW_EEDaSR_SS_EUlSR_E0_NS1_11comp_targetILNS1_3genE3ELNS1_11target_archE908ELNS1_3gpuE7ELNS1_3repE0EEENS1_30default_config_static_selectorELNS0_4arch9wavefront6targetE1EEEvT1_,comdat
	.globl	_ZN7rocprim17ROCPRIM_400000_NS6detail17trampoline_kernelINS0_14default_configENS1_20scan_config_selectorIdEEZZNS1_9scan_implILNS1_25lookback_scan_determinismE0ELb0ELb0ES3_PKdPddZZZN2at6native31launch_logcumsumexp_cuda_kernelERKNSB_10TensorBaseESF_lENKUlvE_clEvENKUlvE_clEvEUlddE_dEEDaPvRmT3_T4_T5_mT6_P12ihipStream_tbENKUlT_T0_E_clISt17integral_constantIbLb1EESW_EEDaSR_SS_EUlSR_E0_NS1_11comp_targetILNS1_3genE3ELNS1_11target_archE908ELNS1_3gpuE7ELNS1_3repE0EEENS1_30default_config_static_selectorELNS0_4arch9wavefront6targetE1EEEvT1_ ; -- Begin function _ZN7rocprim17ROCPRIM_400000_NS6detail17trampoline_kernelINS0_14default_configENS1_20scan_config_selectorIdEEZZNS1_9scan_implILNS1_25lookback_scan_determinismE0ELb0ELb0ES3_PKdPddZZZN2at6native31launch_logcumsumexp_cuda_kernelERKNSB_10TensorBaseESF_lENKUlvE_clEvENKUlvE_clEvEUlddE_dEEDaPvRmT3_T4_T5_mT6_P12ihipStream_tbENKUlT_T0_E_clISt17integral_constantIbLb1EESW_EEDaSR_SS_EUlSR_E0_NS1_11comp_targetILNS1_3genE3ELNS1_11target_archE908ELNS1_3gpuE7ELNS1_3repE0EEENS1_30default_config_static_selectorELNS0_4arch9wavefront6targetE1EEEvT1_
	.p2align	8
	.type	_ZN7rocprim17ROCPRIM_400000_NS6detail17trampoline_kernelINS0_14default_configENS1_20scan_config_selectorIdEEZZNS1_9scan_implILNS1_25lookback_scan_determinismE0ELb0ELb0ES3_PKdPddZZZN2at6native31launch_logcumsumexp_cuda_kernelERKNSB_10TensorBaseESF_lENKUlvE_clEvENKUlvE_clEvEUlddE_dEEDaPvRmT3_T4_T5_mT6_P12ihipStream_tbENKUlT_T0_E_clISt17integral_constantIbLb1EESW_EEDaSR_SS_EUlSR_E0_NS1_11comp_targetILNS1_3genE3ELNS1_11target_archE908ELNS1_3gpuE7ELNS1_3repE0EEENS1_30default_config_static_selectorELNS0_4arch9wavefront6targetE1EEEvT1_,@function
_ZN7rocprim17ROCPRIM_400000_NS6detail17trampoline_kernelINS0_14default_configENS1_20scan_config_selectorIdEEZZNS1_9scan_implILNS1_25lookback_scan_determinismE0ELb0ELb0ES3_PKdPddZZZN2at6native31launch_logcumsumexp_cuda_kernelERKNSB_10TensorBaseESF_lENKUlvE_clEvENKUlvE_clEvEUlddE_dEEDaPvRmT3_T4_T5_mT6_P12ihipStream_tbENKUlT_T0_E_clISt17integral_constantIbLb1EESW_EEDaSR_SS_EUlSR_E0_NS1_11comp_targetILNS1_3genE3ELNS1_11target_archE908ELNS1_3gpuE7ELNS1_3repE0EEENS1_30default_config_static_selectorELNS0_4arch9wavefront6targetE1EEEvT1_: ; @_ZN7rocprim17ROCPRIM_400000_NS6detail17trampoline_kernelINS0_14default_configENS1_20scan_config_selectorIdEEZZNS1_9scan_implILNS1_25lookback_scan_determinismE0ELb0ELb0ES3_PKdPddZZZN2at6native31launch_logcumsumexp_cuda_kernelERKNSB_10TensorBaseESF_lENKUlvE_clEvENKUlvE_clEvEUlddE_dEEDaPvRmT3_T4_T5_mT6_P12ihipStream_tbENKUlT_T0_E_clISt17integral_constantIbLb1EESW_EEDaSR_SS_EUlSR_E0_NS1_11comp_targetILNS1_3genE3ELNS1_11target_archE908ELNS1_3gpuE7ELNS1_3repE0EEENS1_30default_config_static_selectorELNS0_4arch9wavefront6targetE1EEEvT1_
; %bb.0:
	.section	.rodata,"a",@progbits
	.p2align	6, 0x0
	.amdhsa_kernel _ZN7rocprim17ROCPRIM_400000_NS6detail17trampoline_kernelINS0_14default_configENS1_20scan_config_selectorIdEEZZNS1_9scan_implILNS1_25lookback_scan_determinismE0ELb0ELb0ES3_PKdPddZZZN2at6native31launch_logcumsumexp_cuda_kernelERKNSB_10TensorBaseESF_lENKUlvE_clEvENKUlvE_clEvEUlddE_dEEDaPvRmT3_T4_T5_mT6_P12ihipStream_tbENKUlT_T0_E_clISt17integral_constantIbLb1EESW_EEDaSR_SS_EUlSR_E0_NS1_11comp_targetILNS1_3genE3ELNS1_11target_archE908ELNS1_3gpuE7ELNS1_3repE0EEENS1_30default_config_static_selectorELNS0_4arch9wavefront6targetE1EEEvT1_
		.amdhsa_group_segment_fixed_size 0
		.amdhsa_private_segment_fixed_size 0
		.amdhsa_kernarg_size 40
		.amdhsa_user_sgpr_count 6
		.amdhsa_user_sgpr_private_segment_buffer 1
		.amdhsa_user_sgpr_dispatch_ptr 0
		.amdhsa_user_sgpr_queue_ptr 0
		.amdhsa_user_sgpr_kernarg_segment_ptr 1
		.amdhsa_user_sgpr_dispatch_id 0
		.amdhsa_user_sgpr_flat_scratch_init 0
		.amdhsa_user_sgpr_kernarg_preload_length 0
		.amdhsa_user_sgpr_kernarg_preload_offset 0
		.amdhsa_user_sgpr_private_segment_size 0
		.amdhsa_uses_dynamic_stack 0
		.amdhsa_system_sgpr_private_segment_wavefront_offset 0
		.amdhsa_system_sgpr_workgroup_id_x 1
		.amdhsa_system_sgpr_workgroup_id_y 0
		.amdhsa_system_sgpr_workgroup_id_z 0
		.amdhsa_system_sgpr_workgroup_info 0
		.amdhsa_system_vgpr_workitem_id 0
		.amdhsa_next_free_vgpr 1
		.amdhsa_next_free_sgpr 0
		.amdhsa_accum_offset 4
		.amdhsa_reserve_vcc 0
		.amdhsa_reserve_flat_scratch 0
		.amdhsa_float_round_mode_32 0
		.amdhsa_float_round_mode_16_64 0
		.amdhsa_float_denorm_mode_32 3
		.amdhsa_float_denorm_mode_16_64 3
		.amdhsa_dx10_clamp 1
		.amdhsa_ieee_mode 1
		.amdhsa_fp16_overflow 0
		.amdhsa_tg_split 0
		.amdhsa_exception_fp_ieee_invalid_op 0
		.amdhsa_exception_fp_denorm_src 0
		.amdhsa_exception_fp_ieee_div_zero 0
		.amdhsa_exception_fp_ieee_overflow 0
		.amdhsa_exception_fp_ieee_underflow 0
		.amdhsa_exception_fp_ieee_inexact 0
		.amdhsa_exception_int_div_zero 0
	.end_amdhsa_kernel
	.section	.text._ZN7rocprim17ROCPRIM_400000_NS6detail17trampoline_kernelINS0_14default_configENS1_20scan_config_selectorIdEEZZNS1_9scan_implILNS1_25lookback_scan_determinismE0ELb0ELb0ES3_PKdPddZZZN2at6native31launch_logcumsumexp_cuda_kernelERKNSB_10TensorBaseESF_lENKUlvE_clEvENKUlvE_clEvEUlddE_dEEDaPvRmT3_T4_T5_mT6_P12ihipStream_tbENKUlT_T0_E_clISt17integral_constantIbLb1EESW_EEDaSR_SS_EUlSR_E0_NS1_11comp_targetILNS1_3genE3ELNS1_11target_archE908ELNS1_3gpuE7ELNS1_3repE0EEENS1_30default_config_static_selectorELNS0_4arch9wavefront6targetE1EEEvT1_,"axG",@progbits,_ZN7rocprim17ROCPRIM_400000_NS6detail17trampoline_kernelINS0_14default_configENS1_20scan_config_selectorIdEEZZNS1_9scan_implILNS1_25lookback_scan_determinismE0ELb0ELb0ES3_PKdPddZZZN2at6native31launch_logcumsumexp_cuda_kernelERKNSB_10TensorBaseESF_lENKUlvE_clEvENKUlvE_clEvEUlddE_dEEDaPvRmT3_T4_T5_mT6_P12ihipStream_tbENKUlT_T0_E_clISt17integral_constantIbLb1EESW_EEDaSR_SS_EUlSR_E0_NS1_11comp_targetILNS1_3genE3ELNS1_11target_archE908ELNS1_3gpuE7ELNS1_3repE0EEENS1_30default_config_static_selectorELNS0_4arch9wavefront6targetE1EEEvT1_,comdat
.Lfunc_end40:
	.size	_ZN7rocprim17ROCPRIM_400000_NS6detail17trampoline_kernelINS0_14default_configENS1_20scan_config_selectorIdEEZZNS1_9scan_implILNS1_25lookback_scan_determinismE0ELb0ELb0ES3_PKdPddZZZN2at6native31launch_logcumsumexp_cuda_kernelERKNSB_10TensorBaseESF_lENKUlvE_clEvENKUlvE_clEvEUlddE_dEEDaPvRmT3_T4_T5_mT6_P12ihipStream_tbENKUlT_T0_E_clISt17integral_constantIbLb1EESW_EEDaSR_SS_EUlSR_E0_NS1_11comp_targetILNS1_3genE3ELNS1_11target_archE908ELNS1_3gpuE7ELNS1_3repE0EEENS1_30default_config_static_selectorELNS0_4arch9wavefront6targetE1EEEvT1_, .Lfunc_end40-_ZN7rocprim17ROCPRIM_400000_NS6detail17trampoline_kernelINS0_14default_configENS1_20scan_config_selectorIdEEZZNS1_9scan_implILNS1_25lookback_scan_determinismE0ELb0ELb0ES3_PKdPddZZZN2at6native31launch_logcumsumexp_cuda_kernelERKNSB_10TensorBaseESF_lENKUlvE_clEvENKUlvE_clEvEUlddE_dEEDaPvRmT3_T4_T5_mT6_P12ihipStream_tbENKUlT_T0_E_clISt17integral_constantIbLb1EESW_EEDaSR_SS_EUlSR_E0_NS1_11comp_targetILNS1_3genE3ELNS1_11target_archE908ELNS1_3gpuE7ELNS1_3repE0EEENS1_30default_config_static_selectorELNS0_4arch9wavefront6targetE1EEEvT1_
                                        ; -- End function
	.section	.AMDGPU.csdata,"",@progbits
; Kernel info:
; codeLenInByte = 0
; NumSgprs: 4
; NumVgprs: 0
; NumAgprs: 0
; TotalNumVgprs: 0
; ScratchSize: 0
; MemoryBound: 0
; FloatMode: 240
; IeeeMode: 1
; LDSByteSize: 0 bytes/workgroup (compile time only)
; SGPRBlocks: 0
; VGPRBlocks: 0
; NumSGPRsForWavesPerEU: 4
; NumVGPRsForWavesPerEU: 1
; AccumOffset: 4
; Occupancy: 8
; WaveLimiterHint : 0
; COMPUTE_PGM_RSRC2:SCRATCH_EN: 0
; COMPUTE_PGM_RSRC2:USER_SGPR: 6
; COMPUTE_PGM_RSRC2:TRAP_HANDLER: 0
; COMPUTE_PGM_RSRC2:TGID_X_EN: 1
; COMPUTE_PGM_RSRC2:TGID_Y_EN: 0
; COMPUTE_PGM_RSRC2:TGID_Z_EN: 0
; COMPUTE_PGM_RSRC2:TIDIG_COMP_CNT: 0
; COMPUTE_PGM_RSRC3_GFX90A:ACCUM_OFFSET: 0
; COMPUTE_PGM_RSRC3_GFX90A:TG_SPLIT: 0
	.section	.text._ZN7rocprim17ROCPRIM_400000_NS6detail17trampoline_kernelINS0_14default_configENS1_20scan_config_selectorIdEEZZNS1_9scan_implILNS1_25lookback_scan_determinismE0ELb0ELb0ES3_PKdPddZZZN2at6native31launch_logcumsumexp_cuda_kernelERKNSB_10TensorBaseESF_lENKUlvE_clEvENKUlvE_clEvEUlddE_dEEDaPvRmT3_T4_T5_mT6_P12ihipStream_tbENKUlT_T0_E_clISt17integral_constantIbLb1EESW_EEDaSR_SS_EUlSR_E0_NS1_11comp_targetILNS1_3genE2ELNS1_11target_archE906ELNS1_3gpuE6ELNS1_3repE0EEENS1_30default_config_static_selectorELNS0_4arch9wavefront6targetE1EEEvT1_,"axG",@progbits,_ZN7rocprim17ROCPRIM_400000_NS6detail17trampoline_kernelINS0_14default_configENS1_20scan_config_selectorIdEEZZNS1_9scan_implILNS1_25lookback_scan_determinismE0ELb0ELb0ES3_PKdPddZZZN2at6native31launch_logcumsumexp_cuda_kernelERKNSB_10TensorBaseESF_lENKUlvE_clEvENKUlvE_clEvEUlddE_dEEDaPvRmT3_T4_T5_mT6_P12ihipStream_tbENKUlT_T0_E_clISt17integral_constantIbLb1EESW_EEDaSR_SS_EUlSR_E0_NS1_11comp_targetILNS1_3genE2ELNS1_11target_archE906ELNS1_3gpuE6ELNS1_3repE0EEENS1_30default_config_static_selectorELNS0_4arch9wavefront6targetE1EEEvT1_,comdat
	.globl	_ZN7rocprim17ROCPRIM_400000_NS6detail17trampoline_kernelINS0_14default_configENS1_20scan_config_selectorIdEEZZNS1_9scan_implILNS1_25lookback_scan_determinismE0ELb0ELb0ES3_PKdPddZZZN2at6native31launch_logcumsumexp_cuda_kernelERKNSB_10TensorBaseESF_lENKUlvE_clEvENKUlvE_clEvEUlddE_dEEDaPvRmT3_T4_T5_mT6_P12ihipStream_tbENKUlT_T0_E_clISt17integral_constantIbLb1EESW_EEDaSR_SS_EUlSR_E0_NS1_11comp_targetILNS1_3genE2ELNS1_11target_archE906ELNS1_3gpuE6ELNS1_3repE0EEENS1_30default_config_static_selectorELNS0_4arch9wavefront6targetE1EEEvT1_ ; -- Begin function _ZN7rocprim17ROCPRIM_400000_NS6detail17trampoline_kernelINS0_14default_configENS1_20scan_config_selectorIdEEZZNS1_9scan_implILNS1_25lookback_scan_determinismE0ELb0ELb0ES3_PKdPddZZZN2at6native31launch_logcumsumexp_cuda_kernelERKNSB_10TensorBaseESF_lENKUlvE_clEvENKUlvE_clEvEUlddE_dEEDaPvRmT3_T4_T5_mT6_P12ihipStream_tbENKUlT_T0_E_clISt17integral_constantIbLb1EESW_EEDaSR_SS_EUlSR_E0_NS1_11comp_targetILNS1_3genE2ELNS1_11target_archE906ELNS1_3gpuE6ELNS1_3repE0EEENS1_30default_config_static_selectorELNS0_4arch9wavefront6targetE1EEEvT1_
	.p2align	8
	.type	_ZN7rocprim17ROCPRIM_400000_NS6detail17trampoline_kernelINS0_14default_configENS1_20scan_config_selectorIdEEZZNS1_9scan_implILNS1_25lookback_scan_determinismE0ELb0ELb0ES3_PKdPddZZZN2at6native31launch_logcumsumexp_cuda_kernelERKNSB_10TensorBaseESF_lENKUlvE_clEvENKUlvE_clEvEUlddE_dEEDaPvRmT3_T4_T5_mT6_P12ihipStream_tbENKUlT_T0_E_clISt17integral_constantIbLb1EESW_EEDaSR_SS_EUlSR_E0_NS1_11comp_targetILNS1_3genE2ELNS1_11target_archE906ELNS1_3gpuE6ELNS1_3repE0EEENS1_30default_config_static_selectorELNS0_4arch9wavefront6targetE1EEEvT1_,@function
_ZN7rocprim17ROCPRIM_400000_NS6detail17trampoline_kernelINS0_14default_configENS1_20scan_config_selectorIdEEZZNS1_9scan_implILNS1_25lookback_scan_determinismE0ELb0ELb0ES3_PKdPddZZZN2at6native31launch_logcumsumexp_cuda_kernelERKNSB_10TensorBaseESF_lENKUlvE_clEvENKUlvE_clEvEUlddE_dEEDaPvRmT3_T4_T5_mT6_P12ihipStream_tbENKUlT_T0_E_clISt17integral_constantIbLb1EESW_EEDaSR_SS_EUlSR_E0_NS1_11comp_targetILNS1_3genE2ELNS1_11target_archE906ELNS1_3gpuE6ELNS1_3repE0EEENS1_30default_config_static_selectorELNS0_4arch9wavefront6targetE1EEEvT1_: ; @_ZN7rocprim17ROCPRIM_400000_NS6detail17trampoline_kernelINS0_14default_configENS1_20scan_config_selectorIdEEZZNS1_9scan_implILNS1_25lookback_scan_determinismE0ELb0ELb0ES3_PKdPddZZZN2at6native31launch_logcumsumexp_cuda_kernelERKNSB_10TensorBaseESF_lENKUlvE_clEvENKUlvE_clEvEUlddE_dEEDaPvRmT3_T4_T5_mT6_P12ihipStream_tbENKUlT_T0_E_clISt17integral_constantIbLb1EESW_EEDaSR_SS_EUlSR_E0_NS1_11comp_targetILNS1_3genE2ELNS1_11target_archE906ELNS1_3gpuE6ELNS1_3repE0EEENS1_30default_config_static_selectorELNS0_4arch9wavefront6targetE1EEEvT1_
; %bb.0:
	.section	.rodata,"a",@progbits
	.p2align	6, 0x0
	.amdhsa_kernel _ZN7rocprim17ROCPRIM_400000_NS6detail17trampoline_kernelINS0_14default_configENS1_20scan_config_selectorIdEEZZNS1_9scan_implILNS1_25lookback_scan_determinismE0ELb0ELb0ES3_PKdPddZZZN2at6native31launch_logcumsumexp_cuda_kernelERKNSB_10TensorBaseESF_lENKUlvE_clEvENKUlvE_clEvEUlddE_dEEDaPvRmT3_T4_T5_mT6_P12ihipStream_tbENKUlT_T0_E_clISt17integral_constantIbLb1EESW_EEDaSR_SS_EUlSR_E0_NS1_11comp_targetILNS1_3genE2ELNS1_11target_archE906ELNS1_3gpuE6ELNS1_3repE0EEENS1_30default_config_static_selectorELNS0_4arch9wavefront6targetE1EEEvT1_
		.amdhsa_group_segment_fixed_size 0
		.amdhsa_private_segment_fixed_size 0
		.amdhsa_kernarg_size 40
		.amdhsa_user_sgpr_count 6
		.amdhsa_user_sgpr_private_segment_buffer 1
		.amdhsa_user_sgpr_dispatch_ptr 0
		.amdhsa_user_sgpr_queue_ptr 0
		.amdhsa_user_sgpr_kernarg_segment_ptr 1
		.amdhsa_user_sgpr_dispatch_id 0
		.amdhsa_user_sgpr_flat_scratch_init 0
		.amdhsa_user_sgpr_kernarg_preload_length 0
		.amdhsa_user_sgpr_kernarg_preload_offset 0
		.amdhsa_user_sgpr_private_segment_size 0
		.amdhsa_uses_dynamic_stack 0
		.amdhsa_system_sgpr_private_segment_wavefront_offset 0
		.amdhsa_system_sgpr_workgroup_id_x 1
		.amdhsa_system_sgpr_workgroup_id_y 0
		.amdhsa_system_sgpr_workgroup_id_z 0
		.amdhsa_system_sgpr_workgroup_info 0
		.amdhsa_system_vgpr_workitem_id 0
		.amdhsa_next_free_vgpr 1
		.amdhsa_next_free_sgpr 0
		.amdhsa_accum_offset 4
		.amdhsa_reserve_vcc 0
		.amdhsa_reserve_flat_scratch 0
		.amdhsa_float_round_mode_32 0
		.amdhsa_float_round_mode_16_64 0
		.amdhsa_float_denorm_mode_32 3
		.amdhsa_float_denorm_mode_16_64 3
		.amdhsa_dx10_clamp 1
		.amdhsa_ieee_mode 1
		.amdhsa_fp16_overflow 0
		.amdhsa_tg_split 0
		.amdhsa_exception_fp_ieee_invalid_op 0
		.amdhsa_exception_fp_denorm_src 0
		.amdhsa_exception_fp_ieee_div_zero 0
		.amdhsa_exception_fp_ieee_overflow 0
		.amdhsa_exception_fp_ieee_underflow 0
		.amdhsa_exception_fp_ieee_inexact 0
		.amdhsa_exception_int_div_zero 0
	.end_amdhsa_kernel
	.section	.text._ZN7rocprim17ROCPRIM_400000_NS6detail17trampoline_kernelINS0_14default_configENS1_20scan_config_selectorIdEEZZNS1_9scan_implILNS1_25lookback_scan_determinismE0ELb0ELb0ES3_PKdPddZZZN2at6native31launch_logcumsumexp_cuda_kernelERKNSB_10TensorBaseESF_lENKUlvE_clEvENKUlvE_clEvEUlddE_dEEDaPvRmT3_T4_T5_mT6_P12ihipStream_tbENKUlT_T0_E_clISt17integral_constantIbLb1EESW_EEDaSR_SS_EUlSR_E0_NS1_11comp_targetILNS1_3genE2ELNS1_11target_archE906ELNS1_3gpuE6ELNS1_3repE0EEENS1_30default_config_static_selectorELNS0_4arch9wavefront6targetE1EEEvT1_,"axG",@progbits,_ZN7rocprim17ROCPRIM_400000_NS6detail17trampoline_kernelINS0_14default_configENS1_20scan_config_selectorIdEEZZNS1_9scan_implILNS1_25lookback_scan_determinismE0ELb0ELb0ES3_PKdPddZZZN2at6native31launch_logcumsumexp_cuda_kernelERKNSB_10TensorBaseESF_lENKUlvE_clEvENKUlvE_clEvEUlddE_dEEDaPvRmT3_T4_T5_mT6_P12ihipStream_tbENKUlT_T0_E_clISt17integral_constantIbLb1EESW_EEDaSR_SS_EUlSR_E0_NS1_11comp_targetILNS1_3genE2ELNS1_11target_archE906ELNS1_3gpuE6ELNS1_3repE0EEENS1_30default_config_static_selectorELNS0_4arch9wavefront6targetE1EEEvT1_,comdat
.Lfunc_end41:
	.size	_ZN7rocprim17ROCPRIM_400000_NS6detail17trampoline_kernelINS0_14default_configENS1_20scan_config_selectorIdEEZZNS1_9scan_implILNS1_25lookback_scan_determinismE0ELb0ELb0ES3_PKdPddZZZN2at6native31launch_logcumsumexp_cuda_kernelERKNSB_10TensorBaseESF_lENKUlvE_clEvENKUlvE_clEvEUlddE_dEEDaPvRmT3_T4_T5_mT6_P12ihipStream_tbENKUlT_T0_E_clISt17integral_constantIbLb1EESW_EEDaSR_SS_EUlSR_E0_NS1_11comp_targetILNS1_3genE2ELNS1_11target_archE906ELNS1_3gpuE6ELNS1_3repE0EEENS1_30default_config_static_selectorELNS0_4arch9wavefront6targetE1EEEvT1_, .Lfunc_end41-_ZN7rocprim17ROCPRIM_400000_NS6detail17trampoline_kernelINS0_14default_configENS1_20scan_config_selectorIdEEZZNS1_9scan_implILNS1_25lookback_scan_determinismE0ELb0ELb0ES3_PKdPddZZZN2at6native31launch_logcumsumexp_cuda_kernelERKNSB_10TensorBaseESF_lENKUlvE_clEvENKUlvE_clEvEUlddE_dEEDaPvRmT3_T4_T5_mT6_P12ihipStream_tbENKUlT_T0_E_clISt17integral_constantIbLb1EESW_EEDaSR_SS_EUlSR_E0_NS1_11comp_targetILNS1_3genE2ELNS1_11target_archE906ELNS1_3gpuE6ELNS1_3repE0EEENS1_30default_config_static_selectorELNS0_4arch9wavefront6targetE1EEEvT1_
                                        ; -- End function
	.section	.AMDGPU.csdata,"",@progbits
; Kernel info:
; codeLenInByte = 0
; NumSgprs: 4
; NumVgprs: 0
; NumAgprs: 0
; TotalNumVgprs: 0
; ScratchSize: 0
; MemoryBound: 0
; FloatMode: 240
; IeeeMode: 1
; LDSByteSize: 0 bytes/workgroup (compile time only)
; SGPRBlocks: 0
; VGPRBlocks: 0
; NumSGPRsForWavesPerEU: 4
; NumVGPRsForWavesPerEU: 1
; AccumOffset: 4
; Occupancy: 8
; WaveLimiterHint : 0
; COMPUTE_PGM_RSRC2:SCRATCH_EN: 0
; COMPUTE_PGM_RSRC2:USER_SGPR: 6
; COMPUTE_PGM_RSRC2:TRAP_HANDLER: 0
; COMPUTE_PGM_RSRC2:TGID_X_EN: 1
; COMPUTE_PGM_RSRC2:TGID_Y_EN: 0
; COMPUTE_PGM_RSRC2:TGID_Z_EN: 0
; COMPUTE_PGM_RSRC2:TIDIG_COMP_CNT: 0
; COMPUTE_PGM_RSRC3_GFX90A:ACCUM_OFFSET: 0
; COMPUTE_PGM_RSRC3_GFX90A:TG_SPLIT: 0
	.section	.text._ZN7rocprim17ROCPRIM_400000_NS6detail17trampoline_kernelINS0_14default_configENS1_20scan_config_selectorIdEEZZNS1_9scan_implILNS1_25lookback_scan_determinismE0ELb0ELb0ES3_PKdPddZZZN2at6native31launch_logcumsumexp_cuda_kernelERKNSB_10TensorBaseESF_lENKUlvE_clEvENKUlvE_clEvEUlddE_dEEDaPvRmT3_T4_T5_mT6_P12ihipStream_tbENKUlT_T0_E_clISt17integral_constantIbLb1EESW_EEDaSR_SS_EUlSR_E0_NS1_11comp_targetILNS1_3genE10ELNS1_11target_archE1201ELNS1_3gpuE5ELNS1_3repE0EEENS1_30default_config_static_selectorELNS0_4arch9wavefront6targetE1EEEvT1_,"axG",@progbits,_ZN7rocprim17ROCPRIM_400000_NS6detail17trampoline_kernelINS0_14default_configENS1_20scan_config_selectorIdEEZZNS1_9scan_implILNS1_25lookback_scan_determinismE0ELb0ELb0ES3_PKdPddZZZN2at6native31launch_logcumsumexp_cuda_kernelERKNSB_10TensorBaseESF_lENKUlvE_clEvENKUlvE_clEvEUlddE_dEEDaPvRmT3_T4_T5_mT6_P12ihipStream_tbENKUlT_T0_E_clISt17integral_constantIbLb1EESW_EEDaSR_SS_EUlSR_E0_NS1_11comp_targetILNS1_3genE10ELNS1_11target_archE1201ELNS1_3gpuE5ELNS1_3repE0EEENS1_30default_config_static_selectorELNS0_4arch9wavefront6targetE1EEEvT1_,comdat
	.globl	_ZN7rocprim17ROCPRIM_400000_NS6detail17trampoline_kernelINS0_14default_configENS1_20scan_config_selectorIdEEZZNS1_9scan_implILNS1_25lookback_scan_determinismE0ELb0ELb0ES3_PKdPddZZZN2at6native31launch_logcumsumexp_cuda_kernelERKNSB_10TensorBaseESF_lENKUlvE_clEvENKUlvE_clEvEUlddE_dEEDaPvRmT3_T4_T5_mT6_P12ihipStream_tbENKUlT_T0_E_clISt17integral_constantIbLb1EESW_EEDaSR_SS_EUlSR_E0_NS1_11comp_targetILNS1_3genE10ELNS1_11target_archE1201ELNS1_3gpuE5ELNS1_3repE0EEENS1_30default_config_static_selectorELNS0_4arch9wavefront6targetE1EEEvT1_ ; -- Begin function _ZN7rocprim17ROCPRIM_400000_NS6detail17trampoline_kernelINS0_14default_configENS1_20scan_config_selectorIdEEZZNS1_9scan_implILNS1_25lookback_scan_determinismE0ELb0ELb0ES3_PKdPddZZZN2at6native31launch_logcumsumexp_cuda_kernelERKNSB_10TensorBaseESF_lENKUlvE_clEvENKUlvE_clEvEUlddE_dEEDaPvRmT3_T4_T5_mT6_P12ihipStream_tbENKUlT_T0_E_clISt17integral_constantIbLb1EESW_EEDaSR_SS_EUlSR_E0_NS1_11comp_targetILNS1_3genE10ELNS1_11target_archE1201ELNS1_3gpuE5ELNS1_3repE0EEENS1_30default_config_static_selectorELNS0_4arch9wavefront6targetE1EEEvT1_
	.p2align	8
	.type	_ZN7rocprim17ROCPRIM_400000_NS6detail17trampoline_kernelINS0_14default_configENS1_20scan_config_selectorIdEEZZNS1_9scan_implILNS1_25lookback_scan_determinismE0ELb0ELb0ES3_PKdPddZZZN2at6native31launch_logcumsumexp_cuda_kernelERKNSB_10TensorBaseESF_lENKUlvE_clEvENKUlvE_clEvEUlddE_dEEDaPvRmT3_T4_T5_mT6_P12ihipStream_tbENKUlT_T0_E_clISt17integral_constantIbLb1EESW_EEDaSR_SS_EUlSR_E0_NS1_11comp_targetILNS1_3genE10ELNS1_11target_archE1201ELNS1_3gpuE5ELNS1_3repE0EEENS1_30default_config_static_selectorELNS0_4arch9wavefront6targetE1EEEvT1_,@function
_ZN7rocprim17ROCPRIM_400000_NS6detail17trampoline_kernelINS0_14default_configENS1_20scan_config_selectorIdEEZZNS1_9scan_implILNS1_25lookback_scan_determinismE0ELb0ELb0ES3_PKdPddZZZN2at6native31launch_logcumsumexp_cuda_kernelERKNSB_10TensorBaseESF_lENKUlvE_clEvENKUlvE_clEvEUlddE_dEEDaPvRmT3_T4_T5_mT6_P12ihipStream_tbENKUlT_T0_E_clISt17integral_constantIbLb1EESW_EEDaSR_SS_EUlSR_E0_NS1_11comp_targetILNS1_3genE10ELNS1_11target_archE1201ELNS1_3gpuE5ELNS1_3repE0EEENS1_30default_config_static_selectorELNS0_4arch9wavefront6targetE1EEEvT1_: ; @_ZN7rocprim17ROCPRIM_400000_NS6detail17trampoline_kernelINS0_14default_configENS1_20scan_config_selectorIdEEZZNS1_9scan_implILNS1_25lookback_scan_determinismE0ELb0ELb0ES3_PKdPddZZZN2at6native31launch_logcumsumexp_cuda_kernelERKNSB_10TensorBaseESF_lENKUlvE_clEvENKUlvE_clEvEUlddE_dEEDaPvRmT3_T4_T5_mT6_P12ihipStream_tbENKUlT_T0_E_clISt17integral_constantIbLb1EESW_EEDaSR_SS_EUlSR_E0_NS1_11comp_targetILNS1_3genE10ELNS1_11target_archE1201ELNS1_3gpuE5ELNS1_3repE0EEENS1_30default_config_static_selectorELNS0_4arch9wavefront6targetE1EEEvT1_
; %bb.0:
	.section	.rodata,"a",@progbits
	.p2align	6, 0x0
	.amdhsa_kernel _ZN7rocprim17ROCPRIM_400000_NS6detail17trampoline_kernelINS0_14default_configENS1_20scan_config_selectorIdEEZZNS1_9scan_implILNS1_25lookback_scan_determinismE0ELb0ELb0ES3_PKdPddZZZN2at6native31launch_logcumsumexp_cuda_kernelERKNSB_10TensorBaseESF_lENKUlvE_clEvENKUlvE_clEvEUlddE_dEEDaPvRmT3_T4_T5_mT6_P12ihipStream_tbENKUlT_T0_E_clISt17integral_constantIbLb1EESW_EEDaSR_SS_EUlSR_E0_NS1_11comp_targetILNS1_3genE10ELNS1_11target_archE1201ELNS1_3gpuE5ELNS1_3repE0EEENS1_30default_config_static_selectorELNS0_4arch9wavefront6targetE1EEEvT1_
		.amdhsa_group_segment_fixed_size 0
		.amdhsa_private_segment_fixed_size 0
		.amdhsa_kernarg_size 40
		.amdhsa_user_sgpr_count 6
		.amdhsa_user_sgpr_private_segment_buffer 1
		.amdhsa_user_sgpr_dispatch_ptr 0
		.amdhsa_user_sgpr_queue_ptr 0
		.amdhsa_user_sgpr_kernarg_segment_ptr 1
		.amdhsa_user_sgpr_dispatch_id 0
		.amdhsa_user_sgpr_flat_scratch_init 0
		.amdhsa_user_sgpr_kernarg_preload_length 0
		.amdhsa_user_sgpr_kernarg_preload_offset 0
		.amdhsa_user_sgpr_private_segment_size 0
		.amdhsa_uses_dynamic_stack 0
		.amdhsa_system_sgpr_private_segment_wavefront_offset 0
		.amdhsa_system_sgpr_workgroup_id_x 1
		.amdhsa_system_sgpr_workgroup_id_y 0
		.amdhsa_system_sgpr_workgroup_id_z 0
		.amdhsa_system_sgpr_workgroup_info 0
		.amdhsa_system_vgpr_workitem_id 0
		.amdhsa_next_free_vgpr 1
		.amdhsa_next_free_sgpr 0
		.amdhsa_accum_offset 4
		.amdhsa_reserve_vcc 0
		.amdhsa_reserve_flat_scratch 0
		.amdhsa_float_round_mode_32 0
		.amdhsa_float_round_mode_16_64 0
		.amdhsa_float_denorm_mode_32 3
		.amdhsa_float_denorm_mode_16_64 3
		.amdhsa_dx10_clamp 1
		.amdhsa_ieee_mode 1
		.amdhsa_fp16_overflow 0
		.amdhsa_tg_split 0
		.amdhsa_exception_fp_ieee_invalid_op 0
		.amdhsa_exception_fp_denorm_src 0
		.amdhsa_exception_fp_ieee_div_zero 0
		.amdhsa_exception_fp_ieee_overflow 0
		.amdhsa_exception_fp_ieee_underflow 0
		.amdhsa_exception_fp_ieee_inexact 0
		.amdhsa_exception_int_div_zero 0
	.end_amdhsa_kernel
	.section	.text._ZN7rocprim17ROCPRIM_400000_NS6detail17trampoline_kernelINS0_14default_configENS1_20scan_config_selectorIdEEZZNS1_9scan_implILNS1_25lookback_scan_determinismE0ELb0ELb0ES3_PKdPddZZZN2at6native31launch_logcumsumexp_cuda_kernelERKNSB_10TensorBaseESF_lENKUlvE_clEvENKUlvE_clEvEUlddE_dEEDaPvRmT3_T4_T5_mT6_P12ihipStream_tbENKUlT_T0_E_clISt17integral_constantIbLb1EESW_EEDaSR_SS_EUlSR_E0_NS1_11comp_targetILNS1_3genE10ELNS1_11target_archE1201ELNS1_3gpuE5ELNS1_3repE0EEENS1_30default_config_static_selectorELNS0_4arch9wavefront6targetE1EEEvT1_,"axG",@progbits,_ZN7rocprim17ROCPRIM_400000_NS6detail17trampoline_kernelINS0_14default_configENS1_20scan_config_selectorIdEEZZNS1_9scan_implILNS1_25lookback_scan_determinismE0ELb0ELb0ES3_PKdPddZZZN2at6native31launch_logcumsumexp_cuda_kernelERKNSB_10TensorBaseESF_lENKUlvE_clEvENKUlvE_clEvEUlddE_dEEDaPvRmT3_T4_T5_mT6_P12ihipStream_tbENKUlT_T0_E_clISt17integral_constantIbLb1EESW_EEDaSR_SS_EUlSR_E0_NS1_11comp_targetILNS1_3genE10ELNS1_11target_archE1201ELNS1_3gpuE5ELNS1_3repE0EEENS1_30default_config_static_selectorELNS0_4arch9wavefront6targetE1EEEvT1_,comdat
.Lfunc_end42:
	.size	_ZN7rocprim17ROCPRIM_400000_NS6detail17trampoline_kernelINS0_14default_configENS1_20scan_config_selectorIdEEZZNS1_9scan_implILNS1_25lookback_scan_determinismE0ELb0ELb0ES3_PKdPddZZZN2at6native31launch_logcumsumexp_cuda_kernelERKNSB_10TensorBaseESF_lENKUlvE_clEvENKUlvE_clEvEUlddE_dEEDaPvRmT3_T4_T5_mT6_P12ihipStream_tbENKUlT_T0_E_clISt17integral_constantIbLb1EESW_EEDaSR_SS_EUlSR_E0_NS1_11comp_targetILNS1_3genE10ELNS1_11target_archE1201ELNS1_3gpuE5ELNS1_3repE0EEENS1_30default_config_static_selectorELNS0_4arch9wavefront6targetE1EEEvT1_, .Lfunc_end42-_ZN7rocprim17ROCPRIM_400000_NS6detail17trampoline_kernelINS0_14default_configENS1_20scan_config_selectorIdEEZZNS1_9scan_implILNS1_25lookback_scan_determinismE0ELb0ELb0ES3_PKdPddZZZN2at6native31launch_logcumsumexp_cuda_kernelERKNSB_10TensorBaseESF_lENKUlvE_clEvENKUlvE_clEvEUlddE_dEEDaPvRmT3_T4_T5_mT6_P12ihipStream_tbENKUlT_T0_E_clISt17integral_constantIbLb1EESW_EEDaSR_SS_EUlSR_E0_NS1_11comp_targetILNS1_3genE10ELNS1_11target_archE1201ELNS1_3gpuE5ELNS1_3repE0EEENS1_30default_config_static_selectorELNS0_4arch9wavefront6targetE1EEEvT1_
                                        ; -- End function
	.section	.AMDGPU.csdata,"",@progbits
; Kernel info:
; codeLenInByte = 0
; NumSgprs: 4
; NumVgprs: 0
; NumAgprs: 0
; TotalNumVgprs: 0
; ScratchSize: 0
; MemoryBound: 0
; FloatMode: 240
; IeeeMode: 1
; LDSByteSize: 0 bytes/workgroup (compile time only)
; SGPRBlocks: 0
; VGPRBlocks: 0
; NumSGPRsForWavesPerEU: 4
; NumVGPRsForWavesPerEU: 1
; AccumOffset: 4
; Occupancy: 8
; WaveLimiterHint : 0
; COMPUTE_PGM_RSRC2:SCRATCH_EN: 0
; COMPUTE_PGM_RSRC2:USER_SGPR: 6
; COMPUTE_PGM_RSRC2:TRAP_HANDLER: 0
; COMPUTE_PGM_RSRC2:TGID_X_EN: 1
; COMPUTE_PGM_RSRC2:TGID_Y_EN: 0
; COMPUTE_PGM_RSRC2:TGID_Z_EN: 0
; COMPUTE_PGM_RSRC2:TIDIG_COMP_CNT: 0
; COMPUTE_PGM_RSRC3_GFX90A:ACCUM_OFFSET: 0
; COMPUTE_PGM_RSRC3_GFX90A:TG_SPLIT: 0
	.section	.text._ZN7rocprim17ROCPRIM_400000_NS6detail17trampoline_kernelINS0_14default_configENS1_20scan_config_selectorIdEEZZNS1_9scan_implILNS1_25lookback_scan_determinismE0ELb0ELb0ES3_PKdPddZZZN2at6native31launch_logcumsumexp_cuda_kernelERKNSB_10TensorBaseESF_lENKUlvE_clEvENKUlvE_clEvEUlddE_dEEDaPvRmT3_T4_T5_mT6_P12ihipStream_tbENKUlT_T0_E_clISt17integral_constantIbLb1EESW_EEDaSR_SS_EUlSR_E0_NS1_11comp_targetILNS1_3genE10ELNS1_11target_archE1200ELNS1_3gpuE4ELNS1_3repE0EEENS1_30default_config_static_selectorELNS0_4arch9wavefront6targetE1EEEvT1_,"axG",@progbits,_ZN7rocprim17ROCPRIM_400000_NS6detail17trampoline_kernelINS0_14default_configENS1_20scan_config_selectorIdEEZZNS1_9scan_implILNS1_25lookback_scan_determinismE0ELb0ELb0ES3_PKdPddZZZN2at6native31launch_logcumsumexp_cuda_kernelERKNSB_10TensorBaseESF_lENKUlvE_clEvENKUlvE_clEvEUlddE_dEEDaPvRmT3_T4_T5_mT6_P12ihipStream_tbENKUlT_T0_E_clISt17integral_constantIbLb1EESW_EEDaSR_SS_EUlSR_E0_NS1_11comp_targetILNS1_3genE10ELNS1_11target_archE1200ELNS1_3gpuE4ELNS1_3repE0EEENS1_30default_config_static_selectorELNS0_4arch9wavefront6targetE1EEEvT1_,comdat
	.globl	_ZN7rocprim17ROCPRIM_400000_NS6detail17trampoline_kernelINS0_14default_configENS1_20scan_config_selectorIdEEZZNS1_9scan_implILNS1_25lookback_scan_determinismE0ELb0ELb0ES3_PKdPddZZZN2at6native31launch_logcumsumexp_cuda_kernelERKNSB_10TensorBaseESF_lENKUlvE_clEvENKUlvE_clEvEUlddE_dEEDaPvRmT3_T4_T5_mT6_P12ihipStream_tbENKUlT_T0_E_clISt17integral_constantIbLb1EESW_EEDaSR_SS_EUlSR_E0_NS1_11comp_targetILNS1_3genE10ELNS1_11target_archE1200ELNS1_3gpuE4ELNS1_3repE0EEENS1_30default_config_static_selectorELNS0_4arch9wavefront6targetE1EEEvT1_ ; -- Begin function _ZN7rocprim17ROCPRIM_400000_NS6detail17trampoline_kernelINS0_14default_configENS1_20scan_config_selectorIdEEZZNS1_9scan_implILNS1_25lookback_scan_determinismE0ELb0ELb0ES3_PKdPddZZZN2at6native31launch_logcumsumexp_cuda_kernelERKNSB_10TensorBaseESF_lENKUlvE_clEvENKUlvE_clEvEUlddE_dEEDaPvRmT3_T4_T5_mT6_P12ihipStream_tbENKUlT_T0_E_clISt17integral_constantIbLb1EESW_EEDaSR_SS_EUlSR_E0_NS1_11comp_targetILNS1_3genE10ELNS1_11target_archE1200ELNS1_3gpuE4ELNS1_3repE0EEENS1_30default_config_static_selectorELNS0_4arch9wavefront6targetE1EEEvT1_
	.p2align	8
	.type	_ZN7rocprim17ROCPRIM_400000_NS6detail17trampoline_kernelINS0_14default_configENS1_20scan_config_selectorIdEEZZNS1_9scan_implILNS1_25lookback_scan_determinismE0ELb0ELb0ES3_PKdPddZZZN2at6native31launch_logcumsumexp_cuda_kernelERKNSB_10TensorBaseESF_lENKUlvE_clEvENKUlvE_clEvEUlddE_dEEDaPvRmT3_T4_T5_mT6_P12ihipStream_tbENKUlT_T0_E_clISt17integral_constantIbLb1EESW_EEDaSR_SS_EUlSR_E0_NS1_11comp_targetILNS1_3genE10ELNS1_11target_archE1200ELNS1_3gpuE4ELNS1_3repE0EEENS1_30default_config_static_selectorELNS0_4arch9wavefront6targetE1EEEvT1_,@function
_ZN7rocprim17ROCPRIM_400000_NS6detail17trampoline_kernelINS0_14default_configENS1_20scan_config_selectorIdEEZZNS1_9scan_implILNS1_25lookback_scan_determinismE0ELb0ELb0ES3_PKdPddZZZN2at6native31launch_logcumsumexp_cuda_kernelERKNSB_10TensorBaseESF_lENKUlvE_clEvENKUlvE_clEvEUlddE_dEEDaPvRmT3_T4_T5_mT6_P12ihipStream_tbENKUlT_T0_E_clISt17integral_constantIbLb1EESW_EEDaSR_SS_EUlSR_E0_NS1_11comp_targetILNS1_3genE10ELNS1_11target_archE1200ELNS1_3gpuE4ELNS1_3repE0EEENS1_30default_config_static_selectorELNS0_4arch9wavefront6targetE1EEEvT1_: ; @_ZN7rocprim17ROCPRIM_400000_NS6detail17trampoline_kernelINS0_14default_configENS1_20scan_config_selectorIdEEZZNS1_9scan_implILNS1_25lookback_scan_determinismE0ELb0ELb0ES3_PKdPddZZZN2at6native31launch_logcumsumexp_cuda_kernelERKNSB_10TensorBaseESF_lENKUlvE_clEvENKUlvE_clEvEUlddE_dEEDaPvRmT3_T4_T5_mT6_P12ihipStream_tbENKUlT_T0_E_clISt17integral_constantIbLb1EESW_EEDaSR_SS_EUlSR_E0_NS1_11comp_targetILNS1_3genE10ELNS1_11target_archE1200ELNS1_3gpuE4ELNS1_3repE0EEENS1_30default_config_static_selectorELNS0_4arch9wavefront6targetE1EEEvT1_
; %bb.0:
	.section	.rodata,"a",@progbits
	.p2align	6, 0x0
	.amdhsa_kernel _ZN7rocprim17ROCPRIM_400000_NS6detail17trampoline_kernelINS0_14default_configENS1_20scan_config_selectorIdEEZZNS1_9scan_implILNS1_25lookback_scan_determinismE0ELb0ELb0ES3_PKdPddZZZN2at6native31launch_logcumsumexp_cuda_kernelERKNSB_10TensorBaseESF_lENKUlvE_clEvENKUlvE_clEvEUlddE_dEEDaPvRmT3_T4_T5_mT6_P12ihipStream_tbENKUlT_T0_E_clISt17integral_constantIbLb1EESW_EEDaSR_SS_EUlSR_E0_NS1_11comp_targetILNS1_3genE10ELNS1_11target_archE1200ELNS1_3gpuE4ELNS1_3repE0EEENS1_30default_config_static_selectorELNS0_4arch9wavefront6targetE1EEEvT1_
		.amdhsa_group_segment_fixed_size 0
		.amdhsa_private_segment_fixed_size 0
		.amdhsa_kernarg_size 40
		.amdhsa_user_sgpr_count 6
		.amdhsa_user_sgpr_private_segment_buffer 1
		.amdhsa_user_sgpr_dispatch_ptr 0
		.amdhsa_user_sgpr_queue_ptr 0
		.amdhsa_user_sgpr_kernarg_segment_ptr 1
		.amdhsa_user_sgpr_dispatch_id 0
		.amdhsa_user_sgpr_flat_scratch_init 0
		.amdhsa_user_sgpr_kernarg_preload_length 0
		.amdhsa_user_sgpr_kernarg_preload_offset 0
		.amdhsa_user_sgpr_private_segment_size 0
		.amdhsa_uses_dynamic_stack 0
		.amdhsa_system_sgpr_private_segment_wavefront_offset 0
		.amdhsa_system_sgpr_workgroup_id_x 1
		.amdhsa_system_sgpr_workgroup_id_y 0
		.amdhsa_system_sgpr_workgroup_id_z 0
		.amdhsa_system_sgpr_workgroup_info 0
		.amdhsa_system_vgpr_workitem_id 0
		.amdhsa_next_free_vgpr 1
		.amdhsa_next_free_sgpr 0
		.amdhsa_accum_offset 4
		.amdhsa_reserve_vcc 0
		.amdhsa_reserve_flat_scratch 0
		.amdhsa_float_round_mode_32 0
		.amdhsa_float_round_mode_16_64 0
		.amdhsa_float_denorm_mode_32 3
		.amdhsa_float_denorm_mode_16_64 3
		.amdhsa_dx10_clamp 1
		.amdhsa_ieee_mode 1
		.amdhsa_fp16_overflow 0
		.amdhsa_tg_split 0
		.amdhsa_exception_fp_ieee_invalid_op 0
		.amdhsa_exception_fp_denorm_src 0
		.amdhsa_exception_fp_ieee_div_zero 0
		.amdhsa_exception_fp_ieee_overflow 0
		.amdhsa_exception_fp_ieee_underflow 0
		.amdhsa_exception_fp_ieee_inexact 0
		.amdhsa_exception_int_div_zero 0
	.end_amdhsa_kernel
	.section	.text._ZN7rocprim17ROCPRIM_400000_NS6detail17trampoline_kernelINS0_14default_configENS1_20scan_config_selectorIdEEZZNS1_9scan_implILNS1_25lookback_scan_determinismE0ELb0ELb0ES3_PKdPddZZZN2at6native31launch_logcumsumexp_cuda_kernelERKNSB_10TensorBaseESF_lENKUlvE_clEvENKUlvE_clEvEUlddE_dEEDaPvRmT3_T4_T5_mT6_P12ihipStream_tbENKUlT_T0_E_clISt17integral_constantIbLb1EESW_EEDaSR_SS_EUlSR_E0_NS1_11comp_targetILNS1_3genE10ELNS1_11target_archE1200ELNS1_3gpuE4ELNS1_3repE0EEENS1_30default_config_static_selectorELNS0_4arch9wavefront6targetE1EEEvT1_,"axG",@progbits,_ZN7rocprim17ROCPRIM_400000_NS6detail17trampoline_kernelINS0_14default_configENS1_20scan_config_selectorIdEEZZNS1_9scan_implILNS1_25lookback_scan_determinismE0ELb0ELb0ES3_PKdPddZZZN2at6native31launch_logcumsumexp_cuda_kernelERKNSB_10TensorBaseESF_lENKUlvE_clEvENKUlvE_clEvEUlddE_dEEDaPvRmT3_T4_T5_mT6_P12ihipStream_tbENKUlT_T0_E_clISt17integral_constantIbLb1EESW_EEDaSR_SS_EUlSR_E0_NS1_11comp_targetILNS1_3genE10ELNS1_11target_archE1200ELNS1_3gpuE4ELNS1_3repE0EEENS1_30default_config_static_selectorELNS0_4arch9wavefront6targetE1EEEvT1_,comdat
.Lfunc_end43:
	.size	_ZN7rocprim17ROCPRIM_400000_NS6detail17trampoline_kernelINS0_14default_configENS1_20scan_config_selectorIdEEZZNS1_9scan_implILNS1_25lookback_scan_determinismE0ELb0ELb0ES3_PKdPddZZZN2at6native31launch_logcumsumexp_cuda_kernelERKNSB_10TensorBaseESF_lENKUlvE_clEvENKUlvE_clEvEUlddE_dEEDaPvRmT3_T4_T5_mT6_P12ihipStream_tbENKUlT_T0_E_clISt17integral_constantIbLb1EESW_EEDaSR_SS_EUlSR_E0_NS1_11comp_targetILNS1_3genE10ELNS1_11target_archE1200ELNS1_3gpuE4ELNS1_3repE0EEENS1_30default_config_static_selectorELNS0_4arch9wavefront6targetE1EEEvT1_, .Lfunc_end43-_ZN7rocprim17ROCPRIM_400000_NS6detail17trampoline_kernelINS0_14default_configENS1_20scan_config_selectorIdEEZZNS1_9scan_implILNS1_25lookback_scan_determinismE0ELb0ELb0ES3_PKdPddZZZN2at6native31launch_logcumsumexp_cuda_kernelERKNSB_10TensorBaseESF_lENKUlvE_clEvENKUlvE_clEvEUlddE_dEEDaPvRmT3_T4_T5_mT6_P12ihipStream_tbENKUlT_T0_E_clISt17integral_constantIbLb1EESW_EEDaSR_SS_EUlSR_E0_NS1_11comp_targetILNS1_3genE10ELNS1_11target_archE1200ELNS1_3gpuE4ELNS1_3repE0EEENS1_30default_config_static_selectorELNS0_4arch9wavefront6targetE1EEEvT1_
                                        ; -- End function
	.section	.AMDGPU.csdata,"",@progbits
; Kernel info:
; codeLenInByte = 0
; NumSgprs: 4
; NumVgprs: 0
; NumAgprs: 0
; TotalNumVgprs: 0
; ScratchSize: 0
; MemoryBound: 0
; FloatMode: 240
; IeeeMode: 1
; LDSByteSize: 0 bytes/workgroup (compile time only)
; SGPRBlocks: 0
; VGPRBlocks: 0
; NumSGPRsForWavesPerEU: 4
; NumVGPRsForWavesPerEU: 1
; AccumOffset: 4
; Occupancy: 8
; WaveLimiterHint : 0
; COMPUTE_PGM_RSRC2:SCRATCH_EN: 0
; COMPUTE_PGM_RSRC2:USER_SGPR: 6
; COMPUTE_PGM_RSRC2:TRAP_HANDLER: 0
; COMPUTE_PGM_RSRC2:TGID_X_EN: 1
; COMPUTE_PGM_RSRC2:TGID_Y_EN: 0
; COMPUTE_PGM_RSRC2:TGID_Z_EN: 0
; COMPUTE_PGM_RSRC2:TIDIG_COMP_CNT: 0
; COMPUTE_PGM_RSRC3_GFX90A:ACCUM_OFFSET: 0
; COMPUTE_PGM_RSRC3_GFX90A:TG_SPLIT: 0
	.section	.text._ZN7rocprim17ROCPRIM_400000_NS6detail17trampoline_kernelINS0_14default_configENS1_20scan_config_selectorIdEEZZNS1_9scan_implILNS1_25lookback_scan_determinismE0ELb0ELb0ES3_PKdPddZZZN2at6native31launch_logcumsumexp_cuda_kernelERKNSB_10TensorBaseESF_lENKUlvE_clEvENKUlvE_clEvEUlddE_dEEDaPvRmT3_T4_T5_mT6_P12ihipStream_tbENKUlT_T0_E_clISt17integral_constantIbLb1EESW_EEDaSR_SS_EUlSR_E0_NS1_11comp_targetILNS1_3genE9ELNS1_11target_archE1100ELNS1_3gpuE3ELNS1_3repE0EEENS1_30default_config_static_selectorELNS0_4arch9wavefront6targetE1EEEvT1_,"axG",@progbits,_ZN7rocprim17ROCPRIM_400000_NS6detail17trampoline_kernelINS0_14default_configENS1_20scan_config_selectorIdEEZZNS1_9scan_implILNS1_25lookback_scan_determinismE0ELb0ELb0ES3_PKdPddZZZN2at6native31launch_logcumsumexp_cuda_kernelERKNSB_10TensorBaseESF_lENKUlvE_clEvENKUlvE_clEvEUlddE_dEEDaPvRmT3_T4_T5_mT6_P12ihipStream_tbENKUlT_T0_E_clISt17integral_constantIbLb1EESW_EEDaSR_SS_EUlSR_E0_NS1_11comp_targetILNS1_3genE9ELNS1_11target_archE1100ELNS1_3gpuE3ELNS1_3repE0EEENS1_30default_config_static_selectorELNS0_4arch9wavefront6targetE1EEEvT1_,comdat
	.globl	_ZN7rocprim17ROCPRIM_400000_NS6detail17trampoline_kernelINS0_14default_configENS1_20scan_config_selectorIdEEZZNS1_9scan_implILNS1_25lookback_scan_determinismE0ELb0ELb0ES3_PKdPddZZZN2at6native31launch_logcumsumexp_cuda_kernelERKNSB_10TensorBaseESF_lENKUlvE_clEvENKUlvE_clEvEUlddE_dEEDaPvRmT3_T4_T5_mT6_P12ihipStream_tbENKUlT_T0_E_clISt17integral_constantIbLb1EESW_EEDaSR_SS_EUlSR_E0_NS1_11comp_targetILNS1_3genE9ELNS1_11target_archE1100ELNS1_3gpuE3ELNS1_3repE0EEENS1_30default_config_static_selectorELNS0_4arch9wavefront6targetE1EEEvT1_ ; -- Begin function _ZN7rocprim17ROCPRIM_400000_NS6detail17trampoline_kernelINS0_14default_configENS1_20scan_config_selectorIdEEZZNS1_9scan_implILNS1_25lookback_scan_determinismE0ELb0ELb0ES3_PKdPddZZZN2at6native31launch_logcumsumexp_cuda_kernelERKNSB_10TensorBaseESF_lENKUlvE_clEvENKUlvE_clEvEUlddE_dEEDaPvRmT3_T4_T5_mT6_P12ihipStream_tbENKUlT_T0_E_clISt17integral_constantIbLb1EESW_EEDaSR_SS_EUlSR_E0_NS1_11comp_targetILNS1_3genE9ELNS1_11target_archE1100ELNS1_3gpuE3ELNS1_3repE0EEENS1_30default_config_static_selectorELNS0_4arch9wavefront6targetE1EEEvT1_
	.p2align	8
	.type	_ZN7rocprim17ROCPRIM_400000_NS6detail17trampoline_kernelINS0_14default_configENS1_20scan_config_selectorIdEEZZNS1_9scan_implILNS1_25lookback_scan_determinismE0ELb0ELb0ES3_PKdPddZZZN2at6native31launch_logcumsumexp_cuda_kernelERKNSB_10TensorBaseESF_lENKUlvE_clEvENKUlvE_clEvEUlddE_dEEDaPvRmT3_T4_T5_mT6_P12ihipStream_tbENKUlT_T0_E_clISt17integral_constantIbLb1EESW_EEDaSR_SS_EUlSR_E0_NS1_11comp_targetILNS1_3genE9ELNS1_11target_archE1100ELNS1_3gpuE3ELNS1_3repE0EEENS1_30default_config_static_selectorELNS0_4arch9wavefront6targetE1EEEvT1_,@function
_ZN7rocprim17ROCPRIM_400000_NS6detail17trampoline_kernelINS0_14default_configENS1_20scan_config_selectorIdEEZZNS1_9scan_implILNS1_25lookback_scan_determinismE0ELb0ELb0ES3_PKdPddZZZN2at6native31launch_logcumsumexp_cuda_kernelERKNSB_10TensorBaseESF_lENKUlvE_clEvENKUlvE_clEvEUlddE_dEEDaPvRmT3_T4_T5_mT6_P12ihipStream_tbENKUlT_T0_E_clISt17integral_constantIbLb1EESW_EEDaSR_SS_EUlSR_E0_NS1_11comp_targetILNS1_3genE9ELNS1_11target_archE1100ELNS1_3gpuE3ELNS1_3repE0EEENS1_30default_config_static_selectorELNS0_4arch9wavefront6targetE1EEEvT1_: ; @_ZN7rocprim17ROCPRIM_400000_NS6detail17trampoline_kernelINS0_14default_configENS1_20scan_config_selectorIdEEZZNS1_9scan_implILNS1_25lookback_scan_determinismE0ELb0ELb0ES3_PKdPddZZZN2at6native31launch_logcumsumexp_cuda_kernelERKNSB_10TensorBaseESF_lENKUlvE_clEvENKUlvE_clEvEUlddE_dEEDaPvRmT3_T4_T5_mT6_P12ihipStream_tbENKUlT_T0_E_clISt17integral_constantIbLb1EESW_EEDaSR_SS_EUlSR_E0_NS1_11comp_targetILNS1_3genE9ELNS1_11target_archE1100ELNS1_3gpuE3ELNS1_3repE0EEENS1_30default_config_static_selectorELNS0_4arch9wavefront6targetE1EEEvT1_
; %bb.0:
	.section	.rodata,"a",@progbits
	.p2align	6, 0x0
	.amdhsa_kernel _ZN7rocprim17ROCPRIM_400000_NS6detail17trampoline_kernelINS0_14default_configENS1_20scan_config_selectorIdEEZZNS1_9scan_implILNS1_25lookback_scan_determinismE0ELb0ELb0ES3_PKdPddZZZN2at6native31launch_logcumsumexp_cuda_kernelERKNSB_10TensorBaseESF_lENKUlvE_clEvENKUlvE_clEvEUlddE_dEEDaPvRmT3_T4_T5_mT6_P12ihipStream_tbENKUlT_T0_E_clISt17integral_constantIbLb1EESW_EEDaSR_SS_EUlSR_E0_NS1_11comp_targetILNS1_3genE9ELNS1_11target_archE1100ELNS1_3gpuE3ELNS1_3repE0EEENS1_30default_config_static_selectorELNS0_4arch9wavefront6targetE1EEEvT1_
		.amdhsa_group_segment_fixed_size 0
		.amdhsa_private_segment_fixed_size 0
		.amdhsa_kernarg_size 40
		.amdhsa_user_sgpr_count 6
		.amdhsa_user_sgpr_private_segment_buffer 1
		.amdhsa_user_sgpr_dispatch_ptr 0
		.amdhsa_user_sgpr_queue_ptr 0
		.amdhsa_user_sgpr_kernarg_segment_ptr 1
		.amdhsa_user_sgpr_dispatch_id 0
		.amdhsa_user_sgpr_flat_scratch_init 0
		.amdhsa_user_sgpr_kernarg_preload_length 0
		.amdhsa_user_sgpr_kernarg_preload_offset 0
		.amdhsa_user_sgpr_private_segment_size 0
		.amdhsa_uses_dynamic_stack 0
		.amdhsa_system_sgpr_private_segment_wavefront_offset 0
		.amdhsa_system_sgpr_workgroup_id_x 1
		.amdhsa_system_sgpr_workgroup_id_y 0
		.amdhsa_system_sgpr_workgroup_id_z 0
		.amdhsa_system_sgpr_workgroup_info 0
		.amdhsa_system_vgpr_workitem_id 0
		.amdhsa_next_free_vgpr 1
		.amdhsa_next_free_sgpr 0
		.amdhsa_accum_offset 4
		.amdhsa_reserve_vcc 0
		.amdhsa_reserve_flat_scratch 0
		.amdhsa_float_round_mode_32 0
		.amdhsa_float_round_mode_16_64 0
		.amdhsa_float_denorm_mode_32 3
		.amdhsa_float_denorm_mode_16_64 3
		.amdhsa_dx10_clamp 1
		.amdhsa_ieee_mode 1
		.amdhsa_fp16_overflow 0
		.amdhsa_tg_split 0
		.amdhsa_exception_fp_ieee_invalid_op 0
		.amdhsa_exception_fp_denorm_src 0
		.amdhsa_exception_fp_ieee_div_zero 0
		.amdhsa_exception_fp_ieee_overflow 0
		.amdhsa_exception_fp_ieee_underflow 0
		.amdhsa_exception_fp_ieee_inexact 0
		.amdhsa_exception_int_div_zero 0
	.end_amdhsa_kernel
	.section	.text._ZN7rocprim17ROCPRIM_400000_NS6detail17trampoline_kernelINS0_14default_configENS1_20scan_config_selectorIdEEZZNS1_9scan_implILNS1_25lookback_scan_determinismE0ELb0ELb0ES3_PKdPddZZZN2at6native31launch_logcumsumexp_cuda_kernelERKNSB_10TensorBaseESF_lENKUlvE_clEvENKUlvE_clEvEUlddE_dEEDaPvRmT3_T4_T5_mT6_P12ihipStream_tbENKUlT_T0_E_clISt17integral_constantIbLb1EESW_EEDaSR_SS_EUlSR_E0_NS1_11comp_targetILNS1_3genE9ELNS1_11target_archE1100ELNS1_3gpuE3ELNS1_3repE0EEENS1_30default_config_static_selectorELNS0_4arch9wavefront6targetE1EEEvT1_,"axG",@progbits,_ZN7rocprim17ROCPRIM_400000_NS6detail17trampoline_kernelINS0_14default_configENS1_20scan_config_selectorIdEEZZNS1_9scan_implILNS1_25lookback_scan_determinismE0ELb0ELb0ES3_PKdPddZZZN2at6native31launch_logcumsumexp_cuda_kernelERKNSB_10TensorBaseESF_lENKUlvE_clEvENKUlvE_clEvEUlddE_dEEDaPvRmT3_T4_T5_mT6_P12ihipStream_tbENKUlT_T0_E_clISt17integral_constantIbLb1EESW_EEDaSR_SS_EUlSR_E0_NS1_11comp_targetILNS1_3genE9ELNS1_11target_archE1100ELNS1_3gpuE3ELNS1_3repE0EEENS1_30default_config_static_selectorELNS0_4arch9wavefront6targetE1EEEvT1_,comdat
.Lfunc_end44:
	.size	_ZN7rocprim17ROCPRIM_400000_NS6detail17trampoline_kernelINS0_14default_configENS1_20scan_config_selectorIdEEZZNS1_9scan_implILNS1_25lookback_scan_determinismE0ELb0ELb0ES3_PKdPddZZZN2at6native31launch_logcumsumexp_cuda_kernelERKNSB_10TensorBaseESF_lENKUlvE_clEvENKUlvE_clEvEUlddE_dEEDaPvRmT3_T4_T5_mT6_P12ihipStream_tbENKUlT_T0_E_clISt17integral_constantIbLb1EESW_EEDaSR_SS_EUlSR_E0_NS1_11comp_targetILNS1_3genE9ELNS1_11target_archE1100ELNS1_3gpuE3ELNS1_3repE0EEENS1_30default_config_static_selectorELNS0_4arch9wavefront6targetE1EEEvT1_, .Lfunc_end44-_ZN7rocprim17ROCPRIM_400000_NS6detail17trampoline_kernelINS0_14default_configENS1_20scan_config_selectorIdEEZZNS1_9scan_implILNS1_25lookback_scan_determinismE0ELb0ELb0ES3_PKdPddZZZN2at6native31launch_logcumsumexp_cuda_kernelERKNSB_10TensorBaseESF_lENKUlvE_clEvENKUlvE_clEvEUlddE_dEEDaPvRmT3_T4_T5_mT6_P12ihipStream_tbENKUlT_T0_E_clISt17integral_constantIbLb1EESW_EEDaSR_SS_EUlSR_E0_NS1_11comp_targetILNS1_3genE9ELNS1_11target_archE1100ELNS1_3gpuE3ELNS1_3repE0EEENS1_30default_config_static_selectorELNS0_4arch9wavefront6targetE1EEEvT1_
                                        ; -- End function
	.section	.AMDGPU.csdata,"",@progbits
; Kernel info:
; codeLenInByte = 0
; NumSgprs: 4
; NumVgprs: 0
; NumAgprs: 0
; TotalNumVgprs: 0
; ScratchSize: 0
; MemoryBound: 0
; FloatMode: 240
; IeeeMode: 1
; LDSByteSize: 0 bytes/workgroup (compile time only)
; SGPRBlocks: 0
; VGPRBlocks: 0
; NumSGPRsForWavesPerEU: 4
; NumVGPRsForWavesPerEU: 1
; AccumOffset: 4
; Occupancy: 8
; WaveLimiterHint : 0
; COMPUTE_PGM_RSRC2:SCRATCH_EN: 0
; COMPUTE_PGM_RSRC2:USER_SGPR: 6
; COMPUTE_PGM_RSRC2:TRAP_HANDLER: 0
; COMPUTE_PGM_RSRC2:TGID_X_EN: 1
; COMPUTE_PGM_RSRC2:TGID_Y_EN: 0
; COMPUTE_PGM_RSRC2:TGID_Z_EN: 0
; COMPUTE_PGM_RSRC2:TIDIG_COMP_CNT: 0
; COMPUTE_PGM_RSRC3_GFX90A:ACCUM_OFFSET: 0
; COMPUTE_PGM_RSRC3_GFX90A:TG_SPLIT: 0
	.section	.text._ZN7rocprim17ROCPRIM_400000_NS6detail17trampoline_kernelINS0_14default_configENS1_20scan_config_selectorIdEEZZNS1_9scan_implILNS1_25lookback_scan_determinismE0ELb0ELb0ES3_PKdPddZZZN2at6native31launch_logcumsumexp_cuda_kernelERKNSB_10TensorBaseESF_lENKUlvE_clEvENKUlvE_clEvEUlddE_dEEDaPvRmT3_T4_T5_mT6_P12ihipStream_tbENKUlT_T0_E_clISt17integral_constantIbLb1EESW_EEDaSR_SS_EUlSR_E0_NS1_11comp_targetILNS1_3genE8ELNS1_11target_archE1030ELNS1_3gpuE2ELNS1_3repE0EEENS1_30default_config_static_selectorELNS0_4arch9wavefront6targetE1EEEvT1_,"axG",@progbits,_ZN7rocprim17ROCPRIM_400000_NS6detail17trampoline_kernelINS0_14default_configENS1_20scan_config_selectorIdEEZZNS1_9scan_implILNS1_25lookback_scan_determinismE0ELb0ELb0ES3_PKdPddZZZN2at6native31launch_logcumsumexp_cuda_kernelERKNSB_10TensorBaseESF_lENKUlvE_clEvENKUlvE_clEvEUlddE_dEEDaPvRmT3_T4_T5_mT6_P12ihipStream_tbENKUlT_T0_E_clISt17integral_constantIbLb1EESW_EEDaSR_SS_EUlSR_E0_NS1_11comp_targetILNS1_3genE8ELNS1_11target_archE1030ELNS1_3gpuE2ELNS1_3repE0EEENS1_30default_config_static_selectorELNS0_4arch9wavefront6targetE1EEEvT1_,comdat
	.globl	_ZN7rocprim17ROCPRIM_400000_NS6detail17trampoline_kernelINS0_14default_configENS1_20scan_config_selectorIdEEZZNS1_9scan_implILNS1_25lookback_scan_determinismE0ELb0ELb0ES3_PKdPddZZZN2at6native31launch_logcumsumexp_cuda_kernelERKNSB_10TensorBaseESF_lENKUlvE_clEvENKUlvE_clEvEUlddE_dEEDaPvRmT3_T4_T5_mT6_P12ihipStream_tbENKUlT_T0_E_clISt17integral_constantIbLb1EESW_EEDaSR_SS_EUlSR_E0_NS1_11comp_targetILNS1_3genE8ELNS1_11target_archE1030ELNS1_3gpuE2ELNS1_3repE0EEENS1_30default_config_static_selectorELNS0_4arch9wavefront6targetE1EEEvT1_ ; -- Begin function _ZN7rocprim17ROCPRIM_400000_NS6detail17trampoline_kernelINS0_14default_configENS1_20scan_config_selectorIdEEZZNS1_9scan_implILNS1_25lookback_scan_determinismE0ELb0ELb0ES3_PKdPddZZZN2at6native31launch_logcumsumexp_cuda_kernelERKNSB_10TensorBaseESF_lENKUlvE_clEvENKUlvE_clEvEUlddE_dEEDaPvRmT3_T4_T5_mT6_P12ihipStream_tbENKUlT_T0_E_clISt17integral_constantIbLb1EESW_EEDaSR_SS_EUlSR_E0_NS1_11comp_targetILNS1_3genE8ELNS1_11target_archE1030ELNS1_3gpuE2ELNS1_3repE0EEENS1_30default_config_static_selectorELNS0_4arch9wavefront6targetE1EEEvT1_
	.p2align	8
	.type	_ZN7rocprim17ROCPRIM_400000_NS6detail17trampoline_kernelINS0_14default_configENS1_20scan_config_selectorIdEEZZNS1_9scan_implILNS1_25lookback_scan_determinismE0ELb0ELb0ES3_PKdPddZZZN2at6native31launch_logcumsumexp_cuda_kernelERKNSB_10TensorBaseESF_lENKUlvE_clEvENKUlvE_clEvEUlddE_dEEDaPvRmT3_T4_T5_mT6_P12ihipStream_tbENKUlT_T0_E_clISt17integral_constantIbLb1EESW_EEDaSR_SS_EUlSR_E0_NS1_11comp_targetILNS1_3genE8ELNS1_11target_archE1030ELNS1_3gpuE2ELNS1_3repE0EEENS1_30default_config_static_selectorELNS0_4arch9wavefront6targetE1EEEvT1_,@function
_ZN7rocprim17ROCPRIM_400000_NS6detail17trampoline_kernelINS0_14default_configENS1_20scan_config_selectorIdEEZZNS1_9scan_implILNS1_25lookback_scan_determinismE0ELb0ELb0ES3_PKdPddZZZN2at6native31launch_logcumsumexp_cuda_kernelERKNSB_10TensorBaseESF_lENKUlvE_clEvENKUlvE_clEvEUlddE_dEEDaPvRmT3_T4_T5_mT6_P12ihipStream_tbENKUlT_T0_E_clISt17integral_constantIbLb1EESW_EEDaSR_SS_EUlSR_E0_NS1_11comp_targetILNS1_3genE8ELNS1_11target_archE1030ELNS1_3gpuE2ELNS1_3repE0EEENS1_30default_config_static_selectorELNS0_4arch9wavefront6targetE1EEEvT1_: ; @_ZN7rocprim17ROCPRIM_400000_NS6detail17trampoline_kernelINS0_14default_configENS1_20scan_config_selectorIdEEZZNS1_9scan_implILNS1_25lookback_scan_determinismE0ELb0ELb0ES3_PKdPddZZZN2at6native31launch_logcumsumexp_cuda_kernelERKNSB_10TensorBaseESF_lENKUlvE_clEvENKUlvE_clEvEUlddE_dEEDaPvRmT3_T4_T5_mT6_P12ihipStream_tbENKUlT_T0_E_clISt17integral_constantIbLb1EESW_EEDaSR_SS_EUlSR_E0_NS1_11comp_targetILNS1_3genE8ELNS1_11target_archE1030ELNS1_3gpuE2ELNS1_3repE0EEENS1_30default_config_static_selectorELNS0_4arch9wavefront6targetE1EEEvT1_
; %bb.0:
	.section	.rodata,"a",@progbits
	.p2align	6, 0x0
	.amdhsa_kernel _ZN7rocprim17ROCPRIM_400000_NS6detail17trampoline_kernelINS0_14default_configENS1_20scan_config_selectorIdEEZZNS1_9scan_implILNS1_25lookback_scan_determinismE0ELb0ELb0ES3_PKdPddZZZN2at6native31launch_logcumsumexp_cuda_kernelERKNSB_10TensorBaseESF_lENKUlvE_clEvENKUlvE_clEvEUlddE_dEEDaPvRmT3_T4_T5_mT6_P12ihipStream_tbENKUlT_T0_E_clISt17integral_constantIbLb1EESW_EEDaSR_SS_EUlSR_E0_NS1_11comp_targetILNS1_3genE8ELNS1_11target_archE1030ELNS1_3gpuE2ELNS1_3repE0EEENS1_30default_config_static_selectorELNS0_4arch9wavefront6targetE1EEEvT1_
		.amdhsa_group_segment_fixed_size 0
		.amdhsa_private_segment_fixed_size 0
		.amdhsa_kernarg_size 40
		.amdhsa_user_sgpr_count 6
		.amdhsa_user_sgpr_private_segment_buffer 1
		.amdhsa_user_sgpr_dispatch_ptr 0
		.amdhsa_user_sgpr_queue_ptr 0
		.amdhsa_user_sgpr_kernarg_segment_ptr 1
		.amdhsa_user_sgpr_dispatch_id 0
		.amdhsa_user_sgpr_flat_scratch_init 0
		.amdhsa_user_sgpr_kernarg_preload_length 0
		.amdhsa_user_sgpr_kernarg_preload_offset 0
		.amdhsa_user_sgpr_private_segment_size 0
		.amdhsa_uses_dynamic_stack 0
		.amdhsa_system_sgpr_private_segment_wavefront_offset 0
		.amdhsa_system_sgpr_workgroup_id_x 1
		.amdhsa_system_sgpr_workgroup_id_y 0
		.amdhsa_system_sgpr_workgroup_id_z 0
		.amdhsa_system_sgpr_workgroup_info 0
		.amdhsa_system_vgpr_workitem_id 0
		.amdhsa_next_free_vgpr 1
		.amdhsa_next_free_sgpr 0
		.amdhsa_accum_offset 4
		.amdhsa_reserve_vcc 0
		.amdhsa_reserve_flat_scratch 0
		.amdhsa_float_round_mode_32 0
		.amdhsa_float_round_mode_16_64 0
		.amdhsa_float_denorm_mode_32 3
		.amdhsa_float_denorm_mode_16_64 3
		.amdhsa_dx10_clamp 1
		.amdhsa_ieee_mode 1
		.amdhsa_fp16_overflow 0
		.amdhsa_tg_split 0
		.amdhsa_exception_fp_ieee_invalid_op 0
		.amdhsa_exception_fp_denorm_src 0
		.amdhsa_exception_fp_ieee_div_zero 0
		.amdhsa_exception_fp_ieee_overflow 0
		.amdhsa_exception_fp_ieee_underflow 0
		.amdhsa_exception_fp_ieee_inexact 0
		.amdhsa_exception_int_div_zero 0
	.end_amdhsa_kernel
	.section	.text._ZN7rocprim17ROCPRIM_400000_NS6detail17trampoline_kernelINS0_14default_configENS1_20scan_config_selectorIdEEZZNS1_9scan_implILNS1_25lookback_scan_determinismE0ELb0ELb0ES3_PKdPddZZZN2at6native31launch_logcumsumexp_cuda_kernelERKNSB_10TensorBaseESF_lENKUlvE_clEvENKUlvE_clEvEUlddE_dEEDaPvRmT3_T4_T5_mT6_P12ihipStream_tbENKUlT_T0_E_clISt17integral_constantIbLb1EESW_EEDaSR_SS_EUlSR_E0_NS1_11comp_targetILNS1_3genE8ELNS1_11target_archE1030ELNS1_3gpuE2ELNS1_3repE0EEENS1_30default_config_static_selectorELNS0_4arch9wavefront6targetE1EEEvT1_,"axG",@progbits,_ZN7rocprim17ROCPRIM_400000_NS6detail17trampoline_kernelINS0_14default_configENS1_20scan_config_selectorIdEEZZNS1_9scan_implILNS1_25lookback_scan_determinismE0ELb0ELb0ES3_PKdPddZZZN2at6native31launch_logcumsumexp_cuda_kernelERKNSB_10TensorBaseESF_lENKUlvE_clEvENKUlvE_clEvEUlddE_dEEDaPvRmT3_T4_T5_mT6_P12ihipStream_tbENKUlT_T0_E_clISt17integral_constantIbLb1EESW_EEDaSR_SS_EUlSR_E0_NS1_11comp_targetILNS1_3genE8ELNS1_11target_archE1030ELNS1_3gpuE2ELNS1_3repE0EEENS1_30default_config_static_selectorELNS0_4arch9wavefront6targetE1EEEvT1_,comdat
.Lfunc_end45:
	.size	_ZN7rocprim17ROCPRIM_400000_NS6detail17trampoline_kernelINS0_14default_configENS1_20scan_config_selectorIdEEZZNS1_9scan_implILNS1_25lookback_scan_determinismE0ELb0ELb0ES3_PKdPddZZZN2at6native31launch_logcumsumexp_cuda_kernelERKNSB_10TensorBaseESF_lENKUlvE_clEvENKUlvE_clEvEUlddE_dEEDaPvRmT3_T4_T5_mT6_P12ihipStream_tbENKUlT_T0_E_clISt17integral_constantIbLb1EESW_EEDaSR_SS_EUlSR_E0_NS1_11comp_targetILNS1_3genE8ELNS1_11target_archE1030ELNS1_3gpuE2ELNS1_3repE0EEENS1_30default_config_static_selectorELNS0_4arch9wavefront6targetE1EEEvT1_, .Lfunc_end45-_ZN7rocprim17ROCPRIM_400000_NS6detail17trampoline_kernelINS0_14default_configENS1_20scan_config_selectorIdEEZZNS1_9scan_implILNS1_25lookback_scan_determinismE0ELb0ELb0ES3_PKdPddZZZN2at6native31launch_logcumsumexp_cuda_kernelERKNSB_10TensorBaseESF_lENKUlvE_clEvENKUlvE_clEvEUlddE_dEEDaPvRmT3_T4_T5_mT6_P12ihipStream_tbENKUlT_T0_E_clISt17integral_constantIbLb1EESW_EEDaSR_SS_EUlSR_E0_NS1_11comp_targetILNS1_3genE8ELNS1_11target_archE1030ELNS1_3gpuE2ELNS1_3repE0EEENS1_30default_config_static_selectorELNS0_4arch9wavefront6targetE1EEEvT1_
                                        ; -- End function
	.section	.AMDGPU.csdata,"",@progbits
; Kernel info:
; codeLenInByte = 0
; NumSgprs: 4
; NumVgprs: 0
; NumAgprs: 0
; TotalNumVgprs: 0
; ScratchSize: 0
; MemoryBound: 0
; FloatMode: 240
; IeeeMode: 1
; LDSByteSize: 0 bytes/workgroup (compile time only)
; SGPRBlocks: 0
; VGPRBlocks: 0
; NumSGPRsForWavesPerEU: 4
; NumVGPRsForWavesPerEU: 1
; AccumOffset: 4
; Occupancy: 8
; WaveLimiterHint : 0
; COMPUTE_PGM_RSRC2:SCRATCH_EN: 0
; COMPUTE_PGM_RSRC2:USER_SGPR: 6
; COMPUTE_PGM_RSRC2:TRAP_HANDLER: 0
; COMPUTE_PGM_RSRC2:TGID_X_EN: 1
; COMPUTE_PGM_RSRC2:TGID_Y_EN: 0
; COMPUTE_PGM_RSRC2:TGID_Z_EN: 0
; COMPUTE_PGM_RSRC2:TIDIG_COMP_CNT: 0
; COMPUTE_PGM_RSRC3_GFX90A:ACCUM_OFFSET: 0
; COMPUTE_PGM_RSRC3_GFX90A:TG_SPLIT: 0
	.section	.text._ZN7rocprim17ROCPRIM_400000_NS6detail31init_lookback_scan_state_kernelINS1_19lookback_scan_stateIdLb1ELb1EEENS1_16block_id_wrapperIjLb0EEEEEvT_jT0_jPNS7_10value_typeE,"axG",@progbits,_ZN7rocprim17ROCPRIM_400000_NS6detail31init_lookback_scan_state_kernelINS1_19lookback_scan_stateIdLb1ELb1EEENS1_16block_id_wrapperIjLb0EEEEEvT_jT0_jPNS7_10value_typeE,comdat
	.protected	_ZN7rocprim17ROCPRIM_400000_NS6detail31init_lookback_scan_state_kernelINS1_19lookback_scan_stateIdLb1ELb1EEENS1_16block_id_wrapperIjLb0EEEEEvT_jT0_jPNS7_10value_typeE ; -- Begin function _ZN7rocprim17ROCPRIM_400000_NS6detail31init_lookback_scan_state_kernelINS1_19lookback_scan_stateIdLb1ELb1EEENS1_16block_id_wrapperIjLb0EEEEEvT_jT0_jPNS7_10value_typeE
	.globl	_ZN7rocprim17ROCPRIM_400000_NS6detail31init_lookback_scan_state_kernelINS1_19lookback_scan_stateIdLb1ELb1EEENS1_16block_id_wrapperIjLb0EEEEEvT_jT0_jPNS7_10value_typeE
	.p2align	8
	.type	_ZN7rocprim17ROCPRIM_400000_NS6detail31init_lookback_scan_state_kernelINS1_19lookback_scan_stateIdLb1ELb1EEENS1_16block_id_wrapperIjLb0EEEEEvT_jT0_jPNS7_10value_typeE,@function
_ZN7rocprim17ROCPRIM_400000_NS6detail31init_lookback_scan_state_kernelINS1_19lookback_scan_stateIdLb1ELb1EEENS1_16block_id_wrapperIjLb0EEEEEvT_jT0_jPNS7_10value_typeE: ; @_ZN7rocprim17ROCPRIM_400000_NS6detail31init_lookback_scan_state_kernelINS1_19lookback_scan_stateIdLb1ELb1EEENS1_16block_id_wrapperIjLb0EEEEEvT_jT0_jPNS7_10value_typeE
; %bb.0:
	s_load_dword s7, s[4:5], 0x2c
	s_load_dwordx2 s[2:3], s[4:5], 0x18
	s_load_dwordx2 s[0:1], s[4:5], 0x0
	s_load_dword s12, s[4:5], 0x8
	s_waitcnt lgkmcnt(0)
	s_and_b32 s7, s7, 0xffff
	s_mul_i32 s6, s6, s7
	s_cmp_eq_u64 s[2:3], 0
	v_add_u32_e32 v0, s6, v0
	s_cbranch_scc1 .LBB46_10
; %bb.1:
	s_load_dword s6, s[4:5], 0x10
	s_mov_b32 s7, 0
	s_waitcnt lgkmcnt(0)
	s_cmp_lt_u32 s6, s12
	s_cselect_b32 s4, s6, 0
	v_cmp_eq_u32_e32 vcc, s4, v0
	s_and_saveexec_b64 s[4:5], vcc
	s_cbranch_execz .LBB46_9
; %bb.2:
	s_add_i32 s6, s6, 64
	s_lshl_b64 s[6:7], s[6:7], 4
	s_add_u32 s10, s0, s6
	s_addc_u32 s11, s1, s7
	v_pk_mov_b32 v[2:3], s[10:11], s[10:11] op_sel:[0,1]
	;;#ASMSTART
	global_load_dwordx4 v[2:5], v[2:3] off glc	
s_waitcnt vmcnt(0)
	;;#ASMEND
	v_mov_b32_e32 v7, 0
	v_and_b32_e32 v6, 0xff, v4
	s_mov_b64 s[8:9], 0
	v_cmp_eq_u64_e32 vcc, 0, v[6:7]
	s_and_saveexec_b64 s[6:7], vcc
	s_cbranch_execz .LBB46_8
; %bb.3:
	s_mov_b32 s13, 1
	v_pk_mov_b32 v[8:9], s[10:11], s[10:11] op_sel:[0,1]
.LBB46_4:                               ; =>This Loop Header: Depth=1
                                        ;     Child Loop BB46_5 Depth 2
	s_max_u32 s10, s13, 1
.LBB46_5:                               ;   Parent Loop BB46_4 Depth=1
                                        ; =>  This Inner Loop Header: Depth=2
	s_add_i32 s10, s10, -1
	s_cmp_eq_u32 s10, 0
	s_sleep 1
	s_cbranch_scc0 .LBB46_5
; %bb.6:                                ;   in Loop: Header=BB46_4 Depth=1
	s_cmp_lt_u32 s13, 32
	s_cselect_b64 s[10:11], -1, 0
	s_cmp_lg_u64 s[10:11], 0
	;;#ASMSTART
	global_load_dwordx4 v[2:5], v[8:9] off glc	
s_waitcnt vmcnt(0)
	;;#ASMEND
	v_and_b32_e32 v6, 0xff, v4
	s_addc_u32 s13, s13, 0
	v_cmp_ne_u64_e32 vcc, 0, v[6:7]
	s_or_b64 s[8:9], vcc, s[8:9]
	s_andn2_b64 exec, exec, s[8:9]
	s_cbranch_execnz .LBB46_4
; %bb.7:
	s_or_b64 exec, exec, s[8:9]
.LBB46_8:
	s_or_b64 exec, exec, s[6:7]
	v_mov_b32_e32 v1, 0
	global_store_dwordx2 v1, v[2:3], s[2:3]
.LBB46_9:
	s_or_b64 exec, exec, s[4:5]
.LBB46_10:
	v_cmp_gt_u32_e32 vcc, s12, v0
	s_and_saveexec_b64 s[2:3], vcc
	s_cbranch_execnz .LBB46_13
; %bb.11:
	s_or_b64 exec, exec, s[2:3]
	v_cmp_gt_u32_e32 vcc, 64, v0
	s_and_saveexec_b64 s[2:3], vcc
	s_cbranch_execnz .LBB46_14
.LBB46_12:
	s_endpgm
.LBB46_13:
	v_add_u32_e32 v2, 64, v0
	v_mov_b32_e32 v3, 0
	v_lshlrev_b64 v[4:5], 4, v[2:3]
	v_mov_b32_e32 v1, s1
	v_add_co_u32_e32 v6, vcc, s0, v4
	v_addc_co_u32_e32 v7, vcc, v1, v5, vcc
	v_mov_b32_e32 v2, v3
	v_mov_b32_e32 v4, v3
	;; [unrolled: 1-line block ×3, first 2 shown]
	global_store_dwordx4 v[6:7], v[2:5], off
	s_or_b64 exec, exec, s[2:3]
	v_cmp_gt_u32_e32 vcc, 64, v0
	s_and_saveexec_b64 s[2:3], vcc
	s_cbranch_execz .LBB46_12
.LBB46_14:
	v_mov_b32_e32 v1, 0
	v_lshlrev_b64 v[2:3], 4, v[0:1]
	v_mov_b32_e32 v0, s1
	v_add_co_u32_e32 v4, vcc, s0, v2
	v_addc_co_u32_e32 v5, vcc, v0, v3, vcc
	v_mov_b32_e32 v2, 0xff
	v_mov_b32_e32 v0, v1
	;; [unrolled: 1-line block ×3, first 2 shown]
	global_store_dwordx4 v[4:5], v[0:3], off
	s_endpgm
	.section	.rodata,"a",@progbits
	.p2align	6, 0x0
	.amdhsa_kernel _ZN7rocprim17ROCPRIM_400000_NS6detail31init_lookback_scan_state_kernelINS1_19lookback_scan_stateIdLb1ELb1EEENS1_16block_id_wrapperIjLb0EEEEEvT_jT0_jPNS7_10value_typeE
		.amdhsa_group_segment_fixed_size 0
		.amdhsa_private_segment_fixed_size 0
		.amdhsa_kernarg_size 288
		.amdhsa_user_sgpr_count 6
		.amdhsa_user_sgpr_private_segment_buffer 1
		.amdhsa_user_sgpr_dispatch_ptr 0
		.amdhsa_user_sgpr_queue_ptr 0
		.amdhsa_user_sgpr_kernarg_segment_ptr 1
		.amdhsa_user_sgpr_dispatch_id 0
		.amdhsa_user_sgpr_flat_scratch_init 0
		.amdhsa_user_sgpr_kernarg_preload_length 0
		.amdhsa_user_sgpr_kernarg_preload_offset 0
		.amdhsa_user_sgpr_private_segment_size 0
		.amdhsa_uses_dynamic_stack 0
		.amdhsa_system_sgpr_private_segment_wavefront_offset 0
		.amdhsa_system_sgpr_workgroup_id_x 1
		.amdhsa_system_sgpr_workgroup_id_y 0
		.amdhsa_system_sgpr_workgroup_id_z 0
		.amdhsa_system_sgpr_workgroup_info 0
		.amdhsa_system_vgpr_workitem_id 0
		.amdhsa_next_free_vgpr 10
		.amdhsa_next_free_sgpr 14
		.amdhsa_accum_offset 12
		.amdhsa_reserve_vcc 1
		.amdhsa_reserve_flat_scratch 0
		.amdhsa_float_round_mode_32 0
		.amdhsa_float_round_mode_16_64 0
		.amdhsa_float_denorm_mode_32 3
		.amdhsa_float_denorm_mode_16_64 3
		.amdhsa_dx10_clamp 1
		.amdhsa_ieee_mode 1
		.amdhsa_fp16_overflow 0
		.amdhsa_tg_split 0
		.amdhsa_exception_fp_ieee_invalid_op 0
		.amdhsa_exception_fp_denorm_src 0
		.amdhsa_exception_fp_ieee_div_zero 0
		.amdhsa_exception_fp_ieee_overflow 0
		.amdhsa_exception_fp_ieee_underflow 0
		.amdhsa_exception_fp_ieee_inexact 0
		.amdhsa_exception_int_div_zero 0
	.end_amdhsa_kernel
	.section	.text._ZN7rocprim17ROCPRIM_400000_NS6detail31init_lookback_scan_state_kernelINS1_19lookback_scan_stateIdLb1ELb1EEENS1_16block_id_wrapperIjLb0EEEEEvT_jT0_jPNS7_10value_typeE,"axG",@progbits,_ZN7rocprim17ROCPRIM_400000_NS6detail31init_lookback_scan_state_kernelINS1_19lookback_scan_stateIdLb1ELb1EEENS1_16block_id_wrapperIjLb0EEEEEvT_jT0_jPNS7_10value_typeE,comdat
.Lfunc_end46:
	.size	_ZN7rocprim17ROCPRIM_400000_NS6detail31init_lookback_scan_state_kernelINS1_19lookback_scan_stateIdLb1ELb1EEENS1_16block_id_wrapperIjLb0EEEEEvT_jT0_jPNS7_10value_typeE, .Lfunc_end46-_ZN7rocprim17ROCPRIM_400000_NS6detail31init_lookback_scan_state_kernelINS1_19lookback_scan_stateIdLb1ELb1EEENS1_16block_id_wrapperIjLb0EEEEEvT_jT0_jPNS7_10value_typeE
                                        ; -- End function
	.section	.AMDGPU.csdata,"",@progbits
; Kernel info:
; codeLenInByte = 424
; NumSgprs: 18
; NumVgprs: 10
; NumAgprs: 0
; TotalNumVgprs: 10
; ScratchSize: 0
; MemoryBound: 0
; FloatMode: 240
; IeeeMode: 1
; LDSByteSize: 0 bytes/workgroup (compile time only)
; SGPRBlocks: 2
; VGPRBlocks: 1
; NumSGPRsForWavesPerEU: 18
; NumVGPRsForWavesPerEU: 10
; AccumOffset: 12
; Occupancy: 8
; WaveLimiterHint : 0
; COMPUTE_PGM_RSRC2:SCRATCH_EN: 0
; COMPUTE_PGM_RSRC2:USER_SGPR: 6
; COMPUTE_PGM_RSRC2:TRAP_HANDLER: 0
; COMPUTE_PGM_RSRC2:TGID_X_EN: 1
; COMPUTE_PGM_RSRC2:TGID_Y_EN: 0
; COMPUTE_PGM_RSRC2:TGID_Z_EN: 0
; COMPUTE_PGM_RSRC2:TIDIG_COMP_CNT: 0
; COMPUTE_PGM_RSRC3_GFX90A:ACCUM_OFFSET: 2
; COMPUTE_PGM_RSRC3_GFX90A:TG_SPLIT: 0
	.section	.text._ZN7rocprim17ROCPRIM_400000_NS6detail17trampoline_kernelINS0_14default_configENS1_20scan_config_selectorIdEEZZNS1_9scan_implILNS1_25lookback_scan_determinismE0ELb0ELb0ES3_PKdPddZZZN2at6native31launch_logcumsumexp_cuda_kernelERKNSB_10TensorBaseESF_lENKUlvE_clEvENKUlvE_clEvEUlddE_dEEDaPvRmT3_T4_T5_mT6_P12ihipStream_tbENKUlT_T0_E_clISt17integral_constantIbLb1EESV_IbLb0EEEEDaSR_SS_EUlSR_E_NS1_11comp_targetILNS1_3genE0ELNS1_11target_archE4294967295ELNS1_3gpuE0ELNS1_3repE0EEENS1_30default_config_static_selectorELNS0_4arch9wavefront6targetE1EEEvT1_,"axG",@progbits,_ZN7rocprim17ROCPRIM_400000_NS6detail17trampoline_kernelINS0_14default_configENS1_20scan_config_selectorIdEEZZNS1_9scan_implILNS1_25lookback_scan_determinismE0ELb0ELb0ES3_PKdPddZZZN2at6native31launch_logcumsumexp_cuda_kernelERKNSB_10TensorBaseESF_lENKUlvE_clEvENKUlvE_clEvEUlddE_dEEDaPvRmT3_T4_T5_mT6_P12ihipStream_tbENKUlT_T0_E_clISt17integral_constantIbLb1EESV_IbLb0EEEEDaSR_SS_EUlSR_E_NS1_11comp_targetILNS1_3genE0ELNS1_11target_archE4294967295ELNS1_3gpuE0ELNS1_3repE0EEENS1_30default_config_static_selectorELNS0_4arch9wavefront6targetE1EEEvT1_,comdat
	.globl	_ZN7rocprim17ROCPRIM_400000_NS6detail17trampoline_kernelINS0_14default_configENS1_20scan_config_selectorIdEEZZNS1_9scan_implILNS1_25lookback_scan_determinismE0ELb0ELb0ES3_PKdPddZZZN2at6native31launch_logcumsumexp_cuda_kernelERKNSB_10TensorBaseESF_lENKUlvE_clEvENKUlvE_clEvEUlddE_dEEDaPvRmT3_T4_T5_mT6_P12ihipStream_tbENKUlT_T0_E_clISt17integral_constantIbLb1EESV_IbLb0EEEEDaSR_SS_EUlSR_E_NS1_11comp_targetILNS1_3genE0ELNS1_11target_archE4294967295ELNS1_3gpuE0ELNS1_3repE0EEENS1_30default_config_static_selectorELNS0_4arch9wavefront6targetE1EEEvT1_ ; -- Begin function _ZN7rocprim17ROCPRIM_400000_NS6detail17trampoline_kernelINS0_14default_configENS1_20scan_config_selectorIdEEZZNS1_9scan_implILNS1_25lookback_scan_determinismE0ELb0ELb0ES3_PKdPddZZZN2at6native31launch_logcumsumexp_cuda_kernelERKNSB_10TensorBaseESF_lENKUlvE_clEvENKUlvE_clEvEUlddE_dEEDaPvRmT3_T4_T5_mT6_P12ihipStream_tbENKUlT_T0_E_clISt17integral_constantIbLb1EESV_IbLb0EEEEDaSR_SS_EUlSR_E_NS1_11comp_targetILNS1_3genE0ELNS1_11target_archE4294967295ELNS1_3gpuE0ELNS1_3repE0EEENS1_30default_config_static_selectorELNS0_4arch9wavefront6targetE1EEEvT1_
	.p2align	8
	.type	_ZN7rocprim17ROCPRIM_400000_NS6detail17trampoline_kernelINS0_14default_configENS1_20scan_config_selectorIdEEZZNS1_9scan_implILNS1_25lookback_scan_determinismE0ELb0ELb0ES3_PKdPddZZZN2at6native31launch_logcumsumexp_cuda_kernelERKNSB_10TensorBaseESF_lENKUlvE_clEvENKUlvE_clEvEUlddE_dEEDaPvRmT3_T4_T5_mT6_P12ihipStream_tbENKUlT_T0_E_clISt17integral_constantIbLb1EESV_IbLb0EEEEDaSR_SS_EUlSR_E_NS1_11comp_targetILNS1_3genE0ELNS1_11target_archE4294967295ELNS1_3gpuE0ELNS1_3repE0EEENS1_30default_config_static_selectorELNS0_4arch9wavefront6targetE1EEEvT1_,@function
_ZN7rocprim17ROCPRIM_400000_NS6detail17trampoline_kernelINS0_14default_configENS1_20scan_config_selectorIdEEZZNS1_9scan_implILNS1_25lookback_scan_determinismE0ELb0ELb0ES3_PKdPddZZZN2at6native31launch_logcumsumexp_cuda_kernelERKNSB_10TensorBaseESF_lENKUlvE_clEvENKUlvE_clEvEUlddE_dEEDaPvRmT3_T4_T5_mT6_P12ihipStream_tbENKUlT_T0_E_clISt17integral_constantIbLb1EESV_IbLb0EEEEDaSR_SS_EUlSR_E_NS1_11comp_targetILNS1_3genE0ELNS1_11target_archE4294967295ELNS1_3gpuE0ELNS1_3repE0EEENS1_30default_config_static_selectorELNS0_4arch9wavefront6targetE1EEEvT1_: ; @_ZN7rocprim17ROCPRIM_400000_NS6detail17trampoline_kernelINS0_14default_configENS1_20scan_config_selectorIdEEZZNS1_9scan_implILNS1_25lookback_scan_determinismE0ELb0ELb0ES3_PKdPddZZZN2at6native31launch_logcumsumexp_cuda_kernelERKNSB_10TensorBaseESF_lENKUlvE_clEvENKUlvE_clEvEUlddE_dEEDaPvRmT3_T4_T5_mT6_P12ihipStream_tbENKUlT_T0_E_clISt17integral_constantIbLb1EESV_IbLb0EEEEDaSR_SS_EUlSR_E_NS1_11comp_targetILNS1_3genE0ELNS1_11target_archE4294967295ELNS1_3gpuE0ELNS1_3repE0EEENS1_30default_config_static_selectorELNS0_4arch9wavefront6targetE1EEEvT1_
; %bb.0:
	.section	.rodata,"a",@progbits
	.p2align	6, 0x0
	.amdhsa_kernel _ZN7rocprim17ROCPRIM_400000_NS6detail17trampoline_kernelINS0_14default_configENS1_20scan_config_selectorIdEEZZNS1_9scan_implILNS1_25lookback_scan_determinismE0ELb0ELb0ES3_PKdPddZZZN2at6native31launch_logcumsumexp_cuda_kernelERKNSB_10TensorBaseESF_lENKUlvE_clEvENKUlvE_clEvEUlddE_dEEDaPvRmT3_T4_T5_mT6_P12ihipStream_tbENKUlT_T0_E_clISt17integral_constantIbLb1EESV_IbLb0EEEEDaSR_SS_EUlSR_E_NS1_11comp_targetILNS1_3genE0ELNS1_11target_archE4294967295ELNS1_3gpuE0ELNS1_3repE0EEENS1_30default_config_static_selectorELNS0_4arch9wavefront6targetE1EEEvT1_
		.amdhsa_group_segment_fixed_size 0
		.amdhsa_private_segment_fixed_size 0
		.amdhsa_kernarg_size 104
		.amdhsa_user_sgpr_count 6
		.amdhsa_user_sgpr_private_segment_buffer 1
		.amdhsa_user_sgpr_dispatch_ptr 0
		.amdhsa_user_sgpr_queue_ptr 0
		.amdhsa_user_sgpr_kernarg_segment_ptr 1
		.amdhsa_user_sgpr_dispatch_id 0
		.amdhsa_user_sgpr_flat_scratch_init 0
		.amdhsa_user_sgpr_kernarg_preload_length 0
		.amdhsa_user_sgpr_kernarg_preload_offset 0
		.amdhsa_user_sgpr_private_segment_size 0
		.amdhsa_uses_dynamic_stack 0
		.amdhsa_system_sgpr_private_segment_wavefront_offset 0
		.amdhsa_system_sgpr_workgroup_id_x 1
		.amdhsa_system_sgpr_workgroup_id_y 0
		.amdhsa_system_sgpr_workgroup_id_z 0
		.amdhsa_system_sgpr_workgroup_info 0
		.amdhsa_system_vgpr_workitem_id 0
		.amdhsa_next_free_vgpr 1
		.amdhsa_next_free_sgpr 0
		.amdhsa_accum_offset 4
		.amdhsa_reserve_vcc 0
		.amdhsa_reserve_flat_scratch 0
		.amdhsa_float_round_mode_32 0
		.amdhsa_float_round_mode_16_64 0
		.amdhsa_float_denorm_mode_32 3
		.amdhsa_float_denorm_mode_16_64 3
		.amdhsa_dx10_clamp 1
		.amdhsa_ieee_mode 1
		.amdhsa_fp16_overflow 0
		.amdhsa_tg_split 0
		.amdhsa_exception_fp_ieee_invalid_op 0
		.amdhsa_exception_fp_denorm_src 0
		.amdhsa_exception_fp_ieee_div_zero 0
		.amdhsa_exception_fp_ieee_overflow 0
		.amdhsa_exception_fp_ieee_underflow 0
		.amdhsa_exception_fp_ieee_inexact 0
		.amdhsa_exception_int_div_zero 0
	.end_amdhsa_kernel
	.section	.text._ZN7rocprim17ROCPRIM_400000_NS6detail17trampoline_kernelINS0_14default_configENS1_20scan_config_selectorIdEEZZNS1_9scan_implILNS1_25lookback_scan_determinismE0ELb0ELb0ES3_PKdPddZZZN2at6native31launch_logcumsumexp_cuda_kernelERKNSB_10TensorBaseESF_lENKUlvE_clEvENKUlvE_clEvEUlddE_dEEDaPvRmT3_T4_T5_mT6_P12ihipStream_tbENKUlT_T0_E_clISt17integral_constantIbLb1EESV_IbLb0EEEEDaSR_SS_EUlSR_E_NS1_11comp_targetILNS1_3genE0ELNS1_11target_archE4294967295ELNS1_3gpuE0ELNS1_3repE0EEENS1_30default_config_static_selectorELNS0_4arch9wavefront6targetE1EEEvT1_,"axG",@progbits,_ZN7rocprim17ROCPRIM_400000_NS6detail17trampoline_kernelINS0_14default_configENS1_20scan_config_selectorIdEEZZNS1_9scan_implILNS1_25lookback_scan_determinismE0ELb0ELb0ES3_PKdPddZZZN2at6native31launch_logcumsumexp_cuda_kernelERKNSB_10TensorBaseESF_lENKUlvE_clEvENKUlvE_clEvEUlddE_dEEDaPvRmT3_T4_T5_mT6_P12ihipStream_tbENKUlT_T0_E_clISt17integral_constantIbLb1EESV_IbLb0EEEEDaSR_SS_EUlSR_E_NS1_11comp_targetILNS1_3genE0ELNS1_11target_archE4294967295ELNS1_3gpuE0ELNS1_3repE0EEENS1_30default_config_static_selectorELNS0_4arch9wavefront6targetE1EEEvT1_,comdat
.Lfunc_end47:
	.size	_ZN7rocprim17ROCPRIM_400000_NS6detail17trampoline_kernelINS0_14default_configENS1_20scan_config_selectorIdEEZZNS1_9scan_implILNS1_25lookback_scan_determinismE0ELb0ELb0ES3_PKdPddZZZN2at6native31launch_logcumsumexp_cuda_kernelERKNSB_10TensorBaseESF_lENKUlvE_clEvENKUlvE_clEvEUlddE_dEEDaPvRmT3_T4_T5_mT6_P12ihipStream_tbENKUlT_T0_E_clISt17integral_constantIbLb1EESV_IbLb0EEEEDaSR_SS_EUlSR_E_NS1_11comp_targetILNS1_3genE0ELNS1_11target_archE4294967295ELNS1_3gpuE0ELNS1_3repE0EEENS1_30default_config_static_selectorELNS0_4arch9wavefront6targetE1EEEvT1_, .Lfunc_end47-_ZN7rocprim17ROCPRIM_400000_NS6detail17trampoline_kernelINS0_14default_configENS1_20scan_config_selectorIdEEZZNS1_9scan_implILNS1_25lookback_scan_determinismE0ELb0ELb0ES3_PKdPddZZZN2at6native31launch_logcumsumexp_cuda_kernelERKNSB_10TensorBaseESF_lENKUlvE_clEvENKUlvE_clEvEUlddE_dEEDaPvRmT3_T4_T5_mT6_P12ihipStream_tbENKUlT_T0_E_clISt17integral_constantIbLb1EESV_IbLb0EEEEDaSR_SS_EUlSR_E_NS1_11comp_targetILNS1_3genE0ELNS1_11target_archE4294967295ELNS1_3gpuE0ELNS1_3repE0EEENS1_30default_config_static_selectorELNS0_4arch9wavefront6targetE1EEEvT1_
                                        ; -- End function
	.section	.AMDGPU.csdata,"",@progbits
; Kernel info:
; codeLenInByte = 0
; NumSgprs: 4
; NumVgprs: 0
; NumAgprs: 0
; TotalNumVgprs: 0
; ScratchSize: 0
; MemoryBound: 0
; FloatMode: 240
; IeeeMode: 1
; LDSByteSize: 0 bytes/workgroup (compile time only)
; SGPRBlocks: 0
; VGPRBlocks: 0
; NumSGPRsForWavesPerEU: 4
; NumVGPRsForWavesPerEU: 1
; AccumOffset: 4
; Occupancy: 8
; WaveLimiterHint : 0
; COMPUTE_PGM_RSRC2:SCRATCH_EN: 0
; COMPUTE_PGM_RSRC2:USER_SGPR: 6
; COMPUTE_PGM_RSRC2:TRAP_HANDLER: 0
; COMPUTE_PGM_RSRC2:TGID_X_EN: 1
; COMPUTE_PGM_RSRC2:TGID_Y_EN: 0
; COMPUTE_PGM_RSRC2:TGID_Z_EN: 0
; COMPUTE_PGM_RSRC2:TIDIG_COMP_CNT: 0
; COMPUTE_PGM_RSRC3_GFX90A:ACCUM_OFFSET: 0
; COMPUTE_PGM_RSRC3_GFX90A:TG_SPLIT: 0
	.section	.text._ZN7rocprim17ROCPRIM_400000_NS6detail17trampoline_kernelINS0_14default_configENS1_20scan_config_selectorIdEEZZNS1_9scan_implILNS1_25lookback_scan_determinismE0ELb0ELb0ES3_PKdPddZZZN2at6native31launch_logcumsumexp_cuda_kernelERKNSB_10TensorBaseESF_lENKUlvE_clEvENKUlvE_clEvEUlddE_dEEDaPvRmT3_T4_T5_mT6_P12ihipStream_tbENKUlT_T0_E_clISt17integral_constantIbLb1EESV_IbLb0EEEEDaSR_SS_EUlSR_E_NS1_11comp_targetILNS1_3genE5ELNS1_11target_archE942ELNS1_3gpuE9ELNS1_3repE0EEENS1_30default_config_static_selectorELNS0_4arch9wavefront6targetE1EEEvT1_,"axG",@progbits,_ZN7rocprim17ROCPRIM_400000_NS6detail17trampoline_kernelINS0_14default_configENS1_20scan_config_selectorIdEEZZNS1_9scan_implILNS1_25lookback_scan_determinismE0ELb0ELb0ES3_PKdPddZZZN2at6native31launch_logcumsumexp_cuda_kernelERKNSB_10TensorBaseESF_lENKUlvE_clEvENKUlvE_clEvEUlddE_dEEDaPvRmT3_T4_T5_mT6_P12ihipStream_tbENKUlT_T0_E_clISt17integral_constantIbLb1EESV_IbLb0EEEEDaSR_SS_EUlSR_E_NS1_11comp_targetILNS1_3genE5ELNS1_11target_archE942ELNS1_3gpuE9ELNS1_3repE0EEENS1_30default_config_static_selectorELNS0_4arch9wavefront6targetE1EEEvT1_,comdat
	.globl	_ZN7rocprim17ROCPRIM_400000_NS6detail17trampoline_kernelINS0_14default_configENS1_20scan_config_selectorIdEEZZNS1_9scan_implILNS1_25lookback_scan_determinismE0ELb0ELb0ES3_PKdPddZZZN2at6native31launch_logcumsumexp_cuda_kernelERKNSB_10TensorBaseESF_lENKUlvE_clEvENKUlvE_clEvEUlddE_dEEDaPvRmT3_T4_T5_mT6_P12ihipStream_tbENKUlT_T0_E_clISt17integral_constantIbLb1EESV_IbLb0EEEEDaSR_SS_EUlSR_E_NS1_11comp_targetILNS1_3genE5ELNS1_11target_archE942ELNS1_3gpuE9ELNS1_3repE0EEENS1_30default_config_static_selectorELNS0_4arch9wavefront6targetE1EEEvT1_ ; -- Begin function _ZN7rocprim17ROCPRIM_400000_NS6detail17trampoline_kernelINS0_14default_configENS1_20scan_config_selectorIdEEZZNS1_9scan_implILNS1_25lookback_scan_determinismE0ELb0ELb0ES3_PKdPddZZZN2at6native31launch_logcumsumexp_cuda_kernelERKNSB_10TensorBaseESF_lENKUlvE_clEvENKUlvE_clEvEUlddE_dEEDaPvRmT3_T4_T5_mT6_P12ihipStream_tbENKUlT_T0_E_clISt17integral_constantIbLb1EESV_IbLb0EEEEDaSR_SS_EUlSR_E_NS1_11comp_targetILNS1_3genE5ELNS1_11target_archE942ELNS1_3gpuE9ELNS1_3repE0EEENS1_30default_config_static_selectorELNS0_4arch9wavefront6targetE1EEEvT1_
	.p2align	8
	.type	_ZN7rocprim17ROCPRIM_400000_NS6detail17trampoline_kernelINS0_14default_configENS1_20scan_config_selectorIdEEZZNS1_9scan_implILNS1_25lookback_scan_determinismE0ELb0ELb0ES3_PKdPddZZZN2at6native31launch_logcumsumexp_cuda_kernelERKNSB_10TensorBaseESF_lENKUlvE_clEvENKUlvE_clEvEUlddE_dEEDaPvRmT3_T4_T5_mT6_P12ihipStream_tbENKUlT_T0_E_clISt17integral_constantIbLb1EESV_IbLb0EEEEDaSR_SS_EUlSR_E_NS1_11comp_targetILNS1_3genE5ELNS1_11target_archE942ELNS1_3gpuE9ELNS1_3repE0EEENS1_30default_config_static_selectorELNS0_4arch9wavefront6targetE1EEEvT1_,@function
_ZN7rocprim17ROCPRIM_400000_NS6detail17trampoline_kernelINS0_14default_configENS1_20scan_config_selectorIdEEZZNS1_9scan_implILNS1_25lookback_scan_determinismE0ELb0ELb0ES3_PKdPddZZZN2at6native31launch_logcumsumexp_cuda_kernelERKNSB_10TensorBaseESF_lENKUlvE_clEvENKUlvE_clEvEUlddE_dEEDaPvRmT3_T4_T5_mT6_P12ihipStream_tbENKUlT_T0_E_clISt17integral_constantIbLb1EESV_IbLb0EEEEDaSR_SS_EUlSR_E_NS1_11comp_targetILNS1_3genE5ELNS1_11target_archE942ELNS1_3gpuE9ELNS1_3repE0EEENS1_30default_config_static_selectorELNS0_4arch9wavefront6targetE1EEEvT1_: ; @_ZN7rocprim17ROCPRIM_400000_NS6detail17trampoline_kernelINS0_14default_configENS1_20scan_config_selectorIdEEZZNS1_9scan_implILNS1_25lookback_scan_determinismE0ELb0ELb0ES3_PKdPddZZZN2at6native31launch_logcumsumexp_cuda_kernelERKNSB_10TensorBaseESF_lENKUlvE_clEvENKUlvE_clEvEUlddE_dEEDaPvRmT3_T4_T5_mT6_P12ihipStream_tbENKUlT_T0_E_clISt17integral_constantIbLb1EESV_IbLb0EEEEDaSR_SS_EUlSR_E_NS1_11comp_targetILNS1_3genE5ELNS1_11target_archE942ELNS1_3gpuE9ELNS1_3repE0EEENS1_30default_config_static_selectorELNS0_4arch9wavefront6targetE1EEEvT1_
; %bb.0:
	.section	.rodata,"a",@progbits
	.p2align	6, 0x0
	.amdhsa_kernel _ZN7rocprim17ROCPRIM_400000_NS6detail17trampoline_kernelINS0_14default_configENS1_20scan_config_selectorIdEEZZNS1_9scan_implILNS1_25lookback_scan_determinismE0ELb0ELb0ES3_PKdPddZZZN2at6native31launch_logcumsumexp_cuda_kernelERKNSB_10TensorBaseESF_lENKUlvE_clEvENKUlvE_clEvEUlddE_dEEDaPvRmT3_T4_T5_mT6_P12ihipStream_tbENKUlT_T0_E_clISt17integral_constantIbLb1EESV_IbLb0EEEEDaSR_SS_EUlSR_E_NS1_11comp_targetILNS1_3genE5ELNS1_11target_archE942ELNS1_3gpuE9ELNS1_3repE0EEENS1_30default_config_static_selectorELNS0_4arch9wavefront6targetE1EEEvT1_
		.amdhsa_group_segment_fixed_size 0
		.amdhsa_private_segment_fixed_size 0
		.amdhsa_kernarg_size 104
		.amdhsa_user_sgpr_count 6
		.amdhsa_user_sgpr_private_segment_buffer 1
		.amdhsa_user_sgpr_dispatch_ptr 0
		.amdhsa_user_sgpr_queue_ptr 0
		.amdhsa_user_sgpr_kernarg_segment_ptr 1
		.amdhsa_user_sgpr_dispatch_id 0
		.amdhsa_user_sgpr_flat_scratch_init 0
		.amdhsa_user_sgpr_kernarg_preload_length 0
		.amdhsa_user_sgpr_kernarg_preload_offset 0
		.amdhsa_user_sgpr_private_segment_size 0
		.amdhsa_uses_dynamic_stack 0
		.amdhsa_system_sgpr_private_segment_wavefront_offset 0
		.amdhsa_system_sgpr_workgroup_id_x 1
		.amdhsa_system_sgpr_workgroup_id_y 0
		.amdhsa_system_sgpr_workgroup_id_z 0
		.amdhsa_system_sgpr_workgroup_info 0
		.amdhsa_system_vgpr_workitem_id 0
		.amdhsa_next_free_vgpr 1
		.amdhsa_next_free_sgpr 0
		.amdhsa_accum_offset 4
		.amdhsa_reserve_vcc 0
		.amdhsa_reserve_flat_scratch 0
		.amdhsa_float_round_mode_32 0
		.amdhsa_float_round_mode_16_64 0
		.amdhsa_float_denorm_mode_32 3
		.amdhsa_float_denorm_mode_16_64 3
		.amdhsa_dx10_clamp 1
		.amdhsa_ieee_mode 1
		.amdhsa_fp16_overflow 0
		.amdhsa_tg_split 0
		.amdhsa_exception_fp_ieee_invalid_op 0
		.amdhsa_exception_fp_denorm_src 0
		.amdhsa_exception_fp_ieee_div_zero 0
		.amdhsa_exception_fp_ieee_overflow 0
		.amdhsa_exception_fp_ieee_underflow 0
		.amdhsa_exception_fp_ieee_inexact 0
		.amdhsa_exception_int_div_zero 0
	.end_amdhsa_kernel
	.section	.text._ZN7rocprim17ROCPRIM_400000_NS6detail17trampoline_kernelINS0_14default_configENS1_20scan_config_selectorIdEEZZNS1_9scan_implILNS1_25lookback_scan_determinismE0ELb0ELb0ES3_PKdPddZZZN2at6native31launch_logcumsumexp_cuda_kernelERKNSB_10TensorBaseESF_lENKUlvE_clEvENKUlvE_clEvEUlddE_dEEDaPvRmT3_T4_T5_mT6_P12ihipStream_tbENKUlT_T0_E_clISt17integral_constantIbLb1EESV_IbLb0EEEEDaSR_SS_EUlSR_E_NS1_11comp_targetILNS1_3genE5ELNS1_11target_archE942ELNS1_3gpuE9ELNS1_3repE0EEENS1_30default_config_static_selectorELNS0_4arch9wavefront6targetE1EEEvT1_,"axG",@progbits,_ZN7rocprim17ROCPRIM_400000_NS6detail17trampoline_kernelINS0_14default_configENS1_20scan_config_selectorIdEEZZNS1_9scan_implILNS1_25lookback_scan_determinismE0ELb0ELb0ES3_PKdPddZZZN2at6native31launch_logcumsumexp_cuda_kernelERKNSB_10TensorBaseESF_lENKUlvE_clEvENKUlvE_clEvEUlddE_dEEDaPvRmT3_T4_T5_mT6_P12ihipStream_tbENKUlT_T0_E_clISt17integral_constantIbLb1EESV_IbLb0EEEEDaSR_SS_EUlSR_E_NS1_11comp_targetILNS1_3genE5ELNS1_11target_archE942ELNS1_3gpuE9ELNS1_3repE0EEENS1_30default_config_static_selectorELNS0_4arch9wavefront6targetE1EEEvT1_,comdat
.Lfunc_end48:
	.size	_ZN7rocprim17ROCPRIM_400000_NS6detail17trampoline_kernelINS0_14default_configENS1_20scan_config_selectorIdEEZZNS1_9scan_implILNS1_25lookback_scan_determinismE0ELb0ELb0ES3_PKdPddZZZN2at6native31launch_logcumsumexp_cuda_kernelERKNSB_10TensorBaseESF_lENKUlvE_clEvENKUlvE_clEvEUlddE_dEEDaPvRmT3_T4_T5_mT6_P12ihipStream_tbENKUlT_T0_E_clISt17integral_constantIbLb1EESV_IbLb0EEEEDaSR_SS_EUlSR_E_NS1_11comp_targetILNS1_3genE5ELNS1_11target_archE942ELNS1_3gpuE9ELNS1_3repE0EEENS1_30default_config_static_selectorELNS0_4arch9wavefront6targetE1EEEvT1_, .Lfunc_end48-_ZN7rocprim17ROCPRIM_400000_NS6detail17trampoline_kernelINS0_14default_configENS1_20scan_config_selectorIdEEZZNS1_9scan_implILNS1_25lookback_scan_determinismE0ELb0ELb0ES3_PKdPddZZZN2at6native31launch_logcumsumexp_cuda_kernelERKNSB_10TensorBaseESF_lENKUlvE_clEvENKUlvE_clEvEUlddE_dEEDaPvRmT3_T4_T5_mT6_P12ihipStream_tbENKUlT_T0_E_clISt17integral_constantIbLb1EESV_IbLb0EEEEDaSR_SS_EUlSR_E_NS1_11comp_targetILNS1_3genE5ELNS1_11target_archE942ELNS1_3gpuE9ELNS1_3repE0EEENS1_30default_config_static_selectorELNS0_4arch9wavefront6targetE1EEEvT1_
                                        ; -- End function
	.section	.AMDGPU.csdata,"",@progbits
; Kernel info:
; codeLenInByte = 0
; NumSgprs: 4
; NumVgprs: 0
; NumAgprs: 0
; TotalNumVgprs: 0
; ScratchSize: 0
; MemoryBound: 0
; FloatMode: 240
; IeeeMode: 1
; LDSByteSize: 0 bytes/workgroup (compile time only)
; SGPRBlocks: 0
; VGPRBlocks: 0
; NumSGPRsForWavesPerEU: 4
; NumVGPRsForWavesPerEU: 1
; AccumOffset: 4
; Occupancy: 8
; WaveLimiterHint : 0
; COMPUTE_PGM_RSRC2:SCRATCH_EN: 0
; COMPUTE_PGM_RSRC2:USER_SGPR: 6
; COMPUTE_PGM_RSRC2:TRAP_HANDLER: 0
; COMPUTE_PGM_RSRC2:TGID_X_EN: 1
; COMPUTE_PGM_RSRC2:TGID_Y_EN: 0
; COMPUTE_PGM_RSRC2:TGID_Z_EN: 0
; COMPUTE_PGM_RSRC2:TIDIG_COMP_CNT: 0
; COMPUTE_PGM_RSRC3_GFX90A:ACCUM_OFFSET: 0
; COMPUTE_PGM_RSRC3_GFX90A:TG_SPLIT: 0
	.section	.text._ZN7rocprim17ROCPRIM_400000_NS6detail17trampoline_kernelINS0_14default_configENS1_20scan_config_selectorIdEEZZNS1_9scan_implILNS1_25lookback_scan_determinismE0ELb0ELb0ES3_PKdPddZZZN2at6native31launch_logcumsumexp_cuda_kernelERKNSB_10TensorBaseESF_lENKUlvE_clEvENKUlvE_clEvEUlddE_dEEDaPvRmT3_T4_T5_mT6_P12ihipStream_tbENKUlT_T0_E_clISt17integral_constantIbLb1EESV_IbLb0EEEEDaSR_SS_EUlSR_E_NS1_11comp_targetILNS1_3genE4ELNS1_11target_archE910ELNS1_3gpuE8ELNS1_3repE0EEENS1_30default_config_static_selectorELNS0_4arch9wavefront6targetE1EEEvT1_,"axG",@progbits,_ZN7rocprim17ROCPRIM_400000_NS6detail17trampoline_kernelINS0_14default_configENS1_20scan_config_selectorIdEEZZNS1_9scan_implILNS1_25lookback_scan_determinismE0ELb0ELb0ES3_PKdPddZZZN2at6native31launch_logcumsumexp_cuda_kernelERKNSB_10TensorBaseESF_lENKUlvE_clEvENKUlvE_clEvEUlddE_dEEDaPvRmT3_T4_T5_mT6_P12ihipStream_tbENKUlT_T0_E_clISt17integral_constantIbLb1EESV_IbLb0EEEEDaSR_SS_EUlSR_E_NS1_11comp_targetILNS1_3genE4ELNS1_11target_archE910ELNS1_3gpuE8ELNS1_3repE0EEENS1_30default_config_static_selectorELNS0_4arch9wavefront6targetE1EEEvT1_,comdat
	.globl	_ZN7rocprim17ROCPRIM_400000_NS6detail17trampoline_kernelINS0_14default_configENS1_20scan_config_selectorIdEEZZNS1_9scan_implILNS1_25lookback_scan_determinismE0ELb0ELb0ES3_PKdPddZZZN2at6native31launch_logcumsumexp_cuda_kernelERKNSB_10TensorBaseESF_lENKUlvE_clEvENKUlvE_clEvEUlddE_dEEDaPvRmT3_T4_T5_mT6_P12ihipStream_tbENKUlT_T0_E_clISt17integral_constantIbLb1EESV_IbLb0EEEEDaSR_SS_EUlSR_E_NS1_11comp_targetILNS1_3genE4ELNS1_11target_archE910ELNS1_3gpuE8ELNS1_3repE0EEENS1_30default_config_static_selectorELNS0_4arch9wavefront6targetE1EEEvT1_ ; -- Begin function _ZN7rocprim17ROCPRIM_400000_NS6detail17trampoline_kernelINS0_14default_configENS1_20scan_config_selectorIdEEZZNS1_9scan_implILNS1_25lookback_scan_determinismE0ELb0ELb0ES3_PKdPddZZZN2at6native31launch_logcumsumexp_cuda_kernelERKNSB_10TensorBaseESF_lENKUlvE_clEvENKUlvE_clEvEUlddE_dEEDaPvRmT3_T4_T5_mT6_P12ihipStream_tbENKUlT_T0_E_clISt17integral_constantIbLb1EESV_IbLb0EEEEDaSR_SS_EUlSR_E_NS1_11comp_targetILNS1_3genE4ELNS1_11target_archE910ELNS1_3gpuE8ELNS1_3repE0EEENS1_30default_config_static_selectorELNS0_4arch9wavefront6targetE1EEEvT1_
	.p2align	8
	.type	_ZN7rocprim17ROCPRIM_400000_NS6detail17trampoline_kernelINS0_14default_configENS1_20scan_config_selectorIdEEZZNS1_9scan_implILNS1_25lookback_scan_determinismE0ELb0ELb0ES3_PKdPddZZZN2at6native31launch_logcumsumexp_cuda_kernelERKNSB_10TensorBaseESF_lENKUlvE_clEvENKUlvE_clEvEUlddE_dEEDaPvRmT3_T4_T5_mT6_P12ihipStream_tbENKUlT_T0_E_clISt17integral_constantIbLb1EESV_IbLb0EEEEDaSR_SS_EUlSR_E_NS1_11comp_targetILNS1_3genE4ELNS1_11target_archE910ELNS1_3gpuE8ELNS1_3repE0EEENS1_30default_config_static_selectorELNS0_4arch9wavefront6targetE1EEEvT1_,@function
_ZN7rocprim17ROCPRIM_400000_NS6detail17trampoline_kernelINS0_14default_configENS1_20scan_config_selectorIdEEZZNS1_9scan_implILNS1_25lookback_scan_determinismE0ELb0ELb0ES3_PKdPddZZZN2at6native31launch_logcumsumexp_cuda_kernelERKNSB_10TensorBaseESF_lENKUlvE_clEvENKUlvE_clEvEUlddE_dEEDaPvRmT3_T4_T5_mT6_P12ihipStream_tbENKUlT_T0_E_clISt17integral_constantIbLb1EESV_IbLb0EEEEDaSR_SS_EUlSR_E_NS1_11comp_targetILNS1_3genE4ELNS1_11target_archE910ELNS1_3gpuE8ELNS1_3repE0EEENS1_30default_config_static_selectorELNS0_4arch9wavefront6targetE1EEEvT1_: ; @_ZN7rocprim17ROCPRIM_400000_NS6detail17trampoline_kernelINS0_14default_configENS1_20scan_config_selectorIdEEZZNS1_9scan_implILNS1_25lookback_scan_determinismE0ELb0ELb0ES3_PKdPddZZZN2at6native31launch_logcumsumexp_cuda_kernelERKNSB_10TensorBaseESF_lENKUlvE_clEvENKUlvE_clEvEUlddE_dEEDaPvRmT3_T4_T5_mT6_P12ihipStream_tbENKUlT_T0_E_clISt17integral_constantIbLb1EESV_IbLb0EEEEDaSR_SS_EUlSR_E_NS1_11comp_targetILNS1_3genE4ELNS1_11target_archE910ELNS1_3gpuE8ELNS1_3repE0EEENS1_30default_config_static_selectorELNS0_4arch9wavefront6targetE1EEEvT1_
; %bb.0:
	s_load_dwordx8 s[24:31], s[4:5], 0x0
	s_load_dword s1, s[4:5], 0x38
	s_mul_i32 s0, s6, 0x500
	v_lshlrev_b32_e32 v92, 3, v0
	s_waitcnt lgkmcnt(0)
	s_lshl_b64 s[34:35], s[26:27], 3
	s_add_u32 s2, s24, s34
	s_addc_u32 s3, s25, s35
	s_add_i32 s7, s1, -1
	s_mul_i32 s8, s7, 0x500
	s_sub_u32 s33, s30, s8
	s_subb_u32 s68, s31, 0
	s_mov_b32 s1, 0
	s_cmp_lg_u32 s6, s7
	s_cselect_b64 s[30:31], -1, 0
	s_lshl_b64 s[56:57], s[0:1], 3
	s_add_u32 s2, s2, s56
	s_addc_u32 s3, s3, s57
	s_mov_b64 s[0:1], -1
	s_and_b64 vcc, exec, s[30:31]
	s_cbranch_vccz .LBB49_2
; %bb.1:
	v_mov_b32_e32 v1, s3
	v_add_co_u32_e32 v20, vcc, s2, v92
	v_addc_co_u32_e32 v1, vcc, 0, v1, vcc
	v_add_co_u32_e32 v10, vcc, 0x1000, v20
	v_addc_co_u32_e32 v11, vcc, 0, v1, vcc
	global_load_dwordx2 v[2:3], v92, s[2:3]
	global_load_dwordx2 v[4:5], v92, s[2:3] offset:1024
	global_load_dwordx2 v[6:7], v92, s[2:3] offset:2048
	;; [unrolled: 1-line block ×3, first 2 shown]
	global_load_dwordx2 v[12:13], v[10:11], off
	global_load_dwordx2 v[14:15], v[10:11], off offset:1024
	global_load_dwordx2 v[16:17], v[10:11], off offset:2048
	;; [unrolled: 1-line block ×3, first 2 shown]
	v_add_co_u32_e32 v10, vcc, 0x2000, v20
	v_addc_co_u32_e32 v11, vcc, 0, v1, vcc
	global_load_dwordx2 v[20:21], v[10:11], off
	global_load_dwordx2 v[22:23], v[10:11], off offset:1024
	s_mov_b64 s[0:1], 0
	s_waitcnt vmcnt(8)
	ds_write2st64_b64 v92, v[2:3], v[4:5] offset1:2
	s_waitcnt vmcnt(6)
	ds_write2st64_b64 v92, v[6:7], v[8:9] offset0:4 offset1:6
	s_waitcnt vmcnt(4)
	ds_write2st64_b64 v92, v[12:13], v[14:15] offset0:8 offset1:10
	;; [unrolled: 2-line block ×4, first 2 shown]
	s_waitcnt lgkmcnt(0)
	s_barrier
.LBB49_2:
	s_load_dwordx2 s[58:59], s[4:5], 0x30
	s_andn2_b64 vcc, exec, s[0:1]
	v_cmp_gt_u32_e64 s[0:1], s33, v0
	s_cbranch_vccnz .LBB49_24
; %bb.3:
	s_load_dwordx2 s[36:37], s[2:3], 0x0
	s_waitcnt lgkmcnt(0)
	s_mov_b32 s38, s36
	s_mov_b32 s39, s37
	;; [unrolled: 1-line block ×18, first 2 shown]
	v_pk_mov_b32 v[2:3], s[36:37], s[36:37] op_sel:[0,1]
	v_pk_mov_b32 v[4:5], s[38:39], s[38:39] op_sel:[0,1]
	;; [unrolled: 1-line block ×16, first 2 shown]
	s_and_saveexec_b64 s[8:9], s[0:1]
	s_cbranch_execz .LBB49_5
; %bb.4:
	global_load_dwordx2 v[2:3], v92, s[2:3]
	v_mov_b32_e32 v4, s36
	v_mov_b32_e32 v5, s37
	;; [unrolled: 1-line block ×18, first 2 shown]
.LBB49_5:
	s_or_b64 exec, exec, s[8:9]
	v_or_b32_e32 v1, 0x80, v0
	v_cmp_gt_u32_e32 vcc, s33, v1
	s_and_saveexec_b64 s[0:1], vcc
	s_cbranch_execz .LBB49_7
; %bb.6:
	global_load_dwordx2 v[4:5], v92, s[2:3] offset:1024
.LBB49_7:
	s_or_b64 exec, exec, s[0:1]
	v_or_b32_e32 v1, 0x100, v0
	v_cmp_gt_u32_e32 vcc, s33, v1
	s_and_saveexec_b64 s[0:1], vcc
	s_cbranch_execz .LBB49_9
; %bb.8:
	global_load_dwordx2 v[6:7], v92, s[2:3] offset:2048
.LBB49_9:
	;; [unrolled: 8-line block ×3, first 2 shown]
	s_or_b64 exec, exec, s[0:1]
	v_or_b32_e32 v1, 0x200, v0
	v_cmp_gt_u32_e32 vcc, s33, v1
	s_and_saveexec_b64 s[0:1], vcc
	s_cbranch_execz .LBB49_13
; %bb.12:
	v_lshlrev_b32_e32 v1, 3, v1
	global_load_dwordx2 v[10:11], v1, s[2:3]
.LBB49_13:
	s_or_b64 exec, exec, s[0:1]
	v_or_b32_e32 v1, 0x280, v0
	v_cmp_gt_u32_e32 vcc, s33, v1
	s_and_saveexec_b64 s[0:1], vcc
	s_cbranch_execz .LBB49_15
; %bb.14:
	v_lshlrev_b32_e32 v1, 3, v1
	global_load_dwordx2 v[12:13], v1, s[2:3]
.LBB49_15:
	;; [unrolled: 9-line block ×6, first 2 shown]
	s_or_b64 exec, exec, s[0:1]
	s_waitcnt vmcnt(0)
	ds_write2st64_b64 v92, v[2:3], v[4:5] offset1:2
	ds_write2st64_b64 v92, v[6:7], v[8:9] offset0:4 offset1:6
	ds_write2st64_b64 v92, v[10:11], v[12:13] offset0:8 offset1:10
	;; [unrolled: 1-line block ×4, first 2 shown]
	s_waitcnt lgkmcnt(0)
	s_barrier
.LBB49_24:
	v_mul_u32_u24_e32 v93, 10, v0
	v_lshlrev_b32_e32 v1, 3, v93
	s_waitcnt lgkmcnt(0)
	ds_read_b128 v[2:5], v1
	ds_read_b128 v[18:21], v1 offset:16
	ds_read_b128 v[14:17], v1 offset:32
	;; [unrolled: 1-line block ×4, first 2 shown]
	s_cmp_lg_u32 s6, 0
	s_waitcnt lgkmcnt(4)
	v_cmp_u_f64_e64 s[0:1], v[4:5], v[4:5]
	v_max_f64 v[42:43], v[4:5], v[4:5]
	s_waitcnt lgkmcnt(0)
	s_barrier
	s_cbranch_scc0 .LBB49_179
; %bb.25:
	v_max_f64 v[48:49], v[2:3], v[2:3]
	v_min_f64 v[22:23], v[48:49], v[42:43]
	v_cmp_u_f64_e64 s[20:21], v[2:3], v[2:3]
	v_cndmask_b32_e64 v22, v22, v2, s[20:21]
	v_cndmask_b32_e64 v23, v23, v3, s[20:21]
	;; [unrolled: 1-line block ×4, first 2 shown]
	v_max_f64 v[22:23], v[48:49], v[42:43]
	v_cndmask_b32_e64 v22, v22, v2, s[20:21]
	v_cndmask_b32_e64 v23, v23, v3, s[20:21]
	;; [unrolled: 1-line block ×4, first 2 shown]
	s_movk_i32 s7, 0x1f8
	v_cmp_neq_f64_e32 vcc, v[26:27], v[24:25]
	v_cmp_class_f64_e64 s[2:3], v[26:27], s7
	s_or_b64 s[2:3], vcc, s[2:3]
	v_pk_mov_b32 v[22:23], v[2:3], v[2:3] op_sel:[0,1]
	s_and_saveexec_b64 s[8:9], s[2:3]
	s_cbranch_execz .LBB49_27
; %bb.26:
	s_mov_b32 s2, 0x652b82fe
	v_add_f64 v[22:23], v[26:27], -v[24:25]
	s_mov_b32 s3, 0x3ff71547
	v_mul_f64 v[26:27], v[22:23], s[2:3]
	v_rndne_f64_e32 v[26:27], v[26:27]
	s_mov_b32 s11, 0xbfe62e42
	s_mov_b32 s10, 0xfefa39ef
	v_fma_f64 v[28:29], s[10:11], v[26:27], v[22:23]
	s_mov_b32 s13, 0xbc7abc9e
	s_mov_b32 s12, 0x3b39803f
	;; [unrolled: 1-line block ×3, first 2 shown]
	v_fmac_f64_e32 v[28:29], s[12:13], v[26:27]
	v_mov_b32_e32 v30, 0xfca7ab0c
	v_mov_b32_e32 v31, 0x3e928af3
	s_mov_b32 s3, 0x3e5ade15
	v_fmac_f64_e32 v[30:31], s[2:3], v[28:29]
	v_mov_b32_e32 v32, 0x623fde64
	v_mov_b32_e32 v33, 0x3ec71dee
	v_fmac_f64_e32 v[32:33], v[28:29], v[30:31]
	v_mov_b32_e32 v30, 0x7c89e6b0
	v_mov_b32_e32 v31, 0x3efa0199
	;; [unrolled: 3-line block ×8, first 2 shown]
	s_mov_b32 s2, 0
	v_fmac_f64_e32 v[30:31], v[28:29], v[32:33]
	s_mov_b32 s3, 0x40900000
	v_fma_f64 v[30:31], v[28:29], v[30:31], 1.0
	v_cmp_nlt_f64_e32 vcc, s[2:3], v[22:23]
	s_mov_b32 s2, 0
	v_fma_f64 v[28:29], v[28:29], v[30:31], 1.0
	v_cvt_i32_f64_e32 v26, v[26:27]
	s_mov_b32 s3, 0xc090cc00
	v_ldexp_f64 v[26:27], v[28:29], v26
	v_mov_b32_e32 v28, 0x7ff00000
	v_cmp_ngt_f64_e64 s[2:3], s[2:3], v[22:23]
	v_cndmask_b32_e32 v27, v28, v27, vcc
	s_and_b64 vcc, s[2:3], vcc
	v_cndmask_b32_e64 v23, 0, v27, s[2:3]
	v_cndmask_b32_e32 v22, 0, v26, vcc
	v_add_f64 v[26:27], v[22:23], 1.0
	v_add_f64 v[28:29], v[26:27], -1.0
	v_add_f64 v[30:31], v[28:29], -v[26:27]
	v_add_f64 v[30:31], v[30:31], 1.0
	v_add_f64 v[28:29], v[22:23], -v[28:29]
	s_mov_b32 s2, 0x55555555
	v_add_f64 v[28:29], v[28:29], v[30:31]
	v_frexp_mant_f64_e32 v[30:31], v[26:27]
	s_mov_b32 s3, 0x3fe55555
	v_frexp_exp_i32_f64_e32 v32, v[26:27]
	v_cmp_gt_f64_e32 vcc, s[2:3], v[30:31]
	v_subbrev_co_u32_e32 v50, vcc, 0, v32, vcc
	v_sub_u32_e32 v30, 0, v50
	v_ldexp_f64 v[26:27], v[26:27], v30
	v_ldexp_f64 v[28:29], v[28:29], v30
	v_add_f64 v[30:31], v[26:27], -1.0
	v_add_f64 v[36:37], v[26:27], 1.0
	v_add_f64 v[32:33], v[30:31], 1.0
	v_add_f64 v[38:39], v[36:37], -1.0
	v_add_f64 v[32:33], v[26:27], -v[32:33]
	v_add_f64 v[26:27], v[26:27], -v[38:39]
	v_add_f64 v[26:27], v[28:29], v[26:27]
	v_add_f64 v[32:33], v[28:29], v[32:33]
	;; [unrolled: 1-line block ×3, first 2 shown]
	v_rcp_f64_e32 v[38:39], v[28:29]
	v_add_f64 v[34:35], v[30:31], v[32:33]
	v_add_f64 v[30:31], v[34:35], -v[30:31]
	v_add_f64 v[30:31], v[32:33], -v[30:31]
	;; [unrolled: 1-line block ×4, first 2 shown]
	v_fma_f64 v[32:33], -v[28:29], v[38:39], 1.0
	v_fmac_f64_e32 v[38:39], v[32:33], v[38:39]
	v_fma_f64 v[32:33], -v[28:29], v[38:39], 1.0
	v_fmac_f64_e32 v[38:39], v[32:33], v[38:39]
	v_mul_f64 v[32:33], v[34:35], v[38:39]
	v_mul_f64 v[36:37], v[28:29], v[32:33]
	v_fma_f64 v[40:41], v[32:33], v[28:29], -v[36:37]
	v_fmac_f64_e32 v[40:41], v[32:33], v[26:27]
	v_add_f64 v[44:45], v[36:37], v[40:41]
	v_add_f64 v[46:47], v[34:35], -v[44:45]
	v_add_f64 v[34:35], v[34:35], -v[46:47]
	;; [unrolled: 1-line block ×4, first 2 shown]
	v_add_f64 v[30:31], v[30:31], v[34:35]
	v_add_f64 v[34:35], v[36:37], -v[40:41]
	v_add_f64 v[30:31], v[34:35], v[30:31]
	v_add_f64 v[34:35], v[46:47], v[30:31]
	v_add_f64 v[36:37], v[46:47], -v[34:35]
	v_add_f64 v[30:31], v[30:31], v[36:37]
	v_mul_f64 v[36:37], v[38:39], v[34:35]
	v_mul_f64 v[40:41], v[28:29], v[36:37]
	v_fma_f64 v[28:29], v[36:37], v[28:29], -v[40:41]
	v_fmac_f64_e32 v[28:29], v[36:37], v[26:27]
	v_add_f64 v[26:27], v[40:41], v[28:29]
	v_add_f64 v[44:45], v[34:35], -v[26:27]
	v_add_f64 v[34:35], v[34:35], -v[44:45]
	;; [unrolled: 1-line block ×4, first 2 shown]
	v_add_f64 v[26:27], v[30:31], v[26:27]
	v_add_f64 v[28:29], v[40:41], -v[28:29]
	v_add_f64 v[26:27], v[28:29], v[26:27]
	v_add_f64 v[28:29], v[32:33], v[36:37]
	;; [unrolled: 1-line block ×3, first 2 shown]
	v_add_f64 v[30:31], v[28:29], -v[32:33]
	v_mul_f64 v[26:27], v[38:39], v[26:27]
	v_add_f64 v[30:31], v[36:37], -v[30:31]
	v_add_f64 v[26:27], v[30:31], v[26:27]
	v_add_f64 v[30:31], v[28:29], v[26:27]
	v_add_f64 v[28:29], v[30:31], -v[28:29]
	s_mov_b32 s2, 0xbf559e2b
	v_add_f64 v[26:27], v[26:27], -v[28:29]
	v_mul_f64 v[28:29], v[30:31], v[30:31]
	v_mov_b32_e32 v32, 0x6b47b09a
	v_mov_b32_e32 v33, 0x3fc38538
	s_mov_b32 s3, 0x3fc3ab76
	v_fmac_f64_e32 v[32:33], s[2:3], v[28:29]
	v_mov_b32_e32 v34, 0xd7f4df2e
	v_mov_b32_e32 v35, 0x3fc7474d
	v_fmac_f64_e32 v[34:35], v[28:29], v[32:33]
	v_mov_b32_e32 v32, 0x16291751
	v_mov_b32_e32 v33, 0x3fcc71c0
	;; [unrolled: 3-line block ×5, first 2 shown]
	v_fmac_f64_e32 v[34:35], v[28:29], v[32:33]
	v_cvt_f64_i32_e32 v[32:33], v50
	s_mov_b32 s11, 0x3fe62e42
	v_mul_f64 v[36:37], v[32:33], s[10:11]
	v_fma_f64 v[38:39], v[32:33], s[10:11], -v[36:37]
	s_mov_b32 s13, 0x3c7abc9e
	v_fmac_f64_e32 v[38:39], s[12:13], v[32:33]
	v_add_f64 v[32:33], v[36:37], v[38:39]
	v_add_f64 v[36:37], v[32:33], -v[36:37]
	v_mul_f64 v[28:29], v[30:31], v[28:29]
	v_add_f64 v[36:37], v[38:39], -v[36:37]
	v_ldexp_f64 v[38:39], v[30:31], 1
	v_mul_f64 v[28:29], v[28:29], v[34:35]
	v_add_f64 v[30:31], v[38:39], v[28:29]
	v_add_f64 v[34:35], v[30:31], -v[38:39]
	v_ldexp_f64 v[26:27], v[26:27], 1
	v_add_f64 v[28:29], v[28:29], -v[34:35]
	v_add_f64 v[26:27], v[26:27], v[28:29]
	v_add_f64 v[28:29], v[30:31], v[26:27]
	v_add_f64 v[30:31], v[28:29], -v[30:31]
	v_add_f64 v[26:27], v[26:27], -v[30:31]
	v_add_f64 v[30:31], v[32:33], v[28:29]
	v_add_f64 v[34:35], v[30:31], -v[32:33]
	v_add_f64 v[38:39], v[30:31], -v[34:35]
	;; [unrolled: 1-line block ×4, first 2 shown]
	v_add_f64 v[28:29], v[28:29], v[32:33]
	v_add_f64 v[32:33], v[36:37], v[26:27]
	v_add_f64 v[34:35], v[32:33], -v[36:37]
	v_add_f64 v[28:29], v[32:33], v[28:29]
	v_add_f64 v[38:39], v[32:33], -v[34:35]
	;; [unrolled: 2-line block ×3, first 2 shown]
	v_add_f64 v[26:27], v[26:27], -v[34:35]
	v_add_f64 v[30:31], v[32:33], -v[30:31]
	v_add_f64 v[26:27], v[26:27], v[36:37]
	v_add_f64 v[28:29], v[28:29], -v[30:31]
	s_mov_b32 s2, 0
	v_add_f64 v[26:27], v[26:27], v[28:29]
	s_mov_b32 s3, 0x7ff00000
	v_add_f64 v[26:27], v[32:33], v[26:27]
	v_cmp_eq_f64_e32 vcc, s[2:3], v[22:23]
	v_cndmask_b32_e32 v26, v26, v22, vcc
	v_cndmask_b32_e32 v27, v27, v23, vcc
	v_mov_b32_e32 v28, 0x7ff80000
	v_cmp_ngt_f64_e32 vcc, -1.0, v[22:23]
	v_cndmask_b32_e32 v27, v28, v27, vcc
	v_cmp_nge_f64_e32 vcc, -1.0, v[22:23]
	v_cndmask_b32_e32 v26, 0, v26, vcc
	v_mov_b32_e32 v28, 0xfff00000
	v_cmp_neq_f64_e32 vcc, -1.0, v[22:23]
	v_cndmask_b32_e32 v27, v28, v27, vcc
	v_add_f64 v[22:23], v[24:25], v[26:27]
.LBB49_27:
	s_or_b64 exec, exec, s[8:9]
	v_max_f64 v[30:31], v[18:19], v[18:19]
	v_max_f64 v[24:25], v[22:23], v[22:23]
	v_min_f64 v[26:27], v[24:25], v[30:31]
	v_cmp_u_f64_e32 vcc, v[22:23], v[22:23]
	v_max_f64 v[24:25], v[24:25], v[30:31]
	v_cndmask_b32_e32 v26, v26, v22, vcc
	v_cndmask_b32_e32 v27, v27, v23, vcc
	v_cmp_u_f64_e64 s[2:3], v[18:19], v[18:19]
	v_cndmask_b32_e32 v24, v24, v22, vcc
	v_cndmask_b32_e32 v25, v25, v23, vcc
	v_cndmask_b32_e64 v27, v27, v19, s[2:3]
	v_cndmask_b32_e64 v26, v26, v18, s[2:3]
	;; [unrolled: 1-line block ×4, first 2 shown]
	v_cmp_neq_f64_e32 vcc, v[26:27], v[24:25]
	v_cmp_class_f64_e64 s[8:9], v[26:27], s7
	s_or_b64 s[8:9], vcc, s[8:9]
	s_and_saveexec_b64 s[10:11], s[8:9]
	s_cbranch_execz .LBB49_29
; %bb.28:
	s_mov_b32 s8, 0x652b82fe
	v_add_f64 v[22:23], v[26:27], -v[24:25]
	s_mov_b32 s9, 0x3ff71547
	v_mul_f64 v[26:27], v[22:23], s[8:9]
	v_rndne_f64_e32 v[26:27], v[26:27]
	s_mov_b32 s13, 0xbfe62e42
	s_mov_b32 s12, 0xfefa39ef
	v_fma_f64 v[28:29], s[12:13], v[26:27], v[22:23]
	s_mov_b32 s15, 0xbc7abc9e
	s_mov_b32 s14, 0x3b39803f
	;; [unrolled: 1-line block ×3, first 2 shown]
	v_fmac_f64_e32 v[28:29], s[14:15], v[26:27]
	v_mov_b32_e32 v32, 0xfca7ab0c
	v_mov_b32_e32 v33, 0x3e928af3
	s_mov_b32 s9, 0x3e5ade15
	v_fmac_f64_e32 v[32:33], s[8:9], v[28:29]
	v_mov_b32_e32 v34, 0x623fde64
	v_mov_b32_e32 v35, 0x3ec71dee
	v_fmac_f64_e32 v[34:35], v[28:29], v[32:33]
	v_mov_b32_e32 v32, 0x7c89e6b0
	v_mov_b32_e32 v33, 0x3efa0199
	;; [unrolled: 3-line block ×8, first 2 shown]
	s_mov_b32 s8, 0
	v_fmac_f64_e32 v[32:33], v[28:29], v[34:35]
	s_mov_b32 s9, 0x40900000
	v_fma_f64 v[32:33], v[28:29], v[32:33], 1.0
	v_cmp_nlt_f64_e32 vcc, s[8:9], v[22:23]
	s_mov_b32 s8, 0
	v_fma_f64 v[28:29], v[28:29], v[32:33], 1.0
	v_cvt_i32_f64_e32 v26, v[26:27]
	s_mov_b32 s9, 0xc090cc00
	v_ldexp_f64 v[26:27], v[28:29], v26
	v_mov_b32_e32 v28, 0x7ff00000
	v_cmp_ngt_f64_e64 s[8:9], s[8:9], v[22:23]
	v_cndmask_b32_e32 v27, v28, v27, vcc
	s_and_b64 vcc, s[8:9], vcc
	v_cndmask_b32_e64 v23, 0, v27, s[8:9]
	v_cndmask_b32_e32 v22, 0, v26, vcc
	v_add_f64 v[26:27], v[22:23], 1.0
	v_add_f64 v[28:29], v[26:27], -1.0
	v_add_f64 v[32:33], v[28:29], -v[26:27]
	v_add_f64 v[32:33], v[32:33], 1.0
	v_add_f64 v[28:29], v[22:23], -v[28:29]
	s_mov_b32 s8, 0x55555555
	v_add_f64 v[28:29], v[28:29], v[32:33]
	v_frexp_mant_f64_e32 v[32:33], v[26:27]
	s_mov_b32 s9, 0x3fe55555
	v_frexp_exp_i32_f64_e32 v34, v[26:27]
	v_cmp_gt_f64_e32 vcc, s[8:9], v[32:33]
	v_subbrev_co_u32_e32 v52, vcc, 0, v34, vcc
	v_sub_u32_e32 v32, 0, v52
	v_ldexp_f64 v[26:27], v[26:27], v32
	v_ldexp_f64 v[28:29], v[28:29], v32
	v_add_f64 v[32:33], v[26:27], -1.0
	v_add_f64 v[38:39], v[26:27], 1.0
	v_add_f64 v[34:35], v[32:33], 1.0
	v_add_f64 v[40:41], v[38:39], -1.0
	v_add_f64 v[34:35], v[26:27], -v[34:35]
	v_add_f64 v[26:27], v[26:27], -v[40:41]
	v_add_f64 v[26:27], v[28:29], v[26:27]
	v_add_f64 v[34:35], v[28:29], v[34:35]
	;; [unrolled: 1-line block ×3, first 2 shown]
	v_rcp_f64_e32 v[40:41], v[28:29]
	v_add_f64 v[36:37], v[32:33], v[34:35]
	v_add_f64 v[32:33], v[36:37], -v[32:33]
	v_add_f64 v[32:33], v[34:35], -v[32:33]
	;; [unrolled: 1-line block ×4, first 2 shown]
	v_fma_f64 v[34:35], -v[28:29], v[40:41], 1.0
	v_fmac_f64_e32 v[40:41], v[34:35], v[40:41]
	v_fma_f64 v[34:35], -v[28:29], v[40:41], 1.0
	v_fmac_f64_e32 v[40:41], v[34:35], v[40:41]
	v_mul_f64 v[34:35], v[36:37], v[40:41]
	v_mul_f64 v[38:39], v[28:29], v[34:35]
	v_fma_f64 v[44:45], v[34:35], v[28:29], -v[38:39]
	v_fmac_f64_e32 v[44:45], v[34:35], v[26:27]
	v_add_f64 v[46:47], v[38:39], v[44:45]
	v_add_f64 v[50:51], v[36:37], -v[46:47]
	v_add_f64 v[36:37], v[36:37], -v[50:51]
	;; [unrolled: 1-line block ×4, first 2 shown]
	v_add_f64 v[32:33], v[32:33], v[36:37]
	v_add_f64 v[36:37], v[38:39], -v[44:45]
	v_add_f64 v[32:33], v[36:37], v[32:33]
	v_add_f64 v[36:37], v[50:51], v[32:33]
	v_add_f64 v[38:39], v[50:51], -v[36:37]
	v_add_f64 v[32:33], v[32:33], v[38:39]
	v_mul_f64 v[38:39], v[40:41], v[36:37]
	v_mul_f64 v[44:45], v[28:29], v[38:39]
	v_fma_f64 v[28:29], v[38:39], v[28:29], -v[44:45]
	v_fmac_f64_e32 v[28:29], v[38:39], v[26:27]
	v_add_f64 v[26:27], v[44:45], v[28:29]
	v_add_f64 v[46:47], v[36:37], -v[26:27]
	v_add_f64 v[36:37], v[36:37], -v[46:47]
	;; [unrolled: 1-line block ×4, first 2 shown]
	v_add_f64 v[26:27], v[32:33], v[26:27]
	v_add_f64 v[28:29], v[44:45], -v[28:29]
	v_add_f64 v[26:27], v[28:29], v[26:27]
	v_add_f64 v[28:29], v[34:35], v[38:39]
	;; [unrolled: 1-line block ×3, first 2 shown]
	v_add_f64 v[32:33], v[28:29], -v[34:35]
	v_mul_f64 v[26:27], v[40:41], v[26:27]
	v_add_f64 v[32:33], v[38:39], -v[32:33]
	v_add_f64 v[26:27], v[32:33], v[26:27]
	v_add_f64 v[32:33], v[28:29], v[26:27]
	v_add_f64 v[28:29], v[32:33], -v[28:29]
	s_mov_b32 s8, 0xbf559e2b
	v_add_f64 v[26:27], v[26:27], -v[28:29]
	v_mul_f64 v[28:29], v[32:33], v[32:33]
	v_mov_b32_e32 v34, 0x6b47b09a
	v_mov_b32_e32 v35, 0x3fc38538
	s_mov_b32 s9, 0x3fc3ab76
	v_fmac_f64_e32 v[34:35], s[8:9], v[28:29]
	v_mov_b32_e32 v36, 0xd7f4df2e
	v_mov_b32_e32 v37, 0x3fc7474d
	v_fmac_f64_e32 v[36:37], v[28:29], v[34:35]
	v_mov_b32_e32 v34, 0x16291751
	v_mov_b32_e32 v35, 0x3fcc71c0
	;; [unrolled: 3-line block ×5, first 2 shown]
	v_fmac_f64_e32 v[36:37], v[28:29], v[34:35]
	v_cvt_f64_i32_e32 v[34:35], v52
	s_mov_b32 s13, 0x3fe62e42
	v_mul_f64 v[38:39], v[34:35], s[12:13]
	v_fma_f64 v[40:41], v[34:35], s[12:13], -v[38:39]
	s_mov_b32 s15, 0x3c7abc9e
	v_fmac_f64_e32 v[40:41], s[14:15], v[34:35]
	v_add_f64 v[34:35], v[38:39], v[40:41]
	v_add_f64 v[38:39], v[34:35], -v[38:39]
	v_mul_f64 v[28:29], v[32:33], v[28:29]
	v_add_f64 v[38:39], v[40:41], -v[38:39]
	v_ldexp_f64 v[40:41], v[32:33], 1
	v_mul_f64 v[28:29], v[28:29], v[36:37]
	v_add_f64 v[32:33], v[40:41], v[28:29]
	v_add_f64 v[36:37], v[32:33], -v[40:41]
	v_ldexp_f64 v[26:27], v[26:27], 1
	v_add_f64 v[28:29], v[28:29], -v[36:37]
	v_add_f64 v[26:27], v[26:27], v[28:29]
	v_add_f64 v[28:29], v[32:33], v[26:27]
	v_add_f64 v[32:33], v[28:29], -v[32:33]
	v_add_f64 v[26:27], v[26:27], -v[32:33]
	v_add_f64 v[32:33], v[34:35], v[28:29]
	v_add_f64 v[36:37], v[32:33], -v[34:35]
	v_add_f64 v[40:41], v[32:33], -v[36:37]
	;; [unrolled: 1-line block ×4, first 2 shown]
	v_add_f64 v[28:29], v[28:29], v[34:35]
	v_add_f64 v[34:35], v[38:39], v[26:27]
	v_add_f64 v[36:37], v[34:35], -v[38:39]
	v_add_f64 v[28:29], v[34:35], v[28:29]
	v_add_f64 v[40:41], v[34:35], -v[36:37]
	;; [unrolled: 2-line block ×3, first 2 shown]
	v_add_f64 v[26:27], v[26:27], -v[36:37]
	v_add_f64 v[32:33], v[34:35], -v[32:33]
	v_add_f64 v[26:27], v[26:27], v[38:39]
	v_add_f64 v[28:29], v[28:29], -v[32:33]
	s_mov_b32 s8, 0
	v_add_f64 v[26:27], v[26:27], v[28:29]
	s_mov_b32 s9, 0x7ff00000
	v_add_f64 v[26:27], v[34:35], v[26:27]
	v_cmp_eq_f64_e32 vcc, s[8:9], v[22:23]
	v_cndmask_b32_e32 v26, v26, v22, vcc
	v_cndmask_b32_e32 v27, v27, v23, vcc
	v_mov_b32_e32 v28, 0x7ff80000
	v_cmp_ngt_f64_e32 vcc, -1.0, v[22:23]
	v_cndmask_b32_e32 v27, v28, v27, vcc
	v_cmp_nge_f64_e32 vcc, -1.0, v[22:23]
	v_cndmask_b32_e32 v26, 0, v26, vcc
	v_mov_b32_e32 v28, 0xfff00000
	v_cmp_neq_f64_e32 vcc, -1.0, v[22:23]
	v_cndmask_b32_e32 v27, v28, v27, vcc
	v_add_f64 v[22:23], v[24:25], v[26:27]
.LBB49_29:
	s_or_b64 exec, exec, s[10:11]
	v_max_f64 v[32:33], v[20:21], v[20:21]
	v_max_f64 v[24:25], v[22:23], v[22:23]
	v_min_f64 v[26:27], v[24:25], v[32:33]
	v_cmp_u_f64_e32 vcc, v[22:23], v[22:23]
	v_max_f64 v[24:25], v[24:25], v[32:33]
	v_cndmask_b32_e32 v26, v26, v22, vcc
	v_cndmask_b32_e32 v27, v27, v23, vcc
	v_cmp_u_f64_e64 s[24:25], v[20:21], v[20:21]
	v_cndmask_b32_e32 v24, v24, v22, vcc
	v_cndmask_b32_e32 v25, v25, v23, vcc
	v_cndmask_b32_e64 v27, v27, v21, s[24:25]
	v_cndmask_b32_e64 v26, v26, v20, s[24:25]
	;; [unrolled: 1-line block ×4, first 2 shown]
	v_cmp_neq_f64_e32 vcc, v[26:27], v[24:25]
	v_cmp_class_f64_e64 s[8:9], v[26:27], s7
	s_or_b64 s[8:9], vcc, s[8:9]
	s_and_saveexec_b64 s[10:11], s[8:9]
	s_cbranch_execz .LBB49_31
; %bb.30:
	s_mov_b32 s8, 0x652b82fe
	v_add_f64 v[22:23], v[26:27], -v[24:25]
	s_mov_b32 s9, 0x3ff71547
	v_mul_f64 v[26:27], v[22:23], s[8:9]
	v_rndne_f64_e32 v[26:27], v[26:27]
	s_mov_b32 s13, 0xbfe62e42
	s_mov_b32 s12, 0xfefa39ef
	v_fma_f64 v[28:29], s[12:13], v[26:27], v[22:23]
	s_mov_b32 s15, 0xbc7abc9e
	s_mov_b32 s14, 0x3b39803f
	;; [unrolled: 1-line block ×3, first 2 shown]
	v_fmac_f64_e32 v[28:29], s[14:15], v[26:27]
	v_mov_b32_e32 v34, 0xfca7ab0c
	v_mov_b32_e32 v35, 0x3e928af3
	s_mov_b32 s9, 0x3e5ade15
	v_fmac_f64_e32 v[34:35], s[8:9], v[28:29]
	v_mov_b32_e32 v36, 0x623fde64
	v_mov_b32_e32 v37, 0x3ec71dee
	v_fmac_f64_e32 v[36:37], v[28:29], v[34:35]
	v_mov_b32_e32 v34, 0x7c89e6b0
	v_mov_b32_e32 v35, 0x3efa0199
	v_fmac_f64_e32 v[34:35], v[28:29], v[36:37]
	v_mov_b32_e32 v36, 0x14761f6e
	v_mov_b32_e32 v37, 0x3f2a01a0
	v_fmac_f64_e32 v[36:37], v[28:29], v[34:35]
	v_mov_b32_e32 v34, 0x1852b7b0
	v_mov_b32_e32 v35, 0x3f56c16c
	v_fmac_f64_e32 v[34:35], v[28:29], v[36:37]
	v_mov_b32_e32 v36, 0x11122322
	v_mov_b32_e32 v37, 0x3f811111
	v_fmac_f64_e32 v[36:37], v[28:29], v[34:35]
	v_mov_b32_e32 v34, 0x555502a1
	v_mov_b32_e32 v35, 0x3fa55555
	v_fmac_f64_e32 v[34:35], v[28:29], v[36:37]
	v_mov_b32_e32 v36, 0x55555511
	v_mov_b32_e32 v37, 0x3fc55555
	v_fmac_f64_e32 v[36:37], v[28:29], v[34:35]
	v_mov_b32_e32 v34, 11
	v_mov_b32_e32 v35, 0x3fe00000
	s_mov_b32 s8, 0
	v_fmac_f64_e32 v[34:35], v[28:29], v[36:37]
	s_mov_b32 s9, 0x40900000
	v_fma_f64 v[34:35], v[28:29], v[34:35], 1.0
	v_cmp_nlt_f64_e32 vcc, s[8:9], v[22:23]
	s_mov_b32 s8, 0
	v_fma_f64 v[28:29], v[28:29], v[34:35], 1.0
	v_cvt_i32_f64_e32 v26, v[26:27]
	s_mov_b32 s9, 0xc090cc00
	v_ldexp_f64 v[26:27], v[28:29], v26
	v_mov_b32_e32 v28, 0x7ff00000
	v_cmp_ngt_f64_e64 s[8:9], s[8:9], v[22:23]
	v_cndmask_b32_e32 v27, v28, v27, vcc
	s_and_b64 vcc, s[8:9], vcc
	v_cndmask_b32_e64 v23, 0, v27, s[8:9]
	v_cndmask_b32_e32 v22, 0, v26, vcc
	v_add_f64 v[26:27], v[22:23], 1.0
	v_add_f64 v[28:29], v[26:27], -1.0
	v_add_f64 v[34:35], v[28:29], -v[26:27]
	v_add_f64 v[34:35], v[34:35], 1.0
	v_add_f64 v[28:29], v[22:23], -v[28:29]
	s_mov_b32 s8, 0x55555555
	v_add_f64 v[28:29], v[28:29], v[34:35]
	v_frexp_mant_f64_e32 v[34:35], v[26:27]
	s_mov_b32 s9, 0x3fe55555
	v_frexp_exp_i32_f64_e32 v36, v[26:27]
	v_cmp_gt_f64_e32 vcc, s[8:9], v[34:35]
	v_subbrev_co_u32_e32 v54, vcc, 0, v36, vcc
	v_sub_u32_e32 v34, 0, v54
	v_ldexp_f64 v[26:27], v[26:27], v34
	v_ldexp_f64 v[28:29], v[28:29], v34
	v_add_f64 v[34:35], v[26:27], -1.0
	v_add_f64 v[40:41], v[26:27], 1.0
	v_add_f64 v[36:37], v[34:35], 1.0
	v_add_f64 v[44:45], v[40:41], -1.0
	v_add_f64 v[36:37], v[26:27], -v[36:37]
	v_add_f64 v[26:27], v[26:27], -v[44:45]
	v_add_f64 v[26:27], v[28:29], v[26:27]
	v_add_f64 v[36:37], v[28:29], v[36:37]
	;; [unrolled: 1-line block ×3, first 2 shown]
	v_rcp_f64_e32 v[44:45], v[28:29]
	v_add_f64 v[38:39], v[34:35], v[36:37]
	v_add_f64 v[34:35], v[38:39], -v[34:35]
	v_add_f64 v[34:35], v[36:37], -v[34:35]
	;; [unrolled: 1-line block ×4, first 2 shown]
	v_fma_f64 v[36:37], -v[28:29], v[44:45], 1.0
	v_fmac_f64_e32 v[44:45], v[36:37], v[44:45]
	v_fma_f64 v[36:37], -v[28:29], v[44:45], 1.0
	v_fmac_f64_e32 v[44:45], v[36:37], v[44:45]
	v_mul_f64 v[36:37], v[38:39], v[44:45]
	v_mul_f64 v[40:41], v[28:29], v[36:37]
	v_fma_f64 v[46:47], v[36:37], v[28:29], -v[40:41]
	v_fmac_f64_e32 v[46:47], v[36:37], v[26:27]
	v_add_f64 v[50:51], v[40:41], v[46:47]
	v_add_f64 v[52:53], v[38:39], -v[50:51]
	v_add_f64 v[38:39], v[38:39], -v[52:53]
	;; [unrolled: 1-line block ×4, first 2 shown]
	v_add_f64 v[34:35], v[34:35], v[38:39]
	v_add_f64 v[38:39], v[40:41], -v[46:47]
	v_add_f64 v[34:35], v[38:39], v[34:35]
	v_add_f64 v[38:39], v[52:53], v[34:35]
	v_add_f64 v[40:41], v[52:53], -v[38:39]
	v_add_f64 v[34:35], v[34:35], v[40:41]
	v_mul_f64 v[40:41], v[44:45], v[38:39]
	v_mul_f64 v[46:47], v[28:29], v[40:41]
	v_fma_f64 v[28:29], v[40:41], v[28:29], -v[46:47]
	v_fmac_f64_e32 v[28:29], v[40:41], v[26:27]
	v_add_f64 v[26:27], v[46:47], v[28:29]
	v_add_f64 v[50:51], v[38:39], -v[26:27]
	v_add_f64 v[38:39], v[38:39], -v[50:51]
	;; [unrolled: 1-line block ×4, first 2 shown]
	v_add_f64 v[26:27], v[34:35], v[26:27]
	v_add_f64 v[28:29], v[46:47], -v[28:29]
	v_add_f64 v[26:27], v[28:29], v[26:27]
	v_add_f64 v[28:29], v[36:37], v[40:41]
	;; [unrolled: 1-line block ×3, first 2 shown]
	v_add_f64 v[34:35], v[28:29], -v[36:37]
	v_mul_f64 v[26:27], v[44:45], v[26:27]
	v_add_f64 v[34:35], v[40:41], -v[34:35]
	v_add_f64 v[26:27], v[34:35], v[26:27]
	v_add_f64 v[34:35], v[28:29], v[26:27]
	v_add_f64 v[28:29], v[34:35], -v[28:29]
	s_mov_b32 s8, 0xbf559e2b
	v_add_f64 v[26:27], v[26:27], -v[28:29]
	v_mul_f64 v[28:29], v[34:35], v[34:35]
	v_mov_b32_e32 v36, 0x6b47b09a
	v_mov_b32_e32 v37, 0x3fc38538
	s_mov_b32 s9, 0x3fc3ab76
	v_fmac_f64_e32 v[36:37], s[8:9], v[28:29]
	v_mov_b32_e32 v38, 0xd7f4df2e
	v_mov_b32_e32 v39, 0x3fc7474d
	v_fmac_f64_e32 v[38:39], v[28:29], v[36:37]
	v_mov_b32_e32 v36, 0x16291751
	v_mov_b32_e32 v37, 0x3fcc71c0
	;; [unrolled: 3-line block ×5, first 2 shown]
	v_fmac_f64_e32 v[38:39], v[28:29], v[36:37]
	v_cvt_f64_i32_e32 v[36:37], v54
	s_mov_b32 s13, 0x3fe62e42
	v_mul_f64 v[40:41], v[36:37], s[12:13]
	v_fma_f64 v[44:45], v[36:37], s[12:13], -v[40:41]
	s_mov_b32 s15, 0x3c7abc9e
	v_fmac_f64_e32 v[44:45], s[14:15], v[36:37]
	v_add_f64 v[36:37], v[40:41], v[44:45]
	v_add_f64 v[40:41], v[36:37], -v[40:41]
	v_mul_f64 v[28:29], v[34:35], v[28:29]
	v_add_f64 v[40:41], v[44:45], -v[40:41]
	v_ldexp_f64 v[44:45], v[34:35], 1
	v_mul_f64 v[28:29], v[28:29], v[38:39]
	v_add_f64 v[34:35], v[44:45], v[28:29]
	v_add_f64 v[38:39], v[34:35], -v[44:45]
	v_ldexp_f64 v[26:27], v[26:27], 1
	v_add_f64 v[28:29], v[28:29], -v[38:39]
	v_add_f64 v[26:27], v[26:27], v[28:29]
	v_add_f64 v[28:29], v[34:35], v[26:27]
	v_add_f64 v[34:35], v[28:29], -v[34:35]
	v_add_f64 v[26:27], v[26:27], -v[34:35]
	v_add_f64 v[34:35], v[36:37], v[28:29]
	v_add_f64 v[38:39], v[34:35], -v[36:37]
	v_add_f64 v[44:45], v[34:35], -v[38:39]
	;; [unrolled: 1-line block ×4, first 2 shown]
	v_add_f64 v[28:29], v[28:29], v[36:37]
	v_add_f64 v[36:37], v[40:41], v[26:27]
	v_add_f64 v[38:39], v[36:37], -v[40:41]
	v_add_f64 v[28:29], v[36:37], v[28:29]
	v_add_f64 v[44:45], v[36:37], -v[38:39]
	;; [unrolled: 2-line block ×3, first 2 shown]
	v_add_f64 v[26:27], v[26:27], -v[38:39]
	v_add_f64 v[34:35], v[36:37], -v[34:35]
	v_add_f64 v[26:27], v[26:27], v[40:41]
	v_add_f64 v[28:29], v[28:29], -v[34:35]
	s_mov_b32 s8, 0
	v_add_f64 v[26:27], v[26:27], v[28:29]
	s_mov_b32 s9, 0x7ff00000
	v_add_f64 v[26:27], v[36:37], v[26:27]
	v_cmp_eq_f64_e32 vcc, s[8:9], v[22:23]
	v_cndmask_b32_e32 v26, v26, v22, vcc
	v_cndmask_b32_e32 v27, v27, v23, vcc
	v_mov_b32_e32 v28, 0x7ff80000
	v_cmp_ngt_f64_e32 vcc, -1.0, v[22:23]
	v_cndmask_b32_e32 v27, v28, v27, vcc
	v_cmp_nge_f64_e32 vcc, -1.0, v[22:23]
	v_cndmask_b32_e32 v26, 0, v26, vcc
	v_mov_b32_e32 v28, 0xfff00000
	v_cmp_neq_f64_e32 vcc, -1.0, v[22:23]
	v_cndmask_b32_e32 v27, v28, v27, vcc
	v_add_f64 v[22:23], v[24:25], v[26:27]
.LBB49_31:
	s_or_b64 exec, exec, s[10:11]
	v_max_f64 v[34:35], v[14:15], v[14:15]
	v_max_f64 v[24:25], v[22:23], v[22:23]
	v_min_f64 v[26:27], v[24:25], v[34:35]
	v_cmp_u_f64_e32 vcc, v[22:23], v[22:23]
	v_max_f64 v[24:25], v[24:25], v[34:35]
	v_cndmask_b32_e32 v26, v26, v22, vcc
	v_cndmask_b32_e32 v27, v27, v23, vcc
	v_cmp_u_f64_e64 s[8:9], v[14:15], v[14:15]
	v_cndmask_b32_e32 v24, v24, v22, vcc
	v_cndmask_b32_e32 v25, v25, v23, vcc
	v_cndmask_b32_e64 v27, v27, v15, s[8:9]
	v_cndmask_b32_e64 v26, v26, v14, s[8:9]
	;; [unrolled: 1-line block ×4, first 2 shown]
	v_cmp_neq_f64_e32 vcc, v[26:27], v[24:25]
	v_cmp_class_f64_e64 s[10:11], v[26:27], s7
	s_or_b64 s[10:11], vcc, s[10:11]
	s_and_saveexec_b64 s[12:13], s[10:11]
	s_cbranch_execz .LBB49_33
; %bb.32:
	s_mov_b32 s10, 0x652b82fe
	v_add_f64 v[22:23], v[26:27], -v[24:25]
	s_mov_b32 s11, 0x3ff71547
	v_mul_f64 v[26:27], v[22:23], s[10:11]
	v_rndne_f64_e32 v[26:27], v[26:27]
	s_mov_b32 s15, 0xbfe62e42
	s_mov_b32 s14, 0xfefa39ef
	v_fma_f64 v[28:29], s[14:15], v[26:27], v[22:23]
	s_mov_b32 s17, 0xbc7abc9e
	s_mov_b32 s16, 0x3b39803f
	;; [unrolled: 1-line block ×3, first 2 shown]
	v_fmac_f64_e32 v[28:29], s[16:17], v[26:27]
	v_mov_b32_e32 v36, 0xfca7ab0c
	v_mov_b32_e32 v37, 0x3e928af3
	s_mov_b32 s11, 0x3e5ade15
	v_fmac_f64_e32 v[36:37], s[10:11], v[28:29]
	v_mov_b32_e32 v38, 0x623fde64
	v_mov_b32_e32 v39, 0x3ec71dee
	v_fmac_f64_e32 v[38:39], v[28:29], v[36:37]
	v_mov_b32_e32 v36, 0x7c89e6b0
	v_mov_b32_e32 v37, 0x3efa0199
	;; [unrolled: 3-line block ×8, first 2 shown]
	s_mov_b32 s10, 0
	v_fmac_f64_e32 v[36:37], v[28:29], v[38:39]
	s_mov_b32 s11, 0x40900000
	v_fma_f64 v[36:37], v[28:29], v[36:37], 1.0
	v_cmp_nlt_f64_e32 vcc, s[10:11], v[22:23]
	s_mov_b32 s10, 0
	v_fma_f64 v[28:29], v[28:29], v[36:37], 1.0
	v_cvt_i32_f64_e32 v26, v[26:27]
	s_mov_b32 s11, 0xc090cc00
	v_ldexp_f64 v[26:27], v[28:29], v26
	v_mov_b32_e32 v28, 0x7ff00000
	v_cmp_ngt_f64_e64 s[10:11], s[10:11], v[22:23]
	v_cndmask_b32_e32 v27, v28, v27, vcc
	s_and_b64 vcc, s[10:11], vcc
	v_cndmask_b32_e64 v23, 0, v27, s[10:11]
	v_cndmask_b32_e32 v22, 0, v26, vcc
	v_add_f64 v[26:27], v[22:23], 1.0
	v_add_f64 v[28:29], v[26:27], -1.0
	v_add_f64 v[36:37], v[28:29], -v[26:27]
	v_add_f64 v[36:37], v[36:37], 1.0
	v_add_f64 v[28:29], v[22:23], -v[28:29]
	s_mov_b32 s10, 0x55555555
	v_add_f64 v[28:29], v[28:29], v[36:37]
	v_frexp_mant_f64_e32 v[36:37], v[26:27]
	s_mov_b32 s11, 0x3fe55555
	v_frexp_exp_i32_f64_e32 v38, v[26:27]
	v_cmp_gt_f64_e32 vcc, s[10:11], v[36:37]
	v_subbrev_co_u32_e32 v56, vcc, 0, v38, vcc
	v_sub_u32_e32 v36, 0, v56
	v_ldexp_f64 v[26:27], v[26:27], v36
	v_ldexp_f64 v[28:29], v[28:29], v36
	v_add_f64 v[36:37], v[26:27], -1.0
	v_add_f64 v[44:45], v[26:27], 1.0
	v_add_f64 v[38:39], v[36:37], 1.0
	v_add_f64 v[46:47], v[44:45], -1.0
	v_add_f64 v[38:39], v[26:27], -v[38:39]
	v_add_f64 v[26:27], v[26:27], -v[46:47]
	v_add_f64 v[26:27], v[28:29], v[26:27]
	v_add_f64 v[38:39], v[28:29], v[38:39]
	;; [unrolled: 1-line block ×3, first 2 shown]
	v_rcp_f64_e32 v[46:47], v[28:29]
	v_add_f64 v[40:41], v[36:37], v[38:39]
	v_add_f64 v[36:37], v[40:41], -v[36:37]
	v_add_f64 v[36:37], v[38:39], -v[36:37]
	v_add_f64 v[38:39], v[28:29], -v[44:45]
	v_add_f64 v[26:27], v[26:27], -v[38:39]
	v_fma_f64 v[38:39], -v[28:29], v[46:47], 1.0
	v_fmac_f64_e32 v[46:47], v[38:39], v[46:47]
	v_fma_f64 v[38:39], -v[28:29], v[46:47], 1.0
	v_fmac_f64_e32 v[46:47], v[38:39], v[46:47]
	v_mul_f64 v[38:39], v[40:41], v[46:47]
	v_mul_f64 v[44:45], v[28:29], v[38:39]
	v_fma_f64 v[50:51], v[38:39], v[28:29], -v[44:45]
	v_fmac_f64_e32 v[50:51], v[38:39], v[26:27]
	v_add_f64 v[52:53], v[44:45], v[50:51]
	v_add_f64 v[54:55], v[40:41], -v[52:53]
	v_add_f64 v[40:41], v[40:41], -v[54:55]
	;; [unrolled: 1-line block ×4, first 2 shown]
	v_add_f64 v[36:37], v[36:37], v[40:41]
	v_add_f64 v[40:41], v[44:45], -v[50:51]
	v_add_f64 v[36:37], v[40:41], v[36:37]
	v_add_f64 v[40:41], v[54:55], v[36:37]
	v_add_f64 v[44:45], v[54:55], -v[40:41]
	v_add_f64 v[36:37], v[36:37], v[44:45]
	v_mul_f64 v[44:45], v[46:47], v[40:41]
	v_mul_f64 v[50:51], v[28:29], v[44:45]
	v_fma_f64 v[28:29], v[44:45], v[28:29], -v[50:51]
	v_fmac_f64_e32 v[28:29], v[44:45], v[26:27]
	v_add_f64 v[26:27], v[50:51], v[28:29]
	v_add_f64 v[52:53], v[40:41], -v[26:27]
	v_add_f64 v[40:41], v[40:41], -v[52:53]
	;; [unrolled: 1-line block ×4, first 2 shown]
	v_add_f64 v[26:27], v[36:37], v[26:27]
	v_add_f64 v[28:29], v[50:51], -v[28:29]
	v_add_f64 v[26:27], v[28:29], v[26:27]
	v_add_f64 v[28:29], v[38:39], v[44:45]
	;; [unrolled: 1-line block ×3, first 2 shown]
	v_add_f64 v[36:37], v[28:29], -v[38:39]
	v_mul_f64 v[26:27], v[46:47], v[26:27]
	v_add_f64 v[36:37], v[44:45], -v[36:37]
	v_add_f64 v[26:27], v[36:37], v[26:27]
	v_add_f64 v[36:37], v[28:29], v[26:27]
	v_add_f64 v[28:29], v[36:37], -v[28:29]
	s_mov_b32 s10, 0xbf559e2b
	v_add_f64 v[26:27], v[26:27], -v[28:29]
	v_mul_f64 v[28:29], v[36:37], v[36:37]
	v_mov_b32_e32 v38, 0x6b47b09a
	v_mov_b32_e32 v39, 0x3fc38538
	s_mov_b32 s11, 0x3fc3ab76
	v_fmac_f64_e32 v[38:39], s[10:11], v[28:29]
	v_mov_b32_e32 v40, 0xd7f4df2e
	v_mov_b32_e32 v41, 0x3fc7474d
	v_fmac_f64_e32 v[40:41], v[28:29], v[38:39]
	v_mov_b32_e32 v38, 0x16291751
	v_mov_b32_e32 v39, 0x3fcc71c0
	;; [unrolled: 3-line block ×5, first 2 shown]
	v_fmac_f64_e32 v[40:41], v[28:29], v[38:39]
	v_cvt_f64_i32_e32 v[38:39], v56
	s_mov_b32 s15, 0x3fe62e42
	v_mul_f64 v[44:45], v[38:39], s[14:15]
	v_fma_f64 v[46:47], v[38:39], s[14:15], -v[44:45]
	s_mov_b32 s17, 0x3c7abc9e
	v_fmac_f64_e32 v[46:47], s[16:17], v[38:39]
	v_add_f64 v[38:39], v[44:45], v[46:47]
	v_add_f64 v[44:45], v[38:39], -v[44:45]
	v_mul_f64 v[28:29], v[36:37], v[28:29]
	v_add_f64 v[44:45], v[46:47], -v[44:45]
	v_ldexp_f64 v[46:47], v[36:37], 1
	v_mul_f64 v[28:29], v[28:29], v[40:41]
	v_add_f64 v[36:37], v[46:47], v[28:29]
	v_add_f64 v[40:41], v[36:37], -v[46:47]
	v_ldexp_f64 v[26:27], v[26:27], 1
	v_add_f64 v[28:29], v[28:29], -v[40:41]
	v_add_f64 v[26:27], v[26:27], v[28:29]
	v_add_f64 v[28:29], v[36:37], v[26:27]
	v_add_f64 v[36:37], v[28:29], -v[36:37]
	v_add_f64 v[26:27], v[26:27], -v[36:37]
	v_add_f64 v[36:37], v[38:39], v[28:29]
	v_add_f64 v[40:41], v[36:37], -v[38:39]
	v_add_f64 v[46:47], v[36:37], -v[40:41]
	;; [unrolled: 1-line block ×4, first 2 shown]
	v_add_f64 v[28:29], v[28:29], v[38:39]
	v_add_f64 v[38:39], v[44:45], v[26:27]
	v_add_f64 v[40:41], v[38:39], -v[44:45]
	v_add_f64 v[28:29], v[38:39], v[28:29]
	v_add_f64 v[46:47], v[38:39], -v[40:41]
	;; [unrolled: 2-line block ×3, first 2 shown]
	v_add_f64 v[26:27], v[26:27], -v[40:41]
	v_add_f64 v[36:37], v[38:39], -v[36:37]
	v_add_f64 v[26:27], v[26:27], v[44:45]
	v_add_f64 v[28:29], v[28:29], -v[36:37]
	s_mov_b32 s10, 0
	v_add_f64 v[26:27], v[26:27], v[28:29]
	s_mov_b32 s11, 0x7ff00000
	v_add_f64 v[26:27], v[38:39], v[26:27]
	v_cmp_eq_f64_e32 vcc, s[10:11], v[22:23]
	v_cndmask_b32_e32 v26, v26, v22, vcc
	v_cndmask_b32_e32 v27, v27, v23, vcc
	v_mov_b32_e32 v28, 0x7ff80000
	v_cmp_ngt_f64_e32 vcc, -1.0, v[22:23]
	v_cndmask_b32_e32 v27, v28, v27, vcc
	v_cmp_nge_f64_e32 vcc, -1.0, v[22:23]
	v_cndmask_b32_e32 v26, 0, v26, vcc
	v_mov_b32_e32 v28, 0xfff00000
	v_cmp_neq_f64_e32 vcc, -1.0, v[22:23]
	v_cndmask_b32_e32 v27, v28, v27, vcc
	v_add_f64 v[22:23], v[24:25], v[26:27]
.LBB49_33:
	s_or_b64 exec, exec, s[12:13]
	v_max_f64 v[36:37], v[16:17], v[16:17]
	v_max_f64 v[24:25], v[22:23], v[22:23]
	v_min_f64 v[26:27], v[24:25], v[36:37]
	v_cmp_u_f64_e32 vcc, v[22:23], v[22:23]
	v_max_f64 v[24:25], v[24:25], v[36:37]
	v_cndmask_b32_e32 v26, v26, v22, vcc
	v_cndmask_b32_e32 v27, v27, v23, vcc
	v_cmp_u_f64_e64 s[10:11], v[16:17], v[16:17]
	v_cndmask_b32_e32 v24, v24, v22, vcc
	v_cndmask_b32_e32 v25, v25, v23, vcc
	v_cndmask_b32_e64 v27, v27, v17, s[10:11]
	v_cndmask_b32_e64 v26, v26, v16, s[10:11]
	v_cndmask_b32_e64 v25, v25, v17, s[10:11]
	v_cndmask_b32_e64 v24, v24, v16, s[10:11]
	v_cmp_neq_f64_e32 vcc, v[26:27], v[24:25]
	v_cmp_class_f64_e64 s[12:13], v[26:27], s7
	s_or_b64 s[12:13], vcc, s[12:13]
	s_and_saveexec_b64 s[14:15], s[12:13]
	s_cbranch_execz .LBB49_35
; %bb.34:
	s_mov_b32 s12, 0x652b82fe
	v_add_f64 v[22:23], v[26:27], -v[24:25]
	s_mov_b32 s13, 0x3ff71547
	v_mul_f64 v[26:27], v[22:23], s[12:13]
	v_rndne_f64_e32 v[26:27], v[26:27]
	s_mov_b32 s17, 0xbfe62e42
	s_mov_b32 s16, 0xfefa39ef
	v_fma_f64 v[28:29], s[16:17], v[26:27], v[22:23]
	s_mov_b32 s19, 0xbc7abc9e
	s_mov_b32 s18, 0x3b39803f
	;; [unrolled: 1-line block ×3, first 2 shown]
	v_fmac_f64_e32 v[28:29], s[18:19], v[26:27]
	v_mov_b32_e32 v38, 0xfca7ab0c
	v_mov_b32_e32 v39, 0x3e928af3
	s_mov_b32 s13, 0x3e5ade15
	v_fmac_f64_e32 v[38:39], s[12:13], v[28:29]
	v_mov_b32_e32 v40, 0x623fde64
	v_mov_b32_e32 v41, 0x3ec71dee
	v_fmac_f64_e32 v[40:41], v[28:29], v[38:39]
	v_mov_b32_e32 v38, 0x7c89e6b0
	v_mov_b32_e32 v39, 0x3efa0199
	;; [unrolled: 3-line block ×8, first 2 shown]
	s_mov_b32 s12, 0
	v_fmac_f64_e32 v[38:39], v[28:29], v[40:41]
	s_mov_b32 s13, 0x40900000
	v_fma_f64 v[38:39], v[28:29], v[38:39], 1.0
	v_cmp_nlt_f64_e32 vcc, s[12:13], v[22:23]
	s_mov_b32 s12, 0
	v_fma_f64 v[28:29], v[28:29], v[38:39], 1.0
	v_cvt_i32_f64_e32 v26, v[26:27]
	s_mov_b32 s13, 0xc090cc00
	v_ldexp_f64 v[26:27], v[28:29], v26
	v_mov_b32_e32 v28, 0x7ff00000
	v_cmp_ngt_f64_e64 s[12:13], s[12:13], v[22:23]
	v_cndmask_b32_e32 v27, v28, v27, vcc
	s_and_b64 vcc, s[12:13], vcc
	v_cndmask_b32_e64 v23, 0, v27, s[12:13]
	v_cndmask_b32_e32 v22, 0, v26, vcc
	v_add_f64 v[26:27], v[22:23], 1.0
	v_add_f64 v[28:29], v[26:27], -1.0
	v_add_f64 v[38:39], v[28:29], -v[26:27]
	v_add_f64 v[38:39], v[38:39], 1.0
	v_add_f64 v[28:29], v[22:23], -v[28:29]
	s_mov_b32 s12, 0x55555555
	v_add_f64 v[28:29], v[28:29], v[38:39]
	v_frexp_mant_f64_e32 v[38:39], v[26:27]
	s_mov_b32 s13, 0x3fe55555
	v_frexp_exp_i32_f64_e32 v40, v[26:27]
	v_cmp_gt_f64_e32 vcc, s[12:13], v[38:39]
	v_subbrev_co_u32_e32 v58, vcc, 0, v40, vcc
	v_sub_u32_e32 v38, 0, v58
	v_ldexp_f64 v[26:27], v[26:27], v38
	v_ldexp_f64 v[28:29], v[28:29], v38
	v_add_f64 v[38:39], v[26:27], -1.0
	v_add_f64 v[46:47], v[26:27], 1.0
	v_add_f64 v[40:41], v[38:39], 1.0
	v_add_f64 v[50:51], v[46:47], -1.0
	v_add_f64 v[40:41], v[26:27], -v[40:41]
	v_add_f64 v[26:27], v[26:27], -v[50:51]
	v_add_f64 v[26:27], v[28:29], v[26:27]
	v_add_f64 v[40:41], v[28:29], v[40:41]
	;; [unrolled: 1-line block ×3, first 2 shown]
	v_rcp_f64_e32 v[50:51], v[28:29]
	v_add_f64 v[44:45], v[38:39], v[40:41]
	v_add_f64 v[38:39], v[44:45], -v[38:39]
	v_add_f64 v[38:39], v[40:41], -v[38:39]
	;; [unrolled: 1-line block ×4, first 2 shown]
	v_fma_f64 v[40:41], -v[28:29], v[50:51], 1.0
	v_fmac_f64_e32 v[50:51], v[40:41], v[50:51]
	v_fma_f64 v[40:41], -v[28:29], v[50:51], 1.0
	v_fmac_f64_e32 v[50:51], v[40:41], v[50:51]
	v_mul_f64 v[40:41], v[44:45], v[50:51]
	v_mul_f64 v[46:47], v[28:29], v[40:41]
	v_fma_f64 v[52:53], v[40:41], v[28:29], -v[46:47]
	v_fmac_f64_e32 v[52:53], v[40:41], v[26:27]
	v_add_f64 v[54:55], v[46:47], v[52:53]
	v_add_f64 v[56:57], v[44:45], -v[54:55]
	v_add_f64 v[44:45], v[44:45], -v[56:57]
	;; [unrolled: 1-line block ×4, first 2 shown]
	v_add_f64 v[38:39], v[38:39], v[44:45]
	v_add_f64 v[44:45], v[46:47], -v[52:53]
	v_add_f64 v[38:39], v[44:45], v[38:39]
	v_add_f64 v[44:45], v[56:57], v[38:39]
	v_add_f64 v[46:47], v[56:57], -v[44:45]
	v_add_f64 v[38:39], v[38:39], v[46:47]
	v_mul_f64 v[46:47], v[50:51], v[44:45]
	v_mul_f64 v[52:53], v[28:29], v[46:47]
	v_fma_f64 v[28:29], v[46:47], v[28:29], -v[52:53]
	v_fmac_f64_e32 v[28:29], v[46:47], v[26:27]
	v_add_f64 v[26:27], v[52:53], v[28:29]
	v_add_f64 v[54:55], v[44:45], -v[26:27]
	v_add_f64 v[44:45], v[44:45], -v[54:55]
	;; [unrolled: 1-line block ×4, first 2 shown]
	v_add_f64 v[26:27], v[38:39], v[26:27]
	v_add_f64 v[28:29], v[52:53], -v[28:29]
	v_add_f64 v[26:27], v[28:29], v[26:27]
	v_add_f64 v[28:29], v[40:41], v[46:47]
	;; [unrolled: 1-line block ×3, first 2 shown]
	v_add_f64 v[38:39], v[28:29], -v[40:41]
	v_mul_f64 v[26:27], v[50:51], v[26:27]
	v_add_f64 v[38:39], v[46:47], -v[38:39]
	v_add_f64 v[26:27], v[38:39], v[26:27]
	v_add_f64 v[38:39], v[28:29], v[26:27]
	v_add_f64 v[28:29], v[38:39], -v[28:29]
	s_mov_b32 s12, 0xbf559e2b
	v_add_f64 v[26:27], v[26:27], -v[28:29]
	v_mul_f64 v[28:29], v[38:39], v[38:39]
	v_mov_b32_e32 v40, 0x6b47b09a
	v_mov_b32_e32 v41, 0x3fc38538
	s_mov_b32 s13, 0x3fc3ab76
	v_fmac_f64_e32 v[40:41], s[12:13], v[28:29]
	v_mov_b32_e32 v44, 0xd7f4df2e
	v_mov_b32_e32 v45, 0x3fc7474d
	v_fmac_f64_e32 v[44:45], v[28:29], v[40:41]
	v_mov_b32_e32 v40, 0x16291751
	v_mov_b32_e32 v41, 0x3fcc71c0
	;; [unrolled: 3-line block ×5, first 2 shown]
	v_fmac_f64_e32 v[44:45], v[28:29], v[40:41]
	v_cvt_f64_i32_e32 v[40:41], v58
	s_mov_b32 s17, 0x3fe62e42
	v_mul_f64 v[46:47], v[40:41], s[16:17]
	v_fma_f64 v[50:51], v[40:41], s[16:17], -v[46:47]
	s_mov_b32 s19, 0x3c7abc9e
	v_fmac_f64_e32 v[50:51], s[18:19], v[40:41]
	v_add_f64 v[40:41], v[46:47], v[50:51]
	v_add_f64 v[46:47], v[40:41], -v[46:47]
	v_mul_f64 v[28:29], v[38:39], v[28:29]
	v_add_f64 v[46:47], v[50:51], -v[46:47]
	v_ldexp_f64 v[50:51], v[38:39], 1
	v_mul_f64 v[28:29], v[28:29], v[44:45]
	v_add_f64 v[38:39], v[50:51], v[28:29]
	v_add_f64 v[44:45], v[38:39], -v[50:51]
	v_ldexp_f64 v[26:27], v[26:27], 1
	v_add_f64 v[28:29], v[28:29], -v[44:45]
	v_add_f64 v[26:27], v[26:27], v[28:29]
	v_add_f64 v[28:29], v[38:39], v[26:27]
	v_add_f64 v[38:39], v[28:29], -v[38:39]
	v_add_f64 v[26:27], v[26:27], -v[38:39]
	v_add_f64 v[38:39], v[40:41], v[28:29]
	v_add_f64 v[44:45], v[38:39], -v[40:41]
	v_add_f64 v[50:51], v[38:39], -v[44:45]
	;; [unrolled: 1-line block ×4, first 2 shown]
	v_add_f64 v[28:29], v[28:29], v[40:41]
	v_add_f64 v[40:41], v[46:47], v[26:27]
	v_add_f64 v[44:45], v[40:41], -v[46:47]
	v_add_f64 v[28:29], v[40:41], v[28:29]
	v_add_f64 v[50:51], v[40:41], -v[44:45]
	;; [unrolled: 2-line block ×3, first 2 shown]
	v_add_f64 v[26:27], v[26:27], -v[44:45]
	v_add_f64 v[38:39], v[40:41], -v[38:39]
	v_add_f64 v[26:27], v[26:27], v[46:47]
	v_add_f64 v[28:29], v[28:29], -v[38:39]
	s_mov_b32 s12, 0
	v_add_f64 v[26:27], v[26:27], v[28:29]
	s_mov_b32 s13, 0x7ff00000
	v_add_f64 v[26:27], v[40:41], v[26:27]
	v_cmp_eq_f64_e32 vcc, s[12:13], v[22:23]
	v_cndmask_b32_e32 v26, v26, v22, vcc
	v_cndmask_b32_e32 v27, v27, v23, vcc
	v_mov_b32_e32 v28, 0x7ff80000
	v_cmp_ngt_f64_e32 vcc, -1.0, v[22:23]
	v_cndmask_b32_e32 v27, v28, v27, vcc
	v_cmp_nge_f64_e32 vcc, -1.0, v[22:23]
	v_cndmask_b32_e32 v26, 0, v26, vcc
	v_mov_b32_e32 v28, 0xfff00000
	v_cmp_neq_f64_e32 vcc, -1.0, v[22:23]
	v_cndmask_b32_e32 v27, v28, v27, vcc
	v_add_f64 v[22:23], v[24:25], v[26:27]
.LBB49_35:
	s_or_b64 exec, exec, s[14:15]
	v_max_f64 v[38:39], v[10:11], v[10:11]
	v_max_f64 v[24:25], v[22:23], v[22:23]
	v_min_f64 v[26:27], v[24:25], v[38:39]
	v_cmp_u_f64_e32 vcc, v[22:23], v[22:23]
	v_max_f64 v[24:25], v[24:25], v[38:39]
	v_cndmask_b32_e32 v26, v26, v22, vcc
	v_cndmask_b32_e32 v27, v27, v23, vcc
	v_cmp_u_f64_e64 s[12:13], v[10:11], v[10:11]
	v_cndmask_b32_e32 v24, v24, v22, vcc
	v_cndmask_b32_e32 v25, v25, v23, vcc
	v_cndmask_b32_e64 v27, v27, v11, s[12:13]
	v_cndmask_b32_e64 v26, v26, v10, s[12:13]
	;; [unrolled: 1-line block ×4, first 2 shown]
	v_cmp_neq_f64_e32 vcc, v[26:27], v[24:25]
	v_cmp_class_f64_e64 s[14:15], v[26:27], s7
	s_or_b64 s[14:15], vcc, s[14:15]
	s_and_saveexec_b64 s[16:17], s[14:15]
	s_cbranch_execz .LBB49_37
; %bb.36:
	s_mov_b32 s14, 0x652b82fe
	v_add_f64 v[22:23], v[26:27], -v[24:25]
	s_mov_b32 s15, 0x3ff71547
	v_mul_f64 v[26:27], v[22:23], s[14:15]
	v_rndne_f64_e32 v[26:27], v[26:27]
	s_mov_b32 s19, 0xbfe62e42
	s_mov_b32 s18, 0xfefa39ef
	v_fma_f64 v[28:29], s[18:19], v[26:27], v[22:23]
	s_mov_b32 s23, 0xbc7abc9e
	s_mov_b32 s22, 0x3b39803f
	;; [unrolled: 1-line block ×3, first 2 shown]
	v_fmac_f64_e32 v[28:29], s[22:23], v[26:27]
	v_mov_b32_e32 v40, 0xfca7ab0c
	v_mov_b32_e32 v41, 0x3e928af3
	s_mov_b32 s15, 0x3e5ade15
	v_fmac_f64_e32 v[40:41], s[14:15], v[28:29]
	v_mov_b32_e32 v44, 0x623fde64
	v_mov_b32_e32 v45, 0x3ec71dee
	v_fmac_f64_e32 v[44:45], v[28:29], v[40:41]
	v_mov_b32_e32 v40, 0x7c89e6b0
	v_mov_b32_e32 v41, 0x3efa0199
	;; [unrolled: 3-line block ×8, first 2 shown]
	s_mov_b32 s14, 0
	v_fmac_f64_e32 v[40:41], v[28:29], v[44:45]
	s_mov_b32 s15, 0x40900000
	v_fma_f64 v[40:41], v[28:29], v[40:41], 1.0
	v_cmp_nlt_f64_e32 vcc, s[14:15], v[22:23]
	s_mov_b32 s14, 0
	v_fma_f64 v[28:29], v[28:29], v[40:41], 1.0
	v_cvt_i32_f64_e32 v26, v[26:27]
	s_mov_b32 s15, 0xc090cc00
	v_ldexp_f64 v[26:27], v[28:29], v26
	v_mov_b32_e32 v28, 0x7ff00000
	v_cmp_ngt_f64_e64 s[14:15], s[14:15], v[22:23]
	v_cndmask_b32_e32 v27, v28, v27, vcc
	s_and_b64 vcc, s[14:15], vcc
	v_cndmask_b32_e64 v23, 0, v27, s[14:15]
	v_cndmask_b32_e32 v22, 0, v26, vcc
	v_add_f64 v[26:27], v[22:23], 1.0
	v_add_f64 v[28:29], v[26:27], -1.0
	v_add_f64 v[40:41], v[28:29], -v[26:27]
	v_add_f64 v[40:41], v[40:41], 1.0
	v_add_f64 v[28:29], v[22:23], -v[28:29]
	s_mov_b32 s14, 0x55555555
	v_add_f64 v[28:29], v[28:29], v[40:41]
	v_frexp_mant_f64_e32 v[40:41], v[26:27]
	s_mov_b32 s15, 0x3fe55555
	v_frexp_exp_i32_f64_e32 v44, v[26:27]
	v_cmp_gt_f64_e32 vcc, s[14:15], v[40:41]
	v_subbrev_co_u32_e32 v60, vcc, 0, v44, vcc
	v_sub_u32_e32 v40, 0, v60
	v_ldexp_f64 v[26:27], v[26:27], v40
	v_ldexp_f64 v[28:29], v[28:29], v40
	v_add_f64 v[40:41], v[26:27], -1.0
	v_add_f64 v[50:51], v[26:27], 1.0
	v_add_f64 v[44:45], v[40:41], 1.0
	v_add_f64 v[52:53], v[50:51], -1.0
	v_add_f64 v[44:45], v[26:27], -v[44:45]
	v_add_f64 v[26:27], v[26:27], -v[52:53]
	v_add_f64 v[26:27], v[28:29], v[26:27]
	v_add_f64 v[44:45], v[28:29], v[44:45]
	;; [unrolled: 1-line block ×3, first 2 shown]
	v_rcp_f64_e32 v[52:53], v[28:29]
	v_add_f64 v[46:47], v[40:41], v[44:45]
	v_add_f64 v[40:41], v[46:47], -v[40:41]
	v_add_f64 v[40:41], v[44:45], -v[40:41]
	v_add_f64 v[44:45], v[28:29], -v[50:51]
	v_add_f64 v[26:27], v[26:27], -v[44:45]
	v_fma_f64 v[44:45], -v[28:29], v[52:53], 1.0
	v_fmac_f64_e32 v[52:53], v[44:45], v[52:53]
	v_fma_f64 v[44:45], -v[28:29], v[52:53], 1.0
	v_fmac_f64_e32 v[52:53], v[44:45], v[52:53]
	v_mul_f64 v[44:45], v[46:47], v[52:53]
	v_mul_f64 v[50:51], v[28:29], v[44:45]
	v_fma_f64 v[54:55], v[44:45], v[28:29], -v[50:51]
	v_fmac_f64_e32 v[54:55], v[44:45], v[26:27]
	v_add_f64 v[56:57], v[50:51], v[54:55]
	v_add_f64 v[58:59], v[46:47], -v[56:57]
	v_add_f64 v[46:47], v[46:47], -v[58:59]
	;; [unrolled: 1-line block ×4, first 2 shown]
	v_add_f64 v[40:41], v[40:41], v[46:47]
	v_add_f64 v[46:47], v[50:51], -v[54:55]
	v_add_f64 v[40:41], v[46:47], v[40:41]
	v_add_f64 v[46:47], v[58:59], v[40:41]
	v_add_f64 v[50:51], v[58:59], -v[46:47]
	v_add_f64 v[40:41], v[40:41], v[50:51]
	v_mul_f64 v[50:51], v[52:53], v[46:47]
	v_mul_f64 v[54:55], v[28:29], v[50:51]
	v_fma_f64 v[28:29], v[50:51], v[28:29], -v[54:55]
	v_fmac_f64_e32 v[28:29], v[50:51], v[26:27]
	v_add_f64 v[26:27], v[54:55], v[28:29]
	v_add_f64 v[56:57], v[46:47], -v[26:27]
	v_add_f64 v[46:47], v[46:47], -v[56:57]
	;; [unrolled: 1-line block ×4, first 2 shown]
	v_add_f64 v[26:27], v[40:41], v[26:27]
	v_add_f64 v[28:29], v[54:55], -v[28:29]
	v_add_f64 v[26:27], v[28:29], v[26:27]
	v_add_f64 v[28:29], v[44:45], v[50:51]
	;; [unrolled: 1-line block ×3, first 2 shown]
	v_add_f64 v[40:41], v[28:29], -v[44:45]
	v_mul_f64 v[26:27], v[52:53], v[26:27]
	v_add_f64 v[40:41], v[50:51], -v[40:41]
	v_add_f64 v[26:27], v[40:41], v[26:27]
	v_add_f64 v[40:41], v[28:29], v[26:27]
	v_add_f64 v[28:29], v[40:41], -v[28:29]
	s_mov_b32 s14, 0xbf559e2b
	v_add_f64 v[26:27], v[26:27], -v[28:29]
	v_mul_f64 v[28:29], v[40:41], v[40:41]
	v_mov_b32_e32 v44, 0x6b47b09a
	v_mov_b32_e32 v45, 0x3fc38538
	s_mov_b32 s15, 0x3fc3ab76
	v_fmac_f64_e32 v[44:45], s[14:15], v[28:29]
	v_mov_b32_e32 v46, 0xd7f4df2e
	v_mov_b32_e32 v47, 0x3fc7474d
	v_fmac_f64_e32 v[46:47], v[28:29], v[44:45]
	v_mov_b32_e32 v44, 0x16291751
	v_mov_b32_e32 v45, 0x3fcc71c0
	;; [unrolled: 3-line block ×5, first 2 shown]
	v_fmac_f64_e32 v[46:47], v[28:29], v[44:45]
	v_cvt_f64_i32_e32 v[44:45], v60
	s_mov_b32 s19, 0x3fe62e42
	v_mul_f64 v[50:51], v[44:45], s[18:19]
	v_fma_f64 v[52:53], v[44:45], s[18:19], -v[50:51]
	s_mov_b32 s23, 0x3c7abc9e
	v_fmac_f64_e32 v[52:53], s[22:23], v[44:45]
	v_add_f64 v[44:45], v[50:51], v[52:53]
	v_add_f64 v[50:51], v[44:45], -v[50:51]
	v_mul_f64 v[28:29], v[40:41], v[28:29]
	v_add_f64 v[50:51], v[52:53], -v[50:51]
	v_ldexp_f64 v[52:53], v[40:41], 1
	v_mul_f64 v[28:29], v[28:29], v[46:47]
	v_add_f64 v[40:41], v[52:53], v[28:29]
	v_add_f64 v[46:47], v[40:41], -v[52:53]
	v_ldexp_f64 v[26:27], v[26:27], 1
	v_add_f64 v[28:29], v[28:29], -v[46:47]
	v_add_f64 v[26:27], v[26:27], v[28:29]
	v_add_f64 v[28:29], v[40:41], v[26:27]
	v_add_f64 v[40:41], v[28:29], -v[40:41]
	v_add_f64 v[26:27], v[26:27], -v[40:41]
	v_add_f64 v[40:41], v[44:45], v[28:29]
	v_add_f64 v[46:47], v[40:41], -v[44:45]
	v_add_f64 v[52:53], v[40:41], -v[46:47]
	;; [unrolled: 1-line block ×4, first 2 shown]
	v_add_f64 v[28:29], v[28:29], v[44:45]
	v_add_f64 v[44:45], v[50:51], v[26:27]
	v_add_f64 v[46:47], v[44:45], -v[50:51]
	v_add_f64 v[28:29], v[44:45], v[28:29]
	v_add_f64 v[52:53], v[44:45], -v[46:47]
	;; [unrolled: 2-line block ×3, first 2 shown]
	v_add_f64 v[26:27], v[26:27], -v[46:47]
	v_add_f64 v[40:41], v[44:45], -v[40:41]
	v_add_f64 v[26:27], v[26:27], v[50:51]
	v_add_f64 v[28:29], v[28:29], -v[40:41]
	s_mov_b32 s14, 0
	v_add_f64 v[26:27], v[26:27], v[28:29]
	s_mov_b32 s15, 0x7ff00000
	v_add_f64 v[26:27], v[44:45], v[26:27]
	v_cmp_eq_f64_e32 vcc, s[14:15], v[22:23]
	v_cndmask_b32_e32 v26, v26, v22, vcc
	v_cndmask_b32_e32 v27, v27, v23, vcc
	v_mov_b32_e32 v28, 0x7ff80000
	v_cmp_ngt_f64_e32 vcc, -1.0, v[22:23]
	v_cndmask_b32_e32 v27, v28, v27, vcc
	v_cmp_nge_f64_e32 vcc, -1.0, v[22:23]
	v_cndmask_b32_e32 v26, 0, v26, vcc
	v_mov_b32_e32 v28, 0xfff00000
	v_cmp_neq_f64_e32 vcc, -1.0, v[22:23]
	v_cndmask_b32_e32 v27, v28, v27, vcc
	v_add_f64 v[22:23], v[24:25], v[26:27]
.LBB49_37:
	s_or_b64 exec, exec, s[16:17]
	v_max_f64 v[40:41], v[12:13], v[12:13]
	v_max_f64 v[24:25], v[22:23], v[22:23]
	v_min_f64 v[26:27], v[24:25], v[40:41]
	v_cmp_u_f64_e32 vcc, v[22:23], v[22:23]
	v_max_f64 v[24:25], v[24:25], v[40:41]
	v_cndmask_b32_e32 v26, v26, v22, vcc
	v_cndmask_b32_e32 v27, v27, v23, vcc
	v_cmp_u_f64_e64 s[14:15], v[12:13], v[12:13]
	v_cndmask_b32_e32 v24, v24, v22, vcc
	v_cndmask_b32_e32 v25, v25, v23, vcc
	v_cndmask_b32_e64 v27, v27, v13, s[14:15]
	v_cndmask_b32_e64 v26, v26, v12, s[14:15]
	;; [unrolled: 1-line block ×4, first 2 shown]
	v_cmp_neq_f64_e32 vcc, v[26:27], v[24:25]
	v_cmp_class_f64_e64 s[16:17], v[26:27], s7
	s_or_b64 s[16:17], vcc, s[16:17]
	s_and_saveexec_b64 s[18:19], s[16:17]
	s_cbranch_execz .LBB49_39
; %bb.38:
	s_mov_b32 s16, 0x652b82fe
	v_add_f64 v[22:23], v[26:27], -v[24:25]
	s_mov_b32 s17, 0x3ff71547
	v_mul_f64 v[26:27], v[22:23], s[16:17]
	v_rndne_f64_e32 v[26:27], v[26:27]
	s_mov_b32 s23, 0xbfe62e42
	s_mov_b32 s22, 0xfefa39ef
	v_fma_f64 v[28:29], s[22:23], v[26:27], v[22:23]
	s_mov_b32 s27, 0xbc7abc9e
	s_mov_b32 s26, 0x3b39803f
	;; [unrolled: 1-line block ×3, first 2 shown]
	v_fmac_f64_e32 v[28:29], s[26:27], v[26:27]
	v_mov_b32_e32 v44, 0xfca7ab0c
	v_mov_b32_e32 v45, 0x3e928af3
	s_mov_b32 s17, 0x3e5ade15
	v_fmac_f64_e32 v[44:45], s[16:17], v[28:29]
	v_mov_b32_e32 v46, 0x623fde64
	v_mov_b32_e32 v47, 0x3ec71dee
	v_fmac_f64_e32 v[46:47], v[28:29], v[44:45]
	v_mov_b32_e32 v44, 0x7c89e6b0
	v_mov_b32_e32 v45, 0x3efa0199
	;; [unrolled: 3-line block ×8, first 2 shown]
	s_mov_b32 s16, 0
	v_fmac_f64_e32 v[44:45], v[28:29], v[46:47]
	s_mov_b32 s17, 0x40900000
	v_fma_f64 v[44:45], v[28:29], v[44:45], 1.0
	v_cmp_nlt_f64_e32 vcc, s[16:17], v[22:23]
	s_mov_b32 s16, 0
	v_fma_f64 v[28:29], v[28:29], v[44:45], 1.0
	v_cvt_i32_f64_e32 v26, v[26:27]
	s_mov_b32 s17, 0xc090cc00
	v_ldexp_f64 v[26:27], v[28:29], v26
	v_mov_b32_e32 v28, 0x7ff00000
	v_cmp_ngt_f64_e64 s[16:17], s[16:17], v[22:23]
	v_cndmask_b32_e32 v27, v28, v27, vcc
	s_and_b64 vcc, s[16:17], vcc
	v_cndmask_b32_e64 v23, 0, v27, s[16:17]
	v_cndmask_b32_e32 v22, 0, v26, vcc
	v_add_f64 v[26:27], v[22:23], 1.0
	v_add_f64 v[28:29], v[26:27], -1.0
	v_add_f64 v[44:45], v[28:29], -v[26:27]
	v_add_f64 v[44:45], v[44:45], 1.0
	v_add_f64 v[28:29], v[22:23], -v[28:29]
	s_mov_b32 s16, 0x55555555
	v_add_f64 v[28:29], v[28:29], v[44:45]
	v_frexp_mant_f64_e32 v[44:45], v[26:27]
	s_mov_b32 s17, 0x3fe55555
	v_frexp_exp_i32_f64_e32 v46, v[26:27]
	v_cmp_gt_f64_e32 vcc, s[16:17], v[44:45]
	v_subbrev_co_u32_e32 v62, vcc, 0, v46, vcc
	v_sub_u32_e32 v44, 0, v62
	v_ldexp_f64 v[26:27], v[26:27], v44
	v_ldexp_f64 v[28:29], v[28:29], v44
	v_add_f64 v[44:45], v[26:27], -1.0
	v_add_f64 v[52:53], v[26:27], 1.0
	v_add_f64 v[46:47], v[44:45], 1.0
	v_add_f64 v[54:55], v[52:53], -1.0
	v_add_f64 v[46:47], v[26:27], -v[46:47]
	v_add_f64 v[26:27], v[26:27], -v[54:55]
	v_add_f64 v[26:27], v[28:29], v[26:27]
	v_add_f64 v[46:47], v[28:29], v[46:47]
	;; [unrolled: 1-line block ×3, first 2 shown]
	v_rcp_f64_e32 v[54:55], v[28:29]
	v_add_f64 v[50:51], v[44:45], v[46:47]
	v_add_f64 v[44:45], v[50:51], -v[44:45]
	v_add_f64 v[44:45], v[46:47], -v[44:45]
	v_add_f64 v[46:47], v[28:29], -v[52:53]
	v_add_f64 v[26:27], v[26:27], -v[46:47]
	v_fma_f64 v[46:47], -v[28:29], v[54:55], 1.0
	v_fmac_f64_e32 v[54:55], v[46:47], v[54:55]
	v_fma_f64 v[46:47], -v[28:29], v[54:55], 1.0
	v_fmac_f64_e32 v[54:55], v[46:47], v[54:55]
	v_mul_f64 v[46:47], v[50:51], v[54:55]
	v_mul_f64 v[52:53], v[28:29], v[46:47]
	v_fma_f64 v[56:57], v[46:47], v[28:29], -v[52:53]
	v_fmac_f64_e32 v[56:57], v[46:47], v[26:27]
	v_add_f64 v[58:59], v[52:53], v[56:57]
	v_add_f64 v[60:61], v[50:51], -v[58:59]
	v_add_f64 v[50:51], v[50:51], -v[60:61]
	;; [unrolled: 1-line block ×4, first 2 shown]
	v_add_f64 v[44:45], v[44:45], v[50:51]
	v_add_f64 v[50:51], v[52:53], -v[56:57]
	v_add_f64 v[44:45], v[50:51], v[44:45]
	v_add_f64 v[50:51], v[60:61], v[44:45]
	v_add_f64 v[52:53], v[60:61], -v[50:51]
	v_add_f64 v[44:45], v[44:45], v[52:53]
	v_mul_f64 v[52:53], v[54:55], v[50:51]
	v_mul_f64 v[56:57], v[28:29], v[52:53]
	v_fma_f64 v[28:29], v[52:53], v[28:29], -v[56:57]
	v_fmac_f64_e32 v[28:29], v[52:53], v[26:27]
	v_add_f64 v[26:27], v[56:57], v[28:29]
	v_add_f64 v[58:59], v[50:51], -v[26:27]
	v_add_f64 v[50:51], v[50:51], -v[58:59]
	;; [unrolled: 1-line block ×4, first 2 shown]
	v_add_f64 v[26:27], v[44:45], v[26:27]
	v_add_f64 v[28:29], v[56:57], -v[28:29]
	v_add_f64 v[26:27], v[28:29], v[26:27]
	v_add_f64 v[28:29], v[46:47], v[52:53]
	;; [unrolled: 1-line block ×3, first 2 shown]
	v_add_f64 v[44:45], v[28:29], -v[46:47]
	v_mul_f64 v[26:27], v[54:55], v[26:27]
	v_add_f64 v[44:45], v[52:53], -v[44:45]
	v_add_f64 v[26:27], v[44:45], v[26:27]
	v_add_f64 v[44:45], v[28:29], v[26:27]
	v_add_f64 v[28:29], v[44:45], -v[28:29]
	s_mov_b32 s16, 0xbf559e2b
	v_add_f64 v[26:27], v[26:27], -v[28:29]
	v_mul_f64 v[28:29], v[44:45], v[44:45]
	v_mov_b32_e32 v46, 0x6b47b09a
	v_mov_b32_e32 v47, 0x3fc38538
	s_mov_b32 s17, 0x3fc3ab76
	v_fmac_f64_e32 v[46:47], s[16:17], v[28:29]
	v_mov_b32_e32 v50, 0xd7f4df2e
	v_mov_b32_e32 v51, 0x3fc7474d
	v_fmac_f64_e32 v[50:51], v[28:29], v[46:47]
	v_mov_b32_e32 v46, 0x16291751
	v_mov_b32_e32 v47, 0x3fcc71c0
	;; [unrolled: 3-line block ×5, first 2 shown]
	v_fmac_f64_e32 v[50:51], v[28:29], v[46:47]
	v_cvt_f64_i32_e32 v[46:47], v62
	s_mov_b32 s23, 0x3fe62e42
	v_mul_f64 v[52:53], v[46:47], s[22:23]
	v_fma_f64 v[54:55], v[46:47], s[22:23], -v[52:53]
	s_mov_b32 s27, 0x3c7abc9e
	v_fmac_f64_e32 v[54:55], s[26:27], v[46:47]
	v_add_f64 v[46:47], v[52:53], v[54:55]
	v_add_f64 v[52:53], v[46:47], -v[52:53]
	v_mul_f64 v[28:29], v[44:45], v[28:29]
	v_add_f64 v[52:53], v[54:55], -v[52:53]
	v_ldexp_f64 v[54:55], v[44:45], 1
	v_mul_f64 v[28:29], v[28:29], v[50:51]
	v_add_f64 v[44:45], v[54:55], v[28:29]
	v_add_f64 v[50:51], v[44:45], -v[54:55]
	v_ldexp_f64 v[26:27], v[26:27], 1
	v_add_f64 v[28:29], v[28:29], -v[50:51]
	v_add_f64 v[26:27], v[26:27], v[28:29]
	v_add_f64 v[28:29], v[44:45], v[26:27]
	v_add_f64 v[44:45], v[28:29], -v[44:45]
	v_add_f64 v[26:27], v[26:27], -v[44:45]
	v_add_f64 v[44:45], v[46:47], v[28:29]
	v_add_f64 v[50:51], v[44:45], -v[46:47]
	v_add_f64 v[54:55], v[44:45], -v[50:51]
	;; [unrolled: 1-line block ×4, first 2 shown]
	v_add_f64 v[28:29], v[28:29], v[46:47]
	v_add_f64 v[46:47], v[52:53], v[26:27]
	v_add_f64 v[50:51], v[46:47], -v[52:53]
	v_add_f64 v[28:29], v[46:47], v[28:29]
	v_add_f64 v[54:55], v[46:47], -v[50:51]
	;; [unrolled: 2-line block ×3, first 2 shown]
	v_add_f64 v[26:27], v[26:27], -v[50:51]
	v_add_f64 v[44:45], v[46:47], -v[44:45]
	v_add_f64 v[26:27], v[26:27], v[52:53]
	v_add_f64 v[28:29], v[28:29], -v[44:45]
	s_mov_b32 s16, 0
	v_add_f64 v[26:27], v[26:27], v[28:29]
	s_mov_b32 s17, 0x7ff00000
	v_add_f64 v[26:27], v[46:47], v[26:27]
	v_cmp_eq_f64_e32 vcc, s[16:17], v[22:23]
	v_cndmask_b32_e32 v26, v26, v22, vcc
	v_cndmask_b32_e32 v27, v27, v23, vcc
	v_mov_b32_e32 v28, 0x7ff80000
	v_cmp_ngt_f64_e32 vcc, -1.0, v[22:23]
	v_cndmask_b32_e32 v27, v28, v27, vcc
	v_cmp_nge_f64_e32 vcc, -1.0, v[22:23]
	v_cndmask_b32_e32 v26, 0, v26, vcc
	v_mov_b32_e32 v28, 0xfff00000
	v_cmp_neq_f64_e32 vcc, -1.0, v[22:23]
	v_cndmask_b32_e32 v27, v28, v27, vcc
	v_add_f64 v[22:23], v[24:25], v[26:27]
.LBB49_39:
	s_or_b64 exec, exec, s[18:19]
	v_max_f64 v[44:45], v[6:7], v[6:7]
	v_max_f64 v[24:25], v[22:23], v[22:23]
	v_min_f64 v[26:27], v[24:25], v[44:45]
	v_cmp_u_f64_e32 vcc, v[22:23], v[22:23]
	v_max_f64 v[24:25], v[24:25], v[44:45]
	v_cndmask_b32_e32 v26, v26, v22, vcc
	v_cndmask_b32_e32 v27, v27, v23, vcc
	v_cmp_u_f64_e64 s[16:17], v[6:7], v[6:7]
	v_cndmask_b32_e32 v24, v24, v22, vcc
	v_cndmask_b32_e32 v25, v25, v23, vcc
	v_cndmask_b32_e64 v27, v27, v7, s[16:17]
	v_cndmask_b32_e64 v26, v26, v6, s[16:17]
	;; [unrolled: 1-line block ×4, first 2 shown]
	v_cmp_neq_f64_e32 vcc, v[26:27], v[24:25]
	v_cmp_class_f64_e64 s[18:19], v[26:27], s7
	s_or_b64 s[18:19], vcc, s[18:19]
	s_and_saveexec_b64 s[22:23], s[18:19]
	s_cbranch_execz .LBB49_41
; %bb.40:
	s_mov_b32 s18, 0x652b82fe
	v_add_f64 v[22:23], v[26:27], -v[24:25]
	s_mov_b32 s19, 0x3ff71547
	v_mul_f64 v[26:27], v[22:23], s[18:19]
	v_rndne_f64_e32 v[26:27], v[26:27]
	s_mov_b32 s27, 0xbfe62e42
	s_mov_b32 s26, 0xfefa39ef
	v_fma_f64 v[28:29], s[26:27], v[26:27], v[22:23]
	s_mov_b32 s37, 0xbc7abc9e
	s_mov_b32 s36, 0x3b39803f
	;; [unrolled: 1-line block ×3, first 2 shown]
	v_fmac_f64_e32 v[28:29], s[36:37], v[26:27]
	v_mov_b32_e32 v46, 0xfca7ab0c
	v_mov_b32_e32 v47, 0x3e928af3
	s_mov_b32 s19, 0x3e5ade15
	v_fmac_f64_e32 v[46:47], s[18:19], v[28:29]
	v_mov_b32_e32 v50, 0x623fde64
	v_mov_b32_e32 v51, 0x3ec71dee
	v_fmac_f64_e32 v[50:51], v[28:29], v[46:47]
	v_mov_b32_e32 v46, 0x7c89e6b0
	v_mov_b32_e32 v47, 0x3efa0199
	;; [unrolled: 3-line block ×8, first 2 shown]
	s_mov_b32 s18, 0
	v_fmac_f64_e32 v[46:47], v[28:29], v[50:51]
	s_mov_b32 s19, 0x40900000
	v_fma_f64 v[46:47], v[28:29], v[46:47], 1.0
	v_cmp_nlt_f64_e32 vcc, s[18:19], v[22:23]
	s_mov_b32 s18, 0
	v_fma_f64 v[28:29], v[28:29], v[46:47], 1.0
	v_cvt_i32_f64_e32 v26, v[26:27]
	s_mov_b32 s19, 0xc090cc00
	v_ldexp_f64 v[26:27], v[28:29], v26
	v_mov_b32_e32 v28, 0x7ff00000
	v_cmp_ngt_f64_e64 s[18:19], s[18:19], v[22:23]
	v_cndmask_b32_e32 v27, v28, v27, vcc
	s_and_b64 vcc, s[18:19], vcc
	v_cndmask_b32_e64 v23, 0, v27, s[18:19]
	v_cndmask_b32_e32 v22, 0, v26, vcc
	v_add_f64 v[26:27], v[22:23], 1.0
	v_add_f64 v[28:29], v[26:27], -1.0
	v_add_f64 v[46:47], v[28:29], -v[26:27]
	v_add_f64 v[46:47], v[46:47], 1.0
	v_add_f64 v[28:29], v[22:23], -v[28:29]
	s_mov_b32 s18, 0x55555555
	v_add_f64 v[28:29], v[28:29], v[46:47]
	v_frexp_mant_f64_e32 v[46:47], v[26:27]
	s_mov_b32 s19, 0x3fe55555
	v_frexp_exp_i32_f64_e32 v50, v[26:27]
	v_cmp_gt_f64_e32 vcc, s[18:19], v[46:47]
	v_subbrev_co_u32_e32 v64, vcc, 0, v50, vcc
	v_sub_u32_e32 v46, 0, v64
	v_ldexp_f64 v[26:27], v[26:27], v46
	v_ldexp_f64 v[28:29], v[28:29], v46
	v_add_f64 v[46:47], v[26:27], -1.0
	v_add_f64 v[54:55], v[26:27], 1.0
	v_add_f64 v[50:51], v[46:47], 1.0
	v_add_f64 v[56:57], v[54:55], -1.0
	v_add_f64 v[50:51], v[26:27], -v[50:51]
	v_add_f64 v[26:27], v[26:27], -v[56:57]
	v_add_f64 v[26:27], v[28:29], v[26:27]
	v_add_f64 v[50:51], v[28:29], v[50:51]
	;; [unrolled: 1-line block ×3, first 2 shown]
	v_rcp_f64_e32 v[56:57], v[28:29]
	v_add_f64 v[52:53], v[46:47], v[50:51]
	v_add_f64 v[46:47], v[52:53], -v[46:47]
	v_add_f64 v[46:47], v[50:51], -v[46:47]
	;; [unrolled: 1-line block ×4, first 2 shown]
	v_fma_f64 v[50:51], -v[28:29], v[56:57], 1.0
	v_fmac_f64_e32 v[56:57], v[50:51], v[56:57]
	v_fma_f64 v[50:51], -v[28:29], v[56:57], 1.0
	v_fmac_f64_e32 v[56:57], v[50:51], v[56:57]
	v_mul_f64 v[50:51], v[52:53], v[56:57]
	v_mul_f64 v[54:55], v[28:29], v[50:51]
	v_fma_f64 v[58:59], v[50:51], v[28:29], -v[54:55]
	v_fmac_f64_e32 v[58:59], v[50:51], v[26:27]
	v_add_f64 v[60:61], v[54:55], v[58:59]
	v_add_f64 v[62:63], v[52:53], -v[60:61]
	v_add_f64 v[52:53], v[52:53], -v[62:63]
	;; [unrolled: 1-line block ×4, first 2 shown]
	v_add_f64 v[46:47], v[46:47], v[52:53]
	v_add_f64 v[52:53], v[54:55], -v[58:59]
	v_add_f64 v[46:47], v[52:53], v[46:47]
	v_add_f64 v[52:53], v[62:63], v[46:47]
	v_add_f64 v[54:55], v[62:63], -v[52:53]
	v_add_f64 v[46:47], v[46:47], v[54:55]
	v_mul_f64 v[54:55], v[56:57], v[52:53]
	v_mul_f64 v[58:59], v[28:29], v[54:55]
	v_fma_f64 v[28:29], v[54:55], v[28:29], -v[58:59]
	v_fmac_f64_e32 v[28:29], v[54:55], v[26:27]
	v_add_f64 v[26:27], v[58:59], v[28:29]
	v_add_f64 v[60:61], v[52:53], -v[26:27]
	v_add_f64 v[52:53], v[52:53], -v[60:61]
	;; [unrolled: 1-line block ×4, first 2 shown]
	v_add_f64 v[26:27], v[46:47], v[26:27]
	v_add_f64 v[28:29], v[58:59], -v[28:29]
	v_add_f64 v[26:27], v[28:29], v[26:27]
	v_add_f64 v[28:29], v[50:51], v[54:55]
	;; [unrolled: 1-line block ×3, first 2 shown]
	v_add_f64 v[46:47], v[28:29], -v[50:51]
	v_mul_f64 v[26:27], v[56:57], v[26:27]
	v_add_f64 v[46:47], v[54:55], -v[46:47]
	v_add_f64 v[26:27], v[46:47], v[26:27]
	v_add_f64 v[46:47], v[28:29], v[26:27]
	v_add_f64 v[28:29], v[46:47], -v[28:29]
	s_mov_b32 s18, 0xbf559e2b
	v_add_f64 v[26:27], v[26:27], -v[28:29]
	v_mul_f64 v[28:29], v[46:47], v[46:47]
	v_mov_b32_e32 v50, 0x6b47b09a
	v_mov_b32_e32 v51, 0x3fc38538
	s_mov_b32 s19, 0x3fc3ab76
	v_fmac_f64_e32 v[50:51], s[18:19], v[28:29]
	v_mov_b32_e32 v52, 0xd7f4df2e
	v_mov_b32_e32 v53, 0x3fc7474d
	v_fmac_f64_e32 v[52:53], v[28:29], v[50:51]
	v_mov_b32_e32 v50, 0x16291751
	v_mov_b32_e32 v51, 0x3fcc71c0
	;; [unrolled: 3-line block ×5, first 2 shown]
	v_fmac_f64_e32 v[52:53], v[28:29], v[50:51]
	v_cvt_f64_i32_e32 v[50:51], v64
	s_mov_b32 s27, 0x3fe62e42
	v_mul_f64 v[54:55], v[50:51], s[26:27]
	v_fma_f64 v[56:57], v[50:51], s[26:27], -v[54:55]
	s_mov_b32 s37, 0x3c7abc9e
	v_fmac_f64_e32 v[56:57], s[36:37], v[50:51]
	v_add_f64 v[50:51], v[54:55], v[56:57]
	v_add_f64 v[54:55], v[50:51], -v[54:55]
	v_mul_f64 v[28:29], v[46:47], v[28:29]
	v_add_f64 v[54:55], v[56:57], -v[54:55]
	v_ldexp_f64 v[56:57], v[46:47], 1
	v_mul_f64 v[28:29], v[28:29], v[52:53]
	v_add_f64 v[46:47], v[56:57], v[28:29]
	v_add_f64 v[52:53], v[46:47], -v[56:57]
	v_ldexp_f64 v[26:27], v[26:27], 1
	v_add_f64 v[28:29], v[28:29], -v[52:53]
	v_add_f64 v[26:27], v[26:27], v[28:29]
	v_add_f64 v[28:29], v[46:47], v[26:27]
	v_add_f64 v[46:47], v[28:29], -v[46:47]
	v_add_f64 v[26:27], v[26:27], -v[46:47]
	v_add_f64 v[46:47], v[50:51], v[28:29]
	v_add_f64 v[52:53], v[46:47], -v[50:51]
	v_add_f64 v[56:57], v[46:47], -v[52:53]
	v_add_f64 v[50:51], v[50:51], -v[56:57]
	v_add_f64 v[28:29], v[28:29], -v[52:53]
	v_add_f64 v[28:29], v[28:29], v[50:51]
	v_add_f64 v[50:51], v[54:55], v[26:27]
	v_add_f64 v[52:53], v[50:51], -v[54:55]
	v_add_f64 v[28:29], v[50:51], v[28:29]
	v_add_f64 v[56:57], v[50:51], -v[52:53]
	;; [unrolled: 2-line block ×3, first 2 shown]
	v_add_f64 v[26:27], v[26:27], -v[52:53]
	v_add_f64 v[46:47], v[50:51], -v[46:47]
	v_add_f64 v[26:27], v[26:27], v[54:55]
	v_add_f64 v[28:29], v[28:29], -v[46:47]
	s_mov_b32 s18, 0
	v_add_f64 v[26:27], v[26:27], v[28:29]
	s_mov_b32 s19, 0x7ff00000
	v_add_f64 v[26:27], v[50:51], v[26:27]
	v_cmp_eq_f64_e32 vcc, s[18:19], v[22:23]
	v_cndmask_b32_e32 v26, v26, v22, vcc
	v_cndmask_b32_e32 v27, v27, v23, vcc
	v_mov_b32_e32 v28, 0x7ff80000
	v_cmp_ngt_f64_e32 vcc, -1.0, v[22:23]
	v_cndmask_b32_e32 v27, v28, v27, vcc
	v_cmp_nge_f64_e32 vcc, -1.0, v[22:23]
	v_cndmask_b32_e32 v26, 0, v26, vcc
	v_mov_b32_e32 v28, 0xfff00000
	v_cmp_neq_f64_e32 vcc, -1.0, v[22:23]
	v_cndmask_b32_e32 v27, v28, v27, vcc
	v_add_f64 v[22:23], v[24:25], v[26:27]
.LBB49_41:
	s_or_b64 exec, exec, s[22:23]
	v_max_f64 v[46:47], v[8:9], v[8:9]
	v_max_f64 v[24:25], v[22:23], v[22:23]
	v_min_f64 v[26:27], v[24:25], v[46:47]
	v_cmp_u_f64_e32 vcc, v[22:23], v[22:23]
	v_max_f64 v[24:25], v[24:25], v[46:47]
	v_cndmask_b32_e32 v26, v26, v22, vcc
	v_cndmask_b32_e32 v27, v27, v23, vcc
	v_cmp_u_f64_e64 s[18:19], v[8:9], v[8:9]
	v_cndmask_b32_e32 v24, v24, v22, vcc
	v_cndmask_b32_e32 v25, v25, v23, vcc
	v_cndmask_b32_e64 v27, v27, v9, s[18:19]
	v_cndmask_b32_e64 v26, v26, v8, s[18:19]
	v_cndmask_b32_e64 v25, v25, v9, s[18:19]
	v_cndmask_b32_e64 v24, v24, v8, s[18:19]
	v_cmp_neq_f64_e32 vcc, v[26:27], v[24:25]
	v_cmp_class_f64_e64 s[22:23], v[26:27], s7
	s_or_b64 s[22:23], vcc, s[22:23]
	s_and_saveexec_b64 s[26:27], s[22:23]
	s_cbranch_execz .LBB49_43
; %bb.42:
	s_mov_b32 s22, 0x652b82fe
	v_add_f64 v[22:23], v[26:27], -v[24:25]
	s_mov_b32 s23, 0x3ff71547
	v_mul_f64 v[26:27], v[22:23], s[22:23]
	v_rndne_f64_e32 v[26:27], v[26:27]
	s_mov_b32 s37, 0xbfe62e42
	s_mov_b32 s36, 0xfefa39ef
	v_fma_f64 v[28:29], s[36:37], v[26:27], v[22:23]
	s_mov_b32 s39, 0xbc7abc9e
	s_mov_b32 s38, 0x3b39803f
	;; [unrolled: 1-line block ×3, first 2 shown]
	v_fmac_f64_e32 v[28:29], s[38:39], v[26:27]
	v_mov_b32_e32 v50, 0xfca7ab0c
	v_mov_b32_e32 v51, 0x3e928af3
	s_mov_b32 s23, 0x3e5ade15
	v_fmac_f64_e32 v[50:51], s[22:23], v[28:29]
	v_mov_b32_e32 v52, 0x623fde64
	v_mov_b32_e32 v53, 0x3ec71dee
	v_fmac_f64_e32 v[52:53], v[28:29], v[50:51]
	v_mov_b32_e32 v50, 0x7c89e6b0
	v_mov_b32_e32 v51, 0x3efa0199
	;; [unrolled: 3-line block ×8, first 2 shown]
	s_mov_b32 s22, 0
	v_fmac_f64_e32 v[50:51], v[28:29], v[52:53]
	s_mov_b32 s23, 0x40900000
	v_fma_f64 v[50:51], v[28:29], v[50:51], 1.0
	v_cmp_nlt_f64_e32 vcc, s[22:23], v[22:23]
	s_mov_b32 s22, 0
	v_fma_f64 v[28:29], v[28:29], v[50:51], 1.0
	v_cvt_i32_f64_e32 v26, v[26:27]
	s_mov_b32 s23, 0xc090cc00
	v_ldexp_f64 v[26:27], v[28:29], v26
	v_mov_b32_e32 v28, 0x7ff00000
	v_cmp_ngt_f64_e64 s[22:23], s[22:23], v[22:23]
	v_cndmask_b32_e32 v27, v28, v27, vcc
	s_and_b64 vcc, s[22:23], vcc
	v_cndmask_b32_e64 v23, 0, v27, s[22:23]
	v_cndmask_b32_e32 v22, 0, v26, vcc
	v_add_f64 v[26:27], v[22:23], 1.0
	v_add_f64 v[28:29], v[26:27], -1.0
	v_add_f64 v[50:51], v[28:29], -v[26:27]
	v_add_f64 v[50:51], v[50:51], 1.0
	v_add_f64 v[28:29], v[22:23], -v[28:29]
	s_mov_b32 s22, 0x55555555
	v_add_f64 v[28:29], v[28:29], v[50:51]
	v_frexp_mant_f64_e32 v[50:51], v[26:27]
	s_mov_b32 s23, 0x3fe55555
	v_frexp_exp_i32_f64_e32 v52, v[26:27]
	v_cmp_gt_f64_e32 vcc, s[22:23], v[50:51]
	v_subbrev_co_u32_e32 v66, vcc, 0, v52, vcc
	v_sub_u32_e32 v50, 0, v66
	v_ldexp_f64 v[26:27], v[26:27], v50
	v_ldexp_f64 v[28:29], v[28:29], v50
	v_add_f64 v[50:51], v[26:27], -1.0
	v_add_f64 v[56:57], v[26:27], 1.0
	v_add_f64 v[52:53], v[50:51], 1.0
	v_add_f64 v[58:59], v[56:57], -1.0
	v_add_f64 v[52:53], v[26:27], -v[52:53]
	v_add_f64 v[26:27], v[26:27], -v[58:59]
	v_add_f64 v[26:27], v[28:29], v[26:27]
	v_add_f64 v[52:53], v[28:29], v[52:53]
	;; [unrolled: 1-line block ×3, first 2 shown]
	v_rcp_f64_e32 v[58:59], v[28:29]
	v_add_f64 v[54:55], v[50:51], v[52:53]
	v_add_f64 v[50:51], v[54:55], -v[50:51]
	v_add_f64 v[50:51], v[52:53], -v[50:51]
	;; [unrolled: 1-line block ×4, first 2 shown]
	v_fma_f64 v[52:53], -v[28:29], v[58:59], 1.0
	v_fmac_f64_e32 v[58:59], v[52:53], v[58:59]
	v_fma_f64 v[52:53], -v[28:29], v[58:59], 1.0
	v_fmac_f64_e32 v[58:59], v[52:53], v[58:59]
	v_mul_f64 v[52:53], v[54:55], v[58:59]
	v_mul_f64 v[56:57], v[28:29], v[52:53]
	v_fma_f64 v[60:61], v[52:53], v[28:29], -v[56:57]
	v_fmac_f64_e32 v[60:61], v[52:53], v[26:27]
	v_add_f64 v[62:63], v[56:57], v[60:61]
	v_add_f64 v[64:65], v[54:55], -v[62:63]
	v_add_f64 v[54:55], v[54:55], -v[64:65]
	;; [unrolled: 1-line block ×4, first 2 shown]
	v_add_f64 v[50:51], v[50:51], v[54:55]
	v_add_f64 v[54:55], v[56:57], -v[60:61]
	v_add_f64 v[50:51], v[54:55], v[50:51]
	v_add_f64 v[54:55], v[64:65], v[50:51]
	v_add_f64 v[56:57], v[64:65], -v[54:55]
	v_add_f64 v[50:51], v[50:51], v[56:57]
	v_mul_f64 v[56:57], v[58:59], v[54:55]
	v_mul_f64 v[60:61], v[28:29], v[56:57]
	v_fma_f64 v[28:29], v[56:57], v[28:29], -v[60:61]
	v_fmac_f64_e32 v[28:29], v[56:57], v[26:27]
	v_add_f64 v[26:27], v[60:61], v[28:29]
	v_add_f64 v[62:63], v[54:55], -v[26:27]
	v_add_f64 v[54:55], v[54:55], -v[62:63]
	;; [unrolled: 1-line block ×4, first 2 shown]
	v_add_f64 v[26:27], v[50:51], v[26:27]
	v_add_f64 v[28:29], v[60:61], -v[28:29]
	v_add_f64 v[26:27], v[28:29], v[26:27]
	v_add_f64 v[28:29], v[52:53], v[56:57]
	;; [unrolled: 1-line block ×3, first 2 shown]
	v_add_f64 v[50:51], v[28:29], -v[52:53]
	v_mul_f64 v[26:27], v[58:59], v[26:27]
	v_add_f64 v[50:51], v[56:57], -v[50:51]
	v_add_f64 v[26:27], v[50:51], v[26:27]
	v_add_f64 v[50:51], v[28:29], v[26:27]
	v_add_f64 v[28:29], v[50:51], -v[28:29]
	s_mov_b32 s22, 0xbf559e2b
	v_add_f64 v[26:27], v[26:27], -v[28:29]
	v_mul_f64 v[28:29], v[50:51], v[50:51]
	v_mov_b32_e32 v52, 0x6b47b09a
	v_mov_b32_e32 v53, 0x3fc38538
	s_mov_b32 s23, 0x3fc3ab76
	v_fmac_f64_e32 v[52:53], s[22:23], v[28:29]
	v_mov_b32_e32 v54, 0xd7f4df2e
	v_mov_b32_e32 v55, 0x3fc7474d
	v_fmac_f64_e32 v[54:55], v[28:29], v[52:53]
	v_mov_b32_e32 v52, 0x16291751
	v_mov_b32_e32 v53, 0x3fcc71c0
	;; [unrolled: 3-line block ×5, first 2 shown]
	v_fmac_f64_e32 v[54:55], v[28:29], v[52:53]
	v_cvt_f64_i32_e32 v[52:53], v66
	s_mov_b32 s37, 0x3fe62e42
	v_mul_f64 v[56:57], v[52:53], s[36:37]
	v_fma_f64 v[58:59], v[52:53], s[36:37], -v[56:57]
	s_mov_b32 s39, 0x3c7abc9e
	v_fmac_f64_e32 v[58:59], s[38:39], v[52:53]
	v_add_f64 v[52:53], v[56:57], v[58:59]
	v_add_f64 v[56:57], v[52:53], -v[56:57]
	v_mul_f64 v[28:29], v[50:51], v[28:29]
	v_add_f64 v[56:57], v[58:59], -v[56:57]
	v_ldexp_f64 v[58:59], v[50:51], 1
	v_mul_f64 v[28:29], v[28:29], v[54:55]
	v_add_f64 v[50:51], v[58:59], v[28:29]
	v_add_f64 v[54:55], v[50:51], -v[58:59]
	v_ldexp_f64 v[26:27], v[26:27], 1
	v_add_f64 v[28:29], v[28:29], -v[54:55]
	v_add_f64 v[26:27], v[26:27], v[28:29]
	v_add_f64 v[28:29], v[50:51], v[26:27]
	v_add_f64 v[50:51], v[28:29], -v[50:51]
	v_add_f64 v[26:27], v[26:27], -v[50:51]
	v_add_f64 v[50:51], v[52:53], v[28:29]
	v_add_f64 v[54:55], v[50:51], -v[52:53]
	v_add_f64 v[58:59], v[50:51], -v[54:55]
	;; [unrolled: 1-line block ×4, first 2 shown]
	v_add_f64 v[28:29], v[28:29], v[52:53]
	v_add_f64 v[52:53], v[56:57], v[26:27]
	v_add_f64 v[54:55], v[52:53], -v[56:57]
	v_add_f64 v[28:29], v[52:53], v[28:29]
	v_add_f64 v[58:59], v[52:53], -v[54:55]
	;; [unrolled: 2-line block ×3, first 2 shown]
	v_add_f64 v[26:27], v[26:27], -v[54:55]
	v_add_f64 v[50:51], v[52:53], -v[50:51]
	v_add_f64 v[26:27], v[26:27], v[56:57]
	v_add_f64 v[28:29], v[28:29], -v[50:51]
	s_mov_b32 s22, 0
	v_add_f64 v[26:27], v[26:27], v[28:29]
	s_mov_b32 s23, 0x7ff00000
	v_add_f64 v[26:27], v[52:53], v[26:27]
	v_cmp_eq_f64_e32 vcc, s[22:23], v[22:23]
	v_cndmask_b32_e32 v26, v26, v22, vcc
	v_cndmask_b32_e32 v27, v27, v23, vcc
	v_mov_b32_e32 v28, 0x7ff80000
	v_cmp_ngt_f64_e32 vcc, -1.0, v[22:23]
	v_cndmask_b32_e32 v27, v28, v27, vcc
	v_cmp_nge_f64_e32 vcc, -1.0, v[22:23]
	v_cndmask_b32_e32 v26, 0, v26, vcc
	v_mov_b32_e32 v28, 0xfff00000
	v_cmp_neq_f64_e32 vcc, -1.0, v[22:23]
	v_cndmask_b32_e32 v27, v28, v27, vcc
	v_add_f64 v[22:23], v[24:25], v[26:27]
.LBB49_43:
	s_or_b64 exec, exec, s[26:27]
	v_mbcnt_lo_u32_b32 v24, -1, 0
	v_mbcnt_hi_u32_b32 v53, -1, v24
	v_and_b32_e32 v28, 15, v53
	v_mov_b32_dpp v24, v22 row_shr:1 row_mask:0xf bank_mask:0xf
	v_mov_b32_dpp v25, v23 row_shr:1 row_mask:0xf bank_mask:0xf
	v_cmp_ne_u32_e32 vcc, 0, v28
	v_mov_b32_e32 v26, v22
	v_mov_b32_e32 v27, v23
	s_and_saveexec_b64 s[26:27], vcc
	s_cbranch_execz .LBB49_47
; %bb.44:
	v_max_f64 v[50:51], v[24:25], v[24:25]
	v_max_f64 v[54:55], v[22:23], v[22:23]
	v_min_f64 v[26:27], v[50:51], v[54:55]
	v_cmp_u_f64_e32 vcc, v[24:25], v[24:25]
	v_max_f64 v[50:51], v[50:51], v[54:55]
	v_cndmask_b32_e32 v26, v26, v24, vcc
	v_cndmask_b32_e32 v27, v27, v25, vcc
	v_cmp_u_f64_e64 s[22:23], v[22:23], v[22:23]
	v_cndmask_b32_e32 v29, v50, v24, vcc
	v_cndmask_b32_e32 v50, v51, v25, vcc
	v_cndmask_b32_e64 v27, v27, v23, s[22:23]
	v_cndmask_b32_e64 v26, v26, v22, s[22:23]
	v_cndmask_b32_e64 v23, v50, v23, s[22:23]
	v_cndmask_b32_e64 v22, v29, v22, s[22:23]
	v_cmp_neq_f64_e32 vcc, v[26:27], v[22:23]
	v_cmp_class_f64_e64 s[22:23], v[26:27], s7
	s_or_b64 s[22:23], vcc, s[22:23]
	s_and_saveexec_b64 s[36:37], s[22:23]
	s_cbranch_execz .LBB49_46
; %bb.45:
	s_mov_b32 s22, 0x652b82fe
	v_add_f64 v[24:25], v[26:27], -v[22:23]
	s_mov_b32 s23, 0x3ff71547
	v_mul_f64 v[26:27], v[24:25], s[22:23]
	v_rndne_f64_e32 v[26:27], v[26:27]
	s_mov_b32 s39, 0xbfe62e42
	s_mov_b32 s38, 0xfefa39ef
	v_fma_f64 v[50:51], s[38:39], v[26:27], v[24:25]
	s_mov_b32 s41, 0xbc7abc9e
	s_mov_b32 s40, 0x3b39803f
	;; [unrolled: 1-line block ×3, first 2 shown]
	v_fmac_f64_e32 v[50:51], s[40:41], v[26:27]
	v_mov_b32_e32 v54, 0xfca7ab0c
	v_mov_b32_e32 v55, 0x3e928af3
	s_mov_b32 s23, 0x3e5ade15
	v_fmac_f64_e32 v[54:55], s[22:23], v[50:51]
	v_mov_b32_e32 v56, 0x623fde64
	v_mov_b32_e32 v57, 0x3ec71dee
	v_fmac_f64_e32 v[56:57], v[50:51], v[54:55]
	v_mov_b32_e32 v54, 0x7c89e6b0
	v_mov_b32_e32 v55, 0x3efa0199
	;; [unrolled: 3-line block ×8, first 2 shown]
	s_mov_b32 s22, 0
	v_fmac_f64_e32 v[54:55], v[50:51], v[56:57]
	s_mov_b32 s23, 0x40900000
	v_fma_f64 v[54:55], v[50:51], v[54:55], 1.0
	v_cmp_nlt_f64_e32 vcc, s[22:23], v[24:25]
	s_mov_b32 s22, 0
	v_fma_f64 v[50:51], v[50:51], v[54:55], 1.0
	v_cvt_i32_f64_e32 v26, v[26:27]
	s_mov_b32 s23, 0xc090cc00
	v_ldexp_f64 v[26:27], v[50:51], v26
	v_mov_b32_e32 v29, 0x7ff00000
	v_cmp_ngt_f64_e64 s[22:23], s[22:23], v[24:25]
	v_cndmask_b32_e32 v27, v29, v27, vcc
	s_and_b64 vcc, s[22:23], vcc
	v_cndmask_b32_e64 v25, 0, v27, s[22:23]
	v_cndmask_b32_e32 v24, 0, v26, vcc
	v_add_f64 v[26:27], v[24:25], 1.0
	v_add_f64 v[50:51], v[26:27], -1.0
	v_add_f64 v[54:55], v[50:51], -v[26:27]
	v_add_f64 v[54:55], v[54:55], 1.0
	v_add_f64 v[50:51], v[24:25], -v[50:51]
	s_mov_b32 s22, 0x55555555
	v_add_f64 v[50:51], v[50:51], v[54:55]
	v_frexp_mant_f64_e32 v[54:55], v[26:27]
	s_mov_b32 s23, 0x3fe55555
	v_frexp_exp_i32_f64_e32 v29, v[26:27]
	v_cmp_gt_f64_e32 vcc, s[22:23], v[54:55]
	v_subbrev_co_u32_e32 v29, vcc, 0, v29, vcc
	v_sub_u32_e32 v52, 0, v29
	v_ldexp_f64 v[26:27], v[26:27], v52
	v_add_f64 v[54:55], v[26:27], -1.0
	v_add_f64 v[60:61], v[26:27], 1.0
	v_add_f64 v[56:57], v[54:55], 1.0
	v_add_f64 v[62:63], v[60:61], -1.0
	v_ldexp_f64 v[50:51], v[50:51], v52
	v_add_f64 v[56:57], v[26:27], -v[56:57]
	v_add_f64 v[26:27], v[26:27], -v[62:63]
	v_add_f64 v[26:27], v[50:51], v[26:27]
	v_add_f64 v[56:57], v[50:51], v[56:57]
	;; [unrolled: 1-line block ×3, first 2 shown]
	v_rcp_f64_e32 v[62:63], v[50:51]
	v_add_f64 v[58:59], v[54:55], v[56:57]
	v_add_f64 v[54:55], v[58:59], -v[54:55]
	v_add_f64 v[54:55], v[56:57], -v[54:55]
	;; [unrolled: 1-line block ×4, first 2 shown]
	v_fma_f64 v[56:57], -v[50:51], v[62:63], 1.0
	v_fmac_f64_e32 v[62:63], v[56:57], v[62:63]
	v_fma_f64 v[56:57], -v[50:51], v[62:63], 1.0
	v_fmac_f64_e32 v[62:63], v[56:57], v[62:63]
	v_mul_f64 v[56:57], v[58:59], v[62:63]
	v_mul_f64 v[60:61], v[50:51], v[56:57]
	v_fma_f64 v[64:65], v[56:57], v[50:51], -v[60:61]
	v_fmac_f64_e32 v[64:65], v[56:57], v[26:27]
	v_add_f64 v[66:67], v[60:61], v[64:65]
	v_add_f64 v[68:69], v[58:59], -v[66:67]
	v_add_f64 v[58:59], v[58:59], -v[68:69]
	;; [unrolled: 1-line block ×4, first 2 shown]
	v_add_f64 v[54:55], v[54:55], v[58:59]
	v_add_f64 v[58:59], v[60:61], -v[64:65]
	v_add_f64 v[54:55], v[58:59], v[54:55]
	v_add_f64 v[58:59], v[68:69], v[54:55]
	v_add_f64 v[60:61], v[68:69], -v[58:59]
	v_add_f64 v[54:55], v[54:55], v[60:61]
	v_mul_f64 v[60:61], v[62:63], v[58:59]
	v_mul_f64 v[64:65], v[50:51], v[60:61]
	v_fma_f64 v[50:51], v[60:61], v[50:51], -v[64:65]
	v_fmac_f64_e32 v[50:51], v[60:61], v[26:27]
	v_add_f64 v[26:27], v[64:65], v[50:51]
	v_add_f64 v[66:67], v[58:59], -v[26:27]
	v_add_f64 v[58:59], v[58:59], -v[66:67]
	;; [unrolled: 1-line block ×4, first 2 shown]
	v_add_f64 v[26:27], v[54:55], v[26:27]
	v_add_f64 v[50:51], v[64:65], -v[50:51]
	v_add_f64 v[26:27], v[50:51], v[26:27]
	v_add_f64 v[50:51], v[56:57], v[60:61]
	;; [unrolled: 1-line block ×3, first 2 shown]
	v_add_f64 v[54:55], v[50:51], -v[56:57]
	v_mul_f64 v[26:27], v[62:63], v[26:27]
	v_add_f64 v[54:55], v[60:61], -v[54:55]
	v_add_f64 v[26:27], v[54:55], v[26:27]
	v_add_f64 v[54:55], v[50:51], v[26:27]
	v_add_f64 v[50:51], v[54:55], -v[50:51]
	s_mov_b32 s22, 0xbf559e2b
	v_add_f64 v[26:27], v[26:27], -v[50:51]
	v_mul_f64 v[50:51], v[54:55], v[54:55]
	v_mov_b32_e32 v56, 0x6b47b09a
	v_mov_b32_e32 v57, 0x3fc38538
	s_mov_b32 s23, 0x3fc3ab76
	v_fmac_f64_e32 v[56:57], s[22:23], v[50:51]
	v_mov_b32_e32 v58, 0xd7f4df2e
	v_mov_b32_e32 v59, 0x3fc7474d
	v_fmac_f64_e32 v[58:59], v[50:51], v[56:57]
	v_mov_b32_e32 v56, 0x16291751
	v_mov_b32_e32 v57, 0x3fcc71c0
	;; [unrolled: 3-line block ×5, first 2 shown]
	v_fmac_f64_e32 v[58:59], v[50:51], v[56:57]
	v_cvt_f64_i32_e32 v[56:57], v29
	s_mov_b32 s39, 0x3fe62e42
	v_mul_f64 v[60:61], v[56:57], s[38:39]
	v_fma_f64 v[62:63], v[56:57], s[38:39], -v[60:61]
	s_mov_b32 s41, 0x3c7abc9e
	v_fmac_f64_e32 v[62:63], s[40:41], v[56:57]
	v_add_f64 v[56:57], v[60:61], v[62:63]
	v_add_f64 v[60:61], v[56:57], -v[60:61]
	v_mul_f64 v[50:51], v[54:55], v[50:51]
	v_add_f64 v[60:61], v[62:63], -v[60:61]
	v_ldexp_f64 v[62:63], v[54:55], 1
	v_mul_f64 v[50:51], v[50:51], v[58:59]
	v_add_f64 v[54:55], v[62:63], v[50:51]
	v_add_f64 v[58:59], v[54:55], -v[62:63]
	v_ldexp_f64 v[26:27], v[26:27], 1
	v_add_f64 v[50:51], v[50:51], -v[58:59]
	v_add_f64 v[26:27], v[26:27], v[50:51]
	v_add_f64 v[50:51], v[54:55], v[26:27]
	v_add_f64 v[54:55], v[50:51], -v[54:55]
	v_add_f64 v[26:27], v[26:27], -v[54:55]
	v_add_f64 v[54:55], v[56:57], v[50:51]
	v_add_f64 v[58:59], v[54:55], -v[56:57]
	v_add_f64 v[62:63], v[54:55], -v[58:59]
	;; [unrolled: 1-line block ×4, first 2 shown]
	v_add_f64 v[50:51], v[50:51], v[56:57]
	v_add_f64 v[56:57], v[60:61], v[26:27]
	v_add_f64 v[58:59], v[56:57], -v[60:61]
	v_add_f64 v[50:51], v[56:57], v[50:51]
	v_add_f64 v[62:63], v[56:57], -v[58:59]
	;; [unrolled: 2-line block ×3, first 2 shown]
	v_add_f64 v[26:27], v[26:27], -v[58:59]
	v_add_f64 v[54:55], v[56:57], -v[54:55]
	v_add_f64 v[26:27], v[26:27], v[60:61]
	v_add_f64 v[50:51], v[50:51], -v[54:55]
	s_mov_b32 s22, 0
	v_add_f64 v[26:27], v[26:27], v[50:51]
	s_mov_b32 s23, 0x7ff00000
	v_add_f64 v[26:27], v[56:57], v[26:27]
	v_cmp_eq_f64_e32 vcc, s[22:23], v[24:25]
	v_cndmask_b32_e32 v26, v26, v24, vcc
	v_cndmask_b32_e32 v27, v27, v25, vcc
	v_mov_b32_e32 v29, 0x7ff80000
	v_cmp_ngt_f64_e32 vcc, -1.0, v[24:25]
	v_cndmask_b32_e32 v27, v29, v27, vcc
	v_cmp_nge_f64_e32 vcc, -1.0, v[24:25]
	v_cndmask_b32_e32 v26, 0, v26, vcc
	v_mov_b32_e32 v29, 0xfff00000
	v_cmp_neq_f64_e32 vcc, -1.0, v[24:25]
	v_cndmask_b32_e32 v27, v29, v27, vcc
	v_add_f64 v[24:25], v[22:23], v[26:27]
.LBB49_46:
	s_or_b64 exec, exec, s[36:37]
	v_mov_b32_e32 v26, v24
	v_mov_b32_e32 v27, v25
	v_pk_mov_b32 v[22:23], v[24:25], v[24:25] op_sel:[0,1]
.LBB49_47:
	s_or_b64 exec, exec, s[26:27]
	v_mov_b32_dpp v24, v26 row_shr:2 row_mask:0xf bank_mask:0xf
	v_mov_b32_dpp v25, v27 row_shr:2 row_mask:0xf bank_mask:0xf
	v_cmp_lt_u32_e32 vcc, 1, v28
	s_and_saveexec_b64 s[26:27], vcc
	s_cbranch_execz .LBB49_51
; %bb.48:
	v_max_f64 v[50:51], v[24:25], v[24:25]
	v_max_f64 v[54:55], v[22:23], v[22:23]
	v_min_f64 v[26:27], v[50:51], v[54:55]
	v_cmp_u_f64_e32 vcc, v[24:25], v[24:25]
	v_max_f64 v[50:51], v[50:51], v[54:55]
	v_cndmask_b32_e32 v26, v26, v24, vcc
	v_cndmask_b32_e32 v27, v27, v25, vcc
	v_cmp_u_f64_e64 s[22:23], v[22:23], v[22:23]
	v_cndmask_b32_e32 v29, v50, v24, vcc
	v_cndmask_b32_e32 v50, v51, v25, vcc
	v_cndmask_b32_e64 v27, v27, v23, s[22:23]
	v_cndmask_b32_e64 v26, v26, v22, s[22:23]
	v_cndmask_b32_e64 v23, v50, v23, s[22:23]
	v_cndmask_b32_e64 v22, v29, v22, s[22:23]
	v_cmp_neq_f64_e32 vcc, v[26:27], v[22:23]
	v_cmp_class_f64_e64 s[22:23], v[26:27], s7
	s_or_b64 s[22:23], vcc, s[22:23]
	s_and_saveexec_b64 s[36:37], s[22:23]
	s_cbranch_execz .LBB49_50
; %bb.49:
	s_mov_b32 s22, 0x652b82fe
	v_add_f64 v[24:25], v[26:27], -v[22:23]
	s_mov_b32 s23, 0x3ff71547
	v_mul_f64 v[26:27], v[24:25], s[22:23]
	v_rndne_f64_e32 v[26:27], v[26:27]
	s_mov_b32 s39, 0xbfe62e42
	s_mov_b32 s38, 0xfefa39ef
	v_fma_f64 v[50:51], s[38:39], v[26:27], v[24:25]
	s_mov_b32 s41, 0xbc7abc9e
	s_mov_b32 s40, 0x3b39803f
	;; [unrolled: 1-line block ×3, first 2 shown]
	v_fmac_f64_e32 v[50:51], s[40:41], v[26:27]
	v_mov_b32_e32 v54, 0xfca7ab0c
	v_mov_b32_e32 v55, 0x3e928af3
	s_mov_b32 s23, 0x3e5ade15
	v_fmac_f64_e32 v[54:55], s[22:23], v[50:51]
	v_mov_b32_e32 v56, 0x623fde64
	v_mov_b32_e32 v57, 0x3ec71dee
	v_fmac_f64_e32 v[56:57], v[50:51], v[54:55]
	v_mov_b32_e32 v54, 0x7c89e6b0
	v_mov_b32_e32 v55, 0x3efa0199
	;; [unrolled: 3-line block ×8, first 2 shown]
	s_mov_b32 s22, 0
	v_fmac_f64_e32 v[54:55], v[50:51], v[56:57]
	s_mov_b32 s23, 0x40900000
	v_fma_f64 v[54:55], v[50:51], v[54:55], 1.0
	v_cmp_nlt_f64_e32 vcc, s[22:23], v[24:25]
	s_mov_b32 s22, 0
	v_fma_f64 v[50:51], v[50:51], v[54:55], 1.0
	v_cvt_i32_f64_e32 v26, v[26:27]
	s_mov_b32 s23, 0xc090cc00
	v_ldexp_f64 v[26:27], v[50:51], v26
	v_mov_b32_e32 v29, 0x7ff00000
	v_cmp_ngt_f64_e64 s[22:23], s[22:23], v[24:25]
	v_cndmask_b32_e32 v27, v29, v27, vcc
	s_and_b64 vcc, s[22:23], vcc
	v_cndmask_b32_e64 v25, 0, v27, s[22:23]
	v_cndmask_b32_e32 v24, 0, v26, vcc
	v_add_f64 v[26:27], v[24:25], 1.0
	v_add_f64 v[50:51], v[26:27], -1.0
	v_add_f64 v[54:55], v[50:51], -v[26:27]
	v_add_f64 v[54:55], v[54:55], 1.0
	v_add_f64 v[50:51], v[24:25], -v[50:51]
	s_mov_b32 s22, 0x55555555
	v_add_f64 v[50:51], v[50:51], v[54:55]
	v_frexp_mant_f64_e32 v[54:55], v[26:27]
	s_mov_b32 s23, 0x3fe55555
	v_frexp_exp_i32_f64_e32 v29, v[26:27]
	v_cmp_gt_f64_e32 vcc, s[22:23], v[54:55]
	v_subbrev_co_u32_e32 v29, vcc, 0, v29, vcc
	v_sub_u32_e32 v52, 0, v29
	v_ldexp_f64 v[26:27], v[26:27], v52
	v_add_f64 v[54:55], v[26:27], -1.0
	v_add_f64 v[60:61], v[26:27], 1.0
	v_add_f64 v[56:57], v[54:55], 1.0
	v_add_f64 v[62:63], v[60:61], -1.0
	v_ldexp_f64 v[50:51], v[50:51], v52
	v_add_f64 v[56:57], v[26:27], -v[56:57]
	v_add_f64 v[26:27], v[26:27], -v[62:63]
	v_add_f64 v[26:27], v[50:51], v[26:27]
	v_add_f64 v[56:57], v[50:51], v[56:57]
	;; [unrolled: 1-line block ×3, first 2 shown]
	v_rcp_f64_e32 v[62:63], v[50:51]
	v_add_f64 v[58:59], v[54:55], v[56:57]
	v_add_f64 v[54:55], v[58:59], -v[54:55]
	v_add_f64 v[54:55], v[56:57], -v[54:55]
	;; [unrolled: 1-line block ×4, first 2 shown]
	v_fma_f64 v[56:57], -v[50:51], v[62:63], 1.0
	v_fmac_f64_e32 v[62:63], v[56:57], v[62:63]
	v_fma_f64 v[56:57], -v[50:51], v[62:63], 1.0
	v_fmac_f64_e32 v[62:63], v[56:57], v[62:63]
	v_mul_f64 v[56:57], v[58:59], v[62:63]
	v_mul_f64 v[60:61], v[50:51], v[56:57]
	v_fma_f64 v[64:65], v[56:57], v[50:51], -v[60:61]
	v_fmac_f64_e32 v[64:65], v[56:57], v[26:27]
	v_add_f64 v[66:67], v[60:61], v[64:65]
	v_add_f64 v[68:69], v[58:59], -v[66:67]
	v_add_f64 v[58:59], v[58:59], -v[68:69]
	;; [unrolled: 1-line block ×4, first 2 shown]
	v_add_f64 v[54:55], v[54:55], v[58:59]
	v_add_f64 v[58:59], v[60:61], -v[64:65]
	v_add_f64 v[54:55], v[58:59], v[54:55]
	v_add_f64 v[58:59], v[68:69], v[54:55]
	v_add_f64 v[60:61], v[68:69], -v[58:59]
	v_add_f64 v[54:55], v[54:55], v[60:61]
	v_mul_f64 v[60:61], v[62:63], v[58:59]
	v_mul_f64 v[64:65], v[50:51], v[60:61]
	v_fma_f64 v[50:51], v[60:61], v[50:51], -v[64:65]
	v_fmac_f64_e32 v[50:51], v[60:61], v[26:27]
	v_add_f64 v[26:27], v[64:65], v[50:51]
	v_add_f64 v[66:67], v[58:59], -v[26:27]
	v_add_f64 v[58:59], v[58:59], -v[66:67]
	;; [unrolled: 1-line block ×4, first 2 shown]
	v_add_f64 v[26:27], v[54:55], v[26:27]
	v_add_f64 v[50:51], v[64:65], -v[50:51]
	v_add_f64 v[26:27], v[50:51], v[26:27]
	v_add_f64 v[50:51], v[56:57], v[60:61]
	;; [unrolled: 1-line block ×3, first 2 shown]
	v_add_f64 v[54:55], v[50:51], -v[56:57]
	v_mul_f64 v[26:27], v[62:63], v[26:27]
	v_add_f64 v[54:55], v[60:61], -v[54:55]
	v_add_f64 v[26:27], v[54:55], v[26:27]
	v_add_f64 v[54:55], v[50:51], v[26:27]
	v_add_f64 v[50:51], v[54:55], -v[50:51]
	s_mov_b32 s22, 0xbf559e2b
	v_add_f64 v[26:27], v[26:27], -v[50:51]
	v_mul_f64 v[50:51], v[54:55], v[54:55]
	v_mov_b32_e32 v56, 0x6b47b09a
	v_mov_b32_e32 v57, 0x3fc38538
	s_mov_b32 s23, 0x3fc3ab76
	v_fmac_f64_e32 v[56:57], s[22:23], v[50:51]
	v_mov_b32_e32 v58, 0xd7f4df2e
	v_mov_b32_e32 v59, 0x3fc7474d
	v_fmac_f64_e32 v[58:59], v[50:51], v[56:57]
	v_mov_b32_e32 v56, 0x16291751
	v_mov_b32_e32 v57, 0x3fcc71c0
	;; [unrolled: 3-line block ×5, first 2 shown]
	v_fmac_f64_e32 v[58:59], v[50:51], v[56:57]
	v_cvt_f64_i32_e32 v[56:57], v29
	s_mov_b32 s39, 0x3fe62e42
	v_mul_f64 v[60:61], v[56:57], s[38:39]
	v_fma_f64 v[62:63], v[56:57], s[38:39], -v[60:61]
	s_mov_b32 s41, 0x3c7abc9e
	v_fmac_f64_e32 v[62:63], s[40:41], v[56:57]
	v_add_f64 v[56:57], v[60:61], v[62:63]
	v_add_f64 v[60:61], v[56:57], -v[60:61]
	v_mul_f64 v[50:51], v[54:55], v[50:51]
	v_add_f64 v[60:61], v[62:63], -v[60:61]
	v_ldexp_f64 v[62:63], v[54:55], 1
	v_mul_f64 v[50:51], v[50:51], v[58:59]
	v_add_f64 v[54:55], v[62:63], v[50:51]
	v_add_f64 v[58:59], v[54:55], -v[62:63]
	v_ldexp_f64 v[26:27], v[26:27], 1
	v_add_f64 v[50:51], v[50:51], -v[58:59]
	v_add_f64 v[26:27], v[26:27], v[50:51]
	v_add_f64 v[50:51], v[54:55], v[26:27]
	v_add_f64 v[54:55], v[50:51], -v[54:55]
	v_add_f64 v[26:27], v[26:27], -v[54:55]
	v_add_f64 v[54:55], v[56:57], v[50:51]
	v_add_f64 v[58:59], v[54:55], -v[56:57]
	v_add_f64 v[62:63], v[54:55], -v[58:59]
	;; [unrolled: 1-line block ×4, first 2 shown]
	v_add_f64 v[50:51], v[50:51], v[56:57]
	v_add_f64 v[56:57], v[60:61], v[26:27]
	v_add_f64 v[58:59], v[56:57], -v[60:61]
	v_add_f64 v[50:51], v[56:57], v[50:51]
	v_add_f64 v[62:63], v[56:57], -v[58:59]
	;; [unrolled: 2-line block ×3, first 2 shown]
	v_add_f64 v[26:27], v[26:27], -v[58:59]
	v_add_f64 v[54:55], v[56:57], -v[54:55]
	v_add_f64 v[26:27], v[26:27], v[60:61]
	v_add_f64 v[50:51], v[50:51], -v[54:55]
	s_mov_b32 s22, 0
	v_add_f64 v[26:27], v[26:27], v[50:51]
	s_mov_b32 s23, 0x7ff00000
	v_add_f64 v[26:27], v[56:57], v[26:27]
	v_cmp_eq_f64_e32 vcc, s[22:23], v[24:25]
	v_cndmask_b32_e32 v26, v26, v24, vcc
	v_cndmask_b32_e32 v27, v27, v25, vcc
	v_mov_b32_e32 v29, 0x7ff80000
	v_cmp_ngt_f64_e32 vcc, -1.0, v[24:25]
	v_cndmask_b32_e32 v27, v29, v27, vcc
	v_cmp_nge_f64_e32 vcc, -1.0, v[24:25]
	v_cndmask_b32_e32 v26, 0, v26, vcc
	v_mov_b32_e32 v29, 0xfff00000
	v_cmp_neq_f64_e32 vcc, -1.0, v[24:25]
	v_cndmask_b32_e32 v27, v29, v27, vcc
	v_add_f64 v[24:25], v[22:23], v[26:27]
.LBB49_50:
	s_or_b64 exec, exec, s[36:37]
	v_pk_mov_b32 v[22:23], v[24:25], v[24:25] op_sel:[0,1]
	v_mov_b32_e32 v26, v24
	v_mov_b32_e32 v27, v25
.LBB49_51:
	s_or_b64 exec, exec, s[26:27]
	v_mov_b32_dpp v24, v26 row_shr:4 row_mask:0xf bank_mask:0xf
	v_mov_b32_dpp v25, v27 row_shr:4 row_mask:0xf bank_mask:0xf
	v_cmp_lt_u32_e32 vcc, 3, v28
	s_and_saveexec_b64 s[26:27], vcc
	s_cbranch_execz .LBB49_55
; %bb.52:
	v_max_f64 v[50:51], v[24:25], v[24:25]
	v_max_f64 v[54:55], v[22:23], v[22:23]
	v_min_f64 v[26:27], v[50:51], v[54:55]
	v_cmp_u_f64_e32 vcc, v[24:25], v[24:25]
	v_max_f64 v[50:51], v[50:51], v[54:55]
	v_cndmask_b32_e32 v26, v26, v24, vcc
	v_cndmask_b32_e32 v27, v27, v25, vcc
	v_cmp_u_f64_e64 s[22:23], v[22:23], v[22:23]
	v_cndmask_b32_e32 v29, v50, v24, vcc
	v_cndmask_b32_e32 v50, v51, v25, vcc
	v_cndmask_b32_e64 v27, v27, v23, s[22:23]
	v_cndmask_b32_e64 v26, v26, v22, s[22:23]
	;; [unrolled: 1-line block ×4, first 2 shown]
	v_cmp_neq_f64_e32 vcc, v[26:27], v[22:23]
	v_cmp_class_f64_e64 s[22:23], v[26:27], s7
	s_or_b64 s[22:23], vcc, s[22:23]
	s_and_saveexec_b64 s[36:37], s[22:23]
	s_cbranch_execz .LBB49_54
; %bb.53:
	s_mov_b32 s22, 0x652b82fe
	v_add_f64 v[24:25], v[26:27], -v[22:23]
	s_mov_b32 s23, 0x3ff71547
	v_mul_f64 v[26:27], v[24:25], s[22:23]
	v_rndne_f64_e32 v[26:27], v[26:27]
	s_mov_b32 s39, 0xbfe62e42
	s_mov_b32 s38, 0xfefa39ef
	v_fma_f64 v[50:51], s[38:39], v[26:27], v[24:25]
	s_mov_b32 s41, 0xbc7abc9e
	s_mov_b32 s40, 0x3b39803f
	;; [unrolled: 1-line block ×3, first 2 shown]
	v_fmac_f64_e32 v[50:51], s[40:41], v[26:27]
	v_mov_b32_e32 v54, 0xfca7ab0c
	v_mov_b32_e32 v55, 0x3e928af3
	s_mov_b32 s23, 0x3e5ade15
	v_fmac_f64_e32 v[54:55], s[22:23], v[50:51]
	v_mov_b32_e32 v56, 0x623fde64
	v_mov_b32_e32 v57, 0x3ec71dee
	v_fmac_f64_e32 v[56:57], v[50:51], v[54:55]
	v_mov_b32_e32 v54, 0x7c89e6b0
	v_mov_b32_e32 v55, 0x3efa0199
	;; [unrolled: 3-line block ×8, first 2 shown]
	s_mov_b32 s22, 0
	v_fmac_f64_e32 v[54:55], v[50:51], v[56:57]
	s_mov_b32 s23, 0x40900000
	v_fma_f64 v[54:55], v[50:51], v[54:55], 1.0
	v_cmp_nlt_f64_e32 vcc, s[22:23], v[24:25]
	s_mov_b32 s22, 0
	v_fma_f64 v[50:51], v[50:51], v[54:55], 1.0
	v_cvt_i32_f64_e32 v26, v[26:27]
	s_mov_b32 s23, 0xc090cc00
	v_ldexp_f64 v[26:27], v[50:51], v26
	v_mov_b32_e32 v29, 0x7ff00000
	v_cmp_ngt_f64_e64 s[22:23], s[22:23], v[24:25]
	v_cndmask_b32_e32 v27, v29, v27, vcc
	s_and_b64 vcc, s[22:23], vcc
	v_cndmask_b32_e64 v25, 0, v27, s[22:23]
	v_cndmask_b32_e32 v24, 0, v26, vcc
	v_add_f64 v[26:27], v[24:25], 1.0
	v_add_f64 v[50:51], v[26:27], -1.0
	v_add_f64 v[54:55], v[50:51], -v[26:27]
	v_add_f64 v[54:55], v[54:55], 1.0
	v_add_f64 v[50:51], v[24:25], -v[50:51]
	s_mov_b32 s22, 0x55555555
	v_add_f64 v[50:51], v[50:51], v[54:55]
	v_frexp_mant_f64_e32 v[54:55], v[26:27]
	s_mov_b32 s23, 0x3fe55555
	v_frexp_exp_i32_f64_e32 v29, v[26:27]
	v_cmp_gt_f64_e32 vcc, s[22:23], v[54:55]
	v_subbrev_co_u32_e32 v29, vcc, 0, v29, vcc
	v_sub_u32_e32 v52, 0, v29
	v_ldexp_f64 v[26:27], v[26:27], v52
	v_add_f64 v[54:55], v[26:27], -1.0
	v_add_f64 v[60:61], v[26:27], 1.0
	v_add_f64 v[56:57], v[54:55], 1.0
	v_add_f64 v[62:63], v[60:61], -1.0
	v_ldexp_f64 v[50:51], v[50:51], v52
	v_add_f64 v[56:57], v[26:27], -v[56:57]
	v_add_f64 v[26:27], v[26:27], -v[62:63]
	v_add_f64 v[26:27], v[50:51], v[26:27]
	v_add_f64 v[56:57], v[50:51], v[56:57]
	v_add_f64 v[50:51], v[60:61], v[26:27]
	v_rcp_f64_e32 v[62:63], v[50:51]
	v_add_f64 v[58:59], v[54:55], v[56:57]
	v_add_f64 v[54:55], v[58:59], -v[54:55]
	v_add_f64 v[54:55], v[56:57], -v[54:55]
	;; [unrolled: 1-line block ×4, first 2 shown]
	v_fma_f64 v[56:57], -v[50:51], v[62:63], 1.0
	v_fmac_f64_e32 v[62:63], v[56:57], v[62:63]
	v_fma_f64 v[56:57], -v[50:51], v[62:63], 1.0
	v_fmac_f64_e32 v[62:63], v[56:57], v[62:63]
	v_mul_f64 v[56:57], v[58:59], v[62:63]
	v_mul_f64 v[60:61], v[50:51], v[56:57]
	v_fma_f64 v[64:65], v[56:57], v[50:51], -v[60:61]
	v_fmac_f64_e32 v[64:65], v[56:57], v[26:27]
	v_add_f64 v[66:67], v[60:61], v[64:65]
	v_add_f64 v[68:69], v[58:59], -v[66:67]
	v_add_f64 v[58:59], v[58:59], -v[68:69]
	;; [unrolled: 1-line block ×4, first 2 shown]
	v_add_f64 v[54:55], v[54:55], v[58:59]
	v_add_f64 v[58:59], v[60:61], -v[64:65]
	v_add_f64 v[54:55], v[58:59], v[54:55]
	v_add_f64 v[58:59], v[68:69], v[54:55]
	v_add_f64 v[60:61], v[68:69], -v[58:59]
	v_add_f64 v[54:55], v[54:55], v[60:61]
	v_mul_f64 v[60:61], v[62:63], v[58:59]
	v_mul_f64 v[64:65], v[50:51], v[60:61]
	v_fma_f64 v[50:51], v[60:61], v[50:51], -v[64:65]
	v_fmac_f64_e32 v[50:51], v[60:61], v[26:27]
	v_add_f64 v[26:27], v[64:65], v[50:51]
	v_add_f64 v[66:67], v[58:59], -v[26:27]
	v_add_f64 v[58:59], v[58:59], -v[66:67]
	;; [unrolled: 1-line block ×4, first 2 shown]
	v_add_f64 v[26:27], v[54:55], v[26:27]
	v_add_f64 v[50:51], v[64:65], -v[50:51]
	v_add_f64 v[26:27], v[50:51], v[26:27]
	v_add_f64 v[50:51], v[56:57], v[60:61]
	;; [unrolled: 1-line block ×3, first 2 shown]
	v_add_f64 v[54:55], v[50:51], -v[56:57]
	v_mul_f64 v[26:27], v[62:63], v[26:27]
	v_add_f64 v[54:55], v[60:61], -v[54:55]
	v_add_f64 v[26:27], v[54:55], v[26:27]
	v_add_f64 v[54:55], v[50:51], v[26:27]
	v_add_f64 v[50:51], v[54:55], -v[50:51]
	s_mov_b32 s22, 0xbf559e2b
	v_add_f64 v[26:27], v[26:27], -v[50:51]
	v_mul_f64 v[50:51], v[54:55], v[54:55]
	v_mov_b32_e32 v56, 0x6b47b09a
	v_mov_b32_e32 v57, 0x3fc38538
	s_mov_b32 s23, 0x3fc3ab76
	v_fmac_f64_e32 v[56:57], s[22:23], v[50:51]
	v_mov_b32_e32 v58, 0xd7f4df2e
	v_mov_b32_e32 v59, 0x3fc7474d
	v_fmac_f64_e32 v[58:59], v[50:51], v[56:57]
	v_mov_b32_e32 v56, 0x16291751
	v_mov_b32_e32 v57, 0x3fcc71c0
	;; [unrolled: 3-line block ×5, first 2 shown]
	v_fmac_f64_e32 v[58:59], v[50:51], v[56:57]
	v_cvt_f64_i32_e32 v[56:57], v29
	s_mov_b32 s39, 0x3fe62e42
	v_mul_f64 v[60:61], v[56:57], s[38:39]
	v_fma_f64 v[62:63], v[56:57], s[38:39], -v[60:61]
	s_mov_b32 s41, 0x3c7abc9e
	v_fmac_f64_e32 v[62:63], s[40:41], v[56:57]
	v_add_f64 v[56:57], v[60:61], v[62:63]
	v_add_f64 v[60:61], v[56:57], -v[60:61]
	v_mul_f64 v[50:51], v[54:55], v[50:51]
	v_add_f64 v[60:61], v[62:63], -v[60:61]
	v_ldexp_f64 v[62:63], v[54:55], 1
	v_mul_f64 v[50:51], v[50:51], v[58:59]
	v_add_f64 v[54:55], v[62:63], v[50:51]
	v_add_f64 v[58:59], v[54:55], -v[62:63]
	v_ldexp_f64 v[26:27], v[26:27], 1
	v_add_f64 v[50:51], v[50:51], -v[58:59]
	v_add_f64 v[26:27], v[26:27], v[50:51]
	v_add_f64 v[50:51], v[54:55], v[26:27]
	v_add_f64 v[54:55], v[50:51], -v[54:55]
	v_add_f64 v[26:27], v[26:27], -v[54:55]
	v_add_f64 v[54:55], v[56:57], v[50:51]
	v_add_f64 v[58:59], v[54:55], -v[56:57]
	v_add_f64 v[62:63], v[54:55], -v[58:59]
	;; [unrolled: 1-line block ×4, first 2 shown]
	v_add_f64 v[50:51], v[50:51], v[56:57]
	v_add_f64 v[56:57], v[60:61], v[26:27]
	v_add_f64 v[58:59], v[56:57], -v[60:61]
	v_add_f64 v[50:51], v[56:57], v[50:51]
	v_add_f64 v[62:63], v[56:57], -v[58:59]
	;; [unrolled: 2-line block ×3, first 2 shown]
	v_add_f64 v[26:27], v[26:27], -v[58:59]
	v_add_f64 v[54:55], v[56:57], -v[54:55]
	v_add_f64 v[26:27], v[26:27], v[60:61]
	v_add_f64 v[50:51], v[50:51], -v[54:55]
	s_mov_b32 s22, 0
	v_add_f64 v[26:27], v[26:27], v[50:51]
	s_mov_b32 s23, 0x7ff00000
	v_add_f64 v[26:27], v[56:57], v[26:27]
	v_cmp_eq_f64_e32 vcc, s[22:23], v[24:25]
	v_cndmask_b32_e32 v26, v26, v24, vcc
	v_cndmask_b32_e32 v27, v27, v25, vcc
	v_mov_b32_e32 v29, 0x7ff80000
	v_cmp_ngt_f64_e32 vcc, -1.0, v[24:25]
	v_cndmask_b32_e32 v27, v29, v27, vcc
	v_cmp_nge_f64_e32 vcc, -1.0, v[24:25]
	v_cndmask_b32_e32 v26, 0, v26, vcc
	v_mov_b32_e32 v29, 0xfff00000
	v_cmp_neq_f64_e32 vcc, -1.0, v[24:25]
	v_cndmask_b32_e32 v27, v29, v27, vcc
	v_add_f64 v[24:25], v[22:23], v[26:27]
.LBB49_54:
	s_or_b64 exec, exec, s[36:37]
	v_pk_mov_b32 v[22:23], v[24:25], v[24:25] op_sel:[0,1]
	v_mov_b32_e32 v26, v24
	v_mov_b32_e32 v27, v25
.LBB49_55:
	s_or_b64 exec, exec, s[26:27]
	v_mov_b32_dpp v24, v26 row_shr:8 row_mask:0xf bank_mask:0xf
	v_mov_b32_dpp v25, v27 row_shr:8 row_mask:0xf bank_mask:0xf
	v_cmp_lt_u32_e32 vcc, 7, v28
	s_and_saveexec_b64 s[26:27], vcc
	s_cbranch_execz .LBB49_59
; %bb.56:
	v_max_f64 v[28:29], v[24:25], v[24:25]
	v_max_f64 v[50:51], v[22:23], v[22:23]
	v_min_f64 v[26:27], v[28:29], v[50:51]
	v_cmp_u_f64_e32 vcc, v[24:25], v[24:25]
	v_max_f64 v[28:29], v[28:29], v[50:51]
	v_cndmask_b32_e32 v26, v26, v24, vcc
	v_cndmask_b32_e32 v27, v27, v25, vcc
	v_cmp_u_f64_e64 s[22:23], v[22:23], v[22:23]
	v_cndmask_b32_e32 v28, v28, v24, vcc
	v_cndmask_b32_e32 v29, v29, v25, vcc
	v_cndmask_b32_e64 v27, v27, v23, s[22:23]
	v_cndmask_b32_e64 v26, v26, v22, s[22:23]
	;; [unrolled: 1-line block ×4, first 2 shown]
	v_cmp_neq_f64_e32 vcc, v[26:27], v[22:23]
	v_cmp_class_f64_e64 s[22:23], v[26:27], s7
	s_or_b64 s[22:23], vcc, s[22:23]
	s_and_saveexec_b64 s[36:37], s[22:23]
	s_cbranch_execz .LBB49_58
; %bb.57:
	s_mov_b32 s22, 0x652b82fe
	v_add_f64 v[24:25], v[26:27], -v[22:23]
	s_mov_b32 s23, 0x3ff71547
	v_mul_f64 v[26:27], v[24:25], s[22:23]
	v_rndne_f64_e32 v[26:27], v[26:27]
	s_mov_b32 s39, 0xbfe62e42
	s_mov_b32 s38, 0xfefa39ef
	v_fma_f64 v[28:29], s[38:39], v[26:27], v[24:25]
	s_mov_b32 s41, 0xbc7abc9e
	s_mov_b32 s40, 0x3b39803f
	;; [unrolled: 1-line block ×3, first 2 shown]
	v_fmac_f64_e32 v[28:29], s[40:41], v[26:27]
	v_mov_b32_e32 v50, 0xfca7ab0c
	v_mov_b32_e32 v51, 0x3e928af3
	s_mov_b32 s23, 0x3e5ade15
	v_fmac_f64_e32 v[50:51], s[22:23], v[28:29]
	v_mov_b32_e32 v54, 0x623fde64
	v_mov_b32_e32 v55, 0x3ec71dee
	v_fmac_f64_e32 v[54:55], v[28:29], v[50:51]
	v_mov_b32_e32 v50, 0x7c89e6b0
	v_mov_b32_e32 v51, 0x3efa0199
	;; [unrolled: 3-line block ×8, first 2 shown]
	s_mov_b32 s22, 0
	v_fmac_f64_e32 v[50:51], v[28:29], v[54:55]
	s_mov_b32 s23, 0x40900000
	v_fma_f64 v[50:51], v[28:29], v[50:51], 1.0
	v_cmp_nlt_f64_e32 vcc, s[22:23], v[24:25]
	s_mov_b32 s22, 0
	v_fma_f64 v[28:29], v[28:29], v[50:51], 1.0
	v_cvt_i32_f64_e32 v26, v[26:27]
	s_mov_b32 s23, 0xc090cc00
	v_ldexp_f64 v[26:27], v[28:29], v26
	v_mov_b32_e32 v28, 0x7ff00000
	v_cmp_ngt_f64_e64 s[22:23], s[22:23], v[24:25]
	v_cndmask_b32_e32 v27, v28, v27, vcc
	s_and_b64 vcc, s[22:23], vcc
	v_cndmask_b32_e64 v25, 0, v27, s[22:23]
	v_cndmask_b32_e32 v24, 0, v26, vcc
	v_add_f64 v[26:27], v[24:25], 1.0
	v_add_f64 v[28:29], v[26:27], -1.0
	v_add_f64 v[50:51], v[28:29], -v[26:27]
	v_add_f64 v[50:51], v[50:51], 1.0
	v_add_f64 v[28:29], v[24:25], -v[28:29]
	s_mov_b32 s22, 0x55555555
	v_add_f64 v[28:29], v[28:29], v[50:51]
	v_frexp_mant_f64_e32 v[50:51], v[26:27]
	s_mov_b32 s23, 0x3fe55555
	v_frexp_exp_i32_f64_e32 v52, v[26:27]
	v_cmp_gt_f64_e32 vcc, s[22:23], v[50:51]
	v_subbrev_co_u32_e32 v52, vcc, 0, v52, vcc
	v_sub_u32_e32 v50, 0, v52
	v_ldexp_f64 v[26:27], v[26:27], v50
	v_ldexp_f64 v[28:29], v[28:29], v50
	v_add_f64 v[50:51], v[26:27], -1.0
	v_add_f64 v[58:59], v[26:27], 1.0
	v_add_f64 v[54:55], v[50:51], 1.0
	v_add_f64 v[60:61], v[58:59], -1.0
	v_add_f64 v[54:55], v[26:27], -v[54:55]
	v_add_f64 v[26:27], v[26:27], -v[60:61]
	v_add_f64 v[26:27], v[28:29], v[26:27]
	v_add_f64 v[54:55], v[28:29], v[54:55]
	;; [unrolled: 1-line block ×3, first 2 shown]
	v_rcp_f64_e32 v[60:61], v[28:29]
	v_add_f64 v[56:57], v[50:51], v[54:55]
	v_add_f64 v[50:51], v[56:57], -v[50:51]
	v_add_f64 v[50:51], v[54:55], -v[50:51]
	;; [unrolled: 1-line block ×4, first 2 shown]
	v_fma_f64 v[54:55], -v[28:29], v[60:61], 1.0
	v_fmac_f64_e32 v[60:61], v[54:55], v[60:61]
	v_fma_f64 v[54:55], -v[28:29], v[60:61], 1.0
	v_fmac_f64_e32 v[60:61], v[54:55], v[60:61]
	v_mul_f64 v[54:55], v[56:57], v[60:61]
	v_mul_f64 v[58:59], v[28:29], v[54:55]
	v_fma_f64 v[62:63], v[54:55], v[28:29], -v[58:59]
	v_fmac_f64_e32 v[62:63], v[54:55], v[26:27]
	v_add_f64 v[64:65], v[58:59], v[62:63]
	v_add_f64 v[66:67], v[56:57], -v[64:65]
	v_add_f64 v[56:57], v[56:57], -v[66:67]
	;; [unrolled: 1-line block ×4, first 2 shown]
	v_add_f64 v[50:51], v[50:51], v[56:57]
	v_add_f64 v[56:57], v[58:59], -v[62:63]
	v_add_f64 v[50:51], v[56:57], v[50:51]
	v_add_f64 v[56:57], v[66:67], v[50:51]
	v_add_f64 v[58:59], v[66:67], -v[56:57]
	v_add_f64 v[50:51], v[50:51], v[58:59]
	v_mul_f64 v[58:59], v[60:61], v[56:57]
	v_mul_f64 v[62:63], v[28:29], v[58:59]
	v_fma_f64 v[28:29], v[58:59], v[28:29], -v[62:63]
	v_fmac_f64_e32 v[28:29], v[58:59], v[26:27]
	v_add_f64 v[26:27], v[62:63], v[28:29]
	v_add_f64 v[64:65], v[56:57], -v[26:27]
	v_add_f64 v[56:57], v[56:57], -v[64:65]
	;; [unrolled: 1-line block ×4, first 2 shown]
	v_add_f64 v[26:27], v[50:51], v[26:27]
	v_add_f64 v[28:29], v[62:63], -v[28:29]
	v_add_f64 v[26:27], v[28:29], v[26:27]
	v_add_f64 v[28:29], v[54:55], v[58:59]
	;; [unrolled: 1-line block ×3, first 2 shown]
	v_add_f64 v[50:51], v[28:29], -v[54:55]
	v_mul_f64 v[26:27], v[60:61], v[26:27]
	v_add_f64 v[50:51], v[58:59], -v[50:51]
	v_add_f64 v[26:27], v[50:51], v[26:27]
	v_add_f64 v[50:51], v[28:29], v[26:27]
	v_add_f64 v[28:29], v[50:51], -v[28:29]
	s_mov_b32 s22, 0xbf559e2b
	v_add_f64 v[26:27], v[26:27], -v[28:29]
	v_mul_f64 v[28:29], v[50:51], v[50:51]
	v_mov_b32_e32 v54, 0x6b47b09a
	v_mov_b32_e32 v55, 0x3fc38538
	s_mov_b32 s23, 0x3fc3ab76
	v_fmac_f64_e32 v[54:55], s[22:23], v[28:29]
	v_mov_b32_e32 v56, 0xd7f4df2e
	v_mov_b32_e32 v57, 0x3fc7474d
	v_fmac_f64_e32 v[56:57], v[28:29], v[54:55]
	v_mov_b32_e32 v54, 0x16291751
	v_mov_b32_e32 v55, 0x3fcc71c0
	v_fmac_f64_e32 v[54:55], v[28:29], v[56:57]
	v_mov_b32_e32 v56, 0x9b27acf1
	v_mov_b32_e32 v57, 0x3fd24924
	v_fmac_f64_e32 v[56:57], v[28:29], v[54:55]
	v_mov_b32_e32 v54, 0x998ef7b6
	v_mov_b32_e32 v55, 0x3fd99999
	v_fmac_f64_e32 v[54:55], v[28:29], v[56:57]
	v_mov_b32_e32 v56, 0x55555780
	v_mov_b32_e32 v57, 0x3fe55555
	v_fmac_f64_e32 v[56:57], v[28:29], v[54:55]
	v_cvt_f64_i32_e32 v[54:55], v52
	s_mov_b32 s39, 0x3fe62e42
	v_mul_f64 v[58:59], v[54:55], s[38:39]
	v_fma_f64 v[60:61], v[54:55], s[38:39], -v[58:59]
	s_mov_b32 s41, 0x3c7abc9e
	v_fmac_f64_e32 v[60:61], s[40:41], v[54:55]
	v_add_f64 v[54:55], v[58:59], v[60:61]
	v_add_f64 v[58:59], v[54:55], -v[58:59]
	v_mul_f64 v[28:29], v[50:51], v[28:29]
	v_add_f64 v[58:59], v[60:61], -v[58:59]
	v_ldexp_f64 v[60:61], v[50:51], 1
	v_mul_f64 v[28:29], v[28:29], v[56:57]
	v_add_f64 v[50:51], v[60:61], v[28:29]
	v_add_f64 v[56:57], v[50:51], -v[60:61]
	v_ldexp_f64 v[26:27], v[26:27], 1
	v_add_f64 v[28:29], v[28:29], -v[56:57]
	v_add_f64 v[26:27], v[26:27], v[28:29]
	v_add_f64 v[28:29], v[50:51], v[26:27]
	v_add_f64 v[50:51], v[28:29], -v[50:51]
	v_add_f64 v[26:27], v[26:27], -v[50:51]
	v_add_f64 v[50:51], v[54:55], v[28:29]
	v_add_f64 v[56:57], v[50:51], -v[54:55]
	v_add_f64 v[60:61], v[50:51], -v[56:57]
	;; [unrolled: 1-line block ×4, first 2 shown]
	v_add_f64 v[28:29], v[28:29], v[54:55]
	v_add_f64 v[54:55], v[58:59], v[26:27]
	v_add_f64 v[56:57], v[54:55], -v[58:59]
	v_add_f64 v[28:29], v[54:55], v[28:29]
	v_add_f64 v[60:61], v[54:55], -v[56:57]
	;; [unrolled: 2-line block ×3, first 2 shown]
	v_add_f64 v[26:27], v[26:27], -v[56:57]
	v_add_f64 v[50:51], v[54:55], -v[50:51]
	v_add_f64 v[26:27], v[26:27], v[58:59]
	v_add_f64 v[28:29], v[28:29], -v[50:51]
	s_mov_b32 s22, 0
	v_add_f64 v[26:27], v[26:27], v[28:29]
	s_mov_b32 s23, 0x7ff00000
	v_add_f64 v[26:27], v[54:55], v[26:27]
	v_cmp_eq_f64_e32 vcc, s[22:23], v[24:25]
	v_cndmask_b32_e32 v26, v26, v24, vcc
	v_cndmask_b32_e32 v27, v27, v25, vcc
	v_mov_b32_e32 v28, 0x7ff80000
	v_cmp_ngt_f64_e32 vcc, -1.0, v[24:25]
	v_cndmask_b32_e32 v27, v28, v27, vcc
	v_cmp_nge_f64_e32 vcc, -1.0, v[24:25]
	v_cndmask_b32_e32 v26, 0, v26, vcc
	v_mov_b32_e32 v28, 0xfff00000
	v_cmp_neq_f64_e32 vcc, -1.0, v[24:25]
	v_cndmask_b32_e32 v27, v28, v27, vcc
	v_add_f64 v[24:25], v[22:23], v[26:27]
.LBB49_58:
	s_or_b64 exec, exec, s[36:37]
	v_pk_mov_b32 v[22:23], v[24:25], v[24:25] op_sel:[0,1]
	v_mov_b32_e32 v26, v24
	v_mov_b32_e32 v27, v25
.LBB49_59:
	s_or_b64 exec, exec, s[26:27]
	v_and_b32_e32 v28, 16, v53
	v_mov_b32_dpp v24, v26 row_bcast:15 row_mask:0xf bank_mask:0xf
	v_mov_b32_dpp v25, v27 row_bcast:15 row_mask:0xf bank_mask:0xf
	v_cmp_ne_u32_e32 vcc, 0, v28
	s_and_saveexec_b64 s[26:27], vcc
	s_cbranch_execz .LBB49_63
; %bb.60:
	v_max_f64 v[28:29], v[24:25], v[24:25]
	v_max_f64 v[50:51], v[22:23], v[22:23]
	v_min_f64 v[26:27], v[28:29], v[50:51]
	v_cmp_u_f64_e32 vcc, v[24:25], v[24:25]
	v_max_f64 v[28:29], v[28:29], v[50:51]
	v_cndmask_b32_e32 v26, v26, v24, vcc
	v_cndmask_b32_e32 v27, v27, v25, vcc
	v_cmp_u_f64_e64 s[22:23], v[22:23], v[22:23]
	v_cndmask_b32_e32 v28, v28, v24, vcc
	v_cndmask_b32_e32 v29, v29, v25, vcc
	v_cndmask_b32_e64 v27, v27, v23, s[22:23]
	v_cndmask_b32_e64 v26, v26, v22, s[22:23]
	;; [unrolled: 1-line block ×4, first 2 shown]
	v_cmp_neq_f64_e32 vcc, v[26:27], v[22:23]
	v_cmp_class_f64_e64 s[22:23], v[26:27], s7
	s_or_b64 s[22:23], vcc, s[22:23]
	s_and_saveexec_b64 s[36:37], s[22:23]
	s_cbranch_execz .LBB49_62
; %bb.61:
	s_mov_b32 s22, 0x652b82fe
	v_add_f64 v[24:25], v[26:27], -v[22:23]
	s_mov_b32 s23, 0x3ff71547
	v_mul_f64 v[26:27], v[24:25], s[22:23]
	v_rndne_f64_e32 v[26:27], v[26:27]
	s_mov_b32 s39, 0xbfe62e42
	s_mov_b32 s38, 0xfefa39ef
	v_fma_f64 v[28:29], s[38:39], v[26:27], v[24:25]
	s_mov_b32 s41, 0xbc7abc9e
	s_mov_b32 s40, 0x3b39803f
	;; [unrolled: 1-line block ×3, first 2 shown]
	v_fmac_f64_e32 v[28:29], s[40:41], v[26:27]
	v_mov_b32_e32 v50, 0xfca7ab0c
	v_mov_b32_e32 v51, 0x3e928af3
	s_mov_b32 s23, 0x3e5ade15
	v_fmac_f64_e32 v[50:51], s[22:23], v[28:29]
	v_mov_b32_e32 v54, 0x623fde64
	v_mov_b32_e32 v55, 0x3ec71dee
	v_fmac_f64_e32 v[54:55], v[28:29], v[50:51]
	v_mov_b32_e32 v50, 0x7c89e6b0
	v_mov_b32_e32 v51, 0x3efa0199
	;; [unrolled: 3-line block ×8, first 2 shown]
	s_mov_b32 s22, 0
	v_fmac_f64_e32 v[50:51], v[28:29], v[54:55]
	s_mov_b32 s23, 0x40900000
	v_fma_f64 v[50:51], v[28:29], v[50:51], 1.0
	v_cmp_nlt_f64_e32 vcc, s[22:23], v[24:25]
	s_mov_b32 s22, 0
	v_fma_f64 v[28:29], v[28:29], v[50:51], 1.0
	v_cvt_i32_f64_e32 v26, v[26:27]
	s_mov_b32 s23, 0xc090cc00
	v_ldexp_f64 v[26:27], v[28:29], v26
	v_mov_b32_e32 v28, 0x7ff00000
	v_cmp_ngt_f64_e64 s[22:23], s[22:23], v[24:25]
	v_cndmask_b32_e32 v27, v28, v27, vcc
	s_and_b64 vcc, s[22:23], vcc
	v_cndmask_b32_e64 v25, 0, v27, s[22:23]
	v_cndmask_b32_e32 v24, 0, v26, vcc
	v_add_f64 v[26:27], v[24:25], 1.0
	v_add_f64 v[28:29], v[26:27], -1.0
	v_add_f64 v[50:51], v[28:29], -v[26:27]
	v_add_f64 v[50:51], v[50:51], 1.0
	v_add_f64 v[28:29], v[24:25], -v[28:29]
	s_mov_b32 s22, 0x55555555
	v_add_f64 v[28:29], v[28:29], v[50:51]
	v_frexp_mant_f64_e32 v[50:51], v[26:27]
	s_mov_b32 s23, 0x3fe55555
	v_frexp_exp_i32_f64_e32 v52, v[26:27]
	v_cmp_gt_f64_e32 vcc, s[22:23], v[50:51]
	v_subbrev_co_u32_e32 v52, vcc, 0, v52, vcc
	v_sub_u32_e32 v50, 0, v52
	v_ldexp_f64 v[26:27], v[26:27], v50
	v_ldexp_f64 v[28:29], v[28:29], v50
	v_add_f64 v[50:51], v[26:27], -1.0
	v_add_f64 v[58:59], v[26:27], 1.0
	v_add_f64 v[54:55], v[50:51], 1.0
	v_add_f64 v[60:61], v[58:59], -1.0
	v_add_f64 v[54:55], v[26:27], -v[54:55]
	v_add_f64 v[26:27], v[26:27], -v[60:61]
	v_add_f64 v[26:27], v[28:29], v[26:27]
	v_add_f64 v[54:55], v[28:29], v[54:55]
	;; [unrolled: 1-line block ×3, first 2 shown]
	v_rcp_f64_e32 v[60:61], v[28:29]
	v_add_f64 v[56:57], v[50:51], v[54:55]
	v_add_f64 v[50:51], v[56:57], -v[50:51]
	v_add_f64 v[50:51], v[54:55], -v[50:51]
	;; [unrolled: 1-line block ×4, first 2 shown]
	v_fma_f64 v[54:55], -v[28:29], v[60:61], 1.0
	v_fmac_f64_e32 v[60:61], v[54:55], v[60:61]
	v_fma_f64 v[54:55], -v[28:29], v[60:61], 1.0
	v_fmac_f64_e32 v[60:61], v[54:55], v[60:61]
	v_mul_f64 v[54:55], v[56:57], v[60:61]
	v_mul_f64 v[58:59], v[28:29], v[54:55]
	v_fma_f64 v[62:63], v[54:55], v[28:29], -v[58:59]
	v_fmac_f64_e32 v[62:63], v[54:55], v[26:27]
	v_add_f64 v[64:65], v[58:59], v[62:63]
	v_add_f64 v[66:67], v[56:57], -v[64:65]
	v_add_f64 v[56:57], v[56:57], -v[66:67]
	;; [unrolled: 1-line block ×4, first 2 shown]
	v_add_f64 v[50:51], v[50:51], v[56:57]
	v_add_f64 v[56:57], v[58:59], -v[62:63]
	v_add_f64 v[50:51], v[56:57], v[50:51]
	v_add_f64 v[56:57], v[66:67], v[50:51]
	v_add_f64 v[58:59], v[66:67], -v[56:57]
	v_add_f64 v[50:51], v[50:51], v[58:59]
	v_mul_f64 v[58:59], v[60:61], v[56:57]
	v_mul_f64 v[62:63], v[28:29], v[58:59]
	v_fma_f64 v[28:29], v[58:59], v[28:29], -v[62:63]
	v_fmac_f64_e32 v[28:29], v[58:59], v[26:27]
	v_add_f64 v[26:27], v[62:63], v[28:29]
	v_add_f64 v[64:65], v[56:57], -v[26:27]
	v_add_f64 v[56:57], v[56:57], -v[64:65]
	;; [unrolled: 1-line block ×4, first 2 shown]
	v_add_f64 v[26:27], v[50:51], v[26:27]
	v_add_f64 v[28:29], v[62:63], -v[28:29]
	v_add_f64 v[26:27], v[28:29], v[26:27]
	v_add_f64 v[28:29], v[54:55], v[58:59]
	;; [unrolled: 1-line block ×3, first 2 shown]
	v_add_f64 v[50:51], v[28:29], -v[54:55]
	v_mul_f64 v[26:27], v[60:61], v[26:27]
	v_add_f64 v[50:51], v[58:59], -v[50:51]
	v_add_f64 v[26:27], v[50:51], v[26:27]
	v_add_f64 v[50:51], v[28:29], v[26:27]
	v_add_f64 v[28:29], v[50:51], -v[28:29]
	s_mov_b32 s22, 0xbf559e2b
	v_add_f64 v[26:27], v[26:27], -v[28:29]
	v_mul_f64 v[28:29], v[50:51], v[50:51]
	v_mov_b32_e32 v54, 0x6b47b09a
	v_mov_b32_e32 v55, 0x3fc38538
	s_mov_b32 s23, 0x3fc3ab76
	v_fmac_f64_e32 v[54:55], s[22:23], v[28:29]
	v_mov_b32_e32 v56, 0xd7f4df2e
	v_mov_b32_e32 v57, 0x3fc7474d
	v_fmac_f64_e32 v[56:57], v[28:29], v[54:55]
	v_mov_b32_e32 v54, 0x16291751
	v_mov_b32_e32 v55, 0x3fcc71c0
	;; [unrolled: 3-line block ×5, first 2 shown]
	v_fmac_f64_e32 v[56:57], v[28:29], v[54:55]
	v_cvt_f64_i32_e32 v[54:55], v52
	s_mov_b32 s39, 0x3fe62e42
	v_mul_f64 v[58:59], v[54:55], s[38:39]
	v_fma_f64 v[60:61], v[54:55], s[38:39], -v[58:59]
	s_mov_b32 s41, 0x3c7abc9e
	v_fmac_f64_e32 v[60:61], s[40:41], v[54:55]
	v_add_f64 v[54:55], v[58:59], v[60:61]
	v_add_f64 v[58:59], v[54:55], -v[58:59]
	v_mul_f64 v[28:29], v[50:51], v[28:29]
	v_add_f64 v[58:59], v[60:61], -v[58:59]
	v_ldexp_f64 v[60:61], v[50:51], 1
	v_mul_f64 v[28:29], v[28:29], v[56:57]
	v_add_f64 v[50:51], v[60:61], v[28:29]
	v_add_f64 v[56:57], v[50:51], -v[60:61]
	v_ldexp_f64 v[26:27], v[26:27], 1
	v_add_f64 v[28:29], v[28:29], -v[56:57]
	v_add_f64 v[26:27], v[26:27], v[28:29]
	v_add_f64 v[28:29], v[50:51], v[26:27]
	v_add_f64 v[50:51], v[28:29], -v[50:51]
	v_add_f64 v[26:27], v[26:27], -v[50:51]
	v_add_f64 v[50:51], v[54:55], v[28:29]
	v_add_f64 v[56:57], v[50:51], -v[54:55]
	v_add_f64 v[60:61], v[50:51], -v[56:57]
	;; [unrolled: 1-line block ×4, first 2 shown]
	v_add_f64 v[28:29], v[28:29], v[54:55]
	v_add_f64 v[54:55], v[58:59], v[26:27]
	v_add_f64 v[56:57], v[54:55], -v[58:59]
	v_add_f64 v[28:29], v[54:55], v[28:29]
	v_add_f64 v[60:61], v[54:55], -v[56:57]
	;; [unrolled: 2-line block ×3, first 2 shown]
	v_add_f64 v[26:27], v[26:27], -v[56:57]
	v_add_f64 v[50:51], v[54:55], -v[50:51]
	v_add_f64 v[26:27], v[26:27], v[58:59]
	v_add_f64 v[28:29], v[28:29], -v[50:51]
	s_mov_b32 s22, 0
	v_add_f64 v[26:27], v[26:27], v[28:29]
	s_mov_b32 s23, 0x7ff00000
	v_add_f64 v[26:27], v[54:55], v[26:27]
	v_cmp_eq_f64_e32 vcc, s[22:23], v[24:25]
	v_cndmask_b32_e32 v26, v26, v24, vcc
	v_cndmask_b32_e32 v27, v27, v25, vcc
	v_mov_b32_e32 v28, 0x7ff80000
	v_cmp_ngt_f64_e32 vcc, -1.0, v[24:25]
	v_cndmask_b32_e32 v27, v28, v27, vcc
	v_cmp_nge_f64_e32 vcc, -1.0, v[24:25]
	v_cndmask_b32_e32 v26, 0, v26, vcc
	v_mov_b32_e32 v28, 0xfff00000
	v_cmp_neq_f64_e32 vcc, -1.0, v[24:25]
	v_cndmask_b32_e32 v27, v28, v27, vcc
	v_add_f64 v[24:25], v[22:23], v[26:27]
.LBB49_62:
	s_or_b64 exec, exec, s[36:37]
	v_mov_b32_e32 v26, v24
	v_mov_b32_e32 v27, v25
	v_pk_mov_b32 v[22:23], v[24:25], v[24:25] op_sel:[0,1]
.LBB49_63:
	s_or_b64 exec, exec, s[26:27]
	v_mov_b32_dpp v24, v26 row_bcast:31 row_mask:0xf bank_mask:0xf
	v_mov_b32_dpp v25, v27 row_bcast:31 row_mask:0xf bank_mask:0xf
	v_cmp_lt_u32_e32 vcc, 31, v53
	s_and_saveexec_b64 s[26:27], vcc
	s_cbranch_execz .LBB49_67
; %bb.64:
	v_max_f64 v[28:29], v[24:25], v[24:25]
	v_max_f64 v[50:51], v[22:23], v[22:23]
	v_min_f64 v[26:27], v[28:29], v[50:51]
	v_cmp_u_f64_e32 vcc, v[24:25], v[24:25]
	v_max_f64 v[28:29], v[28:29], v[50:51]
	v_cndmask_b32_e32 v26, v26, v24, vcc
	v_cndmask_b32_e32 v27, v27, v25, vcc
	v_cmp_u_f64_e64 s[22:23], v[22:23], v[22:23]
	v_cndmask_b32_e32 v28, v28, v24, vcc
	v_cndmask_b32_e32 v29, v29, v25, vcc
	v_cndmask_b32_e64 v27, v27, v23, s[22:23]
	v_cndmask_b32_e64 v26, v26, v22, s[22:23]
	;; [unrolled: 1-line block ×4, first 2 shown]
	v_cmp_neq_f64_e32 vcc, v[26:27], v[22:23]
	v_cmp_class_f64_e64 s[22:23], v[26:27], s7
	s_or_b64 s[22:23], vcc, s[22:23]
	s_and_saveexec_b64 s[36:37], s[22:23]
	s_cbranch_execz .LBB49_66
; %bb.65:
	s_mov_b32 s22, 0x652b82fe
	v_add_f64 v[24:25], v[26:27], -v[22:23]
	s_mov_b32 s23, 0x3ff71547
	v_mul_f64 v[26:27], v[24:25], s[22:23]
	v_rndne_f64_e32 v[26:27], v[26:27]
	s_mov_b32 s39, 0xbfe62e42
	s_mov_b32 s38, 0xfefa39ef
	v_fma_f64 v[28:29], s[38:39], v[26:27], v[24:25]
	s_mov_b32 s41, 0xbc7abc9e
	s_mov_b32 s40, 0x3b39803f
	;; [unrolled: 1-line block ×3, first 2 shown]
	v_fmac_f64_e32 v[28:29], s[40:41], v[26:27]
	v_mov_b32_e32 v50, 0xfca7ab0c
	v_mov_b32_e32 v51, 0x3e928af3
	s_mov_b32 s23, 0x3e5ade15
	v_fmac_f64_e32 v[50:51], s[22:23], v[28:29]
	v_mov_b32_e32 v54, 0x623fde64
	v_mov_b32_e32 v55, 0x3ec71dee
	v_fmac_f64_e32 v[54:55], v[28:29], v[50:51]
	v_mov_b32_e32 v50, 0x7c89e6b0
	v_mov_b32_e32 v51, 0x3efa0199
	v_fmac_f64_e32 v[50:51], v[28:29], v[54:55]
	v_mov_b32_e32 v54, 0x14761f6e
	v_mov_b32_e32 v55, 0x3f2a01a0
	v_fmac_f64_e32 v[54:55], v[28:29], v[50:51]
	v_mov_b32_e32 v50, 0x1852b7b0
	v_mov_b32_e32 v51, 0x3f56c16c
	v_fmac_f64_e32 v[50:51], v[28:29], v[54:55]
	v_mov_b32_e32 v54, 0x11122322
	v_mov_b32_e32 v55, 0x3f811111
	v_fmac_f64_e32 v[54:55], v[28:29], v[50:51]
	v_mov_b32_e32 v50, 0x555502a1
	v_mov_b32_e32 v51, 0x3fa55555
	v_fmac_f64_e32 v[50:51], v[28:29], v[54:55]
	v_mov_b32_e32 v54, 0x55555511
	v_mov_b32_e32 v55, 0x3fc55555
	v_fmac_f64_e32 v[54:55], v[28:29], v[50:51]
	v_mov_b32_e32 v50, 11
	v_mov_b32_e32 v51, 0x3fe00000
	s_mov_b32 s22, 0
	v_fmac_f64_e32 v[50:51], v[28:29], v[54:55]
	s_mov_b32 s23, 0x40900000
	v_fma_f64 v[50:51], v[28:29], v[50:51], 1.0
	v_cmp_nlt_f64_e32 vcc, s[22:23], v[24:25]
	s_mov_b32 s22, 0
	v_fma_f64 v[28:29], v[28:29], v[50:51], 1.0
	v_cvt_i32_f64_e32 v26, v[26:27]
	s_mov_b32 s23, 0xc090cc00
	v_ldexp_f64 v[26:27], v[28:29], v26
	v_mov_b32_e32 v28, 0x7ff00000
	v_cmp_ngt_f64_e64 s[22:23], s[22:23], v[24:25]
	v_cndmask_b32_e32 v27, v28, v27, vcc
	s_and_b64 vcc, s[22:23], vcc
	v_cndmask_b32_e64 v25, 0, v27, s[22:23]
	v_cndmask_b32_e32 v24, 0, v26, vcc
	v_add_f64 v[26:27], v[24:25], 1.0
	v_add_f64 v[28:29], v[26:27], -1.0
	v_add_f64 v[50:51], v[28:29], -v[26:27]
	v_add_f64 v[50:51], v[50:51], 1.0
	v_add_f64 v[28:29], v[24:25], -v[28:29]
	s_mov_b32 s22, 0x55555555
	v_add_f64 v[28:29], v[28:29], v[50:51]
	v_frexp_mant_f64_e32 v[50:51], v[26:27]
	s_mov_b32 s23, 0x3fe55555
	v_frexp_exp_i32_f64_e32 v52, v[26:27]
	v_cmp_gt_f64_e32 vcc, s[22:23], v[50:51]
	v_subbrev_co_u32_e32 v52, vcc, 0, v52, vcc
	v_sub_u32_e32 v50, 0, v52
	v_ldexp_f64 v[26:27], v[26:27], v50
	v_ldexp_f64 v[28:29], v[28:29], v50
	v_add_f64 v[50:51], v[26:27], -1.0
	v_add_f64 v[58:59], v[26:27], 1.0
	v_add_f64 v[54:55], v[50:51], 1.0
	v_add_f64 v[60:61], v[58:59], -1.0
	v_add_f64 v[54:55], v[26:27], -v[54:55]
	v_add_f64 v[26:27], v[26:27], -v[60:61]
	v_add_f64 v[26:27], v[28:29], v[26:27]
	v_add_f64 v[54:55], v[28:29], v[54:55]
	;; [unrolled: 1-line block ×3, first 2 shown]
	v_rcp_f64_e32 v[60:61], v[28:29]
	v_add_f64 v[56:57], v[50:51], v[54:55]
	v_add_f64 v[50:51], v[56:57], -v[50:51]
	v_add_f64 v[50:51], v[54:55], -v[50:51]
	;; [unrolled: 1-line block ×4, first 2 shown]
	v_fma_f64 v[54:55], -v[28:29], v[60:61], 1.0
	v_fmac_f64_e32 v[60:61], v[54:55], v[60:61]
	v_fma_f64 v[54:55], -v[28:29], v[60:61], 1.0
	v_fmac_f64_e32 v[60:61], v[54:55], v[60:61]
	v_mul_f64 v[54:55], v[56:57], v[60:61]
	v_mul_f64 v[58:59], v[28:29], v[54:55]
	v_fma_f64 v[62:63], v[54:55], v[28:29], -v[58:59]
	v_fmac_f64_e32 v[62:63], v[54:55], v[26:27]
	v_add_f64 v[64:65], v[58:59], v[62:63]
	v_add_f64 v[66:67], v[56:57], -v[64:65]
	v_add_f64 v[56:57], v[56:57], -v[66:67]
	;; [unrolled: 1-line block ×4, first 2 shown]
	v_add_f64 v[50:51], v[50:51], v[56:57]
	v_add_f64 v[56:57], v[58:59], -v[62:63]
	v_add_f64 v[50:51], v[56:57], v[50:51]
	v_add_f64 v[56:57], v[66:67], v[50:51]
	v_add_f64 v[58:59], v[66:67], -v[56:57]
	v_add_f64 v[50:51], v[50:51], v[58:59]
	v_mul_f64 v[58:59], v[60:61], v[56:57]
	v_mul_f64 v[62:63], v[28:29], v[58:59]
	v_fma_f64 v[28:29], v[58:59], v[28:29], -v[62:63]
	v_fmac_f64_e32 v[28:29], v[58:59], v[26:27]
	v_add_f64 v[26:27], v[62:63], v[28:29]
	v_add_f64 v[64:65], v[56:57], -v[26:27]
	v_add_f64 v[56:57], v[56:57], -v[64:65]
	;; [unrolled: 1-line block ×4, first 2 shown]
	v_add_f64 v[26:27], v[50:51], v[26:27]
	v_add_f64 v[28:29], v[62:63], -v[28:29]
	v_add_f64 v[26:27], v[28:29], v[26:27]
	v_add_f64 v[28:29], v[54:55], v[58:59]
	;; [unrolled: 1-line block ×3, first 2 shown]
	v_add_f64 v[50:51], v[28:29], -v[54:55]
	v_mul_f64 v[26:27], v[60:61], v[26:27]
	v_add_f64 v[50:51], v[58:59], -v[50:51]
	v_add_f64 v[26:27], v[50:51], v[26:27]
	v_add_f64 v[50:51], v[28:29], v[26:27]
	v_add_f64 v[28:29], v[50:51], -v[28:29]
	s_mov_b32 s22, 0xbf559e2b
	v_add_f64 v[26:27], v[26:27], -v[28:29]
	v_mul_f64 v[28:29], v[50:51], v[50:51]
	v_mov_b32_e32 v54, 0x6b47b09a
	v_mov_b32_e32 v55, 0x3fc38538
	s_mov_b32 s23, 0x3fc3ab76
	v_fmac_f64_e32 v[54:55], s[22:23], v[28:29]
	v_mov_b32_e32 v56, 0xd7f4df2e
	v_mov_b32_e32 v57, 0x3fc7474d
	v_fmac_f64_e32 v[56:57], v[28:29], v[54:55]
	v_mov_b32_e32 v54, 0x16291751
	v_mov_b32_e32 v55, 0x3fcc71c0
	;; [unrolled: 3-line block ×5, first 2 shown]
	v_fmac_f64_e32 v[56:57], v[28:29], v[54:55]
	v_cvt_f64_i32_e32 v[54:55], v52
	s_mov_b32 s39, 0x3fe62e42
	v_mul_f64 v[58:59], v[54:55], s[38:39]
	v_fma_f64 v[60:61], v[54:55], s[38:39], -v[58:59]
	s_mov_b32 s41, 0x3c7abc9e
	v_fmac_f64_e32 v[60:61], s[40:41], v[54:55]
	v_add_f64 v[54:55], v[58:59], v[60:61]
	v_add_f64 v[58:59], v[54:55], -v[58:59]
	v_mul_f64 v[28:29], v[50:51], v[28:29]
	v_add_f64 v[58:59], v[60:61], -v[58:59]
	v_ldexp_f64 v[60:61], v[50:51], 1
	v_mul_f64 v[28:29], v[28:29], v[56:57]
	v_add_f64 v[50:51], v[60:61], v[28:29]
	v_add_f64 v[56:57], v[50:51], -v[60:61]
	v_ldexp_f64 v[26:27], v[26:27], 1
	v_add_f64 v[28:29], v[28:29], -v[56:57]
	v_add_f64 v[26:27], v[26:27], v[28:29]
	v_add_f64 v[28:29], v[50:51], v[26:27]
	v_add_f64 v[50:51], v[28:29], -v[50:51]
	v_add_f64 v[26:27], v[26:27], -v[50:51]
	v_add_f64 v[50:51], v[54:55], v[28:29]
	v_add_f64 v[56:57], v[50:51], -v[54:55]
	v_add_f64 v[60:61], v[50:51], -v[56:57]
	;; [unrolled: 1-line block ×4, first 2 shown]
	v_add_f64 v[28:29], v[28:29], v[54:55]
	v_add_f64 v[54:55], v[58:59], v[26:27]
	v_add_f64 v[56:57], v[54:55], -v[58:59]
	v_add_f64 v[28:29], v[54:55], v[28:29]
	v_add_f64 v[60:61], v[54:55], -v[56:57]
	;; [unrolled: 2-line block ×3, first 2 shown]
	v_add_f64 v[26:27], v[26:27], -v[56:57]
	v_add_f64 v[50:51], v[54:55], -v[50:51]
	v_add_f64 v[26:27], v[26:27], v[58:59]
	v_add_f64 v[28:29], v[28:29], -v[50:51]
	s_mov_b32 s22, 0
	v_add_f64 v[26:27], v[26:27], v[28:29]
	s_mov_b32 s23, 0x7ff00000
	v_add_f64 v[26:27], v[54:55], v[26:27]
	v_cmp_eq_f64_e32 vcc, s[22:23], v[24:25]
	v_cndmask_b32_e32 v26, v26, v24, vcc
	v_cndmask_b32_e32 v27, v27, v25, vcc
	v_mov_b32_e32 v28, 0x7ff80000
	v_cmp_ngt_f64_e32 vcc, -1.0, v[24:25]
	v_cndmask_b32_e32 v27, v28, v27, vcc
	v_cmp_nge_f64_e32 vcc, -1.0, v[24:25]
	v_cndmask_b32_e32 v26, 0, v26, vcc
	v_mov_b32_e32 v28, 0xfff00000
	v_cmp_neq_f64_e32 vcc, -1.0, v[24:25]
	v_cndmask_b32_e32 v27, v28, v27, vcc
	v_add_f64 v[24:25], v[22:23], v[26:27]
.LBB49_66:
	s_or_b64 exec, exec, s[36:37]
	v_pk_mov_b32 v[22:23], v[24:25], v[24:25] op_sel:[0,1]
.LBB49_67:
	s_or_b64 exec, exec, s[26:27]
	v_or_b32_e32 v24, 63, v0
	v_lshrrev_b32_e32 v52, 6, v0
	v_cmp_eq_u32_e32 vcc, v24, v0
	s_and_saveexec_b64 s[22:23], vcc
	s_cbranch_execz .LBB49_69
; %bb.68:
	v_lshlrev_b32_e32 v24, 3, v52
	ds_write_b64 v24, v[22:23]
.LBB49_69:
	s_or_b64 exec, exec, s[22:23]
	v_cmp_gt_u32_e32 vcc, 2, v0
	s_waitcnt lgkmcnt(0)
	s_barrier
	s_and_saveexec_b64 s[26:27], vcc
	s_cbranch_execz .LBB49_75
; %bb.70:
	ds_read_b64 v[24:25], v92
	v_and_b32_e32 v28, 1, v53
	v_cmp_eq_u32_e32 vcc, 1, v28
	s_waitcnt lgkmcnt(0)
	v_mov_b32_dpp v26, v24 row_shr:1 row_mask:0xf bank_mask:0xf
	v_mov_b32_dpp v27, v25 row_shr:1 row_mask:0xf bank_mask:0xf
	s_and_saveexec_b64 s[36:37], vcc
	s_cbranch_execz .LBB49_74
; %bb.71:
	v_max_f64 v[50:51], v[26:27], v[26:27]
	v_max_f64 v[54:55], v[24:25], v[24:25]
	v_min_f64 v[28:29], v[50:51], v[54:55]
	v_cmp_u_f64_e32 vcc, v[26:27], v[26:27]
	v_max_f64 v[50:51], v[50:51], v[54:55]
	v_cndmask_b32_e32 v28, v28, v26, vcc
	v_cndmask_b32_e32 v29, v29, v27, vcc
	v_cmp_u_f64_e64 s[22:23], v[24:25], v[24:25]
	v_cndmask_b32_e32 v50, v50, v26, vcc
	v_cndmask_b32_e32 v51, v51, v27, vcc
	v_cndmask_b32_e64 v29, v29, v25, s[22:23]
	v_cndmask_b32_e64 v28, v28, v24, s[22:23]
	;; [unrolled: 1-line block ×4, first 2 shown]
	v_cmp_neq_f64_e32 vcc, v[28:29], v[24:25]
	v_cmp_class_f64_e64 s[22:23], v[28:29], s7
	s_or_b64 s[22:23], vcc, s[22:23]
	s_and_saveexec_b64 s[38:39], s[22:23]
	s_cbranch_execz .LBB49_73
; %bb.72:
	s_mov_b32 s22, 0x652b82fe
	v_add_f64 v[26:27], v[28:29], -v[24:25]
	s_mov_b32 s23, 0x3ff71547
	v_mul_f64 v[28:29], v[26:27], s[22:23]
	v_rndne_f64_e32 v[28:29], v[28:29]
	s_mov_b32 s41, 0xbfe62e42
	s_mov_b32 s40, 0xfefa39ef
	v_fma_f64 v[50:51], s[40:41], v[28:29], v[26:27]
	s_mov_b32 s43, 0xbc7abc9e
	s_mov_b32 s42, 0x3b39803f
	;; [unrolled: 1-line block ×3, first 2 shown]
	v_fmac_f64_e32 v[50:51], s[42:43], v[28:29]
	v_mov_b32_e32 v54, 0xfca7ab0c
	v_mov_b32_e32 v55, 0x3e928af3
	s_mov_b32 s23, 0x3e5ade15
	v_fmac_f64_e32 v[54:55], s[22:23], v[50:51]
	v_mov_b32_e32 v56, 0x623fde64
	v_mov_b32_e32 v57, 0x3ec71dee
	v_fmac_f64_e32 v[56:57], v[50:51], v[54:55]
	v_mov_b32_e32 v54, 0x7c89e6b0
	v_mov_b32_e32 v55, 0x3efa0199
	;; [unrolled: 3-line block ×8, first 2 shown]
	s_mov_b32 s22, 0
	v_fmac_f64_e32 v[54:55], v[50:51], v[56:57]
	s_mov_b32 s23, 0x40900000
	v_fma_f64 v[54:55], v[50:51], v[54:55], 1.0
	v_cmp_nlt_f64_e32 vcc, s[22:23], v[26:27]
	s_mov_b32 s22, 0
	v_fma_f64 v[50:51], v[50:51], v[54:55], 1.0
	v_cvt_i32_f64_e32 v28, v[28:29]
	s_mov_b32 s23, 0xc090cc00
	v_ldexp_f64 v[28:29], v[50:51], v28
	v_mov_b32_e32 v50, 0x7ff00000
	v_cmp_ngt_f64_e64 s[22:23], s[22:23], v[26:27]
	v_cndmask_b32_e32 v29, v50, v29, vcc
	s_and_b64 vcc, s[22:23], vcc
	v_cndmask_b32_e64 v27, 0, v29, s[22:23]
	v_cndmask_b32_e32 v26, 0, v28, vcc
	v_add_f64 v[28:29], v[26:27], 1.0
	v_add_f64 v[50:51], v[28:29], -1.0
	v_add_f64 v[54:55], v[50:51], -v[28:29]
	v_add_f64 v[54:55], v[54:55], 1.0
	v_add_f64 v[50:51], v[26:27], -v[50:51]
	s_mov_b32 s22, 0x55555555
	v_add_f64 v[50:51], v[50:51], v[54:55]
	v_frexp_mant_f64_e32 v[54:55], v[28:29]
	s_mov_b32 s23, 0x3fe55555
	v_frexp_exp_i32_f64_e32 v56, v[28:29]
	v_cmp_gt_f64_e32 vcc, s[22:23], v[54:55]
	v_subbrev_co_u32_e32 v70, vcc, 0, v56, vcc
	v_sub_u32_e32 v54, 0, v70
	v_ldexp_f64 v[28:29], v[28:29], v54
	v_ldexp_f64 v[50:51], v[50:51], v54
	v_add_f64 v[54:55], v[28:29], -1.0
	v_add_f64 v[60:61], v[28:29], 1.0
	v_add_f64 v[56:57], v[54:55], 1.0
	v_add_f64 v[62:63], v[60:61], -1.0
	v_add_f64 v[56:57], v[28:29], -v[56:57]
	v_add_f64 v[28:29], v[28:29], -v[62:63]
	v_add_f64 v[28:29], v[50:51], v[28:29]
	v_add_f64 v[56:57], v[50:51], v[56:57]
	;; [unrolled: 1-line block ×3, first 2 shown]
	v_rcp_f64_e32 v[62:63], v[50:51]
	v_add_f64 v[58:59], v[54:55], v[56:57]
	v_add_f64 v[54:55], v[58:59], -v[54:55]
	v_add_f64 v[54:55], v[56:57], -v[54:55]
	;; [unrolled: 1-line block ×4, first 2 shown]
	v_fma_f64 v[56:57], -v[50:51], v[62:63], 1.0
	v_fmac_f64_e32 v[62:63], v[56:57], v[62:63]
	v_fma_f64 v[56:57], -v[50:51], v[62:63], 1.0
	v_fmac_f64_e32 v[62:63], v[56:57], v[62:63]
	v_mul_f64 v[56:57], v[58:59], v[62:63]
	v_mul_f64 v[60:61], v[50:51], v[56:57]
	v_fma_f64 v[64:65], v[56:57], v[50:51], -v[60:61]
	v_fmac_f64_e32 v[64:65], v[56:57], v[28:29]
	v_add_f64 v[66:67], v[60:61], v[64:65]
	v_add_f64 v[68:69], v[58:59], -v[66:67]
	v_add_f64 v[58:59], v[58:59], -v[68:69]
	;; [unrolled: 1-line block ×4, first 2 shown]
	v_add_f64 v[54:55], v[54:55], v[58:59]
	v_add_f64 v[58:59], v[60:61], -v[64:65]
	v_add_f64 v[54:55], v[58:59], v[54:55]
	v_add_f64 v[58:59], v[68:69], v[54:55]
	v_add_f64 v[60:61], v[68:69], -v[58:59]
	v_add_f64 v[54:55], v[54:55], v[60:61]
	v_mul_f64 v[60:61], v[62:63], v[58:59]
	v_mul_f64 v[64:65], v[50:51], v[60:61]
	v_fma_f64 v[50:51], v[60:61], v[50:51], -v[64:65]
	v_fmac_f64_e32 v[50:51], v[60:61], v[28:29]
	v_add_f64 v[28:29], v[64:65], v[50:51]
	v_add_f64 v[66:67], v[58:59], -v[28:29]
	v_add_f64 v[58:59], v[58:59], -v[66:67]
	v_add_f64 v[64:65], v[28:29], -v[64:65]
	v_add_f64 v[28:29], v[58:59], -v[28:29]
	v_add_f64 v[28:29], v[54:55], v[28:29]
	v_add_f64 v[50:51], v[64:65], -v[50:51]
	v_add_f64 v[28:29], v[50:51], v[28:29]
	v_add_f64 v[50:51], v[56:57], v[60:61]
	;; [unrolled: 1-line block ×3, first 2 shown]
	v_add_f64 v[54:55], v[50:51], -v[56:57]
	v_mul_f64 v[28:29], v[62:63], v[28:29]
	v_add_f64 v[54:55], v[60:61], -v[54:55]
	v_add_f64 v[28:29], v[54:55], v[28:29]
	v_add_f64 v[54:55], v[50:51], v[28:29]
	v_add_f64 v[50:51], v[54:55], -v[50:51]
	s_mov_b32 s22, 0xbf559e2b
	v_add_f64 v[28:29], v[28:29], -v[50:51]
	v_mul_f64 v[50:51], v[54:55], v[54:55]
	v_mov_b32_e32 v56, 0x6b47b09a
	v_mov_b32_e32 v57, 0x3fc38538
	s_mov_b32 s23, 0x3fc3ab76
	v_fmac_f64_e32 v[56:57], s[22:23], v[50:51]
	v_mov_b32_e32 v58, 0xd7f4df2e
	v_mov_b32_e32 v59, 0x3fc7474d
	v_fmac_f64_e32 v[58:59], v[50:51], v[56:57]
	v_mov_b32_e32 v56, 0x16291751
	v_mov_b32_e32 v57, 0x3fcc71c0
	;; [unrolled: 3-line block ×5, first 2 shown]
	v_fmac_f64_e32 v[58:59], v[50:51], v[56:57]
	v_cvt_f64_i32_e32 v[56:57], v70
	s_mov_b32 s41, 0x3fe62e42
	v_mul_f64 v[60:61], v[56:57], s[40:41]
	v_fma_f64 v[62:63], v[56:57], s[40:41], -v[60:61]
	s_mov_b32 s43, 0x3c7abc9e
	v_fmac_f64_e32 v[62:63], s[42:43], v[56:57]
	v_add_f64 v[56:57], v[60:61], v[62:63]
	v_add_f64 v[60:61], v[56:57], -v[60:61]
	v_mul_f64 v[50:51], v[54:55], v[50:51]
	v_add_f64 v[60:61], v[62:63], -v[60:61]
	v_ldexp_f64 v[62:63], v[54:55], 1
	v_mul_f64 v[50:51], v[50:51], v[58:59]
	v_add_f64 v[54:55], v[62:63], v[50:51]
	v_add_f64 v[58:59], v[54:55], -v[62:63]
	v_ldexp_f64 v[28:29], v[28:29], 1
	v_add_f64 v[50:51], v[50:51], -v[58:59]
	v_add_f64 v[28:29], v[28:29], v[50:51]
	v_add_f64 v[50:51], v[54:55], v[28:29]
	v_add_f64 v[54:55], v[50:51], -v[54:55]
	v_add_f64 v[28:29], v[28:29], -v[54:55]
	v_add_f64 v[54:55], v[56:57], v[50:51]
	v_add_f64 v[58:59], v[54:55], -v[56:57]
	v_add_f64 v[62:63], v[54:55], -v[58:59]
	;; [unrolled: 1-line block ×4, first 2 shown]
	v_add_f64 v[50:51], v[50:51], v[56:57]
	v_add_f64 v[56:57], v[60:61], v[28:29]
	v_add_f64 v[58:59], v[56:57], -v[60:61]
	v_add_f64 v[50:51], v[56:57], v[50:51]
	v_add_f64 v[62:63], v[56:57], -v[58:59]
	;; [unrolled: 2-line block ×3, first 2 shown]
	v_add_f64 v[28:29], v[28:29], -v[58:59]
	v_add_f64 v[54:55], v[56:57], -v[54:55]
	v_add_f64 v[28:29], v[28:29], v[60:61]
	v_add_f64 v[50:51], v[50:51], -v[54:55]
	s_mov_b32 s22, 0
	v_add_f64 v[28:29], v[28:29], v[50:51]
	s_mov_b32 s23, 0x7ff00000
	v_add_f64 v[28:29], v[56:57], v[28:29]
	v_cmp_eq_f64_e32 vcc, s[22:23], v[26:27]
	v_cndmask_b32_e32 v28, v28, v26, vcc
	v_cndmask_b32_e32 v29, v29, v27, vcc
	v_mov_b32_e32 v50, 0x7ff80000
	v_cmp_ngt_f64_e32 vcc, -1.0, v[26:27]
	v_cndmask_b32_e32 v29, v50, v29, vcc
	v_cmp_nge_f64_e32 vcc, -1.0, v[26:27]
	v_cndmask_b32_e32 v28, 0, v28, vcc
	v_mov_b32_e32 v50, 0xfff00000
	v_cmp_neq_f64_e32 vcc, -1.0, v[26:27]
	v_cndmask_b32_e32 v29, v50, v29, vcc
	v_add_f64 v[26:27], v[24:25], v[28:29]
.LBB49_73:
	s_or_b64 exec, exec, s[38:39]
	v_pk_mov_b32 v[24:25], v[26:27], v[26:27] op_sel:[0,1]
.LBB49_74:
	s_or_b64 exec, exec, s[36:37]
	ds_write_b64 v92, v[24:25]
.LBB49_75:
	s_or_b64 exec, exec, s[26:27]
	v_cmp_gt_u32_e32 vcc, 64, v0
	v_cmp_lt_u32_e64 s[22:23], 63, v0
	s_waitcnt lgkmcnt(0)
	s_barrier
	s_waitcnt lgkmcnt(0)
                                        ; implicit-def: $vgpr50_vgpr51
	s_and_saveexec_b64 s[36:37], s[22:23]
	s_cbranch_execz .LBB49_79
; %bb.76:
	v_lshl_add_u32 v24, v52, 3, -8
	ds_read_b64 v[50:51], v24
	v_max_f64 v[24:25], v[22:23], v[22:23]
	v_cmp_u_f64_e64 s[26:27], v[22:23], v[22:23]
	s_waitcnt lgkmcnt(0)
	v_max_f64 v[28:29], v[50:51], v[50:51]
	v_min_f64 v[26:27], v[28:29], v[24:25]
	v_cmp_u_f64_e64 s[22:23], v[50:51], v[50:51]
	v_max_f64 v[24:25], v[28:29], v[24:25]
	v_cndmask_b32_e64 v26, v26, v50, s[22:23]
	v_cndmask_b32_e64 v27, v27, v51, s[22:23]
	;; [unrolled: 1-line block ×8, first 2 shown]
	v_cmp_neq_f64_e64 s[22:23], v[26:27], v[24:25]
	v_cmp_class_f64_e64 s[26:27], v[26:27], s7
	s_or_b64 s[22:23], s[22:23], s[26:27]
	v_pk_mov_b32 v[22:23], v[50:51], v[50:51] op_sel:[0,1]
	s_and_saveexec_b64 s[38:39], s[22:23]
	s_cbranch_execz .LBB49_78
; %bb.77:
	s_mov_b32 s22, 0x652b82fe
	v_add_f64 v[22:23], v[26:27], -v[24:25]
	s_mov_b32 s23, 0x3ff71547
	v_mul_f64 v[26:27], v[22:23], s[22:23]
	v_rndne_f64_e32 v[26:27], v[26:27]
	s_mov_b32 s41, 0xbfe62e42
	s_mov_b32 s40, 0xfefa39ef
	v_fma_f64 v[28:29], s[40:41], v[26:27], v[22:23]
	s_mov_b32 s43, 0xbc7abc9e
	s_mov_b32 s42, 0x3b39803f
	;; [unrolled: 1-line block ×3, first 2 shown]
	v_fmac_f64_e32 v[28:29], s[42:43], v[26:27]
	v_mov_b32_e32 v54, 0xfca7ab0c
	v_mov_b32_e32 v55, 0x3e928af3
	s_mov_b32 s23, 0x3e5ade15
	v_fmac_f64_e32 v[54:55], s[22:23], v[28:29]
	v_mov_b32_e32 v56, 0x623fde64
	v_mov_b32_e32 v57, 0x3ec71dee
	v_fmac_f64_e32 v[56:57], v[28:29], v[54:55]
	v_mov_b32_e32 v54, 0x7c89e6b0
	v_mov_b32_e32 v55, 0x3efa0199
	;; [unrolled: 3-line block ×8, first 2 shown]
	v_fmac_f64_e32 v[54:55], v[28:29], v[56:57]
	v_fma_f64 v[54:55], v[28:29], v[54:55], 1.0
	s_mov_b32 s22, 0
	s_mov_b32 s26, 0
	v_fma_f64 v[28:29], v[28:29], v[54:55], 1.0
	v_cvt_i32_f64_e32 v26, v[26:27]
	s_mov_b32 s23, 0x40900000
	s_mov_b32 s27, 0xc090cc00
	v_ldexp_f64 v[26:27], v[28:29], v26
	v_mov_b32_e32 v28, 0x7ff00000
	v_cmp_nlt_f64_e64 s[22:23], s[22:23], v[22:23]
	v_cmp_ngt_f64_e64 s[26:27], s[26:27], v[22:23]
	v_cndmask_b32_e64 v27, v28, v27, s[22:23]
	s_and_b64 s[22:23], s[26:27], s[22:23]
	v_cndmask_b32_e64 v23, 0, v27, s[26:27]
	v_cndmask_b32_e64 v22, 0, v26, s[22:23]
	v_add_f64 v[26:27], v[22:23], 1.0
	v_add_f64 v[28:29], v[26:27], -1.0
	v_add_f64 v[54:55], v[28:29], -v[26:27]
	v_add_f64 v[54:55], v[54:55], 1.0
	v_add_f64 v[28:29], v[22:23], -v[28:29]
	s_mov_b32 s22, 0x55555555
	v_add_f64 v[28:29], v[28:29], v[54:55]
	v_frexp_mant_f64_e32 v[54:55], v[26:27]
	s_mov_b32 s23, 0x3fe55555
	v_frexp_exp_i32_f64_e32 v52, v[26:27]
	v_cmp_gt_f64_e64 s[22:23], s[22:23], v[54:55]
	v_subbrev_co_u32_e64 v52, s[22:23], 0, v52, s[22:23]
	v_sub_u32_e32 v54, 0, v52
	v_ldexp_f64 v[26:27], v[26:27], v54
	v_ldexp_f64 v[28:29], v[28:29], v54
	v_add_f64 v[54:55], v[26:27], -1.0
	v_add_f64 v[60:61], v[26:27], 1.0
	v_add_f64 v[56:57], v[54:55], 1.0
	v_add_f64 v[62:63], v[60:61], -1.0
	v_add_f64 v[56:57], v[26:27], -v[56:57]
	v_add_f64 v[26:27], v[26:27], -v[62:63]
	v_add_f64 v[26:27], v[28:29], v[26:27]
	v_add_f64 v[56:57], v[28:29], v[56:57]
	v_add_f64 v[28:29], v[60:61], v[26:27]
	v_rcp_f64_e32 v[62:63], v[28:29]
	v_add_f64 v[58:59], v[54:55], v[56:57]
	v_add_f64 v[54:55], v[58:59], -v[54:55]
	v_add_f64 v[54:55], v[56:57], -v[54:55]
	v_add_f64 v[56:57], v[28:29], -v[60:61]
	v_add_f64 v[26:27], v[26:27], -v[56:57]
	v_fma_f64 v[56:57], -v[28:29], v[62:63], 1.0
	v_fmac_f64_e32 v[62:63], v[56:57], v[62:63]
	v_fma_f64 v[56:57], -v[28:29], v[62:63], 1.0
	v_fmac_f64_e32 v[62:63], v[56:57], v[62:63]
	v_mul_f64 v[56:57], v[58:59], v[62:63]
	v_mul_f64 v[60:61], v[28:29], v[56:57]
	v_fma_f64 v[64:65], v[56:57], v[28:29], -v[60:61]
	v_fmac_f64_e32 v[64:65], v[56:57], v[26:27]
	v_add_f64 v[66:67], v[60:61], v[64:65]
	v_add_f64 v[68:69], v[58:59], -v[66:67]
	v_add_f64 v[58:59], v[58:59], -v[68:69]
	;; [unrolled: 1-line block ×4, first 2 shown]
	v_add_f64 v[54:55], v[54:55], v[58:59]
	v_add_f64 v[58:59], v[60:61], -v[64:65]
	v_add_f64 v[54:55], v[58:59], v[54:55]
	v_add_f64 v[58:59], v[68:69], v[54:55]
	v_add_f64 v[60:61], v[68:69], -v[58:59]
	v_add_f64 v[54:55], v[54:55], v[60:61]
	v_mul_f64 v[60:61], v[62:63], v[58:59]
	v_mul_f64 v[64:65], v[28:29], v[60:61]
	v_fma_f64 v[28:29], v[60:61], v[28:29], -v[64:65]
	v_fmac_f64_e32 v[28:29], v[60:61], v[26:27]
	v_add_f64 v[26:27], v[64:65], v[28:29]
	v_add_f64 v[66:67], v[58:59], -v[26:27]
	v_add_f64 v[58:59], v[58:59], -v[66:67]
	;; [unrolled: 1-line block ×4, first 2 shown]
	v_add_f64 v[26:27], v[54:55], v[26:27]
	v_add_f64 v[28:29], v[64:65], -v[28:29]
	v_add_f64 v[26:27], v[28:29], v[26:27]
	v_add_f64 v[28:29], v[56:57], v[60:61]
	;; [unrolled: 1-line block ×3, first 2 shown]
	v_add_f64 v[54:55], v[28:29], -v[56:57]
	v_mul_f64 v[26:27], v[62:63], v[26:27]
	v_add_f64 v[54:55], v[60:61], -v[54:55]
	v_add_f64 v[26:27], v[54:55], v[26:27]
	v_add_f64 v[54:55], v[28:29], v[26:27]
	v_add_f64 v[28:29], v[54:55], -v[28:29]
	s_mov_b32 s22, 0xbf559e2b
	v_add_f64 v[26:27], v[26:27], -v[28:29]
	v_mul_f64 v[28:29], v[54:55], v[54:55]
	v_mov_b32_e32 v56, 0x6b47b09a
	v_mov_b32_e32 v57, 0x3fc38538
	s_mov_b32 s23, 0x3fc3ab76
	v_fmac_f64_e32 v[56:57], s[22:23], v[28:29]
	v_mov_b32_e32 v58, 0xd7f4df2e
	v_mov_b32_e32 v59, 0x3fc7474d
	v_fmac_f64_e32 v[58:59], v[28:29], v[56:57]
	v_mov_b32_e32 v56, 0x16291751
	v_mov_b32_e32 v57, 0x3fcc71c0
	;; [unrolled: 3-line block ×5, first 2 shown]
	v_fmac_f64_e32 v[58:59], v[28:29], v[56:57]
	v_cvt_f64_i32_e32 v[56:57], v52
	s_mov_b32 s41, 0x3fe62e42
	v_mul_f64 v[60:61], v[56:57], s[40:41]
	v_fma_f64 v[62:63], v[56:57], s[40:41], -v[60:61]
	s_mov_b32 s43, 0x3c7abc9e
	v_fmac_f64_e32 v[62:63], s[42:43], v[56:57]
	v_add_f64 v[56:57], v[60:61], v[62:63]
	v_add_f64 v[60:61], v[56:57], -v[60:61]
	v_mul_f64 v[28:29], v[54:55], v[28:29]
	v_add_f64 v[60:61], v[62:63], -v[60:61]
	v_ldexp_f64 v[62:63], v[54:55], 1
	v_mul_f64 v[28:29], v[28:29], v[58:59]
	v_add_f64 v[54:55], v[62:63], v[28:29]
	v_add_f64 v[58:59], v[54:55], -v[62:63]
	v_ldexp_f64 v[26:27], v[26:27], 1
	v_add_f64 v[28:29], v[28:29], -v[58:59]
	v_add_f64 v[26:27], v[26:27], v[28:29]
	v_add_f64 v[28:29], v[54:55], v[26:27]
	v_add_f64 v[54:55], v[28:29], -v[54:55]
	v_add_f64 v[26:27], v[26:27], -v[54:55]
	v_add_f64 v[54:55], v[56:57], v[28:29]
	v_add_f64 v[58:59], v[54:55], -v[56:57]
	v_add_f64 v[62:63], v[54:55], -v[58:59]
	;; [unrolled: 1-line block ×4, first 2 shown]
	v_add_f64 v[28:29], v[28:29], v[56:57]
	v_add_f64 v[56:57], v[60:61], v[26:27]
	v_add_f64 v[58:59], v[56:57], -v[60:61]
	v_add_f64 v[28:29], v[56:57], v[28:29]
	v_add_f64 v[62:63], v[56:57], -v[58:59]
	;; [unrolled: 2-line block ×3, first 2 shown]
	v_add_f64 v[26:27], v[26:27], -v[58:59]
	v_add_f64 v[54:55], v[56:57], -v[54:55]
	v_add_f64 v[26:27], v[26:27], v[60:61]
	v_add_f64 v[28:29], v[28:29], -v[54:55]
	s_mov_b32 s22, 0
	v_add_f64 v[26:27], v[26:27], v[28:29]
	s_mov_b32 s23, 0x7ff00000
	v_add_f64 v[26:27], v[56:57], v[26:27]
	v_cmp_eq_f64_e64 s[22:23], s[22:23], v[22:23]
	v_cndmask_b32_e64 v26, v26, v22, s[22:23]
	v_cndmask_b32_e64 v27, v27, v23, s[22:23]
	v_mov_b32_e32 v28, 0x7ff80000
	v_cmp_ngt_f64_e64 s[22:23], -1.0, v[22:23]
	v_cndmask_b32_e64 v27, v28, v27, s[22:23]
	v_cmp_nge_f64_e64 s[22:23], -1.0, v[22:23]
	v_cndmask_b32_e64 v26, 0, v26, s[22:23]
	v_mov_b32_e32 v28, 0xfff00000
	v_cmp_neq_f64_e64 s[22:23], -1.0, v[22:23]
	v_cndmask_b32_e64 v27, v28, v27, s[22:23]
	v_add_f64 v[22:23], v[24:25], v[26:27]
.LBB49_78:
	s_or_b64 exec, exec, s[38:39]
.LBB49_79:
	s_or_b64 exec, exec, s[36:37]
	v_add_u32_e32 v24, -1, v53
	v_and_b32_e32 v25, 64, v53
	v_cmp_lt_i32_e64 s[22:23], v24, v25
	v_cndmask_b32_e64 v24, v24, v53, s[22:23]
	v_lshlrev_b32_e32 v24, 2, v24
	ds_bpermute_b32 v94, v24, v22
	ds_bpermute_b32 v95, v24, v23
	v_cmp_eq_u32_e64 s[22:23], 0, v53
	s_and_saveexec_b64 s[36:37], vcc
	s_cbranch_execz .LBB49_154
; %bb.80:
	v_mov_b32_e32 v25, 0
	ds_read_b64 v[22:23], v25 offset:8
	s_and_saveexec_b64 s[26:27], s[22:23]
	s_cbranch_execz .LBB49_82
; %bb.81:
	s_add_i32 s38, s6, 64
	s_mov_b32 s39, 0
	s_lshl_b64 s[38:39], s[38:39], 4
	s_add_u32 s38, s58, s38
	s_addc_u32 s39, s59, s39
	v_mov_b32_e32 v24, 1
	v_pk_mov_b32 v[26:27], s[38:39], s[38:39] op_sel:[0,1]
	s_waitcnt lgkmcnt(0)
	;;#ASMSTART
	global_store_dwordx4 v[26:27], v[22:25] off	
s_waitcnt vmcnt(0)
	;;#ASMEND
.LBB49_82:
	s_or_b64 exec, exec, s[26:27]
	v_xad_u32 v52, v53, -1, s6
	v_add_u32_e32 v24, 64, v52
	v_lshlrev_b64 v[26:27], 4, v[24:25]
	v_mov_b32_e32 v24, s59
	v_add_co_u32_e32 v54, vcc, s58, v26
	v_addc_co_u32_e32 v55, vcc, v24, v27, vcc
	;;#ASMSTART
	global_load_dwordx4 v[26:29], v[54:55] off glc	
s_waitcnt vmcnt(0)
	;;#ASMEND
	v_and_b32_e32 v24, 0xff, v27
	v_and_b32_e32 v29, 0xff00, v27
	v_or3_b32 v24, 0, v24, v29
	v_or3_b32 v26, v26, 0, 0
	v_and_b32_e32 v29, 0xff000000, v27
	v_and_b32_e32 v27, 0xff0000, v27
	v_or3_b32 v27, v24, v27, v29
	v_or3_b32 v26, v26, 0, 0
	v_cmp_eq_u16_sdwa s[38:39], v28, v25 src0_sel:BYTE_0 src1_sel:DWORD
	s_and_saveexec_b64 s[26:27], s[38:39]
	s_cbranch_execz .LBB49_88
; %bb.83:
	s_mov_b32 s7, 1
	s_mov_b64 s[38:39], 0
	v_mov_b32_e32 v24, 0
.LBB49_84:                              ; =>This Loop Header: Depth=1
                                        ;     Child Loop BB49_85 Depth 2
	s_max_u32 s40, s7, 1
.LBB49_85:                              ;   Parent Loop BB49_84 Depth=1
                                        ; =>  This Inner Loop Header: Depth=2
	s_add_i32 s40, s40, -1
	s_cmp_eq_u32 s40, 0
	s_sleep 1
	s_cbranch_scc0 .LBB49_85
; %bb.86:                               ;   in Loop: Header=BB49_84 Depth=1
	s_cmp_lt_u32 s7, 32
	s_cselect_b64 s[40:41], -1, 0
	s_cmp_lg_u64 s[40:41], 0
	s_addc_u32 s7, s7, 0
	;;#ASMSTART
	global_load_dwordx4 v[26:29], v[54:55] off glc	
s_waitcnt vmcnt(0)
	;;#ASMEND
	v_cmp_ne_u16_sdwa s[40:41], v28, v24 src0_sel:BYTE_0 src1_sel:DWORD
	s_or_b64 s[38:39], s[40:41], s[38:39]
	s_andn2_b64 exec, exec, s[38:39]
	s_cbranch_execnz .LBB49_84
; %bb.87:
	s_or_b64 exec, exec, s[38:39]
.LBB49_88:
	s_or_b64 exec, exec, s[26:27]
	v_and_b32_e32 v96, 63, v53
	v_mov_b32_e32 v24, 2
	v_cmp_ne_u32_e32 vcc, 63, v96
	v_cmp_eq_u16_sdwa s[26:27], v28, v24 src0_sel:BYTE_0 src1_sel:DWORD
	v_lshlrev_b64 v[24:25], v53, -1
	v_addc_co_u32_e32 v54, vcc, 0, v53, vcc
	v_and_b32_e32 v29, s27, v25
	v_lshlrev_b32_e32 v97, 2, v54
	v_or_b32_e32 v29, 0x80000000, v29
	ds_bpermute_b32 v54, v97, v26
	ds_bpermute_b32 v55, v97, v27
	v_and_b32_e32 v56, s26, v24
	v_ffbl_b32_e32 v29, v29
	v_add_u32_e32 v29, 32, v29
	v_ffbl_b32_e32 v56, v56
	v_min_u32_e32 v29, v56, v29
	v_cmp_lt_u32_e32 vcc, v96, v29
	v_pk_mov_b32 v[86:87], v[26:27], v[26:27] op_sel:[0,1]
	s_and_saveexec_b64 s[38:39], vcc
	s_cbranch_execz .LBB49_92
; %bb.89:
	s_waitcnt lgkmcnt(0)
	v_max_f64 v[58:59], v[54:55], v[54:55]
	v_max_f64 v[60:61], v[26:27], v[26:27]
	v_min_f64 v[56:57], v[58:59], v[60:61]
	v_cmp_u_f64_e32 vcc, v[54:55], v[54:55]
	v_max_f64 v[58:59], v[58:59], v[60:61]
	v_cndmask_b32_e32 v56, v56, v54, vcc
	v_cndmask_b32_e32 v57, v57, v55, vcc
	v_cmp_u_f64_e64 s[26:27], v[26:27], v[26:27]
	v_cndmask_b32_e32 v58, v58, v54, vcc
	v_cndmask_b32_e32 v59, v59, v55, vcc
	v_cndmask_b32_e64 v57, v57, v27, s[26:27]
	v_cndmask_b32_e64 v56, v56, v26, s[26:27]
	;; [unrolled: 1-line block ×4, first 2 shown]
	s_movk_i32 s7, 0x1f8
	v_cmp_neq_f64_e32 vcc, v[56:57], v[26:27]
	v_cmp_class_f64_e64 s[26:27], v[56:57], s7
	s_or_b64 s[26:27], vcc, s[26:27]
	s_and_saveexec_b64 s[40:41], s[26:27]
	s_cbranch_execz .LBB49_91
; %bb.90:
	s_mov_b32 s26, 0x652b82fe
	v_add_f64 v[54:55], v[56:57], -v[26:27]
	s_mov_b32 s27, 0x3ff71547
	v_mul_f64 v[56:57], v[54:55], s[26:27]
	v_rndne_f64_e32 v[56:57], v[56:57]
	s_mov_b32 s43, 0xbfe62e42
	s_mov_b32 s42, 0xfefa39ef
	v_fma_f64 v[58:59], s[42:43], v[56:57], v[54:55]
	s_mov_b32 s45, 0xbc7abc9e
	s_mov_b32 s44, 0x3b39803f
	;; [unrolled: 1-line block ×3, first 2 shown]
	v_fmac_f64_e32 v[58:59], s[44:45], v[56:57]
	v_mov_b32_e32 v60, 0xfca7ab0c
	v_mov_b32_e32 v61, 0x3e928af3
	s_mov_b32 s27, 0x3e5ade15
	v_fmac_f64_e32 v[60:61], s[26:27], v[58:59]
	v_mov_b32_e32 v62, 0x623fde64
	v_mov_b32_e32 v63, 0x3ec71dee
	v_fmac_f64_e32 v[62:63], v[58:59], v[60:61]
	v_mov_b32_e32 v60, 0x7c89e6b0
	v_mov_b32_e32 v61, 0x3efa0199
	v_fmac_f64_e32 v[60:61], v[58:59], v[62:63]
	v_mov_b32_e32 v62, 0x14761f6e
	v_mov_b32_e32 v63, 0x3f2a01a0
	v_fmac_f64_e32 v[62:63], v[58:59], v[60:61]
	v_mov_b32_e32 v60, 0x1852b7b0
	v_mov_b32_e32 v61, 0x3f56c16c
	v_fmac_f64_e32 v[60:61], v[58:59], v[62:63]
	v_mov_b32_e32 v62, 0x11122322
	v_mov_b32_e32 v63, 0x3f811111
	v_fmac_f64_e32 v[62:63], v[58:59], v[60:61]
	v_mov_b32_e32 v60, 0x555502a1
	v_mov_b32_e32 v61, 0x3fa55555
	v_fmac_f64_e32 v[60:61], v[58:59], v[62:63]
	v_mov_b32_e32 v62, 0x55555511
	v_mov_b32_e32 v63, 0x3fc55555
	v_fmac_f64_e32 v[62:63], v[58:59], v[60:61]
	v_mov_b32_e32 v60, 11
	v_mov_b32_e32 v61, 0x3fe00000
	s_mov_b32 s26, 0
	v_fmac_f64_e32 v[60:61], v[58:59], v[62:63]
	s_mov_b32 s27, 0x40900000
	v_fma_f64 v[60:61], v[58:59], v[60:61], 1.0
	v_cmp_nlt_f64_e32 vcc, s[26:27], v[54:55]
	s_mov_b32 s26, 0
	v_fma_f64 v[58:59], v[58:59], v[60:61], 1.0
	v_cvt_i32_f64_e32 v56, v[56:57]
	s_mov_b32 s27, 0xc090cc00
	v_ldexp_f64 v[56:57], v[58:59], v56
	v_mov_b32_e32 v58, 0x7ff00000
	v_cmp_ngt_f64_e64 s[26:27], s[26:27], v[54:55]
	v_cndmask_b32_e32 v57, v58, v57, vcc
	s_and_b64 vcc, s[26:27], vcc
	v_cndmask_b32_e64 v55, 0, v57, s[26:27]
	v_cndmask_b32_e32 v54, 0, v56, vcc
	v_add_f64 v[56:57], v[54:55], 1.0
	v_add_f64 v[58:59], v[56:57], -1.0
	v_add_f64 v[60:61], v[58:59], -v[56:57]
	v_add_f64 v[60:61], v[60:61], 1.0
	v_add_f64 v[58:59], v[54:55], -v[58:59]
	s_mov_b32 s26, 0x55555555
	v_add_f64 v[58:59], v[58:59], v[60:61]
	v_frexp_mant_f64_e32 v[60:61], v[56:57]
	s_mov_b32 s27, 0x3fe55555
	v_frexp_exp_i32_f64_e32 v62, v[56:57]
	v_cmp_gt_f64_e32 vcc, s[26:27], v[60:61]
	v_subbrev_co_u32_e32 v76, vcc, 0, v62, vcc
	v_sub_u32_e32 v60, 0, v76
	v_ldexp_f64 v[56:57], v[56:57], v60
	v_ldexp_f64 v[58:59], v[58:59], v60
	v_add_f64 v[60:61], v[56:57], -1.0
	v_add_f64 v[66:67], v[56:57], 1.0
	v_add_f64 v[62:63], v[60:61], 1.0
	v_add_f64 v[68:69], v[66:67], -1.0
	v_add_f64 v[62:63], v[56:57], -v[62:63]
	v_add_f64 v[56:57], v[56:57], -v[68:69]
	v_add_f64 v[56:57], v[58:59], v[56:57]
	v_add_f64 v[62:63], v[58:59], v[62:63]
	;; [unrolled: 1-line block ×3, first 2 shown]
	v_rcp_f64_e32 v[68:69], v[58:59]
	v_add_f64 v[64:65], v[60:61], v[62:63]
	v_add_f64 v[60:61], v[64:65], -v[60:61]
	v_add_f64 v[60:61], v[62:63], -v[60:61]
	;; [unrolled: 1-line block ×4, first 2 shown]
	v_fma_f64 v[62:63], -v[58:59], v[68:69], 1.0
	v_fmac_f64_e32 v[68:69], v[62:63], v[68:69]
	v_fma_f64 v[62:63], -v[58:59], v[68:69], 1.0
	v_fmac_f64_e32 v[68:69], v[62:63], v[68:69]
	v_mul_f64 v[62:63], v[64:65], v[68:69]
	v_mul_f64 v[66:67], v[58:59], v[62:63]
	v_fma_f64 v[70:71], v[62:63], v[58:59], -v[66:67]
	v_fmac_f64_e32 v[70:71], v[62:63], v[56:57]
	v_add_f64 v[72:73], v[66:67], v[70:71]
	v_add_f64 v[74:75], v[64:65], -v[72:73]
	v_add_f64 v[64:65], v[64:65], -v[74:75]
	;; [unrolled: 1-line block ×4, first 2 shown]
	v_add_f64 v[60:61], v[60:61], v[64:65]
	v_add_f64 v[64:65], v[66:67], -v[70:71]
	v_add_f64 v[60:61], v[64:65], v[60:61]
	v_add_f64 v[64:65], v[74:75], v[60:61]
	v_add_f64 v[66:67], v[74:75], -v[64:65]
	v_add_f64 v[60:61], v[60:61], v[66:67]
	v_mul_f64 v[66:67], v[68:69], v[64:65]
	v_mul_f64 v[70:71], v[58:59], v[66:67]
	v_fma_f64 v[58:59], v[66:67], v[58:59], -v[70:71]
	v_fmac_f64_e32 v[58:59], v[66:67], v[56:57]
	v_add_f64 v[56:57], v[70:71], v[58:59]
	v_add_f64 v[72:73], v[64:65], -v[56:57]
	v_add_f64 v[64:65], v[64:65], -v[72:73]
	;; [unrolled: 1-line block ×4, first 2 shown]
	v_add_f64 v[56:57], v[60:61], v[56:57]
	v_add_f64 v[58:59], v[70:71], -v[58:59]
	v_add_f64 v[56:57], v[58:59], v[56:57]
	v_add_f64 v[58:59], v[62:63], v[66:67]
	;; [unrolled: 1-line block ×3, first 2 shown]
	v_add_f64 v[60:61], v[58:59], -v[62:63]
	v_mul_f64 v[56:57], v[68:69], v[56:57]
	v_add_f64 v[60:61], v[66:67], -v[60:61]
	v_add_f64 v[56:57], v[60:61], v[56:57]
	v_add_f64 v[60:61], v[58:59], v[56:57]
	v_add_f64 v[58:59], v[60:61], -v[58:59]
	s_mov_b32 s26, 0xbf559e2b
	v_add_f64 v[56:57], v[56:57], -v[58:59]
	v_mul_f64 v[58:59], v[60:61], v[60:61]
	v_mov_b32_e32 v62, 0x6b47b09a
	v_mov_b32_e32 v63, 0x3fc38538
	s_mov_b32 s27, 0x3fc3ab76
	v_fmac_f64_e32 v[62:63], s[26:27], v[58:59]
	v_mov_b32_e32 v64, 0xd7f4df2e
	v_mov_b32_e32 v65, 0x3fc7474d
	v_fmac_f64_e32 v[64:65], v[58:59], v[62:63]
	v_mov_b32_e32 v62, 0x16291751
	v_mov_b32_e32 v63, 0x3fcc71c0
	;; [unrolled: 3-line block ×5, first 2 shown]
	v_fmac_f64_e32 v[64:65], v[58:59], v[62:63]
	v_cvt_f64_i32_e32 v[62:63], v76
	s_mov_b32 s43, 0x3fe62e42
	v_mul_f64 v[66:67], v[62:63], s[42:43]
	v_fma_f64 v[68:69], v[62:63], s[42:43], -v[66:67]
	s_mov_b32 s45, 0x3c7abc9e
	v_fmac_f64_e32 v[68:69], s[44:45], v[62:63]
	v_add_f64 v[62:63], v[66:67], v[68:69]
	v_add_f64 v[66:67], v[62:63], -v[66:67]
	v_mul_f64 v[58:59], v[60:61], v[58:59]
	v_add_f64 v[66:67], v[68:69], -v[66:67]
	v_ldexp_f64 v[68:69], v[60:61], 1
	v_mul_f64 v[58:59], v[58:59], v[64:65]
	v_add_f64 v[60:61], v[68:69], v[58:59]
	v_add_f64 v[64:65], v[60:61], -v[68:69]
	v_ldexp_f64 v[56:57], v[56:57], 1
	v_add_f64 v[58:59], v[58:59], -v[64:65]
	v_add_f64 v[56:57], v[56:57], v[58:59]
	v_add_f64 v[58:59], v[60:61], v[56:57]
	v_add_f64 v[60:61], v[58:59], -v[60:61]
	v_add_f64 v[56:57], v[56:57], -v[60:61]
	v_add_f64 v[60:61], v[62:63], v[58:59]
	v_add_f64 v[64:65], v[60:61], -v[62:63]
	v_add_f64 v[68:69], v[60:61], -v[64:65]
	;; [unrolled: 1-line block ×4, first 2 shown]
	v_add_f64 v[58:59], v[58:59], v[62:63]
	v_add_f64 v[62:63], v[66:67], v[56:57]
	v_add_f64 v[64:65], v[62:63], -v[66:67]
	v_add_f64 v[58:59], v[62:63], v[58:59]
	v_add_f64 v[68:69], v[62:63], -v[64:65]
	;; [unrolled: 2-line block ×3, first 2 shown]
	v_add_f64 v[56:57], v[56:57], -v[64:65]
	v_add_f64 v[60:61], v[62:63], -v[60:61]
	v_add_f64 v[56:57], v[56:57], v[66:67]
	v_add_f64 v[58:59], v[58:59], -v[60:61]
	s_mov_b32 s26, 0
	v_add_f64 v[56:57], v[56:57], v[58:59]
	s_mov_b32 s27, 0x7ff00000
	v_add_f64 v[56:57], v[62:63], v[56:57]
	v_cmp_eq_f64_e32 vcc, s[26:27], v[54:55]
	v_cndmask_b32_e32 v56, v56, v54, vcc
	v_cndmask_b32_e32 v57, v57, v55, vcc
	v_mov_b32_e32 v58, 0x7ff80000
	v_cmp_ngt_f64_e32 vcc, -1.0, v[54:55]
	v_cndmask_b32_e32 v57, v58, v57, vcc
	v_cmp_nge_f64_e32 vcc, -1.0, v[54:55]
	v_cndmask_b32_e32 v56, 0, v56, vcc
	v_mov_b32_e32 v58, 0xfff00000
	v_cmp_neq_f64_e32 vcc, -1.0, v[54:55]
	v_cndmask_b32_e32 v57, v58, v57, vcc
	v_add_f64 v[54:55], v[26:27], v[56:57]
.LBB49_91:
	s_or_b64 exec, exec, s[40:41]
	v_mov_b32_e32 v26, v54
	v_mov_b32_e32 v27, v55
	v_pk_mov_b32 v[86:87], v[54:55], v[54:55] op_sel:[0,1]
.LBB49_92:
	s_or_b64 exec, exec, s[38:39]
	v_cmp_gt_u32_e32 vcc, 62, v96
	s_waitcnt lgkmcnt(1)
	v_cndmask_b32_e64 v54, 0, 1, vcc
	v_lshlrev_b32_e32 v54, 1, v54
	v_add_lshl_u32 v98, v54, v53, 2
	ds_bpermute_b32 v54, v98, v26
	s_waitcnt lgkmcnt(1)
	ds_bpermute_b32 v55, v98, v27
	v_add_u32_e32 v99, 2, v96
	v_cmp_le_u32_e32 vcc, v99, v29
	s_and_saveexec_b64 s[38:39], vcc
	s_cbranch_execz .LBB49_96
; %bb.93:
	s_waitcnt lgkmcnt(0)
	v_max_f64 v[26:27], v[54:55], v[54:55]
	v_max_f64 v[58:59], v[86:87], v[86:87]
	v_min_f64 v[56:57], v[26:27], v[58:59]
	v_cmp_u_f64_e32 vcc, v[54:55], v[54:55]
	v_max_f64 v[26:27], v[26:27], v[58:59]
	v_cndmask_b32_e32 v56, v56, v54, vcc
	v_cndmask_b32_e32 v57, v57, v55, vcc
	v_cmp_u_f64_e64 s[26:27], v[86:87], v[86:87]
	v_cndmask_b32_e32 v26, v26, v54, vcc
	v_cndmask_b32_e32 v27, v27, v55, vcc
	v_cndmask_b32_e64 v57, v57, v87, s[26:27]
	v_cndmask_b32_e64 v56, v56, v86, s[26:27]
	;; [unrolled: 1-line block ×4, first 2 shown]
	s_movk_i32 s7, 0x1f8
	v_cmp_neq_f64_e32 vcc, v[56:57], v[26:27]
	v_cmp_class_f64_e64 s[26:27], v[56:57], s7
	s_or_b64 s[26:27], vcc, s[26:27]
	s_and_saveexec_b64 s[40:41], s[26:27]
	s_cbranch_execz .LBB49_95
; %bb.94:
	s_mov_b32 s26, 0x652b82fe
	v_add_f64 v[54:55], v[56:57], -v[26:27]
	s_mov_b32 s27, 0x3ff71547
	v_mul_f64 v[56:57], v[54:55], s[26:27]
	v_rndne_f64_e32 v[56:57], v[56:57]
	s_mov_b32 s43, 0xbfe62e42
	s_mov_b32 s42, 0xfefa39ef
	v_fma_f64 v[58:59], s[42:43], v[56:57], v[54:55]
	s_mov_b32 s45, 0xbc7abc9e
	s_mov_b32 s44, 0x3b39803f
	;; [unrolled: 1-line block ×3, first 2 shown]
	v_fmac_f64_e32 v[58:59], s[44:45], v[56:57]
	v_mov_b32_e32 v60, 0xfca7ab0c
	v_mov_b32_e32 v61, 0x3e928af3
	s_mov_b32 s27, 0x3e5ade15
	v_fmac_f64_e32 v[60:61], s[26:27], v[58:59]
	v_mov_b32_e32 v62, 0x623fde64
	v_mov_b32_e32 v63, 0x3ec71dee
	v_fmac_f64_e32 v[62:63], v[58:59], v[60:61]
	v_mov_b32_e32 v60, 0x7c89e6b0
	v_mov_b32_e32 v61, 0x3efa0199
	;; [unrolled: 3-line block ×8, first 2 shown]
	s_mov_b32 s26, 0
	v_fmac_f64_e32 v[60:61], v[58:59], v[62:63]
	s_mov_b32 s27, 0x40900000
	v_fma_f64 v[60:61], v[58:59], v[60:61], 1.0
	v_cmp_nlt_f64_e32 vcc, s[26:27], v[54:55]
	s_mov_b32 s26, 0
	v_fma_f64 v[58:59], v[58:59], v[60:61], 1.0
	v_cvt_i32_f64_e32 v56, v[56:57]
	s_mov_b32 s27, 0xc090cc00
	v_ldexp_f64 v[56:57], v[58:59], v56
	v_mov_b32_e32 v58, 0x7ff00000
	v_cmp_ngt_f64_e64 s[26:27], s[26:27], v[54:55]
	v_cndmask_b32_e32 v57, v58, v57, vcc
	s_and_b64 vcc, s[26:27], vcc
	v_cndmask_b32_e64 v55, 0, v57, s[26:27]
	v_cndmask_b32_e32 v54, 0, v56, vcc
	v_add_f64 v[56:57], v[54:55], 1.0
	v_add_f64 v[58:59], v[56:57], -1.0
	v_add_f64 v[60:61], v[58:59], -v[56:57]
	v_add_f64 v[60:61], v[60:61], 1.0
	v_add_f64 v[58:59], v[54:55], -v[58:59]
	s_mov_b32 s26, 0x55555555
	v_add_f64 v[58:59], v[58:59], v[60:61]
	v_frexp_mant_f64_e32 v[60:61], v[56:57]
	s_mov_b32 s27, 0x3fe55555
	v_frexp_exp_i32_f64_e32 v62, v[56:57]
	v_cmp_gt_f64_e32 vcc, s[26:27], v[60:61]
	v_subbrev_co_u32_e32 v76, vcc, 0, v62, vcc
	v_sub_u32_e32 v60, 0, v76
	v_ldexp_f64 v[56:57], v[56:57], v60
	v_ldexp_f64 v[58:59], v[58:59], v60
	v_add_f64 v[60:61], v[56:57], -1.0
	v_add_f64 v[66:67], v[56:57], 1.0
	v_add_f64 v[62:63], v[60:61], 1.0
	v_add_f64 v[68:69], v[66:67], -1.0
	v_add_f64 v[62:63], v[56:57], -v[62:63]
	v_add_f64 v[56:57], v[56:57], -v[68:69]
	v_add_f64 v[56:57], v[58:59], v[56:57]
	v_add_f64 v[62:63], v[58:59], v[62:63]
	;; [unrolled: 1-line block ×3, first 2 shown]
	v_rcp_f64_e32 v[68:69], v[58:59]
	v_add_f64 v[64:65], v[60:61], v[62:63]
	v_add_f64 v[60:61], v[64:65], -v[60:61]
	v_add_f64 v[60:61], v[62:63], -v[60:61]
	;; [unrolled: 1-line block ×4, first 2 shown]
	v_fma_f64 v[62:63], -v[58:59], v[68:69], 1.0
	v_fmac_f64_e32 v[68:69], v[62:63], v[68:69]
	v_fma_f64 v[62:63], -v[58:59], v[68:69], 1.0
	v_fmac_f64_e32 v[68:69], v[62:63], v[68:69]
	v_mul_f64 v[62:63], v[64:65], v[68:69]
	v_mul_f64 v[66:67], v[58:59], v[62:63]
	v_fma_f64 v[70:71], v[62:63], v[58:59], -v[66:67]
	v_fmac_f64_e32 v[70:71], v[62:63], v[56:57]
	v_add_f64 v[72:73], v[66:67], v[70:71]
	v_add_f64 v[74:75], v[64:65], -v[72:73]
	v_add_f64 v[64:65], v[64:65], -v[74:75]
	v_add_f64 v[66:67], v[72:73], -v[66:67]
	v_add_f64 v[64:65], v[64:65], -v[72:73]
	v_add_f64 v[60:61], v[60:61], v[64:65]
	v_add_f64 v[64:65], v[66:67], -v[70:71]
	v_add_f64 v[60:61], v[64:65], v[60:61]
	v_add_f64 v[64:65], v[74:75], v[60:61]
	v_add_f64 v[66:67], v[74:75], -v[64:65]
	v_add_f64 v[60:61], v[60:61], v[66:67]
	v_mul_f64 v[66:67], v[68:69], v[64:65]
	v_mul_f64 v[70:71], v[58:59], v[66:67]
	v_fma_f64 v[58:59], v[66:67], v[58:59], -v[70:71]
	v_fmac_f64_e32 v[58:59], v[66:67], v[56:57]
	v_add_f64 v[56:57], v[70:71], v[58:59]
	v_add_f64 v[72:73], v[64:65], -v[56:57]
	v_add_f64 v[64:65], v[64:65], -v[72:73]
	v_add_f64 v[70:71], v[56:57], -v[70:71]
	v_add_f64 v[56:57], v[64:65], -v[56:57]
	v_add_f64 v[56:57], v[60:61], v[56:57]
	v_add_f64 v[58:59], v[70:71], -v[58:59]
	v_add_f64 v[56:57], v[58:59], v[56:57]
	v_add_f64 v[58:59], v[62:63], v[66:67]
	;; [unrolled: 1-line block ×3, first 2 shown]
	v_add_f64 v[60:61], v[58:59], -v[62:63]
	v_mul_f64 v[56:57], v[68:69], v[56:57]
	v_add_f64 v[60:61], v[66:67], -v[60:61]
	v_add_f64 v[56:57], v[60:61], v[56:57]
	v_add_f64 v[60:61], v[58:59], v[56:57]
	v_add_f64 v[58:59], v[60:61], -v[58:59]
	s_mov_b32 s26, 0xbf559e2b
	v_add_f64 v[56:57], v[56:57], -v[58:59]
	v_mul_f64 v[58:59], v[60:61], v[60:61]
	v_mov_b32_e32 v62, 0x6b47b09a
	v_mov_b32_e32 v63, 0x3fc38538
	s_mov_b32 s27, 0x3fc3ab76
	v_fmac_f64_e32 v[62:63], s[26:27], v[58:59]
	v_mov_b32_e32 v64, 0xd7f4df2e
	v_mov_b32_e32 v65, 0x3fc7474d
	v_fmac_f64_e32 v[64:65], v[58:59], v[62:63]
	v_mov_b32_e32 v62, 0x16291751
	v_mov_b32_e32 v63, 0x3fcc71c0
	;; [unrolled: 3-line block ×5, first 2 shown]
	v_fmac_f64_e32 v[64:65], v[58:59], v[62:63]
	v_cvt_f64_i32_e32 v[62:63], v76
	s_mov_b32 s43, 0x3fe62e42
	v_mul_f64 v[66:67], v[62:63], s[42:43]
	v_fma_f64 v[68:69], v[62:63], s[42:43], -v[66:67]
	s_mov_b32 s45, 0x3c7abc9e
	v_fmac_f64_e32 v[68:69], s[44:45], v[62:63]
	v_add_f64 v[62:63], v[66:67], v[68:69]
	v_add_f64 v[66:67], v[62:63], -v[66:67]
	v_mul_f64 v[58:59], v[60:61], v[58:59]
	v_add_f64 v[66:67], v[68:69], -v[66:67]
	v_ldexp_f64 v[68:69], v[60:61], 1
	v_mul_f64 v[58:59], v[58:59], v[64:65]
	v_add_f64 v[60:61], v[68:69], v[58:59]
	v_add_f64 v[64:65], v[60:61], -v[68:69]
	v_ldexp_f64 v[56:57], v[56:57], 1
	v_add_f64 v[58:59], v[58:59], -v[64:65]
	v_add_f64 v[56:57], v[56:57], v[58:59]
	v_add_f64 v[58:59], v[60:61], v[56:57]
	v_add_f64 v[60:61], v[58:59], -v[60:61]
	v_add_f64 v[56:57], v[56:57], -v[60:61]
	v_add_f64 v[60:61], v[62:63], v[58:59]
	v_add_f64 v[64:65], v[60:61], -v[62:63]
	v_add_f64 v[68:69], v[60:61], -v[64:65]
	;; [unrolled: 1-line block ×4, first 2 shown]
	v_add_f64 v[58:59], v[58:59], v[62:63]
	v_add_f64 v[62:63], v[66:67], v[56:57]
	v_add_f64 v[64:65], v[62:63], -v[66:67]
	v_add_f64 v[58:59], v[62:63], v[58:59]
	v_add_f64 v[68:69], v[62:63], -v[64:65]
	;; [unrolled: 2-line block ×3, first 2 shown]
	v_add_f64 v[56:57], v[56:57], -v[64:65]
	v_add_f64 v[60:61], v[62:63], -v[60:61]
	v_add_f64 v[56:57], v[56:57], v[66:67]
	v_add_f64 v[58:59], v[58:59], -v[60:61]
	s_mov_b32 s26, 0
	v_add_f64 v[56:57], v[56:57], v[58:59]
	s_mov_b32 s27, 0x7ff00000
	v_add_f64 v[56:57], v[62:63], v[56:57]
	v_cmp_eq_f64_e32 vcc, s[26:27], v[54:55]
	v_cndmask_b32_e32 v56, v56, v54, vcc
	v_cndmask_b32_e32 v57, v57, v55, vcc
	v_mov_b32_e32 v58, 0x7ff80000
	v_cmp_ngt_f64_e32 vcc, -1.0, v[54:55]
	v_cndmask_b32_e32 v57, v58, v57, vcc
	v_cmp_nge_f64_e32 vcc, -1.0, v[54:55]
	v_cndmask_b32_e32 v56, 0, v56, vcc
	v_mov_b32_e32 v58, 0xfff00000
	v_cmp_neq_f64_e32 vcc, -1.0, v[54:55]
	v_cndmask_b32_e32 v57, v58, v57, vcc
	v_add_f64 v[54:55], v[26:27], v[56:57]
.LBB49_95:
	s_or_b64 exec, exec, s[40:41]
	v_mov_b32_e32 v26, v54
	v_mov_b32_e32 v27, v55
	v_pk_mov_b32 v[86:87], v[54:55], v[54:55] op_sel:[0,1]
.LBB49_96:
	s_or_b64 exec, exec, s[38:39]
	v_cmp_gt_u32_e32 vcc, 60, v96
	s_waitcnt lgkmcnt(1)
	v_cndmask_b32_e64 v54, 0, 1, vcc
	v_lshlrev_b32_e32 v54, 2, v54
	v_add_lshl_u32 v100, v54, v53, 2
	ds_bpermute_b32 v54, v100, v26
	s_waitcnt lgkmcnt(1)
	ds_bpermute_b32 v55, v100, v27
	v_add_u32_e32 v101, 4, v96
	v_cmp_le_u32_e32 vcc, v101, v29
	s_and_saveexec_b64 s[38:39], vcc
	s_cbranch_execz .LBB49_100
; %bb.97:
	s_waitcnt lgkmcnt(0)
	v_max_f64 v[26:27], v[54:55], v[54:55]
	v_max_f64 v[58:59], v[86:87], v[86:87]
	v_min_f64 v[56:57], v[26:27], v[58:59]
	v_cmp_u_f64_e32 vcc, v[54:55], v[54:55]
	v_max_f64 v[26:27], v[26:27], v[58:59]
	v_cndmask_b32_e32 v56, v56, v54, vcc
	v_cndmask_b32_e32 v57, v57, v55, vcc
	v_cmp_u_f64_e64 s[26:27], v[86:87], v[86:87]
	v_cndmask_b32_e32 v26, v26, v54, vcc
	v_cndmask_b32_e32 v27, v27, v55, vcc
	v_cndmask_b32_e64 v57, v57, v87, s[26:27]
	v_cndmask_b32_e64 v56, v56, v86, s[26:27]
	;; [unrolled: 1-line block ×4, first 2 shown]
	s_movk_i32 s7, 0x1f8
	v_cmp_neq_f64_e32 vcc, v[56:57], v[26:27]
	v_cmp_class_f64_e64 s[26:27], v[56:57], s7
	s_or_b64 s[26:27], vcc, s[26:27]
	s_and_saveexec_b64 s[40:41], s[26:27]
	s_cbranch_execz .LBB49_99
; %bb.98:
	s_mov_b32 s26, 0x652b82fe
	v_add_f64 v[54:55], v[56:57], -v[26:27]
	s_mov_b32 s27, 0x3ff71547
	v_mul_f64 v[56:57], v[54:55], s[26:27]
	v_rndne_f64_e32 v[56:57], v[56:57]
	s_mov_b32 s43, 0xbfe62e42
	s_mov_b32 s42, 0xfefa39ef
	v_fma_f64 v[58:59], s[42:43], v[56:57], v[54:55]
	s_mov_b32 s45, 0xbc7abc9e
	s_mov_b32 s44, 0x3b39803f
	;; [unrolled: 1-line block ×3, first 2 shown]
	v_fmac_f64_e32 v[58:59], s[44:45], v[56:57]
	v_mov_b32_e32 v60, 0xfca7ab0c
	v_mov_b32_e32 v61, 0x3e928af3
	s_mov_b32 s27, 0x3e5ade15
	v_fmac_f64_e32 v[60:61], s[26:27], v[58:59]
	v_mov_b32_e32 v62, 0x623fde64
	v_mov_b32_e32 v63, 0x3ec71dee
	v_fmac_f64_e32 v[62:63], v[58:59], v[60:61]
	v_mov_b32_e32 v60, 0x7c89e6b0
	v_mov_b32_e32 v61, 0x3efa0199
	;; [unrolled: 3-line block ×8, first 2 shown]
	s_mov_b32 s26, 0
	v_fmac_f64_e32 v[60:61], v[58:59], v[62:63]
	s_mov_b32 s27, 0x40900000
	v_fma_f64 v[60:61], v[58:59], v[60:61], 1.0
	v_cmp_nlt_f64_e32 vcc, s[26:27], v[54:55]
	s_mov_b32 s26, 0
	v_fma_f64 v[58:59], v[58:59], v[60:61], 1.0
	v_cvt_i32_f64_e32 v56, v[56:57]
	s_mov_b32 s27, 0xc090cc00
	v_ldexp_f64 v[56:57], v[58:59], v56
	v_mov_b32_e32 v58, 0x7ff00000
	v_cmp_ngt_f64_e64 s[26:27], s[26:27], v[54:55]
	v_cndmask_b32_e32 v57, v58, v57, vcc
	s_and_b64 vcc, s[26:27], vcc
	v_cndmask_b32_e64 v55, 0, v57, s[26:27]
	v_cndmask_b32_e32 v54, 0, v56, vcc
	v_add_f64 v[56:57], v[54:55], 1.0
	v_add_f64 v[58:59], v[56:57], -1.0
	v_add_f64 v[60:61], v[58:59], -v[56:57]
	v_add_f64 v[60:61], v[60:61], 1.0
	v_add_f64 v[58:59], v[54:55], -v[58:59]
	s_mov_b32 s26, 0x55555555
	v_add_f64 v[58:59], v[58:59], v[60:61]
	v_frexp_mant_f64_e32 v[60:61], v[56:57]
	s_mov_b32 s27, 0x3fe55555
	v_frexp_exp_i32_f64_e32 v62, v[56:57]
	v_cmp_gt_f64_e32 vcc, s[26:27], v[60:61]
	v_subbrev_co_u32_e32 v76, vcc, 0, v62, vcc
	v_sub_u32_e32 v60, 0, v76
	v_ldexp_f64 v[56:57], v[56:57], v60
	v_ldexp_f64 v[58:59], v[58:59], v60
	v_add_f64 v[60:61], v[56:57], -1.0
	v_add_f64 v[66:67], v[56:57], 1.0
	v_add_f64 v[62:63], v[60:61], 1.0
	v_add_f64 v[68:69], v[66:67], -1.0
	v_add_f64 v[62:63], v[56:57], -v[62:63]
	v_add_f64 v[56:57], v[56:57], -v[68:69]
	v_add_f64 v[56:57], v[58:59], v[56:57]
	v_add_f64 v[62:63], v[58:59], v[62:63]
	;; [unrolled: 1-line block ×3, first 2 shown]
	v_rcp_f64_e32 v[68:69], v[58:59]
	v_add_f64 v[64:65], v[60:61], v[62:63]
	v_add_f64 v[60:61], v[64:65], -v[60:61]
	v_add_f64 v[60:61], v[62:63], -v[60:61]
	;; [unrolled: 1-line block ×4, first 2 shown]
	v_fma_f64 v[62:63], -v[58:59], v[68:69], 1.0
	v_fmac_f64_e32 v[68:69], v[62:63], v[68:69]
	v_fma_f64 v[62:63], -v[58:59], v[68:69], 1.0
	v_fmac_f64_e32 v[68:69], v[62:63], v[68:69]
	v_mul_f64 v[62:63], v[64:65], v[68:69]
	v_mul_f64 v[66:67], v[58:59], v[62:63]
	v_fma_f64 v[70:71], v[62:63], v[58:59], -v[66:67]
	v_fmac_f64_e32 v[70:71], v[62:63], v[56:57]
	v_add_f64 v[72:73], v[66:67], v[70:71]
	v_add_f64 v[74:75], v[64:65], -v[72:73]
	v_add_f64 v[64:65], v[64:65], -v[74:75]
	;; [unrolled: 1-line block ×4, first 2 shown]
	v_add_f64 v[60:61], v[60:61], v[64:65]
	v_add_f64 v[64:65], v[66:67], -v[70:71]
	v_add_f64 v[60:61], v[64:65], v[60:61]
	v_add_f64 v[64:65], v[74:75], v[60:61]
	v_add_f64 v[66:67], v[74:75], -v[64:65]
	v_add_f64 v[60:61], v[60:61], v[66:67]
	v_mul_f64 v[66:67], v[68:69], v[64:65]
	v_mul_f64 v[70:71], v[58:59], v[66:67]
	v_fma_f64 v[58:59], v[66:67], v[58:59], -v[70:71]
	v_fmac_f64_e32 v[58:59], v[66:67], v[56:57]
	v_add_f64 v[56:57], v[70:71], v[58:59]
	v_add_f64 v[72:73], v[64:65], -v[56:57]
	v_add_f64 v[64:65], v[64:65], -v[72:73]
	;; [unrolled: 1-line block ×4, first 2 shown]
	v_add_f64 v[56:57], v[60:61], v[56:57]
	v_add_f64 v[58:59], v[70:71], -v[58:59]
	v_add_f64 v[56:57], v[58:59], v[56:57]
	v_add_f64 v[58:59], v[62:63], v[66:67]
	;; [unrolled: 1-line block ×3, first 2 shown]
	v_add_f64 v[60:61], v[58:59], -v[62:63]
	v_mul_f64 v[56:57], v[68:69], v[56:57]
	v_add_f64 v[60:61], v[66:67], -v[60:61]
	v_add_f64 v[56:57], v[60:61], v[56:57]
	v_add_f64 v[60:61], v[58:59], v[56:57]
	v_add_f64 v[58:59], v[60:61], -v[58:59]
	s_mov_b32 s26, 0xbf559e2b
	v_add_f64 v[56:57], v[56:57], -v[58:59]
	v_mul_f64 v[58:59], v[60:61], v[60:61]
	v_mov_b32_e32 v62, 0x6b47b09a
	v_mov_b32_e32 v63, 0x3fc38538
	s_mov_b32 s27, 0x3fc3ab76
	v_fmac_f64_e32 v[62:63], s[26:27], v[58:59]
	v_mov_b32_e32 v64, 0xd7f4df2e
	v_mov_b32_e32 v65, 0x3fc7474d
	v_fmac_f64_e32 v[64:65], v[58:59], v[62:63]
	v_mov_b32_e32 v62, 0x16291751
	v_mov_b32_e32 v63, 0x3fcc71c0
	;; [unrolled: 3-line block ×5, first 2 shown]
	v_fmac_f64_e32 v[64:65], v[58:59], v[62:63]
	v_cvt_f64_i32_e32 v[62:63], v76
	s_mov_b32 s43, 0x3fe62e42
	v_mul_f64 v[66:67], v[62:63], s[42:43]
	v_fma_f64 v[68:69], v[62:63], s[42:43], -v[66:67]
	s_mov_b32 s45, 0x3c7abc9e
	v_fmac_f64_e32 v[68:69], s[44:45], v[62:63]
	v_add_f64 v[62:63], v[66:67], v[68:69]
	v_add_f64 v[66:67], v[62:63], -v[66:67]
	v_mul_f64 v[58:59], v[60:61], v[58:59]
	v_add_f64 v[66:67], v[68:69], -v[66:67]
	v_ldexp_f64 v[68:69], v[60:61], 1
	v_mul_f64 v[58:59], v[58:59], v[64:65]
	v_add_f64 v[60:61], v[68:69], v[58:59]
	v_add_f64 v[64:65], v[60:61], -v[68:69]
	v_ldexp_f64 v[56:57], v[56:57], 1
	v_add_f64 v[58:59], v[58:59], -v[64:65]
	v_add_f64 v[56:57], v[56:57], v[58:59]
	v_add_f64 v[58:59], v[60:61], v[56:57]
	v_add_f64 v[60:61], v[58:59], -v[60:61]
	v_add_f64 v[56:57], v[56:57], -v[60:61]
	v_add_f64 v[60:61], v[62:63], v[58:59]
	v_add_f64 v[64:65], v[60:61], -v[62:63]
	v_add_f64 v[68:69], v[60:61], -v[64:65]
	v_add_f64 v[62:63], v[62:63], -v[68:69]
	v_add_f64 v[58:59], v[58:59], -v[64:65]
	v_add_f64 v[58:59], v[58:59], v[62:63]
	v_add_f64 v[62:63], v[66:67], v[56:57]
	v_add_f64 v[64:65], v[62:63], -v[66:67]
	v_add_f64 v[58:59], v[62:63], v[58:59]
	v_add_f64 v[68:69], v[62:63], -v[64:65]
	;; [unrolled: 2-line block ×3, first 2 shown]
	v_add_f64 v[56:57], v[56:57], -v[64:65]
	v_add_f64 v[60:61], v[62:63], -v[60:61]
	v_add_f64 v[56:57], v[56:57], v[66:67]
	v_add_f64 v[58:59], v[58:59], -v[60:61]
	s_mov_b32 s26, 0
	v_add_f64 v[56:57], v[56:57], v[58:59]
	s_mov_b32 s27, 0x7ff00000
	v_add_f64 v[56:57], v[62:63], v[56:57]
	v_cmp_eq_f64_e32 vcc, s[26:27], v[54:55]
	v_cndmask_b32_e32 v56, v56, v54, vcc
	v_cndmask_b32_e32 v57, v57, v55, vcc
	v_mov_b32_e32 v58, 0x7ff80000
	v_cmp_ngt_f64_e32 vcc, -1.0, v[54:55]
	v_cndmask_b32_e32 v57, v58, v57, vcc
	v_cmp_nge_f64_e32 vcc, -1.0, v[54:55]
	v_cndmask_b32_e32 v56, 0, v56, vcc
	v_mov_b32_e32 v58, 0xfff00000
	v_cmp_neq_f64_e32 vcc, -1.0, v[54:55]
	v_cndmask_b32_e32 v57, v58, v57, vcc
	v_add_f64 v[54:55], v[26:27], v[56:57]
.LBB49_99:
	s_or_b64 exec, exec, s[40:41]
	v_mov_b32_e32 v26, v54
	v_mov_b32_e32 v27, v55
	v_pk_mov_b32 v[86:87], v[54:55], v[54:55] op_sel:[0,1]
.LBB49_100:
	s_or_b64 exec, exec, s[38:39]
	v_cmp_gt_u32_e32 vcc, 56, v96
	s_waitcnt lgkmcnt(1)
	v_cndmask_b32_e64 v54, 0, 1, vcc
	v_lshlrev_b32_e32 v54, 3, v54
	v_add_lshl_u32 v102, v54, v53, 2
	ds_bpermute_b32 v54, v102, v26
	s_waitcnt lgkmcnt(1)
	ds_bpermute_b32 v55, v102, v27
	v_add_u32_e32 v103, 8, v96
	v_cmp_le_u32_e32 vcc, v103, v29
	s_and_saveexec_b64 s[38:39], vcc
	s_cbranch_execz .LBB49_104
; %bb.101:
	s_waitcnt lgkmcnt(0)
	v_max_f64 v[26:27], v[54:55], v[54:55]
	v_max_f64 v[58:59], v[86:87], v[86:87]
	v_min_f64 v[56:57], v[26:27], v[58:59]
	v_cmp_u_f64_e32 vcc, v[54:55], v[54:55]
	v_max_f64 v[26:27], v[26:27], v[58:59]
	v_cndmask_b32_e32 v56, v56, v54, vcc
	v_cndmask_b32_e32 v57, v57, v55, vcc
	v_cmp_u_f64_e64 s[26:27], v[86:87], v[86:87]
	v_cndmask_b32_e32 v26, v26, v54, vcc
	v_cndmask_b32_e32 v27, v27, v55, vcc
	v_cndmask_b32_e64 v57, v57, v87, s[26:27]
	v_cndmask_b32_e64 v56, v56, v86, s[26:27]
	;; [unrolled: 1-line block ×4, first 2 shown]
	s_movk_i32 s7, 0x1f8
	v_cmp_neq_f64_e32 vcc, v[56:57], v[26:27]
	v_cmp_class_f64_e64 s[26:27], v[56:57], s7
	s_or_b64 s[26:27], vcc, s[26:27]
	s_and_saveexec_b64 s[40:41], s[26:27]
	s_cbranch_execz .LBB49_103
; %bb.102:
	s_mov_b32 s26, 0x652b82fe
	v_add_f64 v[54:55], v[56:57], -v[26:27]
	s_mov_b32 s27, 0x3ff71547
	v_mul_f64 v[56:57], v[54:55], s[26:27]
	v_rndne_f64_e32 v[56:57], v[56:57]
	s_mov_b32 s43, 0xbfe62e42
	s_mov_b32 s42, 0xfefa39ef
	v_fma_f64 v[58:59], s[42:43], v[56:57], v[54:55]
	s_mov_b32 s45, 0xbc7abc9e
	s_mov_b32 s44, 0x3b39803f
	;; [unrolled: 1-line block ×3, first 2 shown]
	v_fmac_f64_e32 v[58:59], s[44:45], v[56:57]
	v_mov_b32_e32 v60, 0xfca7ab0c
	v_mov_b32_e32 v61, 0x3e928af3
	s_mov_b32 s27, 0x3e5ade15
	v_fmac_f64_e32 v[60:61], s[26:27], v[58:59]
	v_mov_b32_e32 v62, 0x623fde64
	v_mov_b32_e32 v63, 0x3ec71dee
	v_fmac_f64_e32 v[62:63], v[58:59], v[60:61]
	v_mov_b32_e32 v60, 0x7c89e6b0
	v_mov_b32_e32 v61, 0x3efa0199
	;; [unrolled: 3-line block ×8, first 2 shown]
	s_mov_b32 s26, 0
	v_fmac_f64_e32 v[60:61], v[58:59], v[62:63]
	s_mov_b32 s27, 0x40900000
	v_fma_f64 v[60:61], v[58:59], v[60:61], 1.0
	v_cmp_nlt_f64_e32 vcc, s[26:27], v[54:55]
	s_mov_b32 s26, 0
	v_fma_f64 v[58:59], v[58:59], v[60:61], 1.0
	v_cvt_i32_f64_e32 v56, v[56:57]
	s_mov_b32 s27, 0xc090cc00
	v_ldexp_f64 v[56:57], v[58:59], v56
	v_mov_b32_e32 v58, 0x7ff00000
	v_cmp_ngt_f64_e64 s[26:27], s[26:27], v[54:55]
	v_cndmask_b32_e32 v57, v58, v57, vcc
	s_and_b64 vcc, s[26:27], vcc
	v_cndmask_b32_e64 v55, 0, v57, s[26:27]
	v_cndmask_b32_e32 v54, 0, v56, vcc
	v_add_f64 v[56:57], v[54:55], 1.0
	v_add_f64 v[58:59], v[56:57], -1.0
	v_add_f64 v[60:61], v[58:59], -v[56:57]
	v_add_f64 v[60:61], v[60:61], 1.0
	v_add_f64 v[58:59], v[54:55], -v[58:59]
	s_mov_b32 s26, 0x55555555
	v_add_f64 v[58:59], v[58:59], v[60:61]
	v_frexp_mant_f64_e32 v[60:61], v[56:57]
	s_mov_b32 s27, 0x3fe55555
	v_frexp_exp_i32_f64_e32 v62, v[56:57]
	v_cmp_gt_f64_e32 vcc, s[26:27], v[60:61]
	v_subbrev_co_u32_e32 v76, vcc, 0, v62, vcc
	v_sub_u32_e32 v60, 0, v76
	v_ldexp_f64 v[56:57], v[56:57], v60
	v_ldexp_f64 v[58:59], v[58:59], v60
	v_add_f64 v[60:61], v[56:57], -1.0
	v_add_f64 v[66:67], v[56:57], 1.0
	v_add_f64 v[62:63], v[60:61], 1.0
	v_add_f64 v[68:69], v[66:67], -1.0
	v_add_f64 v[62:63], v[56:57], -v[62:63]
	v_add_f64 v[56:57], v[56:57], -v[68:69]
	v_add_f64 v[56:57], v[58:59], v[56:57]
	v_add_f64 v[62:63], v[58:59], v[62:63]
	;; [unrolled: 1-line block ×3, first 2 shown]
	v_rcp_f64_e32 v[68:69], v[58:59]
	v_add_f64 v[64:65], v[60:61], v[62:63]
	v_add_f64 v[60:61], v[64:65], -v[60:61]
	v_add_f64 v[60:61], v[62:63], -v[60:61]
	v_add_f64 v[62:63], v[58:59], -v[66:67]
	v_add_f64 v[56:57], v[56:57], -v[62:63]
	v_fma_f64 v[62:63], -v[58:59], v[68:69], 1.0
	v_fmac_f64_e32 v[68:69], v[62:63], v[68:69]
	v_fma_f64 v[62:63], -v[58:59], v[68:69], 1.0
	v_fmac_f64_e32 v[68:69], v[62:63], v[68:69]
	v_mul_f64 v[62:63], v[64:65], v[68:69]
	v_mul_f64 v[66:67], v[58:59], v[62:63]
	v_fma_f64 v[70:71], v[62:63], v[58:59], -v[66:67]
	v_fmac_f64_e32 v[70:71], v[62:63], v[56:57]
	v_add_f64 v[72:73], v[66:67], v[70:71]
	v_add_f64 v[74:75], v[64:65], -v[72:73]
	v_add_f64 v[64:65], v[64:65], -v[74:75]
	;; [unrolled: 1-line block ×4, first 2 shown]
	v_add_f64 v[60:61], v[60:61], v[64:65]
	v_add_f64 v[64:65], v[66:67], -v[70:71]
	v_add_f64 v[60:61], v[64:65], v[60:61]
	v_add_f64 v[64:65], v[74:75], v[60:61]
	v_add_f64 v[66:67], v[74:75], -v[64:65]
	v_add_f64 v[60:61], v[60:61], v[66:67]
	v_mul_f64 v[66:67], v[68:69], v[64:65]
	v_mul_f64 v[70:71], v[58:59], v[66:67]
	v_fma_f64 v[58:59], v[66:67], v[58:59], -v[70:71]
	v_fmac_f64_e32 v[58:59], v[66:67], v[56:57]
	v_add_f64 v[56:57], v[70:71], v[58:59]
	v_add_f64 v[72:73], v[64:65], -v[56:57]
	v_add_f64 v[64:65], v[64:65], -v[72:73]
	;; [unrolled: 1-line block ×4, first 2 shown]
	v_add_f64 v[56:57], v[60:61], v[56:57]
	v_add_f64 v[58:59], v[70:71], -v[58:59]
	v_add_f64 v[56:57], v[58:59], v[56:57]
	v_add_f64 v[58:59], v[62:63], v[66:67]
	;; [unrolled: 1-line block ×3, first 2 shown]
	v_add_f64 v[60:61], v[58:59], -v[62:63]
	v_mul_f64 v[56:57], v[68:69], v[56:57]
	v_add_f64 v[60:61], v[66:67], -v[60:61]
	v_add_f64 v[56:57], v[60:61], v[56:57]
	v_add_f64 v[60:61], v[58:59], v[56:57]
	v_add_f64 v[58:59], v[60:61], -v[58:59]
	s_mov_b32 s26, 0xbf559e2b
	v_add_f64 v[56:57], v[56:57], -v[58:59]
	v_mul_f64 v[58:59], v[60:61], v[60:61]
	v_mov_b32_e32 v62, 0x6b47b09a
	v_mov_b32_e32 v63, 0x3fc38538
	s_mov_b32 s27, 0x3fc3ab76
	v_fmac_f64_e32 v[62:63], s[26:27], v[58:59]
	v_mov_b32_e32 v64, 0xd7f4df2e
	v_mov_b32_e32 v65, 0x3fc7474d
	v_fmac_f64_e32 v[64:65], v[58:59], v[62:63]
	v_mov_b32_e32 v62, 0x16291751
	v_mov_b32_e32 v63, 0x3fcc71c0
	;; [unrolled: 3-line block ×5, first 2 shown]
	v_fmac_f64_e32 v[64:65], v[58:59], v[62:63]
	v_cvt_f64_i32_e32 v[62:63], v76
	s_mov_b32 s43, 0x3fe62e42
	v_mul_f64 v[66:67], v[62:63], s[42:43]
	v_fma_f64 v[68:69], v[62:63], s[42:43], -v[66:67]
	s_mov_b32 s45, 0x3c7abc9e
	v_fmac_f64_e32 v[68:69], s[44:45], v[62:63]
	v_add_f64 v[62:63], v[66:67], v[68:69]
	v_add_f64 v[66:67], v[62:63], -v[66:67]
	v_mul_f64 v[58:59], v[60:61], v[58:59]
	v_add_f64 v[66:67], v[68:69], -v[66:67]
	v_ldexp_f64 v[68:69], v[60:61], 1
	v_mul_f64 v[58:59], v[58:59], v[64:65]
	v_add_f64 v[60:61], v[68:69], v[58:59]
	v_add_f64 v[64:65], v[60:61], -v[68:69]
	v_ldexp_f64 v[56:57], v[56:57], 1
	v_add_f64 v[58:59], v[58:59], -v[64:65]
	v_add_f64 v[56:57], v[56:57], v[58:59]
	v_add_f64 v[58:59], v[60:61], v[56:57]
	v_add_f64 v[60:61], v[58:59], -v[60:61]
	v_add_f64 v[56:57], v[56:57], -v[60:61]
	v_add_f64 v[60:61], v[62:63], v[58:59]
	v_add_f64 v[64:65], v[60:61], -v[62:63]
	v_add_f64 v[68:69], v[60:61], -v[64:65]
	;; [unrolled: 1-line block ×4, first 2 shown]
	v_add_f64 v[58:59], v[58:59], v[62:63]
	v_add_f64 v[62:63], v[66:67], v[56:57]
	v_add_f64 v[64:65], v[62:63], -v[66:67]
	v_add_f64 v[58:59], v[62:63], v[58:59]
	v_add_f64 v[68:69], v[62:63], -v[64:65]
	v_add_f64 v[62:63], v[60:61], v[58:59]
	v_add_f64 v[66:67], v[66:67], -v[68:69]
	v_add_f64 v[56:57], v[56:57], -v[64:65]
	v_add_f64 v[60:61], v[62:63], -v[60:61]
	v_add_f64 v[56:57], v[56:57], v[66:67]
	v_add_f64 v[58:59], v[58:59], -v[60:61]
	s_mov_b32 s26, 0
	v_add_f64 v[56:57], v[56:57], v[58:59]
	s_mov_b32 s27, 0x7ff00000
	v_add_f64 v[56:57], v[62:63], v[56:57]
	v_cmp_eq_f64_e32 vcc, s[26:27], v[54:55]
	v_cndmask_b32_e32 v56, v56, v54, vcc
	v_cndmask_b32_e32 v57, v57, v55, vcc
	v_mov_b32_e32 v58, 0x7ff80000
	v_cmp_ngt_f64_e32 vcc, -1.0, v[54:55]
	v_cndmask_b32_e32 v57, v58, v57, vcc
	v_cmp_nge_f64_e32 vcc, -1.0, v[54:55]
	v_cndmask_b32_e32 v56, 0, v56, vcc
	v_mov_b32_e32 v58, 0xfff00000
	v_cmp_neq_f64_e32 vcc, -1.0, v[54:55]
	v_cndmask_b32_e32 v57, v58, v57, vcc
	v_add_f64 v[54:55], v[26:27], v[56:57]
.LBB49_103:
	s_or_b64 exec, exec, s[40:41]
	v_mov_b32_e32 v26, v54
	v_mov_b32_e32 v27, v55
	v_pk_mov_b32 v[86:87], v[54:55], v[54:55] op_sel:[0,1]
.LBB49_104:
	s_or_b64 exec, exec, s[38:39]
	v_cmp_gt_u32_e32 vcc, 48, v96
	s_waitcnt lgkmcnt(1)
	v_cndmask_b32_e64 v54, 0, 1, vcc
	v_lshlrev_b32_e32 v54, 4, v54
	v_add_lshl_u32 v104, v54, v53, 2
	ds_bpermute_b32 v54, v104, v26
	s_waitcnt lgkmcnt(1)
	ds_bpermute_b32 v55, v104, v27
	v_add_u32_e32 v105, 16, v96
	v_cmp_le_u32_e32 vcc, v105, v29
	s_and_saveexec_b64 s[38:39], vcc
	s_cbranch_execz .LBB49_108
; %bb.105:
	s_waitcnt lgkmcnt(0)
	v_max_f64 v[26:27], v[54:55], v[54:55]
	v_max_f64 v[58:59], v[86:87], v[86:87]
	v_min_f64 v[56:57], v[26:27], v[58:59]
	v_cmp_u_f64_e32 vcc, v[54:55], v[54:55]
	v_max_f64 v[26:27], v[26:27], v[58:59]
	v_cndmask_b32_e32 v56, v56, v54, vcc
	v_cndmask_b32_e32 v57, v57, v55, vcc
	v_cmp_u_f64_e64 s[26:27], v[86:87], v[86:87]
	v_cndmask_b32_e32 v26, v26, v54, vcc
	v_cndmask_b32_e32 v27, v27, v55, vcc
	v_cndmask_b32_e64 v57, v57, v87, s[26:27]
	v_cndmask_b32_e64 v56, v56, v86, s[26:27]
	;; [unrolled: 1-line block ×4, first 2 shown]
	s_movk_i32 s7, 0x1f8
	v_cmp_neq_f64_e32 vcc, v[56:57], v[26:27]
	v_cmp_class_f64_e64 s[26:27], v[56:57], s7
	s_or_b64 s[26:27], vcc, s[26:27]
	s_and_saveexec_b64 s[40:41], s[26:27]
	s_cbranch_execz .LBB49_107
; %bb.106:
	s_mov_b32 s26, 0x652b82fe
	v_add_f64 v[54:55], v[56:57], -v[26:27]
	s_mov_b32 s27, 0x3ff71547
	v_mul_f64 v[56:57], v[54:55], s[26:27]
	v_rndne_f64_e32 v[56:57], v[56:57]
	s_mov_b32 s43, 0xbfe62e42
	s_mov_b32 s42, 0xfefa39ef
	v_fma_f64 v[58:59], s[42:43], v[56:57], v[54:55]
	s_mov_b32 s45, 0xbc7abc9e
	s_mov_b32 s44, 0x3b39803f
	;; [unrolled: 1-line block ×3, first 2 shown]
	v_fmac_f64_e32 v[58:59], s[44:45], v[56:57]
	v_mov_b32_e32 v60, 0xfca7ab0c
	v_mov_b32_e32 v61, 0x3e928af3
	s_mov_b32 s27, 0x3e5ade15
	v_fmac_f64_e32 v[60:61], s[26:27], v[58:59]
	v_mov_b32_e32 v62, 0x623fde64
	v_mov_b32_e32 v63, 0x3ec71dee
	v_fmac_f64_e32 v[62:63], v[58:59], v[60:61]
	v_mov_b32_e32 v60, 0x7c89e6b0
	v_mov_b32_e32 v61, 0x3efa0199
	;; [unrolled: 3-line block ×8, first 2 shown]
	s_mov_b32 s26, 0
	v_fmac_f64_e32 v[60:61], v[58:59], v[62:63]
	s_mov_b32 s27, 0x40900000
	v_fma_f64 v[60:61], v[58:59], v[60:61], 1.0
	v_cmp_nlt_f64_e32 vcc, s[26:27], v[54:55]
	s_mov_b32 s26, 0
	v_fma_f64 v[58:59], v[58:59], v[60:61], 1.0
	v_cvt_i32_f64_e32 v56, v[56:57]
	s_mov_b32 s27, 0xc090cc00
	v_ldexp_f64 v[56:57], v[58:59], v56
	v_mov_b32_e32 v58, 0x7ff00000
	v_cmp_ngt_f64_e64 s[26:27], s[26:27], v[54:55]
	v_cndmask_b32_e32 v57, v58, v57, vcc
	s_and_b64 vcc, s[26:27], vcc
	v_cndmask_b32_e64 v55, 0, v57, s[26:27]
	v_cndmask_b32_e32 v54, 0, v56, vcc
	v_add_f64 v[56:57], v[54:55], 1.0
	v_add_f64 v[58:59], v[56:57], -1.0
	v_add_f64 v[60:61], v[58:59], -v[56:57]
	v_add_f64 v[60:61], v[60:61], 1.0
	v_add_f64 v[58:59], v[54:55], -v[58:59]
	s_mov_b32 s26, 0x55555555
	v_add_f64 v[58:59], v[58:59], v[60:61]
	v_frexp_mant_f64_e32 v[60:61], v[56:57]
	s_mov_b32 s27, 0x3fe55555
	v_frexp_exp_i32_f64_e32 v62, v[56:57]
	v_cmp_gt_f64_e32 vcc, s[26:27], v[60:61]
	v_subbrev_co_u32_e32 v76, vcc, 0, v62, vcc
	v_sub_u32_e32 v60, 0, v76
	v_ldexp_f64 v[56:57], v[56:57], v60
	v_ldexp_f64 v[58:59], v[58:59], v60
	v_add_f64 v[60:61], v[56:57], -1.0
	v_add_f64 v[66:67], v[56:57], 1.0
	v_add_f64 v[62:63], v[60:61], 1.0
	v_add_f64 v[68:69], v[66:67], -1.0
	v_add_f64 v[62:63], v[56:57], -v[62:63]
	v_add_f64 v[56:57], v[56:57], -v[68:69]
	v_add_f64 v[56:57], v[58:59], v[56:57]
	v_add_f64 v[62:63], v[58:59], v[62:63]
	;; [unrolled: 1-line block ×3, first 2 shown]
	v_rcp_f64_e32 v[68:69], v[58:59]
	v_add_f64 v[64:65], v[60:61], v[62:63]
	v_add_f64 v[60:61], v[64:65], -v[60:61]
	v_add_f64 v[60:61], v[62:63], -v[60:61]
	;; [unrolled: 1-line block ×4, first 2 shown]
	v_fma_f64 v[62:63], -v[58:59], v[68:69], 1.0
	v_fmac_f64_e32 v[68:69], v[62:63], v[68:69]
	v_fma_f64 v[62:63], -v[58:59], v[68:69], 1.0
	v_fmac_f64_e32 v[68:69], v[62:63], v[68:69]
	v_mul_f64 v[62:63], v[64:65], v[68:69]
	v_mul_f64 v[66:67], v[58:59], v[62:63]
	v_fma_f64 v[70:71], v[62:63], v[58:59], -v[66:67]
	v_fmac_f64_e32 v[70:71], v[62:63], v[56:57]
	v_add_f64 v[72:73], v[66:67], v[70:71]
	v_add_f64 v[74:75], v[64:65], -v[72:73]
	v_add_f64 v[64:65], v[64:65], -v[74:75]
	;; [unrolled: 1-line block ×4, first 2 shown]
	v_add_f64 v[60:61], v[60:61], v[64:65]
	v_add_f64 v[64:65], v[66:67], -v[70:71]
	v_add_f64 v[60:61], v[64:65], v[60:61]
	v_add_f64 v[64:65], v[74:75], v[60:61]
	v_add_f64 v[66:67], v[74:75], -v[64:65]
	v_add_f64 v[60:61], v[60:61], v[66:67]
	v_mul_f64 v[66:67], v[68:69], v[64:65]
	v_mul_f64 v[70:71], v[58:59], v[66:67]
	v_fma_f64 v[58:59], v[66:67], v[58:59], -v[70:71]
	v_fmac_f64_e32 v[58:59], v[66:67], v[56:57]
	v_add_f64 v[56:57], v[70:71], v[58:59]
	v_add_f64 v[72:73], v[64:65], -v[56:57]
	v_add_f64 v[64:65], v[64:65], -v[72:73]
	;; [unrolled: 1-line block ×4, first 2 shown]
	v_add_f64 v[56:57], v[60:61], v[56:57]
	v_add_f64 v[58:59], v[70:71], -v[58:59]
	v_add_f64 v[56:57], v[58:59], v[56:57]
	v_add_f64 v[58:59], v[62:63], v[66:67]
	;; [unrolled: 1-line block ×3, first 2 shown]
	v_add_f64 v[60:61], v[58:59], -v[62:63]
	v_mul_f64 v[56:57], v[68:69], v[56:57]
	v_add_f64 v[60:61], v[66:67], -v[60:61]
	v_add_f64 v[56:57], v[60:61], v[56:57]
	v_add_f64 v[60:61], v[58:59], v[56:57]
	v_add_f64 v[58:59], v[60:61], -v[58:59]
	s_mov_b32 s26, 0xbf559e2b
	v_add_f64 v[56:57], v[56:57], -v[58:59]
	v_mul_f64 v[58:59], v[60:61], v[60:61]
	v_mov_b32_e32 v62, 0x6b47b09a
	v_mov_b32_e32 v63, 0x3fc38538
	s_mov_b32 s27, 0x3fc3ab76
	v_fmac_f64_e32 v[62:63], s[26:27], v[58:59]
	v_mov_b32_e32 v64, 0xd7f4df2e
	v_mov_b32_e32 v65, 0x3fc7474d
	v_fmac_f64_e32 v[64:65], v[58:59], v[62:63]
	v_mov_b32_e32 v62, 0x16291751
	v_mov_b32_e32 v63, 0x3fcc71c0
	;; [unrolled: 3-line block ×5, first 2 shown]
	v_fmac_f64_e32 v[64:65], v[58:59], v[62:63]
	v_cvt_f64_i32_e32 v[62:63], v76
	s_mov_b32 s43, 0x3fe62e42
	v_mul_f64 v[66:67], v[62:63], s[42:43]
	v_fma_f64 v[68:69], v[62:63], s[42:43], -v[66:67]
	s_mov_b32 s45, 0x3c7abc9e
	v_fmac_f64_e32 v[68:69], s[44:45], v[62:63]
	v_add_f64 v[62:63], v[66:67], v[68:69]
	v_add_f64 v[66:67], v[62:63], -v[66:67]
	v_mul_f64 v[58:59], v[60:61], v[58:59]
	v_add_f64 v[66:67], v[68:69], -v[66:67]
	v_ldexp_f64 v[68:69], v[60:61], 1
	v_mul_f64 v[58:59], v[58:59], v[64:65]
	v_add_f64 v[60:61], v[68:69], v[58:59]
	v_add_f64 v[64:65], v[60:61], -v[68:69]
	v_ldexp_f64 v[56:57], v[56:57], 1
	v_add_f64 v[58:59], v[58:59], -v[64:65]
	v_add_f64 v[56:57], v[56:57], v[58:59]
	v_add_f64 v[58:59], v[60:61], v[56:57]
	v_add_f64 v[60:61], v[58:59], -v[60:61]
	v_add_f64 v[56:57], v[56:57], -v[60:61]
	v_add_f64 v[60:61], v[62:63], v[58:59]
	v_add_f64 v[64:65], v[60:61], -v[62:63]
	v_add_f64 v[68:69], v[60:61], -v[64:65]
	;; [unrolled: 1-line block ×4, first 2 shown]
	v_add_f64 v[58:59], v[58:59], v[62:63]
	v_add_f64 v[62:63], v[66:67], v[56:57]
	v_add_f64 v[64:65], v[62:63], -v[66:67]
	v_add_f64 v[58:59], v[62:63], v[58:59]
	v_add_f64 v[68:69], v[62:63], -v[64:65]
	;; [unrolled: 2-line block ×3, first 2 shown]
	v_add_f64 v[56:57], v[56:57], -v[64:65]
	v_add_f64 v[60:61], v[62:63], -v[60:61]
	v_add_f64 v[56:57], v[56:57], v[66:67]
	v_add_f64 v[58:59], v[58:59], -v[60:61]
	s_mov_b32 s26, 0
	v_add_f64 v[56:57], v[56:57], v[58:59]
	s_mov_b32 s27, 0x7ff00000
	v_add_f64 v[56:57], v[62:63], v[56:57]
	v_cmp_eq_f64_e32 vcc, s[26:27], v[54:55]
	v_cndmask_b32_e32 v56, v56, v54, vcc
	v_cndmask_b32_e32 v57, v57, v55, vcc
	v_mov_b32_e32 v58, 0x7ff80000
	v_cmp_ngt_f64_e32 vcc, -1.0, v[54:55]
	v_cndmask_b32_e32 v57, v58, v57, vcc
	v_cmp_nge_f64_e32 vcc, -1.0, v[54:55]
	v_cndmask_b32_e32 v56, 0, v56, vcc
	v_mov_b32_e32 v58, 0xfff00000
	v_cmp_neq_f64_e32 vcc, -1.0, v[54:55]
	v_cndmask_b32_e32 v57, v58, v57, vcc
	v_add_f64 v[54:55], v[26:27], v[56:57]
.LBB49_107:
	s_or_b64 exec, exec, s[40:41]
	v_mov_b32_e32 v26, v54
	v_mov_b32_e32 v27, v55
	v_pk_mov_b32 v[86:87], v[54:55], v[54:55] op_sel:[0,1]
.LBB49_108:
	s_or_b64 exec, exec, s[38:39]
	v_cmp_gt_u32_e32 vcc, 32, v96
	s_waitcnt lgkmcnt(1)
	v_cndmask_b32_e64 v54, 0, 1, vcc
	v_lshlrev_b32_e32 v54, 5, v54
	v_add_lshl_u32 v106, v54, v53, 2
	ds_bpermute_b32 v54, v106, v26
	s_waitcnt lgkmcnt(1)
	ds_bpermute_b32 v55, v106, v27
	v_add_u32_e32 v107, 32, v96
	v_cmp_le_u32_e32 vcc, v107, v29
	s_and_saveexec_b64 s[38:39], vcc
	s_cbranch_execz .LBB49_112
; %bb.109:
	s_waitcnt lgkmcnt(0)
	v_max_f64 v[26:27], v[54:55], v[54:55]
	v_max_f64 v[58:59], v[86:87], v[86:87]
	v_min_f64 v[56:57], v[26:27], v[58:59]
	v_cmp_u_f64_e32 vcc, v[54:55], v[54:55]
	v_max_f64 v[26:27], v[26:27], v[58:59]
	v_cndmask_b32_e32 v29, v56, v54, vcc
	v_cndmask_b32_e32 v53, v57, v55, vcc
	v_cmp_u_f64_e64 s[26:27], v[86:87], v[86:87]
	v_cndmask_b32_e32 v26, v26, v54, vcc
	v_cndmask_b32_e32 v27, v27, v55, vcc
	v_cndmask_b32_e64 v57, v53, v87, s[26:27]
	v_cndmask_b32_e64 v56, v29, v86, s[26:27]
	;; [unrolled: 1-line block ×4, first 2 shown]
	s_movk_i32 s7, 0x1f8
	v_cmp_neq_f64_e32 vcc, v[56:57], v[26:27]
	v_cmp_class_f64_e64 s[26:27], v[56:57], s7
	s_or_b64 s[26:27], vcc, s[26:27]
	s_and_saveexec_b64 s[40:41], s[26:27]
	s_cbranch_execz .LBB49_111
; %bb.110:
	s_mov_b32 s26, 0x652b82fe
	v_add_f64 v[54:55], v[56:57], -v[26:27]
	s_mov_b32 s27, 0x3ff71547
	v_mul_f64 v[56:57], v[54:55], s[26:27]
	v_rndne_f64_e32 v[56:57], v[56:57]
	s_mov_b32 s43, 0xbfe62e42
	s_mov_b32 s42, 0xfefa39ef
	v_fma_f64 v[58:59], s[42:43], v[56:57], v[54:55]
	s_mov_b32 s45, 0xbc7abc9e
	s_mov_b32 s44, 0x3b39803f
	;; [unrolled: 1-line block ×3, first 2 shown]
	v_fmac_f64_e32 v[58:59], s[44:45], v[56:57]
	v_mov_b32_e32 v60, 0xfca7ab0c
	v_mov_b32_e32 v61, 0x3e928af3
	s_mov_b32 s27, 0x3e5ade15
	v_fmac_f64_e32 v[60:61], s[26:27], v[58:59]
	v_mov_b32_e32 v62, 0x623fde64
	v_mov_b32_e32 v63, 0x3ec71dee
	v_fmac_f64_e32 v[62:63], v[58:59], v[60:61]
	v_mov_b32_e32 v60, 0x7c89e6b0
	v_mov_b32_e32 v61, 0x3efa0199
	;; [unrolled: 3-line block ×8, first 2 shown]
	s_mov_b32 s26, 0
	v_fmac_f64_e32 v[60:61], v[58:59], v[62:63]
	s_mov_b32 s27, 0x40900000
	v_fma_f64 v[60:61], v[58:59], v[60:61], 1.0
	v_cmp_nlt_f64_e32 vcc, s[26:27], v[54:55]
	s_mov_b32 s26, 0
	v_fma_f64 v[58:59], v[58:59], v[60:61], 1.0
	v_cvt_i32_f64_e32 v29, v[56:57]
	s_mov_b32 s27, 0xc090cc00
	v_ldexp_f64 v[56:57], v[58:59], v29
	v_mov_b32_e32 v29, 0x7ff00000
	v_cmp_ngt_f64_e64 s[26:27], s[26:27], v[54:55]
	v_cndmask_b32_e32 v29, v29, v57, vcc
	s_and_b64 vcc, s[26:27], vcc
	v_cndmask_b32_e64 v55, 0, v29, s[26:27]
	v_cndmask_b32_e32 v54, 0, v56, vcc
	v_add_f64 v[56:57], v[54:55], 1.0
	v_add_f64 v[58:59], v[56:57], -1.0
	v_add_f64 v[60:61], v[58:59], -v[56:57]
	v_add_f64 v[60:61], v[60:61], 1.0
	v_add_f64 v[58:59], v[54:55], -v[58:59]
	s_mov_b32 s26, 0x55555555
	v_add_f64 v[58:59], v[58:59], v[60:61]
	v_frexp_mant_f64_e32 v[60:61], v[56:57]
	s_mov_b32 s27, 0x3fe55555
	v_frexp_exp_i32_f64_e32 v29, v[56:57]
	v_cmp_gt_f64_e32 vcc, s[26:27], v[60:61]
	v_subbrev_co_u32_e32 v29, vcc, 0, v29, vcc
	v_sub_u32_e32 v53, 0, v29
	v_ldexp_f64 v[56:57], v[56:57], v53
	v_add_f64 v[60:61], v[56:57], -1.0
	v_add_f64 v[66:67], v[56:57], 1.0
	v_add_f64 v[62:63], v[60:61], 1.0
	v_add_f64 v[68:69], v[66:67], -1.0
	v_ldexp_f64 v[58:59], v[58:59], v53
	v_add_f64 v[62:63], v[56:57], -v[62:63]
	v_add_f64 v[56:57], v[56:57], -v[68:69]
	v_add_f64 v[56:57], v[58:59], v[56:57]
	v_add_f64 v[62:63], v[58:59], v[62:63]
	;; [unrolled: 1-line block ×3, first 2 shown]
	v_rcp_f64_e32 v[68:69], v[58:59]
	v_add_f64 v[64:65], v[60:61], v[62:63]
	v_add_f64 v[60:61], v[64:65], -v[60:61]
	v_add_f64 v[60:61], v[62:63], -v[60:61]
	;; [unrolled: 1-line block ×4, first 2 shown]
	v_fma_f64 v[62:63], -v[58:59], v[68:69], 1.0
	v_fmac_f64_e32 v[68:69], v[62:63], v[68:69]
	v_fma_f64 v[62:63], -v[58:59], v[68:69], 1.0
	v_fmac_f64_e32 v[68:69], v[62:63], v[68:69]
	v_mul_f64 v[62:63], v[64:65], v[68:69]
	v_mul_f64 v[66:67], v[58:59], v[62:63]
	v_fma_f64 v[70:71], v[62:63], v[58:59], -v[66:67]
	v_fmac_f64_e32 v[70:71], v[62:63], v[56:57]
	v_add_f64 v[72:73], v[66:67], v[70:71]
	v_add_f64 v[74:75], v[64:65], -v[72:73]
	v_add_f64 v[64:65], v[64:65], -v[74:75]
	;; [unrolled: 1-line block ×4, first 2 shown]
	v_add_f64 v[60:61], v[60:61], v[64:65]
	v_add_f64 v[64:65], v[66:67], -v[70:71]
	v_add_f64 v[60:61], v[64:65], v[60:61]
	v_add_f64 v[64:65], v[74:75], v[60:61]
	v_add_f64 v[66:67], v[74:75], -v[64:65]
	v_add_f64 v[60:61], v[60:61], v[66:67]
	v_mul_f64 v[66:67], v[68:69], v[64:65]
	v_mul_f64 v[70:71], v[58:59], v[66:67]
	v_fma_f64 v[58:59], v[66:67], v[58:59], -v[70:71]
	v_fmac_f64_e32 v[58:59], v[66:67], v[56:57]
	v_add_f64 v[56:57], v[70:71], v[58:59]
	v_add_f64 v[72:73], v[64:65], -v[56:57]
	v_add_f64 v[64:65], v[64:65], -v[72:73]
	;; [unrolled: 1-line block ×4, first 2 shown]
	v_add_f64 v[56:57], v[60:61], v[56:57]
	v_add_f64 v[58:59], v[70:71], -v[58:59]
	v_add_f64 v[56:57], v[58:59], v[56:57]
	v_add_f64 v[58:59], v[62:63], v[66:67]
	;; [unrolled: 1-line block ×3, first 2 shown]
	v_add_f64 v[60:61], v[58:59], -v[62:63]
	v_mul_f64 v[56:57], v[68:69], v[56:57]
	v_add_f64 v[60:61], v[66:67], -v[60:61]
	v_add_f64 v[56:57], v[60:61], v[56:57]
	v_add_f64 v[60:61], v[58:59], v[56:57]
	v_add_f64 v[58:59], v[60:61], -v[58:59]
	s_mov_b32 s26, 0xbf559e2b
	v_add_f64 v[56:57], v[56:57], -v[58:59]
	v_mul_f64 v[58:59], v[60:61], v[60:61]
	v_mov_b32_e32 v62, 0x6b47b09a
	v_mov_b32_e32 v63, 0x3fc38538
	s_mov_b32 s27, 0x3fc3ab76
	v_fmac_f64_e32 v[62:63], s[26:27], v[58:59]
	v_mov_b32_e32 v64, 0xd7f4df2e
	v_mov_b32_e32 v65, 0x3fc7474d
	v_fmac_f64_e32 v[64:65], v[58:59], v[62:63]
	v_mov_b32_e32 v62, 0x16291751
	v_mov_b32_e32 v63, 0x3fcc71c0
	;; [unrolled: 3-line block ×5, first 2 shown]
	v_fmac_f64_e32 v[64:65], v[58:59], v[62:63]
	v_cvt_f64_i32_e32 v[62:63], v29
	s_mov_b32 s43, 0x3fe62e42
	v_mul_f64 v[66:67], v[62:63], s[42:43]
	v_fma_f64 v[68:69], v[62:63], s[42:43], -v[66:67]
	s_mov_b32 s45, 0x3c7abc9e
	v_fmac_f64_e32 v[68:69], s[44:45], v[62:63]
	v_add_f64 v[62:63], v[66:67], v[68:69]
	v_add_f64 v[66:67], v[62:63], -v[66:67]
	v_mul_f64 v[58:59], v[60:61], v[58:59]
	v_add_f64 v[66:67], v[68:69], -v[66:67]
	v_ldexp_f64 v[68:69], v[60:61], 1
	v_mul_f64 v[58:59], v[58:59], v[64:65]
	v_add_f64 v[60:61], v[68:69], v[58:59]
	v_add_f64 v[64:65], v[60:61], -v[68:69]
	v_ldexp_f64 v[56:57], v[56:57], 1
	v_add_f64 v[58:59], v[58:59], -v[64:65]
	v_add_f64 v[56:57], v[56:57], v[58:59]
	v_add_f64 v[58:59], v[60:61], v[56:57]
	v_add_f64 v[60:61], v[58:59], -v[60:61]
	v_add_f64 v[56:57], v[56:57], -v[60:61]
	v_add_f64 v[60:61], v[62:63], v[58:59]
	v_add_f64 v[64:65], v[60:61], -v[62:63]
	v_add_f64 v[68:69], v[60:61], -v[64:65]
	;; [unrolled: 1-line block ×4, first 2 shown]
	v_add_f64 v[58:59], v[58:59], v[62:63]
	v_add_f64 v[62:63], v[66:67], v[56:57]
	v_add_f64 v[64:65], v[62:63], -v[66:67]
	v_add_f64 v[58:59], v[62:63], v[58:59]
	v_add_f64 v[68:69], v[62:63], -v[64:65]
	;; [unrolled: 2-line block ×3, first 2 shown]
	v_add_f64 v[56:57], v[56:57], -v[64:65]
	v_add_f64 v[60:61], v[62:63], -v[60:61]
	v_add_f64 v[56:57], v[56:57], v[66:67]
	v_add_f64 v[58:59], v[58:59], -v[60:61]
	s_mov_b32 s26, 0
	v_add_f64 v[56:57], v[56:57], v[58:59]
	s_mov_b32 s27, 0x7ff00000
	v_add_f64 v[56:57], v[62:63], v[56:57]
	v_cmp_eq_f64_e32 vcc, s[26:27], v[54:55]
	v_cndmask_b32_e32 v29, v56, v54, vcc
	v_cndmask_b32_e32 v53, v57, v55, vcc
	v_mov_b32_e32 v56, 0x7ff80000
	v_cmp_ngt_f64_e32 vcc, -1.0, v[54:55]
	v_cndmask_b32_e32 v53, v56, v53, vcc
	v_cmp_nge_f64_e32 vcc, -1.0, v[54:55]
	v_cndmask_b32_e32 v56, 0, v29, vcc
	v_mov_b32_e32 v29, 0xfff00000
	v_cmp_neq_f64_e32 vcc, -1.0, v[54:55]
	v_cndmask_b32_e32 v57, v29, v53, vcc
	v_add_f64 v[54:55], v[26:27], v[56:57]
.LBB49_111:
	s_or_b64 exec, exec, s[40:41]
	v_pk_mov_b32 v[86:87], v[54:55], v[54:55] op_sel:[0,1]
.LBB49_112:
	s_or_b64 exec, exec, s[38:39]
	s_mov_b32 s38, 0x652b82fe
	s_mov_b32 s40, 0xfefa39ef
	;; [unrolled: 1-line block ×9, first 2 shown]
	v_mov_b32_e32 v53, 0
	s_movk_i32 s7, 0x1f8
	s_mov_b32 s39, 0x3ff71547
	s_mov_b32 s41, 0xbfe62e42
	;; [unrolled: 1-line block ×11, first 2 shown]
	v_mov_b32_e32 v108, 2
	v_mov_b32_e32 v56, 0xfca7ab0c
	;; [unrolled: 1-line block ×34, first 2 shown]
	s_branch .LBB49_114
.LBB49_113:                             ;   in Loop: Header=BB49_114 Depth=1
	s_or_b64 exec, exec, s[64:65]
	v_subrev_u32_e32 v52, 64, v52
.LBB49_114:                             ; =>This Loop Header: Depth=1
                                        ;     Child Loop BB49_117 Depth 2
                                        ;       Child Loop BB49_118 Depth 3
	v_cmp_ne_u16_sdwa s[26:27], v28, v108 src0_sel:BYTE_0 src1_sel:DWORD
	v_cndmask_b32_e64 v26, 0, 1, s[26:27]
	;;#ASMSTART
	;;#ASMEND
	v_cmp_ne_u32_e32 vcc, 0, v26
	s_cmp_lg_u64 vcc, exec
	s_waitcnt lgkmcnt(0)
	v_pk_mov_b32 v[54:55], v[86:87], v[86:87] op_sel:[0,1]
	s_cbranch_scc1 .LBB49_147
; %bb.115:                              ;   in Loop: Header=BB49_114 Depth=1
	v_lshlrev_b64 v[26:27], 4, v[52:53]
	v_mov_b32_e32 v28, s59
	v_add_co_u32_e32 v86, vcc, s58, v26
	v_addc_co_u32_e32 v87, vcc, v28, v27, vcc
	;;#ASMSTART
	global_load_dwordx4 v[26:29], v[86:87] off glc	
s_waitcnt vmcnt(0)
	;;#ASMEND
	v_and_b32_e32 v29, 0xff, v27
	v_and_b32_e32 v88, 0xff00, v27
	v_or3_b32 v29, 0, v29, v88
	v_or3_b32 v26, v26, 0, 0
	v_and_b32_e32 v88, 0xff000000, v27
	v_and_b32_e32 v27, 0xff0000, v27
	v_or3_b32 v27, v29, v27, v88
	v_or3_b32 v26, v26, 0, 0
	v_cmp_eq_u16_sdwa s[64:65], v28, v53 src0_sel:BYTE_0 src1_sel:DWORD
	s_and_saveexec_b64 s[26:27], s[64:65]
	s_cbranch_execz .LBB49_121
; %bb.116:                              ;   in Loop: Header=BB49_114 Depth=1
	s_mov_b32 s54, 1
	s_mov_b64 s[64:65], 0
.LBB49_117:                             ;   Parent Loop BB49_114 Depth=1
                                        ; =>  This Loop Header: Depth=2
                                        ;       Child Loop BB49_118 Depth 3
	s_max_u32 s60, s54, 1
.LBB49_118:                             ;   Parent Loop BB49_114 Depth=1
                                        ;     Parent Loop BB49_117 Depth=2
                                        ; =>    This Inner Loop Header: Depth=3
	s_add_i32 s60, s60, -1
	s_cmp_eq_u32 s60, 0
	s_sleep 1
	s_cbranch_scc0 .LBB49_118
; %bb.119:                              ;   in Loop: Header=BB49_117 Depth=2
	s_cmp_lt_u32 s54, 32
	s_cselect_b64 s[66:67], -1, 0
	s_cmp_lg_u64 s[66:67], 0
	s_addc_u32 s54, s54, 0
	;;#ASMSTART
	global_load_dwordx4 v[26:29], v[86:87] off glc	
s_waitcnt vmcnt(0)
	;;#ASMEND
	v_cmp_ne_u16_sdwa s[66:67], v28, v53 src0_sel:BYTE_0 src1_sel:DWORD
	s_or_b64 s[64:65], s[66:67], s[64:65]
	s_andn2_b64 exec, exec, s[64:65]
	s_cbranch_execnz .LBB49_117
; %bb.120:                              ;   in Loop: Header=BB49_114 Depth=1
	s_or_b64 exec, exec, s[64:65]
.LBB49_121:                             ;   in Loop: Header=BB49_114 Depth=1
	s_or_b64 exec, exec, s[26:27]
	v_cmp_eq_u16_sdwa s[26:27], v28, v108 src0_sel:BYTE_0 src1_sel:DWORD
	v_and_b32_e32 v29, s27, v25
	v_or_b32_e32 v29, 0x80000000, v29
	ds_bpermute_b32 v88, v97, v26
	ds_bpermute_b32 v89, v97, v27
	v_and_b32_e32 v86, s26, v24
	v_ffbl_b32_e32 v29, v29
	v_add_u32_e32 v29, 32, v29
	v_ffbl_b32_e32 v86, v86
	v_min_u32_e32 v29, v86, v29
	v_cmp_lt_u32_e32 vcc, v96, v29
	v_pk_mov_b32 v[86:87], v[26:27], v[26:27] op_sel:[0,1]
	s_and_saveexec_b64 s[64:65], vcc
	s_cbranch_execz .LBB49_125
; %bb.122:                              ;   in Loop: Header=BB49_114 Depth=1
	s_waitcnt lgkmcnt(0)
	v_max_f64 v[90:91], v[88:89], v[88:89]
	v_max_f64 v[112:113], v[26:27], v[26:27]
	v_min_f64 v[86:87], v[90:91], v[112:113]
	v_cmp_u_f64_e32 vcc, v[88:89], v[88:89]
	v_max_f64 v[90:91], v[90:91], v[112:113]
	v_cndmask_b32_e32 v86, v86, v88, vcc
	v_cndmask_b32_e32 v87, v87, v89, vcc
	v_cmp_u_f64_e64 s[26:27], v[26:27], v[26:27]
	v_cndmask_b32_e32 v90, v90, v88, vcc
	v_cndmask_b32_e32 v91, v91, v89, vcc
	v_cndmask_b32_e64 v87, v87, v27, s[26:27]
	v_cndmask_b32_e64 v86, v86, v26, s[26:27]
	;; [unrolled: 1-line block ×4, first 2 shown]
	v_cmp_neq_f64_e32 vcc, v[86:87], v[26:27]
	v_cmp_class_f64_e64 s[26:27], v[86:87], s7
	s_or_b64 s[26:27], vcc, s[26:27]
	s_and_saveexec_b64 s[66:67], s[26:27]
	s_cbranch_execz .LBB49_124
; %bb.123:                              ;   in Loop: Header=BB49_114 Depth=1
	v_add_f64 v[86:87], v[86:87], -v[26:27]
	v_mul_f64 v[88:89], v[86:87], s[38:39]
	v_rndne_f64_e32 v[88:89], v[88:89]
	v_fma_f64 v[90:91], s[40:41], v[88:89], v[86:87]
	v_fmac_f64_e32 v[90:91], s[42:43], v[88:89]
	v_pk_mov_b32 v[112:113], v[56:57], v[56:57] op_sel:[0,1]
	v_fmac_f64_e32 v[112:113], s[44:45], v[90:91]
	v_pk_mov_b32 v[114:115], v[58:59], v[58:59] op_sel:[0,1]
	;; [unrolled: 2-line block ×9, first 2 shown]
	v_fmac_f64_e32 v[112:113], v[90:91], v[114:115]
	v_fma_f64 v[112:113], v[90:91], v[112:113], 1.0
	v_fma_f64 v[90:91], v[90:91], v[112:113], 1.0
	v_cvt_i32_f64_e32 v88, v[88:89]
	v_ldexp_f64 v[88:89], v[90:91], v88
	v_cmp_nlt_f64_e32 vcc, s[46:47], v[86:87]
	v_cmp_ngt_f64_e64 s[26:27], s[48:49], v[86:87]
	v_cndmask_b32_e32 v89, v109, v89, vcc
	s_and_b64 vcc, s[26:27], vcc
	v_cndmask_b32_e64 v87, 0, v89, s[26:27]
	v_cndmask_b32_e32 v86, 0, v88, vcc
	v_add_f64 v[88:89], v[86:87], 1.0
	v_add_f64 v[90:91], v[88:89], -1.0
	v_add_f64 v[112:113], v[90:91], -v[88:89]
	v_add_f64 v[112:113], v[112:113], 1.0
	v_add_f64 v[90:91], v[86:87], -v[90:91]
	v_add_f64 v[90:91], v[90:91], v[112:113]
	v_frexp_mant_f64_e32 v[112:113], v[88:89]
	v_frexp_exp_i32_f64_e32 v114, v[88:89]
	v_cmp_gt_f64_e32 vcc, s[50:51], v[112:113]
	v_subbrev_co_u32_e32 v128, vcc, 0, v114, vcc
	v_sub_u32_e32 v112, 0, v128
	v_ldexp_f64 v[88:89], v[88:89], v112
	v_ldexp_f64 v[90:91], v[90:91], v112
	v_add_f64 v[112:113], v[88:89], -1.0
	v_add_f64 v[118:119], v[88:89], 1.0
	v_add_f64 v[114:115], v[112:113], 1.0
	v_add_f64 v[120:121], v[118:119], -1.0
	v_add_f64 v[114:115], v[88:89], -v[114:115]
	v_add_f64 v[88:89], v[88:89], -v[120:121]
	v_add_f64 v[88:89], v[90:91], v[88:89]
	v_add_f64 v[114:115], v[90:91], v[114:115]
	;; [unrolled: 1-line block ×3, first 2 shown]
	v_rcp_f64_e32 v[120:121], v[90:91]
	v_add_f64 v[116:117], v[112:113], v[114:115]
	v_add_f64 v[112:113], v[116:117], -v[112:113]
	v_add_f64 v[112:113], v[114:115], -v[112:113]
	;; [unrolled: 1-line block ×4, first 2 shown]
	v_fma_f64 v[114:115], -v[90:91], v[120:121], 1.0
	v_fmac_f64_e32 v[120:121], v[114:115], v[120:121]
	v_fma_f64 v[114:115], -v[90:91], v[120:121], 1.0
	v_fmac_f64_e32 v[120:121], v[114:115], v[120:121]
	v_mul_f64 v[114:115], v[116:117], v[120:121]
	v_mul_f64 v[118:119], v[90:91], v[114:115]
	v_fma_f64 v[122:123], v[114:115], v[90:91], -v[118:119]
	v_fmac_f64_e32 v[122:123], v[114:115], v[88:89]
	v_add_f64 v[124:125], v[118:119], v[122:123]
	v_add_f64 v[126:127], v[116:117], -v[124:125]
	v_add_f64 v[116:117], v[116:117], -v[126:127]
	;; [unrolled: 1-line block ×4, first 2 shown]
	v_add_f64 v[112:113], v[112:113], v[116:117]
	v_add_f64 v[116:117], v[118:119], -v[122:123]
	v_add_f64 v[112:113], v[116:117], v[112:113]
	v_add_f64 v[116:117], v[126:127], v[112:113]
	v_add_f64 v[118:119], v[126:127], -v[116:117]
	v_add_f64 v[112:113], v[112:113], v[118:119]
	v_mul_f64 v[118:119], v[120:121], v[116:117]
	v_mul_f64 v[122:123], v[90:91], v[118:119]
	v_fma_f64 v[90:91], v[118:119], v[90:91], -v[122:123]
	v_fmac_f64_e32 v[90:91], v[118:119], v[88:89]
	v_add_f64 v[88:89], v[122:123], v[90:91]
	v_add_f64 v[124:125], v[116:117], -v[88:89]
	v_add_f64 v[116:117], v[116:117], -v[124:125]
	;; [unrolled: 1-line block ×4, first 2 shown]
	v_add_f64 v[88:89], v[112:113], v[88:89]
	v_add_f64 v[90:91], v[122:123], -v[90:91]
	v_add_f64 v[88:89], v[90:91], v[88:89]
	v_add_f64 v[90:91], v[114:115], v[118:119]
	;; [unrolled: 1-line block ×3, first 2 shown]
	v_add_f64 v[112:113], v[90:91], -v[114:115]
	v_mul_f64 v[88:89], v[120:121], v[88:89]
	v_add_f64 v[112:113], v[118:119], -v[112:113]
	v_add_f64 v[88:89], v[112:113], v[88:89]
	v_add_f64 v[112:113], v[90:91], v[88:89]
	v_add_f64 v[90:91], v[112:113], -v[90:91]
	v_add_f64 v[88:89], v[88:89], -v[90:91]
	v_mul_f64 v[90:91], v[112:113], v[112:113]
	v_pk_mov_b32 v[114:115], v[74:75], v[74:75] op_sel:[0,1]
	v_fmac_f64_e32 v[114:115], s[52:53], v[90:91]
	v_pk_mov_b32 v[116:117], v[76:77], v[76:77] op_sel:[0,1]
	v_fmac_f64_e32 v[116:117], v[90:91], v[114:115]
	v_pk_mov_b32 v[114:115], v[78:79], v[78:79] op_sel:[0,1]
	v_fmac_f64_e32 v[114:115], v[90:91], v[116:117]
	v_pk_mov_b32 v[116:117], v[80:81], v[80:81] op_sel:[0,1]
	v_fmac_f64_e32 v[116:117], v[90:91], v[114:115]
	v_pk_mov_b32 v[114:115], v[82:83], v[82:83] op_sel:[0,1]
	v_fmac_f64_e32 v[114:115], v[90:91], v[116:117]
	v_pk_mov_b32 v[116:117], v[84:85], v[84:85] op_sel:[0,1]
	v_fmac_f64_e32 v[116:117], v[90:91], v[114:115]
	v_cvt_f64_i32_e32 v[114:115], v128
	s_mov_b32 s54, s40
	v_mul_f64 v[118:119], v[114:115], s[54:55]
	v_fma_f64 v[120:121], v[114:115], s[54:55], -v[118:119]
	s_mov_b32 s60, s42
	v_fmac_f64_e32 v[120:121], s[60:61], v[114:115]
	v_add_f64 v[114:115], v[118:119], v[120:121]
	v_add_f64 v[118:119], v[114:115], -v[118:119]
	v_mul_f64 v[90:91], v[112:113], v[90:91]
	v_add_f64 v[118:119], v[120:121], -v[118:119]
	v_ldexp_f64 v[120:121], v[112:113], 1
	v_mul_f64 v[90:91], v[90:91], v[116:117]
	v_add_f64 v[112:113], v[120:121], v[90:91]
	v_add_f64 v[116:117], v[112:113], -v[120:121]
	v_ldexp_f64 v[88:89], v[88:89], 1
	v_add_f64 v[90:91], v[90:91], -v[116:117]
	v_add_f64 v[88:89], v[88:89], v[90:91]
	v_add_f64 v[90:91], v[112:113], v[88:89]
	v_add_f64 v[112:113], v[90:91], -v[112:113]
	v_add_f64 v[88:89], v[88:89], -v[112:113]
	v_add_f64 v[112:113], v[114:115], v[90:91]
	v_add_f64 v[116:117], v[112:113], -v[114:115]
	v_add_f64 v[120:121], v[112:113], -v[116:117]
	v_add_f64 v[114:115], v[114:115], -v[120:121]
	v_add_f64 v[90:91], v[90:91], -v[116:117]
	v_add_f64 v[90:91], v[90:91], v[114:115]
	v_add_f64 v[114:115], v[118:119], v[88:89]
	v_add_f64 v[116:117], v[114:115], -v[118:119]
	v_add_f64 v[90:91], v[114:115], v[90:91]
	v_add_f64 v[120:121], v[114:115], -v[116:117]
	;; [unrolled: 2-line block ×3, first 2 shown]
	v_add_f64 v[88:89], v[88:89], -v[116:117]
	v_add_f64 v[112:113], v[114:115], -v[112:113]
	v_add_f64 v[88:89], v[88:89], v[118:119]
	v_add_f64 v[90:91], v[90:91], -v[112:113]
	v_add_f64 v[88:89], v[88:89], v[90:91]
	v_add_f64 v[88:89], v[114:115], v[88:89]
	v_cmp_eq_f64_e32 vcc, s[62:63], v[86:87]
	v_cndmask_b32_e32 v88, v88, v86, vcc
	v_cndmask_b32_e32 v89, v89, v87, vcc
	v_cmp_ngt_f64_e32 vcc, -1.0, v[86:87]
	v_cndmask_b32_e32 v89, v110, v89, vcc
	v_cmp_nge_f64_e32 vcc, -1.0, v[86:87]
	v_cndmask_b32_e32 v88, 0, v88, vcc
	v_cmp_neq_f64_e32 vcc, -1.0, v[86:87]
	v_cndmask_b32_e32 v89, v111, v89, vcc
	v_add_f64 v[88:89], v[26:27], v[88:89]
.LBB49_124:                             ;   in Loop: Header=BB49_114 Depth=1
	s_or_b64 exec, exec, s[66:67]
	v_mov_b32_e32 v26, v88
	v_mov_b32_e32 v27, v89
	v_pk_mov_b32 v[86:87], v[88:89], v[88:89] op_sel:[0,1]
.LBB49_125:                             ;   in Loop: Header=BB49_114 Depth=1
	s_or_b64 exec, exec, s[64:65]
	s_waitcnt lgkmcnt(1)
	ds_bpermute_b32 v88, v98, v26
	s_waitcnt lgkmcnt(1)
	ds_bpermute_b32 v89, v98, v27
	v_cmp_le_u32_e32 vcc, v99, v29
	s_and_saveexec_b64 s[64:65], vcc
	s_cbranch_execz .LBB49_129
; %bb.126:                              ;   in Loop: Header=BB49_114 Depth=1
	s_waitcnt lgkmcnt(0)
	v_max_f64 v[26:27], v[88:89], v[88:89]
	v_max_f64 v[112:113], v[86:87], v[86:87]
	v_min_f64 v[90:91], v[26:27], v[112:113]
	v_cmp_u_f64_e32 vcc, v[88:89], v[88:89]
	v_max_f64 v[26:27], v[26:27], v[112:113]
	v_cndmask_b32_e32 v90, v90, v88, vcc
	v_cndmask_b32_e32 v91, v91, v89, vcc
	v_cmp_u_f64_e64 s[26:27], v[86:87], v[86:87]
	v_cndmask_b32_e32 v26, v26, v88, vcc
	v_cndmask_b32_e32 v27, v27, v89, vcc
	v_cndmask_b32_e64 v91, v91, v87, s[26:27]
	v_cndmask_b32_e64 v90, v90, v86, s[26:27]
	;; [unrolled: 1-line block ×4, first 2 shown]
	v_cmp_neq_f64_e32 vcc, v[90:91], v[26:27]
	v_cmp_class_f64_e64 s[26:27], v[90:91], s7
	s_or_b64 s[26:27], vcc, s[26:27]
	s_and_saveexec_b64 s[66:67], s[26:27]
	s_cbranch_execz .LBB49_128
; %bb.127:                              ;   in Loop: Header=BB49_114 Depth=1
	v_add_f64 v[86:87], v[90:91], -v[26:27]
	v_mul_f64 v[88:89], v[86:87], s[38:39]
	v_rndne_f64_e32 v[88:89], v[88:89]
	v_fma_f64 v[90:91], s[40:41], v[88:89], v[86:87]
	v_fmac_f64_e32 v[90:91], s[42:43], v[88:89]
	v_pk_mov_b32 v[112:113], v[56:57], v[56:57] op_sel:[0,1]
	v_fmac_f64_e32 v[112:113], s[44:45], v[90:91]
	v_pk_mov_b32 v[114:115], v[58:59], v[58:59] op_sel:[0,1]
	;; [unrolled: 2-line block ×9, first 2 shown]
	v_fmac_f64_e32 v[112:113], v[90:91], v[114:115]
	v_fma_f64 v[112:113], v[90:91], v[112:113], 1.0
	v_fma_f64 v[90:91], v[90:91], v[112:113], 1.0
	v_cvt_i32_f64_e32 v88, v[88:89]
	v_ldexp_f64 v[88:89], v[90:91], v88
	v_cmp_nlt_f64_e32 vcc, s[46:47], v[86:87]
	v_cmp_ngt_f64_e64 s[26:27], s[48:49], v[86:87]
	v_cndmask_b32_e32 v89, v109, v89, vcc
	s_and_b64 vcc, s[26:27], vcc
	v_cndmask_b32_e64 v87, 0, v89, s[26:27]
	v_cndmask_b32_e32 v86, 0, v88, vcc
	v_add_f64 v[88:89], v[86:87], 1.0
	v_add_f64 v[90:91], v[88:89], -1.0
	v_add_f64 v[112:113], v[90:91], -v[88:89]
	v_add_f64 v[112:113], v[112:113], 1.0
	v_add_f64 v[90:91], v[86:87], -v[90:91]
	v_add_f64 v[90:91], v[90:91], v[112:113]
	v_frexp_mant_f64_e32 v[112:113], v[88:89]
	v_frexp_exp_i32_f64_e32 v114, v[88:89]
	v_cmp_gt_f64_e32 vcc, s[50:51], v[112:113]
	v_subbrev_co_u32_e32 v128, vcc, 0, v114, vcc
	v_sub_u32_e32 v112, 0, v128
	v_ldexp_f64 v[88:89], v[88:89], v112
	v_ldexp_f64 v[90:91], v[90:91], v112
	v_add_f64 v[112:113], v[88:89], -1.0
	v_add_f64 v[118:119], v[88:89], 1.0
	v_add_f64 v[114:115], v[112:113], 1.0
	v_add_f64 v[120:121], v[118:119], -1.0
	v_add_f64 v[114:115], v[88:89], -v[114:115]
	v_add_f64 v[88:89], v[88:89], -v[120:121]
	v_add_f64 v[88:89], v[90:91], v[88:89]
	v_add_f64 v[114:115], v[90:91], v[114:115]
	;; [unrolled: 1-line block ×3, first 2 shown]
	v_rcp_f64_e32 v[120:121], v[90:91]
	v_add_f64 v[116:117], v[112:113], v[114:115]
	v_add_f64 v[112:113], v[116:117], -v[112:113]
	v_add_f64 v[112:113], v[114:115], -v[112:113]
	;; [unrolled: 1-line block ×4, first 2 shown]
	v_fma_f64 v[114:115], -v[90:91], v[120:121], 1.0
	v_fmac_f64_e32 v[120:121], v[114:115], v[120:121]
	v_fma_f64 v[114:115], -v[90:91], v[120:121], 1.0
	v_fmac_f64_e32 v[120:121], v[114:115], v[120:121]
	v_mul_f64 v[114:115], v[116:117], v[120:121]
	v_mul_f64 v[118:119], v[90:91], v[114:115]
	v_fma_f64 v[122:123], v[114:115], v[90:91], -v[118:119]
	v_fmac_f64_e32 v[122:123], v[114:115], v[88:89]
	v_add_f64 v[124:125], v[118:119], v[122:123]
	v_add_f64 v[126:127], v[116:117], -v[124:125]
	v_add_f64 v[116:117], v[116:117], -v[126:127]
	;; [unrolled: 1-line block ×4, first 2 shown]
	v_add_f64 v[112:113], v[112:113], v[116:117]
	v_add_f64 v[116:117], v[118:119], -v[122:123]
	v_add_f64 v[112:113], v[116:117], v[112:113]
	v_add_f64 v[116:117], v[126:127], v[112:113]
	v_add_f64 v[118:119], v[126:127], -v[116:117]
	v_add_f64 v[112:113], v[112:113], v[118:119]
	v_mul_f64 v[118:119], v[120:121], v[116:117]
	v_mul_f64 v[122:123], v[90:91], v[118:119]
	v_fma_f64 v[90:91], v[118:119], v[90:91], -v[122:123]
	v_fmac_f64_e32 v[90:91], v[118:119], v[88:89]
	v_add_f64 v[88:89], v[122:123], v[90:91]
	v_add_f64 v[124:125], v[116:117], -v[88:89]
	v_add_f64 v[116:117], v[116:117], -v[124:125]
	;; [unrolled: 1-line block ×4, first 2 shown]
	v_add_f64 v[88:89], v[112:113], v[88:89]
	v_add_f64 v[90:91], v[122:123], -v[90:91]
	v_add_f64 v[88:89], v[90:91], v[88:89]
	v_add_f64 v[90:91], v[114:115], v[118:119]
	;; [unrolled: 1-line block ×3, first 2 shown]
	v_add_f64 v[112:113], v[90:91], -v[114:115]
	v_mul_f64 v[88:89], v[120:121], v[88:89]
	v_add_f64 v[112:113], v[118:119], -v[112:113]
	v_add_f64 v[88:89], v[112:113], v[88:89]
	v_add_f64 v[112:113], v[90:91], v[88:89]
	v_add_f64 v[90:91], v[112:113], -v[90:91]
	v_add_f64 v[88:89], v[88:89], -v[90:91]
	v_mul_f64 v[90:91], v[112:113], v[112:113]
	v_pk_mov_b32 v[114:115], v[74:75], v[74:75] op_sel:[0,1]
	v_fmac_f64_e32 v[114:115], s[52:53], v[90:91]
	v_pk_mov_b32 v[116:117], v[76:77], v[76:77] op_sel:[0,1]
	v_fmac_f64_e32 v[116:117], v[90:91], v[114:115]
	;; [unrolled: 2-line block ×6, first 2 shown]
	v_cvt_f64_i32_e32 v[114:115], v128
	s_mov_b32 s54, s40
	v_mul_f64 v[118:119], v[114:115], s[54:55]
	v_fma_f64 v[120:121], v[114:115], s[54:55], -v[118:119]
	s_mov_b32 s60, s42
	v_fmac_f64_e32 v[120:121], s[60:61], v[114:115]
	v_add_f64 v[114:115], v[118:119], v[120:121]
	v_add_f64 v[118:119], v[114:115], -v[118:119]
	v_mul_f64 v[90:91], v[112:113], v[90:91]
	v_add_f64 v[118:119], v[120:121], -v[118:119]
	v_ldexp_f64 v[120:121], v[112:113], 1
	v_mul_f64 v[90:91], v[90:91], v[116:117]
	v_add_f64 v[112:113], v[120:121], v[90:91]
	v_add_f64 v[116:117], v[112:113], -v[120:121]
	v_ldexp_f64 v[88:89], v[88:89], 1
	v_add_f64 v[90:91], v[90:91], -v[116:117]
	v_add_f64 v[88:89], v[88:89], v[90:91]
	v_add_f64 v[90:91], v[112:113], v[88:89]
	v_add_f64 v[112:113], v[90:91], -v[112:113]
	v_add_f64 v[88:89], v[88:89], -v[112:113]
	v_add_f64 v[112:113], v[114:115], v[90:91]
	v_add_f64 v[116:117], v[112:113], -v[114:115]
	v_add_f64 v[120:121], v[112:113], -v[116:117]
	;; [unrolled: 1-line block ×4, first 2 shown]
	v_add_f64 v[90:91], v[90:91], v[114:115]
	v_add_f64 v[114:115], v[118:119], v[88:89]
	v_add_f64 v[116:117], v[114:115], -v[118:119]
	v_add_f64 v[90:91], v[114:115], v[90:91]
	v_add_f64 v[120:121], v[114:115], -v[116:117]
	;; [unrolled: 2-line block ×3, first 2 shown]
	v_add_f64 v[88:89], v[88:89], -v[116:117]
	v_add_f64 v[112:113], v[114:115], -v[112:113]
	v_add_f64 v[88:89], v[88:89], v[118:119]
	v_add_f64 v[90:91], v[90:91], -v[112:113]
	v_add_f64 v[88:89], v[88:89], v[90:91]
	v_add_f64 v[88:89], v[114:115], v[88:89]
	v_cmp_eq_f64_e32 vcc, s[62:63], v[86:87]
	v_cndmask_b32_e32 v88, v88, v86, vcc
	v_cndmask_b32_e32 v89, v89, v87, vcc
	v_cmp_ngt_f64_e32 vcc, -1.0, v[86:87]
	v_cndmask_b32_e32 v89, v110, v89, vcc
	v_cmp_nge_f64_e32 vcc, -1.0, v[86:87]
	v_cndmask_b32_e32 v88, 0, v88, vcc
	v_cmp_neq_f64_e32 vcc, -1.0, v[86:87]
	v_cndmask_b32_e32 v89, v111, v89, vcc
	v_add_f64 v[88:89], v[26:27], v[88:89]
.LBB49_128:                             ;   in Loop: Header=BB49_114 Depth=1
	s_or_b64 exec, exec, s[66:67]
	v_mov_b32_e32 v26, v88
	v_mov_b32_e32 v27, v89
	v_pk_mov_b32 v[86:87], v[88:89], v[88:89] op_sel:[0,1]
.LBB49_129:                             ;   in Loop: Header=BB49_114 Depth=1
	s_or_b64 exec, exec, s[64:65]
	s_waitcnt lgkmcnt(1)
	ds_bpermute_b32 v88, v100, v26
	s_waitcnt lgkmcnt(1)
	ds_bpermute_b32 v89, v100, v27
	v_cmp_le_u32_e32 vcc, v101, v29
	s_and_saveexec_b64 s[64:65], vcc
	s_cbranch_execz .LBB49_133
; %bb.130:                              ;   in Loop: Header=BB49_114 Depth=1
	s_waitcnt lgkmcnt(0)
	v_max_f64 v[26:27], v[88:89], v[88:89]
	v_max_f64 v[112:113], v[86:87], v[86:87]
	v_min_f64 v[90:91], v[26:27], v[112:113]
	v_cmp_u_f64_e32 vcc, v[88:89], v[88:89]
	v_max_f64 v[26:27], v[26:27], v[112:113]
	v_cndmask_b32_e32 v90, v90, v88, vcc
	v_cndmask_b32_e32 v91, v91, v89, vcc
	v_cmp_u_f64_e64 s[26:27], v[86:87], v[86:87]
	v_cndmask_b32_e32 v26, v26, v88, vcc
	v_cndmask_b32_e32 v27, v27, v89, vcc
	v_cndmask_b32_e64 v91, v91, v87, s[26:27]
	v_cndmask_b32_e64 v90, v90, v86, s[26:27]
	;; [unrolled: 1-line block ×4, first 2 shown]
	v_cmp_neq_f64_e32 vcc, v[90:91], v[26:27]
	v_cmp_class_f64_e64 s[26:27], v[90:91], s7
	s_or_b64 s[26:27], vcc, s[26:27]
	s_and_saveexec_b64 s[66:67], s[26:27]
	s_cbranch_execz .LBB49_132
; %bb.131:                              ;   in Loop: Header=BB49_114 Depth=1
	v_add_f64 v[86:87], v[90:91], -v[26:27]
	v_mul_f64 v[88:89], v[86:87], s[38:39]
	v_rndne_f64_e32 v[88:89], v[88:89]
	v_fma_f64 v[90:91], s[40:41], v[88:89], v[86:87]
	v_fmac_f64_e32 v[90:91], s[42:43], v[88:89]
	v_pk_mov_b32 v[112:113], v[56:57], v[56:57] op_sel:[0,1]
	v_fmac_f64_e32 v[112:113], s[44:45], v[90:91]
	v_pk_mov_b32 v[114:115], v[58:59], v[58:59] op_sel:[0,1]
	;; [unrolled: 2-line block ×9, first 2 shown]
	v_fmac_f64_e32 v[112:113], v[90:91], v[114:115]
	v_fma_f64 v[112:113], v[90:91], v[112:113], 1.0
	v_fma_f64 v[90:91], v[90:91], v[112:113], 1.0
	v_cvt_i32_f64_e32 v88, v[88:89]
	v_ldexp_f64 v[88:89], v[90:91], v88
	v_cmp_nlt_f64_e32 vcc, s[46:47], v[86:87]
	v_cmp_ngt_f64_e64 s[26:27], s[48:49], v[86:87]
	v_cndmask_b32_e32 v89, v109, v89, vcc
	s_and_b64 vcc, s[26:27], vcc
	v_cndmask_b32_e64 v87, 0, v89, s[26:27]
	v_cndmask_b32_e32 v86, 0, v88, vcc
	v_add_f64 v[88:89], v[86:87], 1.0
	v_add_f64 v[90:91], v[88:89], -1.0
	v_add_f64 v[112:113], v[90:91], -v[88:89]
	v_add_f64 v[112:113], v[112:113], 1.0
	v_add_f64 v[90:91], v[86:87], -v[90:91]
	v_add_f64 v[90:91], v[90:91], v[112:113]
	v_frexp_mant_f64_e32 v[112:113], v[88:89]
	v_frexp_exp_i32_f64_e32 v114, v[88:89]
	v_cmp_gt_f64_e32 vcc, s[50:51], v[112:113]
	v_subbrev_co_u32_e32 v128, vcc, 0, v114, vcc
	v_sub_u32_e32 v112, 0, v128
	v_ldexp_f64 v[88:89], v[88:89], v112
	v_ldexp_f64 v[90:91], v[90:91], v112
	v_add_f64 v[112:113], v[88:89], -1.0
	v_add_f64 v[118:119], v[88:89], 1.0
	v_add_f64 v[114:115], v[112:113], 1.0
	v_add_f64 v[120:121], v[118:119], -1.0
	v_add_f64 v[114:115], v[88:89], -v[114:115]
	v_add_f64 v[88:89], v[88:89], -v[120:121]
	v_add_f64 v[88:89], v[90:91], v[88:89]
	v_add_f64 v[114:115], v[90:91], v[114:115]
	;; [unrolled: 1-line block ×3, first 2 shown]
	v_rcp_f64_e32 v[120:121], v[90:91]
	v_add_f64 v[116:117], v[112:113], v[114:115]
	v_add_f64 v[112:113], v[116:117], -v[112:113]
	v_add_f64 v[112:113], v[114:115], -v[112:113]
	;; [unrolled: 1-line block ×4, first 2 shown]
	v_fma_f64 v[114:115], -v[90:91], v[120:121], 1.0
	v_fmac_f64_e32 v[120:121], v[114:115], v[120:121]
	v_fma_f64 v[114:115], -v[90:91], v[120:121], 1.0
	v_fmac_f64_e32 v[120:121], v[114:115], v[120:121]
	v_mul_f64 v[114:115], v[116:117], v[120:121]
	v_mul_f64 v[118:119], v[90:91], v[114:115]
	v_fma_f64 v[122:123], v[114:115], v[90:91], -v[118:119]
	v_fmac_f64_e32 v[122:123], v[114:115], v[88:89]
	v_add_f64 v[124:125], v[118:119], v[122:123]
	v_add_f64 v[126:127], v[116:117], -v[124:125]
	v_add_f64 v[116:117], v[116:117], -v[126:127]
	;; [unrolled: 1-line block ×4, first 2 shown]
	v_add_f64 v[112:113], v[112:113], v[116:117]
	v_add_f64 v[116:117], v[118:119], -v[122:123]
	v_add_f64 v[112:113], v[116:117], v[112:113]
	v_add_f64 v[116:117], v[126:127], v[112:113]
	v_add_f64 v[118:119], v[126:127], -v[116:117]
	v_add_f64 v[112:113], v[112:113], v[118:119]
	v_mul_f64 v[118:119], v[120:121], v[116:117]
	v_mul_f64 v[122:123], v[90:91], v[118:119]
	v_fma_f64 v[90:91], v[118:119], v[90:91], -v[122:123]
	v_fmac_f64_e32 v[90:91], v[118:119], v[88:89]
	v_add_f64 v[88:89], v[122:123], v[90:91]
	v_add_f64 v[124:125], v[116:117], -v[88:89]
	v_add_f64 v[116:117], v[116:117], -v[124:125]
	;; [unrolled: 1-line block ×4, first 2 shown]
	v_add_f64 v[88:89], v[112:113], v[88:89]
	v_add_f64 v[90:91], v[122:123], -v[90:91]
	v_add_f64 v[88:89], v[90:91], v[88:89]
	v_add_f64 v[90:91], v[114:115], v[118:119]
	v_add_f64 v[88:89], v[124:125], v[88:89]
	v_add_f64 v[112:113], v[90:91], -v[114:115]
	v_mul_f64 v[88:89], v[120:121], v[88:89]
	v_add_f64 v[112:113], v[118:119], -v[112:113]
	v_add_f64 v[88:89], v[112:113], v[88:89]
	v_add_f64 v[112:113], v[90:91], v[88:89]
	v_add_f64 v[90:91], v[112:113], -v[90:91]
	v_add_f64 v[88:89], v[88:89], -v[90:91]
	v_mul_f64 v[90:91], v[112:113], v[112:113]
	v_pk_mov_b32 v[114:115], v[74:75], v[74:75] op_sel:[0,1]
	v_fmac_f64_e32 v[114:115], s[52:53], v[90:91]
	v_pk_mov_b32 v[116:117], v[76:77], v[76:77] op_sel:[0,1]
	v_fmac_f64_e32 v[116:117], v[90:91], v[114:115]
	;; [unrolled: 2-line block ×6, first 2 shown]
	v_cvt_f64_i32_e32 v[114:115], v128
	s_mov_b32 s54, s40
	v_mul_f64 v[118:119], v[114:115], s[54:55]
	v_fma_f64 v[120:121], v[114:115], s[54:55], -v[118:119]
	s_mov_b32 s60, s42
	v_fmac_f64_e32 v[120:121], s[60:61], v[114:115]
	v_add_f64 v[114:115], v[118:119], v[120:121]
	v_add_f64 v[118:119], v[114:115], -v[118:119]
	v_mul_f64 v[90:91], v[112:113], v[90:91]
	v_add_f64 v[118:119], v[120:121], -v[118:119]
	v_ldexp_f64 v[120:121], v[112:113], 1
	v_mul_f64 v[90:91], v[90:91], v[116:117]
	v_add_f64 v[112:113], v[120:121], v[90:91]
	v_add_f64 v[116:117], v[112:113], -v[120:121]
	v_ldexp_f64 v[88:89], v[88:89], 1
	v_add_f64 v[90:91], v[90:91], -v[116:117]
	v_add_f64 v[88:89], v[88:89], v[90:91]
	v_add_f64 v[90:91], v[112:113], v[88:89]
	v_add_f64 v[112:113], v[90:91], -v[112:113]
	v_add_f64 v[88:89], v[88:89], -v[112:113]
	v_add_f64 v[112:113], v[114:115], v[90:91]
	v_add_f64 v[116:117], v[112:113], -v[114:115]
	v_add_f64 v[120:121], v[112:113], -v[116:117]
	;; [unrolled: 1-line block ×4, first 2 shown]
	v_add_f64 v[90:91], v[90:91], v[114:115]
	v_add_f64 v[114:115], v[118:119], v[88:89]
	v_add_f64 v[116:117], v[114:115], -v[118:119]
	v_add_f64 v[90:91], v[114:115], v[90:91]
	v_add_f64 v[120:121], v[114:115], -v[116:117]
	v_add_f64 v[114:115], v[112:113], v[90:91]
	v_add_f64 v[118:119], v[118:119], -v[120:121]
	v_add_f64 v[88:89], v[88:89], -v[116:117]
	v_add_f64 v[112:113], v[114:115], -v[112:113]
	v_add_f64 v[88:89], v[88:89], v[118:119]
	v_add_f64 v[90:91], v[90:91], -v[112:113]
	v_add_f64 v[88:89], v[88:89], v[90:91]
	v_add_f64 v[88:89], v[114:115], v[88:89]
	v_cmp_eq_f64_e32 vcc, s[62:63], v[86:87]
	v_cndmask_b32_e32 v88, v88, v86, vcc
	v_cndmask_b32_e32 v89, v89, v87, vcc
	v_cmp_ngt_f64_e32 vcc, -1.0, v[86:87]
	v_cndmask_b32_e32 v89, v110, v89, vcc
	v_cmp_nge_f64_e32 vcc, -1.0, v[86:87]
	v_cndmask_b32_e32 v88, 0, v88, vcc
	v_cmp_neq_f64_e32 vcc, -1.0, v[86:87]
	v_cndmask_b32_e32 v89, v111, v89, vcc
	v_add_f64 v[88:89], v[26:27], v[88:89]
.LBB49_132:                             ;   in Loop: Header=BB49_114 Depth=1
	s_or_b64 exec, exec, s[66:67]
	v_mov_b32_e32 v26, v88
	v_mov_b32_e32 v27, v89
	v_pk_mov_b32 v[86:87], v[88:89], v[88:89] op_sel:[0,1]
.LBB49_133:                             ;   in Loop: Header=BB49_114 Depth=1
	s_or_b64 exec, exec, s[64:65]
	s_waitcnt lgkmcnt(1)
	ds_bpermute_b32 v88, v102, v26
	s_waitcnt lgkmcnt(1)
	ds_bpermute_b32 v89, v102, v27
	v_cmp_le_u32_e32 vcc, v103, v29
	s_and_saveexec_b64 s[64:65], vcc
	s_cbranch_execz .LBB49_137
; %bb.134:                              ;   in Loop: Header=BB49_114 Depth=1
	s_waitcnt lgkmcnt(0)
	v_max_f64 v[26:27], v[88:89], v[88:89]
	v_max_f64 v[112:113], v[86:87], v[86:87]
	v_min_f64 v[90:91], v[26:27], v[112:113]
	v_cmp_u_f64_e32 vcc, v[88:89], v[88:89]
	v_max_f64 v[26:27], v[26:27], v[112:113]
	v_cndmask_b32_e32 v90, v90, v88, vcc
	v_cndmask_b32_e32 v91, v91, v89, vcc
	v_cmp_u_f64_e64 s[26:27], v[86:87], v[86:87]
	v_cndmask_b32_e32 v26, v26, v88, vcc
	v_cndmask_b32_e32 v27, v27, v89, vcc
	v_cndmask_b32_e64 v91, v91, v87, s[26:27]
	v_cndmask_b32_e64 v90, v90, v86, s[26:27]
	;; [unrolled: 1-line block ×4, first 2 shown]
	v_cmp_neq_f64_e32 vcc, v[90:91], v[26:27]
	v_cmp_class_f64_e64 s[26:27], v[90:91], s7
	s_or_b64 s[26:27], vcc, s[26:27]
	s_and_saveexec_b64 s[66:67], s[26:27]
	s_cbranch_execz .LBB49_136
; %bb.135:                              ;   in Loop: Header=BB49_114 Depth=1
	v_add_f64 v[86:87], v[90:91], -v[26:27]
	v_mul_f64 v[88:89], v[86:87], s[38:39]
	v_rndne_f64_e32 v[88:89], v[88:89]
	v_fma_f64 v[90:91], s[40:41], v[88:89], v[86:87]
	v_fmac_f64_e32 v[90:91], s[42:43], v[88:89]
	v_pk_mov_b32 v[112:113], v[56:57], v[56:57] op_sel:[0,1]
	v_fmac_f64_e32 v[112:113], s[44:45], v[90:91]
	v_pk_mov_b32 v[114:115], v[58:59], v[58:59] op_sel:[0,1]
	;; [unrolled: 2-line block ×9, first 2 shown]
	v_fmac_f64_e32 v[112:113], v[90:91], v[114:115]
	v_fma_f64 v[112:113], v[90:91], v[112:113], 1.0
	v_fma_f64 v[90:91], v[90:91], v[112:113], 1.0
	v_cvt_i32_f64_e32 v88, v[88:89]
	v_ldexp_f64 v[88:89], v[90:91], v88
	v_cmp_nlt_f64_e32 vcc, s[46:47], v[86:87]
	v_cmp_ngt_f64_e64 s[26:27], s[48:49], v[86:87]
	v_cndmask_b32_e32 v89, v109, v89, vcc
	s_and_b64 vcc, s[26:27], vcc
	v_cndmask_b32_e64 v87, 0, v89, s[26:27]
	v_cndmask_b32_e32 v86, 0, v88, vcc
	v_add_f64 v[88:89], v[86:87], 1.0
	v_add_f64 v[90:91], v[88:89], -1.0
	v_add_f64 v[112:113], v[90:91], -v[88:89]
	v_add_f64 v[112:113], v[112:113], 1.0
	v_add_f64 v[90:91], v[86:87], -v[90:91]
	v_add_f64 v[90:91], v[90:91], v[112:113]
	v_frexp_mant_f64_e32 v[112:113], v[88:89]
	v_frexp_exp_i32_f64_e32 v114, v[88:89]
	v_cmp_gt_f64_e32 vcc, s[50:51], v[112:113]
	v_subbrev_co_u32_e32 v128, vcc, 0, v114, vcc
	v_sub_u32_e32 v112, 0, v128
	v_ldexp_f64 v[88:89], v[88:89], v112
	v_ldexp_f64 v[90:91], v[90:91], v112
	v_add_f64 v[112:113], v[88:89], -1.0
	v_add_f64 v[118:119], v[88:89], 1.0
	v_add_f64 v[114:115], v[112:113], 1.0
	v_add_f64 v[120:121], v[118:119], -1.0
	v_add_f64 v[114:115], v[88:89], -v[114:115]
	v_add_f64 v[88:89], v[88:89], -v[120:121]
	v_add_f64 v[88:89], v[90:91], v[88:89]
	v_add_f64 v[114:115], v[90:91], v[114:115]
	;; [unrolled: 1-line block ×3, first 2 shown]
	v_rcp_f64_e32 v[120:121], v[90:91]
	v_add_f64 v[116:117], v[112:113], v[114:115]
	v_add_f64 v[112:113], v[116:117], -v[112:113]
	v_add_f64 v[112:113], v[114:115], -v[112:113]
	;; [unrolled: 1-line block ×4, first 2 shown]
	v_fma_f64 v[114:115], -v[90:91], v[120:121], 1.0
	v_fmac_f64_e32 v[120:121], v[114:115], v[120:121]
	v_fma_f64 v[114:115], -v[90:91], v[120:121], 1.0
	v_fmac_f64_e32 v[120:121], v[114:115], v[120:121]
	v_mul_f64 v[114:115], v[116:117], v[120:121]
	v_mul_f64 v[118:119], v[90:91], v[114:115]
	v_fma_f64 v[122:123], v[114:115], v[90:91], -v[118:119]
	v_fmac_f64_e32 v[122:123], v[114:115], v[88:89]
	v_add_f64 v[124:125], v[118:119], v[122:123]
	v_add_f64 v[126:127], v[116:117], -v[124:125]
	v_add_f64 v[116:117], v[116:117], -v[126:127]
	;; [unrolled: 1-line block ×4, first 2 shown]
	v_add_f64 v[112:113], v[112:113], v[116:117]
	v_add_f64 v[116:117], v[118:119], -v[122:123]
	v_add_f64 v[112:113], v[116:117], v[112:113]
	v_add_f64 v[116:117], v[126:127], v[112:113]
	v_add_f64 v[118:119], v[126:127], -v[116:117]
	v_add_f64 v[112:113], v[112:113], v[118:119]
	v_mul_f64 v[118:119], v[120:121], v[116:117]
	v_mul_f64 v[122:123], v[90:91], v[118:119]
	v_fma_f64 v[90:91], v[118:119], v[90:91], -v[122:123]
	v_fmac_f64_e32 v[90:91], v[118:119], v[88:89]
	v_add_f64 v[88:89], v[122:123], v[90:91]
	v_add_f64 v[124:125], v[116:117], -v[88:89]
	v_add_f64 v[116:117], v[116:117], -v[124:125]
	;; [unrolled: 1-line block ×4, first 2 shown]
	v_add_f64 v[88:89], v[112:113], v[88:89]
	v_add_f64 v[90:91], v[122:123], -v[90:91]
	v_add_f64 v[88:89], v[90:91], v[88:89]
	v_add_f64 v[90:91], v[114:115], v[118:119]
	;; [unrolled: 1-line block ×3, first 2 shown]
	v_add_f64 v[112:113], v[90:91], -v[114:115]
	v_mul_f64 v[88:89], v[120:121], v[88:89]
	v_add_f64 v[112:113], v[118:119], -v[112:113]
	v_add_f64 v[88:89], v[112:113], v[88:89]
	v_add_f64 v[112:113], v[90:91], v[88:89]
	v_add_f64 v[90:91], v[112:113], -v[90:91]
	v_add_f64 v[88:89], v[88:89], -v[90:91]
	v_mul_f64 v[90:91], v[112:113], v[112:113]
	v_pk_mov_b32 v[114:115], v[74:75], v[74:75] op_sel:[0,1]
	v_fmac_f64_e32 v[114:115], s[52:53], v[90:91]
	v_pk_mov_b32 v[116:117], v[76:77], v[76:77] op_sel:[0,1]
	v_fmac_f64_e32 v[116:117], v[90:91], v[114:115]
	;; [unrolled: 2-line block ×6, first 2 shown]
	v_cvt_f64_i32_e32 v[114:115], v128
	s_mov_b32 s54, s40
	v_mul_f64 v[118:119], v[114:115], s[54:55]
	v_fma_f64 v[120:121], v[114:115], s[54:55], -v[118:119]
	s_mov_b32 s60, s42
	v_fmac_f64_e32 v[120:121], s[60:61], v[114:115]
	v_add_f64 v[114:115], v[118:119], v[120:121]
	v_add_f64 v[118:119], v[114:115], -v[118:119]
	v_mul_f64 v[90:91], v[112:113], v[90:91]
	v_add_f64 v[118:119], v[120:121], -v[118:119]
	v_ldexp_f64 v[120:121], v[112:113], 1
	v_mul_f64 v[90:91], v[90:91], v[116:117]
	v_add_f64 v[112:113], v[120:121], v[90:91]
	v_add_f64 v[116:117], v[112:113], -v[120:121]
	v_ldexp_f64 v[88:89], v[88:89], 1
	v_add_f64 v[90:91], v[90:91], -v[116:117]
	v_add_f64 v[88:89], v[88:89], v[90:91]
	v_add_f64 v[90:91], v[112:113], v[88:89]
	v_add_f64 v[112:113], v[90:91], -v[112:113]
	v_add_f64 v[88:89], v[88:89], -v[112:113]
	v_add_f64 v[112:113], v[114:115], v[90:91]
	v_add_f64 v[116:117], v[112:113], -v[114:115]
	v_add_f64 v[120:121], v[112:113], -v[116:117]
	v_add_f64 v[114:115], v[114:115], -v[120:121]
	v_add_f64 v[90:91], v[90:91], -v[116:117]
	v_add_f64 v[90:91], v[90:91], v[114:115]
	v_add_f64 v[114:115], v[118:119], v[88:89]
	v_add_f64 v[116:117], v[114:115], -v[118:119]
	v_add_f64 v[90:91], v[114:115], v[90:91]
	v_add_f64 v[120:121], v[114:115], -v[116:117]
	;; [unrolled: 2-line block ×3, first 2 shown]
	v_add_f64 v[88:89], v[88:89], -v[116:117]
	v_add_f64 v[112:113], v[114:115], -v[112:113]
	v_add_f64 v[88:89], v[88:89], v[118:119]
	v_add_f64 v[90:91], v[90:91], -v[112:113]
	v_add_f64 v[88:89], v[88:89], v[90:91]
	v_add_f64 v[88:89], v[114:115], v[88:89]
	v_cmp_eq_f64_e32 vcc, s[62:63], v[86:87]
	v_cndmask_b32_e32 v88, v88, v86, vcc
	v_cndmask_b32_e32 v89, v89, v87, vcc
	v_cmp_ngt_f64_e32 vcc, -1.0, v[86:87]
	v_cndmask_b32_e32 v89, v110, v89, vcc
	v_cmp_nge_f64_e32 vcc, -1.0, v[86:87]
	v_cndmask_b32_e32 v88, 0, v88, vcc
	v_cmp_neq_f64_e32 vcc, -1.0, v[86:87]
	v_cndmask_b32_e32 v89, v111, v89, vcc
	v_add_f64 v[88:89], v[26:27], v[88:89]
.LBB49_136:                             ;   in Loop: Header=BB49_114 Depth=1
	s_or_b64 exec, exec, s[66:67]
	v_mov_b32_e32 v26, v88
	v_mov_b32_e32 v27, v89
	v_pk_mov_b32 v[86:87], v[88:89], v[88:89] op_sel:[0,1]
.LBB49_137:                             ;   in Loop: Header=BB49_114 Depth=1
	s_or_b64 exec, exec, s[64:65]
	s_waitcnt lgkmcnt(1)
	ds_bpermute_b32 v88, v104, v26
	s_waitcnt lgkmcnt(1)
	ds_bpermute_b32 v89, v104, v27
	v_cmp_le_u32_e32 vcc, v105, v29
	s_and_saveexec_b64 s[64:65], vcc
	s_cbranch_execz .LBB49_141
; %bb.138:                              ;   in Loop: Header=BB49_114 Depth=1
	s_waitcnt lgkmcnt(0)
	v_max_f64 v[26:27], v[88:89], v[88:89]
	v_max_f64 v[112:113], v[86:87], v[86:87]
	v_min_f64 v[90:91], v[26:27], v[112:113]
	v_cmp_u_f64_e32 vcc, v[88:89], v[88:89]
	v_max_f64 v[26:27], v[26:27], v[112:113]
	v_cndmask_b32_e32 v90, v90, v88, vcc
	v_cndmask_b32_e32 v91, v91, v89, vcc
	v_cmp_u_f64_e64 s[26:27], v[86:87], v[86:87]
	v_cndmask_b32_e32 v26, v26, v88, vcc
	v_cndmask_b32_e32 v27, v27, v89, vcc
	v_cndmask_b32_e64 v91, v91, v87, s[26:27]
	v_cndmask_b32_e64 v90, v90, v86, s[26:27]
	;; [unrolled: 1-line block ×4, first 2 shown]
	v_cmp_neq_f64_e32 vcc, v[90:91], v[26:27]
	v_cmp_class_f64_e64 s[26:27], v[90:91], s7
	s_or_b64 s[26:27], vcc, s[26:27]
	s_and_saveexec_b64 s[66:67], s[26:27]
	s_cbranch_execz .LBB49_140
; %bb.139:                              ;   in Loop: Header=BB49_114 Depth=1
	v_add_f64 v[86:87], v[90:91], -v[26:27]
	v_mul_f64 v[88:89], v[86:87], s[38:39]
	v_rndne_f64_e32 v[88:89], v[88:89]
	v_fma_f64 v[90:91], s[40:41], v[88:89], v[86:87]
	v_fmac_f64_e32 v[90:91], s[42:43], v[88:89]
	v_pk_mov_b32 v[112:113], v[56:57], v[56:57] op_sel:[0,1]
	v_fmac_f64_e32 v[112:113], s[44:45], v[90:91]
	v_pk_mov_b32 v[114:115], v[58:59], v[58:59] op_sel:[0,1]
	;; [unrolled: 2-line block ×9, first 2 shown]
	v_fmac_f64_e32 v[112:113], v[90:91], v[114:115]
	v_fma_f64 v[112:113], v[90:91], v[112:113], 1.0
	v_fma_f64 v[90:91], v[90:91], v[112:113], 1.0
	v_cvt_i32_f64_e32 v88, v[88:89]
	v_ldexp_f64 v[88:89], v[90:91], v88
	v_cmp_nlt_f64_e32 vcc, s[46:47], v[86:87]
	v_cmp_ngt_f64_e64 s[26:27], s[48:49], v[86:87]
	v_cndmask_b32_e32 v89, v109, v89, vcc
	s_and_b64 vcc, s[26:27], vcc
	v_cndmask_b32_e64 v87, 0, v89, s[26:27]
	v_cndmask_b32_e32 v86, 0, v88, vcc
	v_add_f64 v[88:89], v[86:87], 1.0
	v_add_f64 v[90:91], v[88:89], -1.0
	v_add_f64 v[112:113], v[90:91], -v[88:89]
	v_add_f64 v[112:113], v[112:113], 1.0
	v_add_f64 v[90:91], v[86:87], -v[90:91]
	v_add_f64 v[90:91], v[90:91], v[112:113]
	v_frexp_mant_f64_e32 v[112:113], v[88:89]
	v_frexp_exp_i32_f64_e32 v114, v[88:89]
	v_cmp_gt_f64_e32 vcc, s[50:51], v[112:113]
	v_subbrev_co_u32_e32 v128, vcc, 0, v114, vcc
	v_sub_u32_e32 v112, 0, v128
	v_ldexp_f64 v[88:89], v[88:89], v112
	v_ldexp_f64 v[90:91], v[90:91], v112
	v_add_f64 v[112:113], v[88:89], -1.0
	v_add_f64 v[118:119], v[88:89], 1.0
	v_add_f64 v[114:115], v[112:113], 1.0
	v_add_f64 v[120:121], v[118:119], -1.0
	v_add_f64 v[114:115], v[88:89], -v[114:115]
	v_add_f64 v[88:89], v[88:89], -v[120:121]
	v_add_f64 v[88:89], v[90:91], v[88:89]
	v_add_f64 v[114:115], v[90:91], v[114:115]
	;; [unrolled: 1-line block ×3, first 2 shown]
	v_rcp_f64_e32 v[120:121], v[90:91]
	v_add_f64 v[116:117], v[112:113], v[114:115]
	v_add_f64 v[112:113], v[116:117], -v[112:113]
	v_add_f64 v[112:113], v[114:115], -v[112:113]
	;; [unrolled: 1-line block ×4, first 2 shown]
	v_fma_f64 v[114:115], -v[90:91], v[120:121], 1.0
	v_fmac_f64_e32 v[120:121], v[114:115], v[120:121]
	v_fma_f64 v[114:115], -v[90:91], v[120:121], 1.0
	v_fmac_f64_e32 v[120:121], v[114:115], v[120:121]
	v_mul_f64 v[114:115], v[116:117], v[120:121]
	v_mul_f64 v[118:119], v[90:91], v[114:115]
	v_fma_f64 v[122:123], v[114:115], v[90:91], -v[118:119]
	v_fmac_f64_e32 v[122:123], v[114:115], v[88:89]
	v_add_f64 v[124:125], v[118:119], v[122:123]
	v_add_f64 v[126:127], v[116:117], -v[124:125]
	v_add_f64 v[116:117], v[116:117], -v[126:127]
	;; [unrolled: 1-line block ×4, first 2 shown]
	v_add_f64 v[112:113], v[112:113], v[116:117]
	v_add_f64 v[116:117], v[118:119], -v[122:123]
	v_add_f64 v[112:113], v[116:117], v[112:113]
	v_add_f64 v[116:117], v[126:127], v[112:113]
	v_add_f64 v[118:119], v[126:127], -v[116:117]
	v_add_f64 v[112:113], v[112:113], v[118:119]
	v_mul_f64 v[118:119], v[120:121], v[116:117]
	v_mul_f64 v[122:123], v[90:91], v[118:119]
	v_fma_f64 v[90:91], v[118:119], v[90:91], -v[122:123]
	v_fmac_f64_e32 v[90:91], v[118:119], v[88:89]
	v_add_f64 v[88:89], v[122:123], v[90:91]
	v_add_f64 v[124:125], v[116:117], -v[88:89]
	v_add_f64 v[116:117], v[116:117], -v[124:125]
	;; [unrolled: 1-line block ×4, first 2 shown]
	v_add_f64 v[88:89], v[112:113], v[88:89]
	v_add_f64 v[90:91], v[122:123], -v[90:91]
	v_add_f64 v[88:89], v[90:91], v[88:89]
	v_add_f64 v[90:91], v[114:115], v[118:119]
	;; [unrolled: 1-line block ×3, first 2 shown]
	v_add_f64 v[112:113], v[90:91], -v[114:115]
	v_mul_f64 v[88:89], v[120:121], v[88:89]
	v_add_f64 v[112:113], v[118:119], -v[112:113]
	v_add_f64 v[88:89], v[112:113], v[88:89]
	v_add_f64 v[112:113], v[90:91], v[88:89]
	v_add_f64 v[90:91], v[112:113], -v[90:91]
	v_add_f64 v[88:89], v[88:89], -v[90:91]
	v_mul_f64 v[90:91], v[112:113], v[112:113]
	v_pk_mov_b32 v[114:115], v[74:75], v[74:75] op_sel:[0,1]
	v_fmac_f64_e32 v[114:115], s[52:53], v[90:91]
	v_pk_mov_b32 v[116:117], v[76:77], v[76:77] op_sel:[0,1]
	v_fmac_f64_e32 v[116:117], v[90:91], v[114:115]
	;; [unrolled: 2-line block ×6, first 2 shown]
	v_cvt_f64_i32_e32 v[114:115], v128
	s_mov_b32 s54, s40
	v_mul_f64 v[118:119], v[114:115], s[54:55]
	v_fma_f64 v[120:121], v[114:115], s[54:55], -v[118:119]
	s_mov_b32 s60, s42
	v_fmac_f64_e32 v[120:121], s[60:61], v[114:115]
	v_add_f64 v[114:115], v[118:119], v[120:121]
	v_add_f64 v[118:119], v[114:115], -v[118:119]
	v_mul_f64 v[90:91], v[112:113], v[90:91]
	v_add_f64 v[118:119], v[120:121], -v[118:119]
	v_ldexp_f64 v[120:121], v[112:113], 1
	v_mul_f64 v[90:91], v[90:91], v[116:117]
	v_add_f64 v[112:113], v[120:121], v[90:91]
	v_add_f64 v[116:117], v[112:113], -v[120:121]
	v_ldexp_f64 v[88:89], v[88:89], 1
	v_add_f64 v[90:91], v[90:91], -v[116:117]
	v_add_f64 v[88:89], v[88:89], v[90:91]
	v_add_f64 v[90:91], v[112:113], v[88:89]
	v_add_f64 v[112:113], v[90:91], -v[112:113]
	v_add_f64 v[88:89], v[88:89], -v[112:113]
	v_add_f64 v[112:113], v[114:115], v[90:91]
	v_add_f64 v[116:117], v[112:113], -v[114:115]
	v_add_f64 v[120:121], v[112:113], -v[116:117]
	;; [unrolled: 1-line block ×4, first 2 shown]
	v_add_f64 v[90:91], v[90:91], v[114:115]
	v_add_f64 v[114:115], v[118:119], v[88:89]
	v_add_f64 v[116:117], v[114:115], -v[118:119]
	v_add_f64 v[90:91], v[114:115], v[90:91]
	v_add_f64 v[120:121], v[114:115], -v[116:117]
	;; [unrolled: 2-line block ×3, first 2 shown]
	v_add_f64 v[88:89], v[88:89], -v[116:117]
	v_add_f64 v[112:113], v[114:115], -v[112:113]
	v_add_f64 v[88:89], v[88:89], v[118:119]
	v_add_f64 v[90:91], v[90:91], -v[112:113]
	v_add_f64 v[88:89], v[88:89], v[90:91]
	v_add_f64 v[88:89], v[114:115], v[88:89]
	v_cmp_eq_f64_e32 vcc, s[62:63], v[86:87]
	v_cndmask_b32_e32 v88, v88, v86, vcc
	v_cndmask_b32_e32 v89, v89, v87, vcc
	v_cmp_ngt_f64_e32 vcc, -1.0, v[86:87]
	v_cndmask_b32_e32 v89, v110, v89, vcc
	v_cmp_nge_f64_e32 vcc, -1.0, v[86:87]
	v_cndmask_b32_e32 v88, 0, v88, vcc
	v_cmp_neq_f64_e32 vcc, -1.0, v[86:87]
	v_cndmask_b32_e32 v89, v111, v89, vcc
	v_add_f64 v[88:89], v[26:27], v[88:89]
.LBB49_140:                             ;   in Loop: Header=BB49_114 Depth=1
	s_or_b64 exec, exec, s[66:67]
	v_mov_b32_e32 v26, v88
	v_mov_b32_e32 v27, v89
	v_pk_mov_b32 v[86:87], v[88:89], v[88:89] op_sel:[0,1]
.LBB49_141:                             ;   in Loop: Header=BB49_114 Depth=1
	s_or_b64 exec, exec, s[64:65]
	s_waitcnt lgkmcnt(1)
	ds_bpermute_b32 v88, v106, v26
	s_waitcnt lgkmcnt(1)
	ds_bpermute_b32 v89, v106, v27
	v_cmp_le_u32_e32 vcc, v107, v29
	s_and_saveexec_b64 s[64:65], vcc
	s_cbranch_execz .LBB49_145
; %bb.142:                              ;   in Loop: Header=BB49_114 Depth=1
	s_waitcnt lgkmcnt(0)
	v_max_f64 v[26:27], v[88:89], v[88:89]
	v_max_f64 v[112:113], v[86:87], v[86:87]
	v_min_f64 v[90:91], v[26:27], v[112:113]
	v_cmp_u_f64_e32 vcc, v[88:89], v[88:89]
	v_max_f64 v[26:27], v[26:27], v[112:113]
	v_cndmask_b32_e32 v29, v90, v88, vcc
	v_cndmask_b32_e32 v90, v91, v89, vcc
	v_cmp_u_f64_e64 s[26:27], v[86:87], v[86:87]
	v_cndmask_b32_e32 v26, v26, v88, vcc
	v_cndmask_b32_e32 v27, v27, v89, vcc
	v_cndmask_b32_e64 v91, v90, v87, s[26:27]
	v_cndmask_b32_e64 v90, v29, v86, s[26:27]
	;; [unrolled: 1-line block ×4, first 2 shown]
	v_cmp_neq_f64_e32 vcc, v[90:91], v[26:27]
	v_cmp_class_f64_e64 s[26:27], v[90:91], s7
	s_or_b64 s[26:27], vcc, s[26:27]
	s_and_saveexec_b64 s[66:67], s[26:27]
	s_cbranch_execz .LBB49_144
; %bb.143:                              ;   in Loop: Header=BB49_114 Depth=1
	v_add_f64 v[86:87], v[90:91], -v[26:27]
	v_mul_f64 v[88:89], v[86:87], s[38:39]
	v_rndne_f64_e32 v[88:89], v[88:89]
	v_fma_f64 v[90:91], s[40:41], v[88:89], v[86:87]
	v_fmac_f64_e32 v[90:91], s[42:43], v[88:89]
	v_pk_mov_b32 v[112:113], v[56:57], v[56:57] op_sel:[0,1]
	v_fmac_f64_e32 v[112:113], s[44:45], v[90:91]
	v_pk_mov_b32 v[114:115], v[58:59], v[58:59] op_sel:[0,1]
	;; [unrolled: 2-line block ×9, first 2 shown]
	v_fmac_f64_e32 v[112:113], v[90:91], v[114:115]
	v_fma_f64 v[112:113], v[90:91], v[112:113], 1.0
	v_fma_f64 v[90:91], v[90:91], v[112:113], 1.0
	v_cvt_i32_f64_e32 v29, v[88:89]
	v_ldexp_f64 v[88:89], v[90:91], v29
	v_cmp_nlt_f64_e32 vcc, s[46:47], v[86:87]
	v_cmp_ngt_f64_e64 s[26:27], s[48:49], v[86:87]
	v_cndmask_b32_e32 v29, v109, v89, vcc
	s_and_b64 vcc, s[26:27], vcc
	v_cndmask_b32_e64 v87, 0, v29, s[26:27]
	v_cndmask_b32_e32 v86, 0, v88, vcc
	v_add_f64 v[88:89], v[86:87], 1.0
	v_add_f64 v[90:91], v[88:89], -1.0
	v_add_f64 v[112:113], v[90:91], -v[88:89]
	v_add_f64 v[112:113], v[112:113], 1.0
	v_add_f64 v[90:91], v[86:87], -v[90:91]
	v_add_f64 v[90:91], v[90:91], v[112:113]
	v_frexp_mant_f64_e32 v[112:113], v[88:89]
	v_frexp_exp_i32_f64_e32 v29, v[88:89]
	v_cmp_gt_f64_e32 vcc, s[50:51], v[112:113]
	v_subbrev_co_u32_e32 v29, vcc, 0, v29, vcc
	v_sub_u32_e32 v112, 0, v29
	v_ldexp_f64 v[88:89], v[88:89], v112
	v_ldexp_f64 v[90:91], v[90:91], v112
	v_add_f64 v[112:113], v[88:89], -1.0
	v_add_f64 v[118:119], v[88:89], 1.0
	v_add_f64 v[114:115], v[112:113], 1.0
	v_add_f64 v[120:121], v[118:119], -1.0
	v_add_f64 v[114:115], v[88:89], -v[114:115]
	v_add_f64 v[88:89], v[88:89], -v[120:121]
	v_add_f64 v[88:89], v[90:91], v[88:89]
	v_add_f64 v[114:115], v[90:91], v[114:115]
	;; [unrolled: 1-line block ×3, first 2 shown]
	v_rcp_f64_e32 v[120:121], v[90:91]
	v_add_f64 v[116:117], v[112:113], v[114:115]
	v_add_f64 v[112:113], v[116:117], -v[112:113]
	v_add_f64 v[112:113], v[114:115], -v[112:113]
	;; [unrolled: 1-line block ×4, first 2 shown]
	v_fma_f64 v[114:115], -v[90:91], v[120:121], 1.0
	v_fmac_f64_e32 v[120:121], v[114:115], v[120:121]
	v_fma_f64 v[114:115], -v[90:91], v[120:121], 1.0
	v_fmac_f64_e32 v[120:121], v[114:115], v[120:121]
	v_mul_f64 v[114:115], v[116:117], v[120:121]
	v_mul_f64 v[118:119], v[90:91], v[114:115]
	v_fma_f64 v[122:123], v[114:115], v[90:91], -v[118:119]
	v_fmac_f64_e32 v[122:123], v[114:115], v[88:89]
	v_add_f64 v[124:125], v[118:119], v[122:123]
	v_add_f64 v[126:127], v[116:117], -v[124:125]
	v_add_f64 v[116:117], v[116:117], -v[126:127]
	;; [unrolled: 1-line block ×4, first 2 shown]
	v_add_f64 v[112:113], v[112:113], v[116:117]
	v_add_f64 v[116:117], v[118:119], -v[122:123]
	v_add_f64 v[112:113], v[116:117], v[112:113]
	v_add_f64 v[116:117], v[126:127], v[112:113]
	v_add_f64 v[118:119], v[126:127], -v[116:117]
	v_add_f64 v[112:113], v[112:113], v[118:119]
	v_mul_f64 v[118:119], v[120:121], v[116:117]
	v_mul_f64 v[122:123], v[90:91], v[118:119]
	v_fma_f64 v[90:91], v[118:119], v[90:91], -v[122:123]
	v_fmac_f64_e32 v[90:91], v[118:119], v[88:89]
	v_add_f64 v[88:89], v[122:123], v[90:91]
	v_add_f64 v[124:125], v[116:117], -v[88:89]
	v_add_f64 v[116:117], v[116:117], -v[124:125]
	;; [unrolled: 1-line block ×4, first 2 shown]
	v_add_f64 v[88:89], v[112:113], v[88:89]
	v_add_f64 v[90:91], v[122:123], -v[90:91]
	v_add_f64 v[88:89], v[90:91], v[88:89]
	v_add_f64 v[90:91], v[114:115], v[118:119]
	;; [unrolled: 1-line block ×3, first 2 shown]
	v_add_f64 v[112:113], v[90:91], -v[114:115]
	v_mul_f64 v[88:89], v[120:121], v[88:89]
	v_add_f64 v[112:113], v[118:119], -v[112:113]
	v_add_f64 v[88:89], v[112:113], v[88:89]
	v_add_f64 v[112:113], v[90:91], v[88:89]
	v_add_f64 v[90:91], v[112:113], -v[90:91]
	v_add_f64 v[88:89], v[88:89], -v[90:91]
	v_mul_f64 v[90:91], v[112:113], v[112:113]
	v_pk_mov_b32 v[114:115], v[74:75], v[74:75] op_sel:[0,1]
	v_fmac_f64_e32 v[114:115], s[52:53], v[90:91]
	v_pk_mov_b32 v[116:117], v[76:77], v[76:77] op_sel:[0,1]
	v_fmac_f64_e32 v[116:117], v[90:91], v[114:115]
	;; [unrolled: 2-line block ×6, first 2 shown]
	v_cvt_f64_i32_e32 v[114:115], v29
	s_mov_b32 s54, s40
	v_mul_f64 v[118:119], v[114:115], s[54:55]
	v_fma_f64 v[120:121], v[114:115], s[54:55], -v[118:119]
	s_mov_b32 s60, s42
	v_fmac_f64_e32 v[120:121], s[60:61], v[114:115]
	v_add_f64 v[114:115], v[118:119], v[120:121]
	v_add_f64 v[118:119], v[114:115], -v[118:119]
	v_mul_f64 v[90:91], v[112:113], v[90:91]
	v_add_f64 v[118:119], v[120:121], -v[118:119]
	v_ldexp_f64 v[120:121], v[112:113], 1
	v_mul_f64 v[90:91], v[90:91], v[116:117]
	v_add_f64 v[112:113], v[120:121], v[90:91]
	v_add_f64 v[116:117], v[112:113], -v[120:121]
	v_ldexp_f64 v[88:89], v[88:89], 1
	v_add_f64 v[90:91], v[90:91], -v[116:117]
	v_add_f64 v[88:89], v[88:89], v[90:91]
	v_add_f64 v[90:91], v[112:113], v[88:89]
	v_add_f64 v[112:113], v[90:91], -v[112:113]
	v_add_f64 v[88:89], v[88:89], -v[112:113]
	v_add_f64 v[112:113], v[114:115], v[90:91]
	v_add_f64 v[116:117], v[112:113], -v[114:115]
	v_add_f64 v[120:121], v[112:113], -v[116:117]
	;; [unrolled: 1-line block ×4, first 2 shown]
	v_add_f64 v[90:91], v[90:91], v[114:115]
	v_add_f64 v[114:115], v[118:119], v[88:89]
	v_add_f64 v[116:117], v[114:115], -v[118:119]
	v_add_f64 v[90:91], v[114:115], v[90:91]
	v_add_f64 v[120:121], v[114:115], -v[116:117]
	;; [unrolled: 2-line block ×3, first 2 shown]
	v_add_f64 v[88:89], v[88:89], -v[116:117]
	v_add_f64 v[112:113], v[114:115], -v[112:113]
	v_add_f64 v[88:89], v[88:89], v[118:119]
	v_add_f64 v[90:91], v[90:91], -v[112:113]
	v_add_f64 v[88:89], v[88:89], v[90:91]
	v_add_f64 v[88:89], v[114:115], v[88:89]
	v_cmp_eq_f64_e32 vcc, s[62:63], v[86:87]
	v_cndmask_b32_e32 v29, v88, v86, vcc
	v_cndmask_b32_e32 v88, v89, v87, vcc
	v_cmp_ngt_f64_e32 vcc, -1.0, v[86:87]
	v_cndmask_b32_e32 v89, v110, v88, vcc
	v_cmp_nge_f64_e32 vcc, -1.0, v[86:87]
	v_cndmask_b32_e32 v88, 0, v29, vcc
	v_cmp_neq_f64_e32 vcc, -1.0, v[86:87]
	v_cndmask_b32_e32 v89, v111, v89, vcc
	v_add_f64 v[88:89], v[26:27], v[88:89]
.LBB49_144:                             ;   in Loop: Header=BB49_114 Depth=1
	s_or_b64 exec, exec, s[66:67]
	v_pk_mov_b32 v[86:87], v[88:89], v[88:89] op_sel:[0,1]
.LBB49_145:                             ;   in Loop: Header=BB49_114 Depth=1
	s_or_b64 exec, exec, s[64:65]
	v_max_f64 v[26:27], v[54:55], v[54:55]
	v_max_f64 v[90:91], v[86:87], v[86:87]
	s_waitcnt lgkmcnt(0)
	v_min_f64 v[88:89], v[90:91], v[26:27]
	v_cmp_u_f64_e32 vcc, v[86:87], v[86:87]
	v_max_f64 v[26:27], v[90:91], v[26:27]
	v_cndmask_b32_e32 v29, v88, v86, vcc
	v_cndmask_b32_e32 v88, v89, v87, vcc
	v_cmp_u_f64_e64 s[26:27], v[54:55], v[54:55]
	v_cndmask_b32_e32 v26, v26, v86, vcc
	v_cndmask_b32_e32 v27, v27, v87, vcc
	v_cndmask_b32_e64 v89, v88, v55, s[26:27]
	v_cndmask_b32_e64 v88, v29, v54, s[26:27]
	;; [unrolled: 1-line block ×4, first 2 shown]
	v_cmp_neq_f64_e32 vcc, v[88:89], v[26:27]
	v_cmp_class_f64_e64 s[26:27], v[88:89], s7
	s_or_b64 s[26:27], vcc, s[26:27]
	s_and_saveexec_b64 s[64:65], s[26:27]
	s_xor_b64 s[64:65], exec, s[64:65]
	s_cbranch_execz .LBB49_113
; %bb.146:                              ;   in Loop: Header=BB49_114 Depth=1
	v_add_f64 v[86:87], v[88:89], -v[26:27]
	v_mul_f64 v[88:89], v[86:87], s[38:39]
	v_rndne_f64_e32 v[88:89], v[88:89]
	v_fma_f64 v[90:91], s[40:41], v[88:89], v[86:87]
	v_fmac_f64_e32 v[90:91], s[42:43], v[88:89]
	v_pk_mov_b32 v[112:113], v[56:57], v[56:57] op_sel:[0,1]
	v_fmac_f64_e32 v[112:113], s[44:45], v[90:91]
	v_pk_mov_b32 v[114:115], v[58:59], v[58:59] op_sel:[0,1]
	;; [unrolled: 2-line block ×9, first 2 shown]
	v_fmac_f64_e32 v[112:113], v[90:91], v[114:115]
	v_fma_f64 v[112:113], v[90:91], v[112:113], 1.0
	v_fma_f64 v[90:91], v[90:91], v[112:113], 1.0
	v_cvt_i32_f64_e32 v29, v[88:89]
	v_ldexp_f64 v[88:89], v[90:91], v29
	v_cmp_nlt_f64_e32 vcc, s[46:47], v[86:87]
	v_cmp_ngt_f64_e64 s[26:27], s[48:49], v[86:87]
	v_cndmask_b32_e32 v29, v109, v89, vcc
	s_and_b64 vcc, s[26:27], vcc
	v_cndmask_b32_e64 v87, 0, v29, s[26:27]
	v_cndmask_b32_e32 v86, 0, v88, vcc
	v_add_f64 v[88:89], v[86:87], 1.0
	v_add_f64 v[90:91], v[88:89], -1.0
	v_add_f64 v[112:113], v[90:91], -v[88:89]
	v_add_f64 v[112:113], v[112:113], 1.0
	v_add_f64 v[90:91], v[86:87], -v[90:91]
	v_add_f64 v[90:91], v[90:91], v[112:113]
	v_frexp_mant_f64_e32 v[112:113], v[88:89]
	v_frexp_exp_i32_f64_e32 v29, v[88:89]
	v_cmp_gt_f64_e32 vcc, s[50:51], v[112:113]
	v_subbrev_co_u32_e32 v29, vcc, 0, v29, vcc
	v_sub_u32_e32 v112, 0, v29
	v_ldexp_f64 v[88:89], v[88:89], v112
	v_ldexp_f64 v[90:91], v[90:91], v112
	v_add_f64 v[112:113], v[88:89], -1.0
	v_add_f64 v[118:119], v[88:89], 1.0
	v_add_f64 v[114:115], v[112:113], 1.0
	v_add_f64 v[120:121], v[118:119], -1.0
	v_add_f64 v[114:115], v[88:89], -v[114:115]
	v_add_f64 v[88:89], v[88:89], -v[120:121]
	v_add_f64 v[88:89], v[90:91], v[88:89]
	v_add_f64 v[114:115], v[90:91], v[114:115]
	;; [unrolled: 1-line block ×3, first 2 shown]
	v_rcp_f64_e32 v[120:121], v[90:91]
	v_add_f64 v[116:117], v[112:113], v[114:115]
	v_add_f64 v[112:113], v[116:117], -v[112:113]
	v_add_f64 v[112:113], v[114:115], -v[112:113]
	;; [unrolled: 1-line block ×4, first 2 shown]
	v_fma_f64 v[114:115], -v[90:91], v[120:121], 1.0
	v_fmac_f64_e32 v[120:121], v[114:115], v[120:121]
	v_fma_f64 v[114:115], -v[90:91], v[120:121], 1.0
	v_fmac_f64_e32 v[120:121], v[114:115], v[120:121]
	v_mul_f64 v[114:115], v[116:117], v[120:121]
	v_mul_f64 v[118:119], v[90:91], v[114:115]
	v_fma_f64 v[122:123], v[114:115], v[90:91], -v[118:119]
	v_fmac_f64_e32 v[122:123], v[114:115], v[88:89]
	v_add_f64 v[124:125], v[118:119], v[122:123]
	v_add_f64 v[126:127], v[116:117], -v[124:125]
	v_add_f64 v[116:117], v[116:117], -v[126:127]
	;; [unrolled: 1-line block ×4, first 2 shown]
	v_add_f64 v[112:113], v[112:113], v[116:117]
	v_add_f64 v[116:117], v[118:119], -v[122:123]
	v_add_f64 v[112:113], v[116:117], v[112:113]
	v_add_f64 v[116:117], v[126:127], v[112:113]
	v_add_f64 v[118:119], v[126:127], -v[116:117]
	v_add_f64 v[112:113], v[112:113], v[118:119]
	v_mul_f64 v[118:119], v[120:121], v[116:117]
	v_mul_f64 v[122:123], v[90:91], v[118:119]
	v_fma_f64 v[90:91], v[118:119], v[90:91], -v[122:123]
	v_fmac_f64_e32 v[90:91], v[118:119], v[88:89]
	v_add_f64 v[88:89], v[122:123], v[90:91]
	v_add_f64 v[124:125], v[116:117], -v[88:89]
	v_add_f64 v[116:117], v[116:117], -v[124:125]
	;; [unrolled: 1-line block ×4, first 2 shown]
	v_add_f64 v[88:89], v[112:113], v[88:89]
	v_add_f64 v[90:91], v[122:123], -v[90:91]
	v_add_f64 v[88:89], v[90:91], v[88:89]
	v_add_f64 v[90:91], v[114:115], v[118:119]
	;; [unrolled: 1-line block ×3, first 2 shown]
	v_add_f64 v[112:113], v[90:91], -v[114:115]
	v_mul_f64 v[88:89], v[120:121], v[88:89]
	v_add_f64 v[112:113], v[118:119], -v[112:113]
	v_add_f64 v[88:89], v[112:113], v[88:89]
	v_add_f64 v[112:113], v[90:91], v[88:89]
	v_add_f64 v[90:91], v[112:113], -v[90:91]
	v_add_f64 v[88:89], v[88:89], -v[90:91]
	v_mul_f64 v[90:91], v[112:113], v[112:113]
	v_pk_mov_b32 v[114:115], v[74:75], v[74:75] op_sel:[0,1]
	v_fmac_f64_e32 v[114:115], s[52:53], v[90:91]
	v_pk_mov_b32 v[116:117], v[76:77], v[76:77] op_sel:[0,1]
	v_fmac_f64_e32 v[116:117], v[90:91], v[114:115]
	;; [unrolled: 2-line block ×6, first 2 shown]
	v_cvt_f64_i32_e32 v[114:115], v29
	s_mov_b32 s54, s40
	v_mul_f64 v[118:119], v[114:115], s[54:55]
	v_fma_f64 v[120:121], v[114:115], s[54:55], -v[118:119]
	s_mov_b32 s60, s42
	v_fmac_f64_e32 v[120:121], s[60:61], v[114:115]
	v_add_f64 v[114:115], v[118:119], v[120:121]
	v_add_f64 v[118:119], v[114:115], -v[118:119]
	v_mul_f64 v[90:91], v[112:113], v[90:91]
	v_add_f64 v[118:119], v[120:121], -v[118:119]
	v_ldexp_f64 v[120:121], v[112:113], 1
	v_mul_f64 v[90:91], v[90:91], v[116:117]
	v_add_f64 v[112:113], v[120:121], v[90:91]
	v_add_f64 v[116:117], v[112:113], -v[120:121]
	v_ldexp_f64 v[88:89], v[88:89], 1
	v_add_f64 v[90:91], v[90:91], -v[116:117]
	v_add_f64 v[88:89], v[88:89], v[90:91]
	v_add_f64 v[90:91], v[112:113], v[88:89]
	v_add_f64 v[112:113], v[90:91], -v[112:113]
	v_add_f64 v[88:89], v[88:89], -v[112:113]
	v_add_f64 v[112:113], v[114:115], v[90:91]
	v_add_f64 v[116:117], v[112:113], -v[114:115]
	v_add_f64 v[120:121], v[112:113], -v[116:117]
	;; [unrolled: 1-line block ×4, first 2 shown]
	v_add_f64 v[90:91], v[90:91], v[114:115]
	v_add_f64 v[114:115], v[118:119], v[88:89]
	v_add_f64 v[116:117], v[114:115], -v[118:119]
	v_add_f64 v[90:91], v[114:115], v[90:91]
	v_add_f64 v[120:121], v[114:115], -v[116:117]
	;; [unrolled: 2-line block ×3, first 2 shown]
	v_add_f64 v[88:89], v[88:89], -v[116:117]
	v_add_f64 v[112:113], v[114:115], -v[112:113]
	v_add_f64 v[88:89], v[88:89], v[118:119]
	v_add_f64 v[90:91], v[90:91], -v[112:113]
	v_add_f64 v[88:89], v[88:89], v[90:91]
	v_add_f64 v[88:89], v[114:115], v[88:89]
	v_cmp_eq_f64_e32 vcc, s[62:63], v[86:87]
	v_cndmask_b32_e32 v29, v88, v86, vcc
	v_cndmask_b32_e32 v88, v89, v87, vcc
	v_cmp_ngt_f64_e32 vcc, -1.0, v[86:87]
	v_cndmask_b32_e32 v89, v110, v88, vcc
	v_cmp_nge_f64_e32 vcc, -1.0, v[86:87]
	v_cndmask_b32_e32 v88, 0, v29, vcc
	v_cmp_neq_f64_e32 vcc, -1.0, v[86:87]
	v_cndmask_b32_e32 v89, v111, v89, vcc
	v_add_f64 v[86:87], v[26:27], v[88:89]
	s_branch .LBB49_113
.LBB49_147:                             ;   in Loop: Header=BB49_114 Depth=1
                                        ; implicit-def: $vgpr86_vgpr87
                                        ; implicit-def: $vgpr28
	s_cbranch_execz .LBB49_114
; %bb.148:
	s_and_saveexec_b64 s[38:39], s[22:23]
	s_cbranch_execz .LBB49_152
; %bb.149:
	v_max_f64 v[24:25], v[22:23], v[22:23]
	v_max_f64 v[28:29], v[54:55], v[54:55]
	v_min_f64 v[26:27], v[28:29], v[24:25]
	v_cmp_u_f64_e32 vcc, v[54:55], v[54:55]
	v_max_f64 v[24:25], v[28:29], v[24:25]
	v_cndmask_b32_e32 v26, v26, v54, vcc
	v_cndmask_b32_e32 v27, v27, v55, vcc
	v_cmp_u_f64_e64 s[26:27], v[22:23], v[22:23]
	v_cndmask_b32_e32 v24, v24, v54, vcc
	v_cndmask_b32_e32 v25, v25, v55, vcc
	v_cndmask_b32_e64 v27, v27, v23, s[26:27]
	v_cndmask_b32_e64 v26, v26, v22, s[26:27]
	;; [unrolled: 1-line block ×4, first 2 shown]
	s_movk_i32 s7, 0x1f8
	v_cmp_neq_f64_e32 vcc, v[26:27], v[24:25]
	v_cmp_class_f64_e64 s[26:27], v[26:27], s7
	s_or_b64 s[26:27], vcc, s[26:27]
	v_pk_mov_b32 v[22:23], v[54:55], v[54:55] op_sel:[0,1]
	s_and_saveexec_b64 s[40:41], s[26:27]
	s_cbranch_execz .LBB49_151
; %bb.150:
	s_mov_b32 s26, 0x652b82fe
	v_add_f64 v[22:23], v[26:27], -v[24:25]
	s_mov_b32 s27, 0x3ff71547
	v_mul_f64 v[26:27], v[22:23], s[26:27]
	v_rndne_f64_e32 v[26:27], v[26:27]
	s_mov_b32 s43, 0xbfe62e42
	s_mov_b32 s42, 0xfefa39ef
	v_fma_f64 v[28:29], s[42:43], v[26:27], v[22:23]
	s_mov_b32 s45, 0xbc7abc9e
	s_mov_b32 s44, 0x3b39803f
	;; [unrolled: 1-line block ×3, first 2 shown]
	v_fmac_f64_e32 v[28:29], s[44:45], v[26:27]
	v_mov_b32_e32 v52, 0xfca7ab0c
	v_mov_b32_e32 v53, 0x3e928af3
	s_mov_b32 s27, 0x3e5ade15
	v_fmac_f64_e32 v[52:53], s[26:27], v[28:29]
	v_mov_b32_e32 v56, 0x623fde64
	v_mov_b32_e32 v57, 0x3ec71dee
	v_fmac_f64_e32 v[56:57], v[28:29], v[52:53]
	v_mov_b32_e32 v52, 0x7c89e6b0
	v_mov_b32_e32 v53, 0x3efa0199
	;; [unrolled: 3-line block ×8, first 2 shown]
	s_mov_b32 s26, 0
	v_fmac_f64_e32 v[52:53], v[28:29], v[56:57]
	s_mov_b32 s27, 0x40900000
	v_fma_f64 v[52:53], v[28:29], v[52:53], 1.0
	v_cmp_nlt_f64_e32 vcc, s[26:27], v[22:23]
	s_mov_b32 s26, 0
	v_fma_f64 v[28:29], v[28:29], v[52:53], 1.0
	v_cvt_i32_f64_e32 v26, v[26:27]
	s_mov_b32 s27, 0xc090cc00
	v_ldexp_f64 v[26:27], v[28:29], v26
	v_mov_b32_e32 v28, 0x7ff00000
	v_cmp_ngt_f64_e64 s[26:27], s[26:27], v[22:23]
	v_cndmask_b32_e32 v27, v28, v27, vcc
	s_and_b64 vcc, s[26:27], vcc
	v_cndmask_b32_e64 v23, 0, v27, s[26:27]
	v_cndmask_b32_e32 v22, 0, v26, vcc
	v_add_f64 v[26:27], v[22:23], 1.0
	v_add_f64 v[28:29], v[26:27], -1.0
	v_add_f64 v[52:53], v[28:29], -v[26:27]
	v_add_f64 v[52:53], v[52:53], 1.0
	v_add_f64 v[28:29], v[22:23], -v[28:29]
	s_mov_b32 s26, 0x55555555
	v_add_f64 v[28:29], v[28:29], v[52:53]
	v_frexp_mant_f64_e32 v[52:53], v[26:27]
	s_mov_b32 s27, 0x3fe55555
	v_frexp_exp_i32_f64_e32 v56, v[26:27]
	v_cmp_gt_f64_e32 vcc, s[26:27], v[52:53]
	v_subbrev_co_u32_e32 v70, vcc, 0, v56, vcc
	v_sub_u32_e32 v52, 0, v70
	v_ldexp_f64 v[26:27], v[26:27], v52
	v_ldexp_f64 v[28:29], v[28:29], v52
	v_add_f64 v[52:53], v[26:27], -1.0
	v_add_f64 v[60:61], v[26:27], 1.0
	v_add_f64 v[56:57], v[52:53], 1.0
	v_add_f64 v[62:63], v[60:61], -1.0
	v_add_f64 v[56:57], v[26:27], -v[56:57]
	v_add_f64 v[26:27], v[26:27], -v[62:63]
	v_add_f64 v[26:27], v[28:29], v[26:27]
	v_add_f64 v[56:57], v[28:29], v[56:57]
	;; [unrolled: 1-line block ×3, first 2 shown]
	v_rcp_f64_e32 v[62:63], v[28:29]
	v_add_f64 v[58:59], v[52:53], v[56:57]
	v_add_f64 v[52:53], v[58:59], -v[52:53]
	v_add_f64 v[52:53], v[56:57], -v[52:53]
	;; [unrolled: 1-line block ×4, first 2 shown]
	v_fma_f64 v[56:57], -v[28:29], v[62:63], 1.0
	v_fmac_f64_e32 v[62:63], v[56:57], v[62:63]
	v_fma_f64 v[56:57], -v[28:29], v[62:63], 1.0
	v_fmac_f64_e32 v[62:63], v[56:57], v[62:63]
	v_mul_f64 v[56:57], v[58:59], v[62:63]
	v_mul_f64 v[60:61], v[28:29], v[56:57]
	v_fma_f64 v[64:65], v[56:57], v[28:29], -v[60:61]
	v_fmac_f64_e32 v[64:65], v[56:57], v[26:27]
	v_add_f64 v[66:67], v[60:61], v[64:65]
	v_add_f64 v[68:69], v[58:59], -v[66:67]
	v_add_f64 v[58:59], v[58:59], -v[68:69]
	v_add_f64 v[60:61], v[66:67], -v[60:61]
	v_add_f64 v[58:59], v[58:59], -v[66:67]
	v_add_f64 v[52:53], v[52:53], v[58:59]
	v_add_f64 v[58:59], v[60:61], -v[64:65]
	v_add_f64 v[52:53], v[58:59], v[52:53]
	v_add_f64 v[58:59], v[68:69], v[52:53]
	v_add_f64 v[60:61], v[68:69], -v[58:59]
	v_add_f64 v[52:53], v[52:53], v[60:61]
	v_mul_f64 v[60:61], v[62:63], v[58:59]
	v_mul_f64 v[64:65], v[28:29], v[60:61]
	v_fma_f64 v[28:29], v[60:61], v[28:29], -v[64:65]
	v_fmac_f64_e32 v[28:29], v[60:61], v[26:27]
	v_add_f64 v[26:27], v[64:65], v[28:29]
	v_add_f64 v[66:67], v[58:59], -v[26:27]
	v_add_f64 v[58:59], v[58:59], -v[66:67]
	;; [unrolled: 1-line block ×4, first 2 shown]
	v_add_f64 v[26:27], v[52:53], v[26:27]
	v_add_f64 v[28:29], v[64:65], -v[28:29]
	v_add_f64 v[26:27], v[28:29], v[26:27]
	v_add_f64 v[28:29], v[56:57], v[60:61]
	;; [unrolled: 1-line block ×3, first 2 shown]
	v_add_f64 v[52:53], v[28:29], -v[56:57]
	v_mul_f64 v[26:27], v[62:63], v[26:27]
	v_add_f64 v[52:53], v[60:61], -v[52:53]
	v_add_f64 v[26:27], v[52:53], v[26:27]
	v_add_f64 v[52:53], v[28:29], v[26:27]
	v_add_f64 v[28:29], v[52:53], -v[28:29]
	s_mov_b32 s26, 0xbf559e2b
	v_add_f64 v[26:27], v[26:27], -v[28:29]
	v_mul_f64 v[28:29], v[52:53], v[52:53]
	v_mov_b32_e32 v56, 0x6b47b09a
	v_mov_b32_e32 v57, 0x3fc38538
	s_mov_b32 s27, 0x3fc3ab76
	v_fmac_f64_e32 v[56:57], s[26:27], v[28:29]
	v_mov_b32_e32 v58, 0xd7f4df2e
	v_mov_b32_e32 v59, 0x3fc7474d
	v_fmac_f64_e32 v[58:59], v[28:29], v[56:57]
	v_mov_b32_e32 v56, 0x16291751
	v_mov_b32_e32 v57, 0x3fcc71c0
	;; [unrolled: 3-line block ×5, first 2 shown]
	v_fmac_f64_e32 v[58:59], v[28:29], v[56:57]
	v_cvt_f64_i32_e32 v[56:57], v70
	s_mov_b32 s43, 0x3fe62e42
	v_mul_f64 v[60:61], v[56:57], s[42:43]
	v_fma_f64 v[62:63], v[56:57], s[42:43], -v[60:61]
	s_mov_b32 s45, 0x3c7abc9e
	v_fmac_f64_e32 v[62:63], s[44:45], v[56:57]
	v_add_f64 v[56:57], v[60:61], v[62:63]
	v_add_f64 v[60:61], v[56:57], -v[60:61]
	v_mul_f64 v[28:29], v[52:53], v[28:29]
	v_add_f64 v[60:61], v[62:63], -v[60:61]
	v_ldexp_f64 v[62:63], v[52:53], 1
	v_mul_f64 v[28:29], v[28:29], v[58:59]
	v_add_f64 v[52:53], v[62:63], v[28:29]
	v_add_f64 v[58:59], v[52:53], -v[62:63]
	v_ldexp_f64 v[26:27], v[26:27], 1
	v_add_f64 v[28:29], v[28:29], -v[58:59]
	v_add_f64 v[26:27], v[26:27], v[28:29]
	v_add_f64 v[28:29], v[52:53], v[26:27]
	v_add_f64 v[52:53], v[28:29], -v[52:53]
	v_add_f64 v[26:27], v[26:27], -v[52:53]
	v_add_f64 v[52:53], v[56:57], v[28:29]
	v_add_f64 v[58:59], v[52:53], -v[56:57]
	v_add_f64 v[62:63], v[52:53], -v[58:59]
	;; [unrolled: 1-line block ×4, first 2 shown]
	v_add_f64 v[28:29], v[28:29], v[56:57]
	v_add_f64 v[56:57], v[60:61], v[26:27]
	v_add_f64 v[58:59], v[56:57], -v[60:61]
	v_add_f64 v[28:29], v[56:57], v[28:29]
	v_add_f64 v[62:63], v[56:57], -v[58:59]
	;; [unrolled: 2-line block ×3, first 2 shown]
	v_add_f64 v[26:27], v[26:27], -v[58:59]
	v_add_f64 v[52:53], v[56:57], -v[52:53]
	v_add_f64 v[26:27], v[26:27], v[60:61]
	v_add_f64 v[28:29], v[28:29], -v[52:53]
	s_mov_b32 s26, 0
	v_add_f64 v[26:27], v[26:27], v[28:29]
	s_mov_b32 s27, 0x7ff00000
	v_add_f64 v[26:27], v[56:57], v[26:27]
	v_cmp_eq_f64_e32 vcc, s[26:27], v[22:23]
	v_cndmask_b32_e32 v26, v26, v22, vcc
	v_cndmask_b32_e32 v27, v27, v23, vcc
	v_mov_b32_e32 v28, 0x7ff80000
	v_cmp_ngt_f64_e32 vcc, -1.0, v[22:23]
	v_cndmask_b32_e32 v27, v28, v27, vcc
	v_cmp_nge_f64_e32 vcc, -1.0, v[22:23]
	v_cndmask_b32_e32 v26, 0, v26, vcc
	v_mov_b32_e32 v28, 0xfff00000
	v_cmp_neq_f64_e32 vcc, -1.0, v[22:23]
	v_cndmask_b32_e32 v27, v28, v27, vcc
	v_add_f64 v[22:23], v[24:25], v[26:27]
.LBB49_151:
	s_or_b64 exec, exec, s[40:41]
	s_add_i32 s6, s6, 64
	s_mov_b32 s7, 0
	s_lshl_b64 s[6:7], s[6:7], 4
	s_add_u32 s6, s58, s6
	s_addc_u32 s7, s59, s7
	v_mov_b32_e32 v24, 2
	v_mov_b32_e32 v25, 0
	v_pk_mov_b32 v[26:27], s[6:7], s[6:7] op_sel:[0,1]
	;;#ASMSTART
	global_store_dwordx4 v[26:27], v[22:25] off	
s_waitcnt vmcnt(0)
	;;#ASMEND
.LBB49_152:
	s_or_b64 exec, exec, s[38:39]
	v_cmp_eq_u32_e32 vcc, 0, v0
	s_and_b64 exec, exec, vcc
	s_cbranch_execz .LBB49_154
; %bb.153:
	v_mov_b32_e32 v22, 0
	ds_write_b64 v22, v[54:55] offset:8
.LBB49_154:
	s_or_b64 exec, exec, s[36:37]
	v_mov_b32_e32 v22, 0
	s_waitcnt lgkmcnt(0)
	s_barrier
	ds_read_b64 v[22:23], v22 offset:8
	v_cmp_ne_u32_e32 vcc, 0, v0
	v_pk_mov_b32 v[26:27], v[2:3], v[2:3] op_sel:[0,1]
	s_and_saveexec_b64 s[26:27], vcc
	s_cbranch_execz .LBB49_158
; %bb.155:
	v_cndmask_b32_e64 v27, v95, v51, s[22:23]
	v_cndmask_b32_e64 v26, v94, v50, s[22:23]
	v_max_f64 v[24:25], v[26:27], v[26:27]
	v_min_f64 v[28:29], v[24:25], v[48:49]
	v_cmp_u_f64_e32 vcc, v[26:27], v[26:27]
	v_max_f64 v[24:25], v[24:25], v[48:49]
	v_cndmask_b32_e32 v28, v28, v26, vcc
	v_cndmask_b32_e32 v29, v29, v27, vcc
	;; [unrolled: 1-line block ×4, first 2 shown]
	v_cndmask_b32_e64 v29, v29, v3, s[20:21]
	v_cndmask_b32_e64 v28, v28, v2, s[20:21]
	;; [unrolled: 1-line block ×4, first 2 shown]
	s_movk_i32 s6, 0x1f8
	v_cmp_neq_f64_e32 vcc, v[28:29], v[24:25]
	v_cmp_class_f64_e64 s[6:7], v[28:29], s6
	s_or_b64 s[6:7], vcc, s[6:7]
	s_and_saveexec_b64 s[20:21], s[6:7]
	s_cbranch_execz .LBB49_157
; %bb.156:
	s_mov_b32 s6, 0x652b82fe
	v_add_f64 v[26:27], v[28:29], -v[24:25]
	s_mov_b32 s7, 0x3ff71547
	v_mul_f64 v[28:29], v[26:27], s[6:7]
	v_rndne_f64_e32 v[28:29], v[28:29]
	s_mov_b32 s23, 0xbfe62e42
	s_mov_b32 s22, 0xfefa39ef
	v_fma_f64 v[48:49], s[22:23], v[28:29], v[26:27]
	s_mov_b32 s37, 0xbc7abc9e
	s_mov_b32 s36, 0x3b39803f
	;; [unrolled: 1-line block ×3, first 2 shown]
	v_fmac_f64_e32 v[48:49], s[36:37], v[28:29]
	v_mov_b32_e32 v50, 0xfca7ab0c
	v_mov_b32_e32 v51, 0x3e928af3
	s_mov_b32 s7, 0x3e5ade15
	v_fmac_f64_e32 v[50:51], s[6:7], v[48:49]
	v_mov_b32_e32 v52, 0x623fde64
	v_mov_b32_e32 v53, 0x3ec71dee
	v_fmac_f64_e32 v[52:53], v[48:49], v[50:51]
	v_mov_b32_e32 v50, 0x7c89e6b0
	v_mov_b32_e32 v51, 0x3efa0199
	;; [unrolled: 3-line block ×8, first 2 shown]
	s_mov_b32 s6, 0
	v_fmac_f64_e32 v[50:51], v[48:49], v[52:53]
	s_mov_b32 s7, 0x40900000
	v_fma_f64 v[50:51], v[48:49], v[50:51], 1.0
	v_cmp_nlt_f64_e32 vcc, s[6:7], v[26:27]
	s_mov_b32 s6, 0
	v_fma_f64 v[48:49], v[48:49], v[50:51], 1.0
	v_cvt_i32_f64_e32 v28, v[28:29]
	s_mov_b32 s7, 0xc090cc00
	v_ldexp_f64 v[28:29], v[48:49], v28
	v_mov_b32_e32 v48, 0x7ff00000
	v_cmp_ngt_f64_e64 s[6:7], s[6:7], v[26:27]
	v_cndmask_b32_e32 v29, v48, v29, vcc
	s_and_b64 vcc, s[6:7], vcc
	v_cndmask_b32_e64 v27, 0, v29, s[6:7]
	v_cndmask_b32_e32 v26, 0, v28, vcc
	v_add_f64 v[28:29], v[26:27], 1.0
	v_add_f64 v[48:49], v[28:29], -1.0
	v_add_f64 v[50:51], v[48:49], -v[28:29]
	v_add_f64 v[50:51], v[50:51], 1.0
	v_add_f64 v[48:49], v[26:27], -v[48:49]
	s_mov_b32 s6, 0x55555555
	v_add_f64 v[48:49], v[48:49], v[50:51]
	v_frexp_mant_f64_e32 v[50:51], v[28:29]
	s_mov_b32 s7, 0x3fe55555
	v_frexp_exp_i32_f64_e32 v52, v[28:29]
	v_cmp_gt_f64_e32 vcc, s[6:7], v[50:51]
	v_subbrev_co_u32_e32 v66, vcc, 0, v52, vcc
	v_sub_u32_e32 v50, 0, v66
	v_ldexp_f64 v[28:29], v[28:29], v50
	v_ldexp_f64 v[48:49], v[48:49], v50
	v_add_f64 v[50:51], v[28:29], -1.0
	v_add_f64 v[56:57], v[28:29], 1.0
	v_add_f64 v[52:53], v[50:51], 1.0
	v_add_f64 v[58:59], v[56:57], -1.0
	v_add_f64 v[52:53], v[28:29], -v[52:53]
	v_add_f64 v[28:29], v[28:29], -v[58:59]
	v_add_f64 v[28:29], v[48:49], v[28:29]
	v_add_f64 v[52:53], v[48:49], v[52:53]
	;; [unrolled: 1-line block ×3, first 2 shown]
	v_rcp_f64_e32 v[58:59], v[48:49]
	v_add_f64 v[54:55], v[50:51], v[52:53]
	v_add_f64 v[50:51], v[54:55], -v[50:51]
	v_add_f64 v[50:51], v[52:53], -v[50:51]
	;; [unrolled: 1-line block ×4, first 2 shown]
	v_fma_f64 v[52:53], -v[48:49], v[58:59], 1.0
	v_fmac_f64_e32 v[58:59], v[52:53], v[58:59]
	v_fma_f64 v[52:53], -v[48:49], v[58:59], 1.0
	v_fmac_f64_e32 v[58:59], v[52:53], v[58:59]
	v_mul_f64 v[52:53], v[54:55], v[58:59]
	v_mul_f64 v[56:57], v[48:49], v[52:53]
	v_fma_f64 v[60:61], v[52:53], v[48:49], -v[56:57]
	v_fmac_f64_e32 v[60:61], v[52:53], v[28:29]
	v_add_f64 v[62:63], v[56:57], v[60:61]
	v_add_f64 v[64:65], v[54:55], -v[62:63]
	v_add_f64 v[54:55], v[54:55], -v[64:65]
	;; [unrolled: 1-line block ×4, first 2 shown]
	v_add_f64 v[50:51], v[50:51], v[54:55]
	v_add_f64 v[54:55], v[56:57], -v[60:61]
	v_add_f64 v[50:51], v[54:55], v[50:51]
	v_add_f64 v[54:55], v[64:65], v[50:51]
	v_add_f64 v[56:57], v[64:65], -v[54:55]
	v_add_f64 v[50:51], v[50:51], v[56:57]
	v_mul_f64 v[56:57], v[58:59], v[54:55]
	v_mul_f64 v[60:61], v[48:49], v[56:57]
	v_fma_f64 v[48:49], v[56:57], v[48:49], -v[60:61]
	v_fmac_f64_e32 v[48:49], v[56:57], v[28:29]
	v_add_f64 v[28:29], v[60:61], v[48:49]
	v_add_f64 v[62:63], v[54:55], -v[28:29]
	v_add_f64 v[54:55], v[54:55], -v[62:63]
	;; [unrolled: 1-line block ×4, first 2 shown]
	v_add_f64 v[28:29], v[50:51], v[28:29]
	v_add_f64 v[48:49], v[60:61], -v[48:49]
	v_add_f64 v[28:29], v[48:49], v[28:29]
	v_add_f64 v[48:49], v[52:53], v[56:57]
	;; [unrolled: 1-line block ×3, first 2 shown]
	v_add_f64 v[50:51], v[48:49], -v[52:53]
	v_mul_f64 v[28:29], v[58:59], v[28:29]
	v_add_f64 v[50:51], v[56:57], -v[50:51]
	v_add_f64 v[28:29], v[50:51], v[28:29]
	v_add_f64 v[50:51], v[48:49], v[28:29]
	v_add_f64 v[48:49], v[50:51], -v[48:49]
	s_mov_b32 s6, 0xbf559e2b
	v_add_f64 v[28:29], v[28:29], -v[48:49]
	v_mul_f64 v[48:49], v[50:51], v[50:51]
	v_mov_b32_e32 v52, 0x6b47b09a
	v_mov_b32_e32 v53, 0x3fc38538
	s_mov_b32 s7, 0x3fc3ab76
	v_fmac_f64_e32 v[52:53], s[6:7], v[48:49]
	v_mov_b32_e32 v54, 0xd7f4df2e
	v_mov_b32_e32 v55, 0x3fc7474d
	v_fmac_f64_e32 v[54:55], v[48:49], v[52:53]
	v_mov_b32_e32 v52, 0x16291751
	v_mov_b32_e32 v53, 0x3fcc71c0
	;; [unrolled: 3-line block ×5, first 2 shown]
	v_fmac_f64_e32 v[54:55], v[48:49], v[52:53]
	v_cvt_f64_i32_e32 v[52:53], v66
	s_mov_b32 s23, 0x3fe62e42
	v_mul_f64 v[56:57], v[52:53], s[22:23]
	v_fma_f64 v[58:59], v[52:53], s[22:23], -v[56:57]
	s_mov_b32 s37, 0x3c7abc9e
	v_fmac_f64_e32 v[58:59], s[36:37], v[52:53]
	v_add_f64 v[52:53], v[56:57], v[58:59]
	v_add_f64 v[56:57], v[52:53], -v[56:57]
	v_mul_f64 v[48:49], v[50:51], v[48:49]
	v_add_f64 v[56:57], v[58:59], -v[56:57]
	v_ldexp_f64 v[58:59], v[50:51], 1
	v_mul_f64 v[48:49], v[48:49], v[54:55]
	v_add_f64 v[50:51], v[58:59], v[48:49]
	v_add_f64 v[54:55], v[50:51], -v[58:59]
	v_ldexp_f64 v[28:29], v[28:29], 1
	v_add_f64 v[48:49], v[48:49], -v[54:55]
	v_add_f64 v[28:29], v[28:29], v[48:49]
	v_add_f64 v[48:49], v[50:51], v[28:29]
	v_add_f64 v[50:51], v[48:49], -v[50:51]
	v_add_f64 v[28:29], v[28:29], -v[50:51]
	v_add_f64 v[50:51], v[52:53], v[48:49]
	v_add_f64 v[54:55], v[50:51], -v[52:53]
	v_add_f64 v[58:59], v[50:51], -v[54:55]
	;; [unrolled: 1-line block ×4, first 2 shown]
	v_add_f64 v[48:49], v[48:49], v[52:53]
	v_add_f64 v[52:53], v[56:57], v[28:29]
	v_add_f64 v[54:55], v[52:53], -v[56:57]
	v_add_f64 v[48:49], v[52:53], v[48:49]
	v_add_f64 v[58:59], v[52:53], -v[54:55]
	;; [unrolled: 2-line block ×3, first 2 shown]
	v_add_f64 v[28:29], v[28:29], -v[54:55]
	v_add_f64 v[50:51], v[52:53], -v[50:51]
	v_add_f64 v[28:29], v[28:29], v[56:57]
	v_add_f64 v[48:49], v[48:49], -v[50:51]
	s_mov_b32 s6, 0
	v_add_f64 v[28:29], v[28:29], v[48:49]
	s_mov_b32 s7, 0x7ff00000
	v_add_f64 v[28:29], v[52:53], v[28:29]
	v_cmp_eq_f64_e32 vcc, s[6:7], v[26:27]
	v_cndmask_b32_e32 v28, v28, v26, vcc
	v_cndmask_b32_e32 v29, v29, v27, vcc
	v_mov_b32_e32 v48, 0x7ff80000
	v_cmp_ngt_f64_e32 vcc, -1.0, v[26:27]
	v_cndmask_b32_e32 v29, v48, v29, vcc
	v_cmp_nge_f64_e32 vcc, -1.0, v[26:27]
	v_cndmask_b32_e32 v28, 0, v28, vcc
	v_mov_b32_e32 v48, 0xfff00000
	v_cmp_neq_f64_e32 vcc, -1.0, v[26:27]
	v_cndmask_b32_e32 v29, v48, v29, vcc
	v_add_f64 v[26:27], v[24:25], v[28:29]
.LBB49_157:
	s_or_b64 exec, exec, s[20:21]
.LBB49_158:
	s_or_b64 exec, exec, s[26:27]
	v_max_f64 v[24:25], v[26:27], v[26:27]
	s_waitcnt lgkmcnt(0)
	v_max_f64 v[48:49], v[22:23], v[22:23]
	v_min_f64 v[28:29], v[48:49], v[24:25]
	v_cmp_u_f64_e32 vcc, v[22:23], v[22:23]
	v_max_f64 v[24:25], v[48:49], v[24:25]
	v_cndmask_b32_e32 v28, v28, v22, vcc
	v_cndmask_b32_e32 v29, v29, v23, vcc
	v_cmp_u_f64_e64 s[6:7], v[26:27], v[26:27]
	v_cndmask_b32_e32 v24, v24, v22, vcc
	v_cndmask_b32_e32 v25, v25, v23, vcc
	v_cndmask_b32_e64 v29, v29, v27, s[6:7]
	v_cndmask_b32_e64 v28, v28, v26, s[6:7]
	;; [unrolled: 1-line block ×4, first 2 shown]
	s_movk_i32 s36, 0x1f8
	v_cmp_neq_f64_e32 vcc, v[28:29], v[24:25]
	v_cmp_class_f64_e64 s[6:7], v[28:29], s36
	s_or_b64 s[6:7], vcc, s[6:7]
	s_and_saveexec_b64 s[20:21], s[6:7]
	s_cbranch_execz .LBB49_160
; %bb.159:
	s_mov_b32 s6, 0x652b82fe
	v_add_f64 v[22:23], v[28:29], -v[24:25]
	s_mov_b32 s7, 0x3ff71547
	v_mul_f64 v[26:27], v[22:23], s[6:7]
	v_rndne_f64_e32 v[26:27], v[26:27]
	s_mov_b32 s23, 0xbfe62e42
	s_mov_b32 s22, 0xfefa39ef
	v_fma_f64 v[28:29], s[22:23], v[26:27], v[22:23]
	s_mov_b32 s27, 0xbc7abc9e
	s_mov_b32 s26, 0x3b39803f
	;; [unrolled: 1-line block ×3, first 2 shown]
	v_fmac_f64_e32 v[28:29], s[26:27], v[26:27]
	v_mov_b32_e32 v48, 0xfca7ab0c
	v_mov_b32_e32 v49, 0x3e928af3
	s_mov_b32 s7, 0x3e5ade15
	v_fmac_f64_e32 v[48:49], s[6:7], v[28:29]
	v_mov_b32_e32 v50, 0x623fde64
	v_mov_b32_e32 v51, 0x3ec71dee
	v_fmac_f64_e32 v[50:51], v[28:29], v[48:49]
	v_mov_b32_e32 v48, 0x7c89e6b0
	v_mov_b32_e32 v49, 0x3efa0199
	;; [unrolled: 3-line block ×8, first 2 shown]
	s_mov_b32 s6, 0
	v_fmac_f64_e32 v[48:49], v[28:29], v[50:51]
	s_mov_b32 s7, 0x40900000
	v_fma_f64 v[48:49], v[28:29], v[48:49], 1.0
	v_cmp_nlt_f64_e32 vcc, s[6:7], v[22:23]
	s_mov_b32 s6, 0
	v_fma_f64 v[28:29], v[28:29], v[48:49], 1.0
	v_cvt_i32_f64_e32 v26, v[26:27]
	s_mov_b32 s7, 0xc090cc00
	v_ldexp_f64 v[26:27], v[28:29], v26
	v_mov_b32_e32 v28, 0x7ff00000
	v_cmp_ngt_f64_e64 s[6:7], s[6:7], v[22:23]
	v_cndmask_b32_e32 v27, v28, v27, vcc
	s_and_b64 vcc, s[6:7], vcc
	v_cndmask_b32_e64 v23, 0, v27, s[6:7]
	v_cndmask_b32_e32 v22, 0, v26, vcc
	v_add_f64 v[26:27], v[22:23], 1.0
	v_add_f64 v[28:29], v[26:27], -1.0
	v_add_f64 v[48:49], v[28:29], -v[26:27]
	v_add_f64 v[48:49], v[48:49], 1.0
	v_add_f64 v[28:29], v[22:23], -v[28:29]
	s_mov_b32 s6, 0x55555555
	v_add_f64 v[28:29], v[28:29], v[48:49]
	v_frexp_mant_f64_e32 v[48:49], v[26:27]
	s_mov_b32 s7, 0x3fe55555
	v_frexp_exp_i32_f64_e32 v50, v[26:27]
	v_cmp_gt_f64_e32 vcc, s[6:7], v[48:49]
	v_subbrev_co_u32_e32 v64, vcc, 0, v50, vcc
	v_sub_u32_e32 v48, 0, v64
	v_ldexp_f64 v[26:27], v[26:27], v48
	v_ldexp_f64 v[28:29], v[28:29], v48
	v_add_f64 v[48:49], v[26:27], -1.0
	v_add_f64 v[54:55], v[26:27], 1.0
	v_add_f64 v[50:51], v[48:49], 1.0
	v_add_f64 v[56:57], v[54:55], -1.0
	v_add_f64 v[50:51], v[26:27], -v[50:51]
	v_add_f64 v[26:27], v[26:27], -v[56:57]
	v_add_f64 v[26:27], v[28:29], v[26:27]
	v_add_f64 v[50:51], v[28:29], v[50:51]
	;; [unrolled: 1-line block ×3, first 2 shown]
	v_rcp_f64_e32 v[56:57], v[28:29]
	v_add_f64 v[52:53], v[48:49], v[50:51]
	v_add_f64 v[48:49], v[52:53], -v[48:49]
	v_add_f64 v[48:49], v[50:51], -v[48:49]
	;; [unrolled: 1-line block ×4, first 2 shown]
	v_fma_f64 v[50:51], -v[28:29], v[56:57], 1.0
	v_fmac_f64_e32 v[56:57], v[50:51], v[56:57]
	v_fma_f64 v[50:51], -v[28:29], v[56:57], 1.0
	v_fmac_f64_e32 v[56:57], v[50:51], v[56:57]
	v_mul_f64 v[50:51], v[52:53], v[56:57]
	v_mul_f64 v[54:55], v[28:29], v[50:51]
	v_fma_f64 v[58:59], v[50:51], v[28:29], -v[54:55]
	v_fmac_f64_e32 v[58:59], v[50:51], v[26:27]
	v_add_f64 v[60:61], v[54:55], v[58:59]
	v_add_f64 v[62:63], v[52:53], -v[60:61]
	v_add_f64 v[52:53], v[52:53], -v[62:63]
	;; [unrolled: 1-line block ×4, first 2 shown]
	v_add_f64 v[48:49], v[48:49], v[52:53]
	v_add_f64 v[52:53], v[54:55], -v[58:59]
	v_add_f64 v[48:49], v[52:53], v[48:49]
	v_add_f64 v[52:53], v[62:63], v[48:49]
	v_add_f64 v[54:55], v[62:63], -v[52:53]
	v_add_f64 v[48:49], v[48:49], v[54:55]
	v_mul_f64 v[54:55], v[56:57], v[52:53]
	v_mul_f64 v[58:59], v[28:29], v[54:55]
	v_fma_f64 v[28:29], v[54:55], v[28:29], -v[58:59]
	v_fmac_f64_e32 v[28:29], v[54:55], v[26:27]
	v_add_f64 v[26:27], v[58:59], v[28:29]
	v_add_f64 v[60:61], v[52:53], -v[26:27]
	v_add_f64 v[52:53], v[52:53], -v[60:61]
	;; [unrolled: 1-line block ×4, first 2 shown]
	v_add_f64 v[26:27], v[48:49], v[26:27]
	v_add_f64 v[28:29], v[58:59], -v[28:29]
	v_add_f64 v[26:27], v[28:29], v[26:27]
	v_add_f64 v[28:29], v[50:51], v[54:55]
	v_add_f64 v[26:27], v[60:61], v[26:27]
	v_add_f64 v[48:49], v[28:29], -v[50:51]
	v_mul_f64 v[26:27], v[56:57], v[26:27]
	v_add_f64 v[48:49], v[54:55], -v[48:49]
	v_add_f64 v[26:27], v[48:49], v[26:27]
	v_add_f64 v[48:49], v[28:29], v[26:27]
	v_add_f64 v[28:29], v[48:49], -v[28:29]
	s_mov_b32 s6, 0xbf559e2b
	v_add_f64 v[26:27], v[26:27], -v[28:29]
	v_mul_f64 v[28:29], v[48:49], v[48:49]
	v_mov_b32_e32 v50, 0x6b47b09a
	v_mov_b32_e32 v51, 0x3fc38538
	s_mov_b32 s7, 0x3fc3ab76
	v_fmac_f64_e32 v[50:51], s[6:7], v[28:29]
	v_mov_b32_e32 v52, 0xd7f4df2e
	v_mov_b32_e32 v53, 0x3fc7474d
	v_fmac_f64_e32 v[52:53], v[28:29], v[50:51]
	v_mov_b32_e32 v50, 0x16291751
	v_mov_b32_e32 v51, 0x3fcc71c0
	;; [unrolled: 3-line block ×5, first 2 shown]
	v_fmac_f64_e32 v[52:53], v[28:29], v[50:51]
	v_cvt_f64_i32_e32 v[50:51], v64
	s_mov_b32 s23, 0x3fe62e42
	v_mul_f64 v[54:55], v[50:51], s[22:23]
	v_fma_f64 v[56:57], v[50:51], s[22:23], -v[54:55]
	s_mov_b32 s27, 0x3c7abc9e
	v_fmac_f64_e32 v[56:57], s[26:27], v[50:51]
	v_add_f64 v[50:51], v[54:55], v[56:57]
	v_add_f64 v[54:55], v[50:51], -v[54:55]
	v_mul_f64 v[28:29], v[48:49], v[28:29]
	v_add_f64 v[54:55], v[56:57], -v[54:55]
	v_ldexp_f64 v[56:57], v[48:49], 1
	v_mul_f64 v[28:29], v[28:29], v[52:53]
	v_add_f64 v[48:49], v[56:57], v[28:29]
	v_add_f64 v[52:53], v[48:49], -v[56:57]
	v_ldexp_f64 v[26:27], v[26:27], 1
	v_add_f64 v[28:29], v[28:29], -v[52:53]
	v_add_f64 v[26:27], v[26:27], v[28:29]
	v_add_f64 v[28:29], v[48:49], v[26:27]
	v_add_f64 v[48:49], v[28:29], -v[48:49]
	v_add_f64 v[26:27], v[26:27], -v[48:49]
	v_add_f64 v[48:49], v[50:51], v[28:29]
	v_add_f64 v[52:53], v[48:49], -v[50:51]
	v_add_f64 v[56:57], v[48:49], -v[52:53]
	;; [unrolled: 1-line block ×4, first 2 shown]
	v_add_f64 v[28:29], v[28:29], v[50:51]
	v_add_f64 v[50:51], v[54:55], v[26:27]
	v_add_f64 v[52:53], v[50:51], -v[54:55]
	v_add_f64 v[28:29], v[50:51], v[28:29]
	v_add_f64 v[56:57], v[50:51], -v[52:53]
	;; [unrolled: 2-line block ×3, first 2 shown]
	v_add_f64 v[26:27], v[26:27], -v[52:53]
	v_add_f64 v[48:49], v[50:51], -v[48:49]
	v_add_f64 v[26:27], v[26:27], v[54:55]
	v_add_f64 v[28:29], v[28:29], -v[48:49]
	s_mov_b32 s6, 0
	v_add_f64 v[26:27], v[26:27], v[28:29]
	s_mov_b32 s7, 0x7ff00000
	v_add_f64 v[26:27], v[50:51], v[26:27]
	v_cmp_eq_f64_e32 vcc, s[6:7], v[22:23]
	v_cndmask_b32_e32 v26, v26, v22, vcc
	v_cndmask_b32_e32 v27, v27, v23, vcc
	v_mov_b32_e32 v28, 0x7ff80000
	v_cmp_ngt_f64_e32 vcc, -1.0, v[22:23]
	v_cndmask_b32_e32 v27, v28, v27, vcc
	v_cmp_nge_f64_e32 vcc, -1.0, v[22:23]
	v_cndmask_b32_e32 v26, 0, v26, vcc
	v_mov_b32_e32 v28, 0xfff00000
	v_cmp_neq_f64_e32 vcc, -1.0, v[22:23]
	v_cndmask_b32_e32 v27, v28, v27, vcc
	v_add_f64 v[22:23], v[24:25], v[26:27]
.LBB49_160:
	s_or_b64 exec, exec, s[20:21]
	v_max_f64 v[24:25], v[22:23], v[22:23]
	v_min_f64 v[26:27], v[24:25], v[42:43]
	v_cmp_u_f64_e32 vcc, v[22:23], v[22:23]
	v_max_f64 v[24:25], v[24:25], v[42:43]
	v_cndmask_b32_e32 v26, v26, v22, vcc
	v_cndmask_b32_e32 v27, v27, v23, vcc
	v_cndmask_b32_e32 v24, v24, v22, vcc
	v_cndmask_b32_e32 v25, v25, v23, vcc
	v_cndmask_b32_e64 v29, v27, v5, s[0:1]
	v_cndmask_b32_e64 v28, v26, v4, s[0:1]
	;; [unrolled: 1-line block ×4, first 2 shown]
	v_cmp_neq_f64_e32 vcc, v[28:29], v[26:27]
	v_cmp_class_f64_e64 s[0:1], v[28:29], s36
	s_or_b64 s[0:1], vcc, s[0:1]
	v_pk_mov_b32 v[24:25], v[22:23], v[22:23] op_sel:[0,1]
	s_and_saveexec_b64 s[6:7], s[0:1]
	s_cbranch_execz .LBB49_162
; %bb.161:
	s_mov_b32 s0, 0x652b82fe
	v_add_f64 v[24:25], v[28:29], -v[26:27]
	s_mov_b32 s1, 0x3ff71547
	v_mul_f64 v[28:29], v[24:25], s[0:1]
	v_rndne_f64_e32 v[28:29], v[28:29]
	s_mov_b32 s21, 0xbfe62e42
	s_mov_b32 s20, 0xfefa39ef
	v_fma_f64 v[48:49], s[20:21], v[28:29], v[24:25]
	s_mov_b32 s23, 0xbc7abc9e
	s_mov_b32 s22, 0x3b39803f
	;; [unrolled: 1-line block ×3, first 2 shown]
	v_fmac_f64_e32 v[48:49], s[22:23], v[28:29]
	v_mov_b32_e32 v50, 0xfca7ab0c
	v_mov_b32_e32 v51, 0x3e928af3
	s_mov_b32 s1, 0x3e5ade15
	v_fmac_f64_e32 v[50:51], s[0:1], v[48:49]
	v_mov_b32_e32 v52, 0x623fde64
	v_mov_b32_e32 v53, 0x3ec71dee
	v_fmac_f64_e32 v[52:53], v[48:49], v[50:51]
	v_mov_b32_e32 v50, 0x7c89e6b0
	v_mov_b32_e32 v51, 0x3efa0199
	;; [unrolled: 3-line block ×8, first 2 shown]
	s_mov_b32 s0, 0
	v_fmac_f64_e32 v[50:51], v[48:49], v[52:53]
	s_mov_b32 s1, 0x40900000
	v_fma_f64 v[50:51], v[48:49], v[50:51], 1.0
	v_cmp_nlt_f64_e32 vcc, s[0:1], v[24:25]
	s_mov_b32 s0, 0
	v_fma_f64 v[48:49], v[48:49], v[50:51], 1.0
	v_cvt_i32_f64_e32 v28, v[28:29]
	s_mov_b32 s1, 0xc090cc00
	v_ldexp_f64 v[28:29], v[48:49], v28
	v_mov_b32_e32 v48, 0x7ff00000
	v_cmp_ngt_f64_e64 s[0:1], s[0:1], v[24:25]
	v_cndmask_b32_e32 v29, v48, v29, vcc
	s_and_b64 vcc, s[0:1], vcc
	v_cndmask_b32_e64 v25, 0, v29, s[0:1]
	v_cndmask_b32_e32 v24, 0, v28, vcc
	v_add_f64 v[28:29], v[24:25], 1.0
	v_add_f64 v[48:49], v[28:29], -1.0
	v_add_f64 v[50:51], v[48:49], -v[28:29]
	v_add_f64 v[50:51], v[50:51], 1.0
	v_add_f64 v[48:49], v[24:25], -v[48:49]
	s_mov_b32 s0, 0x55555555
	v_add_f64 v[48:49], v[48:49], v[50:51]
	v_frexp_mant_f64_e32 v[50:51], v[28:29]
	s_mov_b32 s1, 0x3fe55555
	v_frexp_exp_i32_f64_e32 v52, v[28:29]
	v_cmp_gt_f64_e32 vcc, s[0:1], v[50:51]
	v_subbrev_co_u32_e32 v66, vcc, 0, v52, vcc
	v_sub_u32_e32 v50, 0, v66
	v_ldexp_f64 v[28:29], v[28:29], v50
	v_ldexp_f64 v[48:49], v[48:49], v50
	v_add_f64 v[50:51], v[28:29], -1.0
	v_add_f64 v[56:57], v[28:29], 1.0
	v_add_f64 v[52:53], v[50:51], 1.0
	v_add_f64 v[58:59], v[56:57], -1.0
	v_add_f64 v[52:53], v[28:29], -v[52:53]
	v_add_f64 v[28:29], v[28:29], -v[58:59]
	v_add_f64 v[28:29], v[48:49], v[28:29]
	v_add_f64 v[52:53], v[48:49], v[52:53]
	;; [unrolled: 1-line block ×3, first 2 shown]
	v_rcp_f64_e32 v[58:59], v[48:49]
	v_add_f64 v[54:55], v[50:51], v[52:53]
	v_add_f64 v[50:51], v[54:55], -v[50:51]
	v_add_f64 v[50:51], v[52:53], -v[50:51]
	;; [unrolled: 1-line block ×4, first 2 shown]
	v_fma_f64 v[52:53], -v[48:49], v[58:59], 1.0
	v_fmac_f64_e32 v[58:59], v[52:53], v[58:59]
	v_fma_f64 v[52:53], -v[48:49], v[58:59], 1.0
	v_fmac_f64_e32 v[58:59], v[52:53], v[58:59]
	v_mul_f64 v[52:53], v[54:55], v[58:59]
	v_mul_f64 v[56:57], v[48:49], v[52:53]
	v_fma_f64 v[60:61], v[52:53], v[48:49], -v[56:57]
	v_fmac_f64_e32 v[60:61], v[52:53], v[28:29]
	v_add_f64 v[62:63], v[56:57], v[60:61]
	v_add_f64 v[64:65], v[54:55], -v[62:63]
	v_add_f64 v[54:55], v[54:55], -v[64:65]
	;; [unrolled: 1-line block ×4, first 2 shown]
	v_add_f64 v[50:51], v[50:51], v[54:55]
	v_add_f64 v[54:55], v[56:57], -v[60:61]
	v_add_f64 v[50:51], v[54:55], v[50:51]
	v_add_f64 v[54:55], v[64:65], v[50:51]
	v_add_f64 v[56:57], v[64:65], -v[54:55]
	v_add_f64 v[50:51], v[50:51], v[56:57]
	v_mul_f64 v[56:57], v[58:59], v[54:55]
	v_mul_f64 v[60:61], v[48:49], v[56:57]
	v_fma_f64 v[48:49], v[56:57], v[48:49], -v[60:61]
	v_fmac_f64_e32 v[48:49], v[56:57], v[28:29]
	v_add_f64 v[28:29], v[60:61], v[48:49]
	v_add_f64 v[62:63], v[54:55], -v[28:29]
	v_add_f64 v[54:55], v[54:55], -v[62:63]
	;; [unrolled: 1-line block ×4, first 2 shown]
	v_add_f64 v[28:29], v[50:51], v[28:29]
	v_add_f64 v[48:49], v[60:61], -v[48:49]
	v_add_f64 v[28:29], v[48:49], v[28:29]
	v_add_f64 v[48:49], v[52:53], v[56:57]
	;; [unrolled: 1-line block ×3, first 2 shown]
	v_add_f64 v[50:51], v[48:49], -v[52:53]
	v_mul_f64 v[28:29], v[58:59], v[28:29]
	v_add_f64 v[50:51], v[56:57], -v[50:51]
	v_add_f64 v[28:29], v[50:51], v[28:29]
	v_add_f64 v[50:51], v[48:49], v[28:29]
	v_add_f64 v[48:49], v[50:51], -v[48:49]
	s_mov_b32 s0, 0xbf559e2b
	v_add_f64 v[28:29], v[28:29], -v[48:49]
	v_mul_f64 v[48:49], v[50:51], v[50:51]
	v_mov_b32_e32 v52, 0x6b47b09a
	v_mov_b32_e32 v53, 0x3fc38538
	s_mov_b32 s1, 0x3fc3ab76
	v_fmac_f64_e32 v[52:53], s[0:1], v[48:49]
	v_mov_b32_e32 v54, 0xd7f4df2e
	v_mov_b32_e32 v55, 0x3fc7474d
	v_fmac_f64_e32 v[54:55], v[48:49], v[52:53]
	v_mov_b32_e32 v52, 0x16291751
	v_mov_b32_e32 v53, 0x3fcc71c0
	;; [unrolled: 3-line block ×5, first 2 shown]
	v_fmac_f64_e32 v[54:55], v[48:49], v[52:53]
	v_cvt_f64_i32_e32 v[52:53], v66
	s_mov_b32 s21, 0x3fe62e42
	v_mul_f64 v[56:57], v[52:53], s[20:21]
	v_fma_f64 v[58:59], v[52:53], s[20:21], -v[56:57]
	s_mov_b32 s23, 0x3c7abc9e
	v_fmac_f64_e32 v[58:59], s[22:23], v[52:53]
	v_add_f64 v[52:53], v[56:57], v[58:59]
	v_add_f64 v[56:57], v[52:53], -v[56:57]
	v_mul_f64 v[48:49], v[50:51], v[48:49]
	v_add_f64 v[56:57], v[58:59], -v[56:57]
	v_ldexp_f64 v[58:59], v[50:51], 1
	v_mul_f64 v[48:49], v[48:49], v[54:55]
	v_add_f64 v[50:51], v[58:59], v[48:49]
	v_add_f64 v[54:55], v[50:51], -v[58:59]
	v_ldexp_f64 v[28:29], v[28:29], 1
	v_add_f64 v[48:49], v[48:49], -v[54:55]
	v_add_f64 v[28:29], v[28:29], v[48:49]
	v_add_f64 v[48:49], v[50:51], v[28:29]
	v_add_f64 v[50:51], v[48:49], -v[50:51]
	v_add_f64 v[28:29], v[28:29], -v[50:51]
	v_add_f64 v[50:51], v[52:53], v[48:49]
	v_add_f64 v[54:55], v[50:51], -v[52:53]
	v_add_f64 v[58:59], v[50:51], -v[54:55]
	;; [unrolled: 1-line block ×4, first 2 shown]
	v_add_f64 v[48:49], v[48:49], v[52:53]
	v_add_f64 v[52:53], v[56:57], v[28:29]
	v_add_f64 v[54:55], v[52:53], -v[56:57]
	v_add_f64 v[48:49], v[52:53], v[48:49]
	v_add_f64 v[58:59], v[52:53], -v[54:55]
	;; [unrolled: 2-line block ×3, first 2 shown]
	v_add_f64 v[28:29], v[28:29], -v[54:55]
	v_add_f64 v[50:51], v[52:53], -v[50:51]
	v_add_f64 v[28:29], v[28:29], v[56:57]
	v_add_f64 v[48:49], v[48:49], -v[50:51]
	s_mov_b32 s0, 0
	v_add_f64 v[28:29], v[28:29], v[48:49]
	s_mov_b32 s1, 0x7ff00000
	v_add_f64 v[28:29], v[52:53], v[28:29]
	v_cmp_eq_f64_e32 vcc, s[0:1], v[24:25]
	v_cndmask_b32_e32 v28, v28, v24, vcc
	v_cndmask_b32_e32 v29, v29, v25, vcc
	v_mov_b32_e32 v48, 0x7ff80000
	v_cmp_ngt_f64_e32 vcc, -1.0, v[24:25]
	v_cndmask_b32_e32 v29, v48, v29, vcc
	v_cmp_nge_f64_e32 vcc, -1.0, v[24:25]
	v_cndmask_b32_e32 v28, 0, v28, vcc
	v_mov_b32_e32 v48, 0xfff00000
	v_cmp_neq_f64_e32 vcc, -1.0, v[24:25]
	v_cndmask_b32_e32 v29, v48, v29, vcc
	v_add_f64 v[24:25], v[26:27], v[28:29]
.LBB49_162:
	s_or_b64 exec, exec, s[6:7]
	v_max_f64 v[26:27], v[24:25], v[24:25]
	v_min_f64 v[28:29], v[26:27], v[30:31]
	v_cmp_u_f64_e32 vcc, v[24:25], v[24:25]
	v_max_f64 v[26:27], v[26:27], v[30:31]
	v_cndmask_b32_e32 v28, v28, v24, vcc
	v_cndmask_b32_e32 v29, v29, v25, vcc
	v_cndmask_b32_e32 v26, v26, v24, vcc
	v_cndmask_b32_e32 v27, v27, v25, vcc
	v_cndmask_b32_e64 v49, v29, v19, s[2:3]
	v_cndmask_b32_e64 v48, v28, v18, s[2:3]
	;; [unrolled: 1-line block ×4, first 2 shown]
	s_movk_i32 s22, 0x1f8
	v_cmp_neq_f64_e32 vcc, v[48:49], v[28:29]
	v_cmp_class_f64_e64 s[0:1], v[48:49], s22
	s_or_b64 s[0:1], vcc, s[0:1]
	v_pk_mov_b32 v[26:27], v[24:25], v[24:25] op_sel:[0,1]
	s_and_saveexec_b64 s[2:3], s[0:1]
	s_cbranch_execz .LBB49_164
; %bb.163:
	s_mov_b32 s0, 0x652b82fe
	v_add_f64 v[26:27], v[48:49], -v[28:29]
	s_mov_b32 s1, 0x3ff71547
	v_mul_f64 v[30:31], v[26:27], s[0:1]
	v_rndne_f64_e32 v[30:31], v[30:31]
	s_mov_b32 s7, 0xbfe62e42
	s_mov_b32 s6, 0xfefa39ef
	v_fma_f64 v[48:49], s[6:7], v[30:31], v[26:27]
	s_mov_b32 s21, 0xbc7abc9e
	s_mov_b32 s20, 0x3b39803f
	;; [unrolled: 1-line block ×3, first 2 shown]
	v_fmac_f64_e32 v[48:49], s[20:21], v[30:31]
	v_mov_b32_e32 v50, 0xfca7ab0c
	v_mov_b32_e32 v51, 0x3e928af3
	s_mov_b32 s1, 0x3e5ade15
	v_fmac_f64_e32 v[50:51], s[0:1], v[48:49]
	v_mov_b32_e32 v52, 0x623fde64
	v_mov_b32_e32 v53, 0x3ec71dee
	v_fmac_f64_e32 v[52:53], v[48:49], v[50:51]
	v_mov_b32_e32 v50, 0x7c89e6b0
	v_mov_b32_e32 v51, 0x3efa0199
	;; [unrolled: 3-line block ×8, first 2 shown]
	s_mov_b32 s0, 0
	v_fmac_f64_e32 v[50:51], v[48:49], v[52:53]
	s_mov_b32 s1, 0x40900000
	v_fma_f64 v[50:51], v[48:49], v[50:51], 1.0
	v_cmp_nlt_f64_e32 vcc, s[0:1], v[26:27]
	s_mov_b32 s0, 0
	v_fma_f64 v[48:49], v[48:49], v[50:51], 1.0
	v_cvt_i32_f64_e32 v30, v[30:31]
	s_mov_b32 s1, 0xc090cc00
	v_ldexp_f64 v[30:31], v[48:49], v30
	v_mov_b32_e32 v48, 0x7ff00000
	v_cmp_ngt_f64_e64 s[0:1], s[0:1], v[26:27]
	v_cndmask_b32_e32 v31, v48, v31, vcc
	s_and_b64 vcc, s[0:1], vcc
	v_cndmask_b32_e64 v27, 0, v31, s[0:1]
	v_cndmask_b32_e32 v26, 0, v30, vcc
	v_add_f64 v[30:31], v[26:27], 1.0
	v_add_f64 v[48:49], v[30:31], -1.0
	v_add_f64 v[50:51], v[48:49], -v[30:31]
	v_add_f64 v[50:51], v[50:51], 1.0
	v_add_f64 v[48:49], v[26:27], -v[48:49]
	s_mov_b32 s0, 0x55555555
	v_add_f64 v[48:49], v[48:49], v[50:51]
	v_frexp_mant_f64_e32 v[50:51], v[30:31]
	s_mov_b32 s1, 0x3fe55555
	v_frexp_exp_i32_f64_e32 v52, v[30:31]
	v_cmp_gt_f64_e32 vcc, s[0:1], v[50:51]
	v_subbrev_co_u32_e32 v66, vcc, 0, v52, vcc
	v_sub_u32_e32 v50, 0, v66
	v_ldexp_f64 v[30:31], v[30:31], v50
	v_ldexp_f64 v[48:49], v[48:49], v50
	v_add_f64 v[50:51], v[30:31], -1.0
	v_add_f64 v[56:57], v[30:31], 1.0
	v_add_f64 v[52:53], v[50:51], 1.0
	v_add_f64 v[58:59], v[56:57], -1.0
	v_add_f64 v[52:53], v[30:31], -v[52:53]
	v_add_f64 v[30:31], v[30:31], -v[58:59]
	v_add_f64 v[30:31], v[48:49], v[30:31]
	v_add_f64 v[52:53], v[48:49], v[52:53]
	;; [unrolled: 1-line block ×3, first 2 shown]
	v_rcp_f64_e32 v[58:59], v[48:49]
	v_add_f64 v[54:55], v[50:51], v[52:53]
	v_add_f64 v[50:51], v[54:55], -v[50:51]
	v_add_f64 v[50:51], v[52:53], -v[50:51]
	;; [unrolled: 1-line block ×4, first 2 shown]
	v_fma_f64 v[52:53], -v[48:49], v[58:59], 1.0
	v_fmac_f64_e32 v[58:59], v[52:53], v[58:59]
	v_fma_f64 v[52:53], -v[48:49], v[58:59], 1.0
	v_fmac_f64_e32 v[58:59], v[52:53], v[58:59]
	v_mul_f64 v[52:53], v[54:55], v[58:59]
	v_mul_f64 v[56:57], v[48:49], v[52:53]
	v_fma_f64 v[60:61], v[52:53], v[48:49], -v[56:57]
	v_fmac_f64_e32 v[60:61], v[52:53], v[30:31]
	v_add_f64 v[62:63], v[56:57], v[60:61]
	v_add_f64 v[64:65], v[54:55], -v[62:63]
	v_add_f64 v[54:55], v[54:55], -v[64:65]
	;; [unrolled: 1-line block ×4, first 2 shown]
	v_add_f64 v[50:51], v[50:51], v[54:55]
	v_add_f64 v[54:55], v[56:57], -v[60:61]
	v_add_f64 v[50:51], v[54:55], v[50:51]
	v_add_f64 v[54:55], v[64:65], v[50:51]
	v_add_f64 v[56:57], v[64:65], -v[54:55]
	v_add_f64 v[50:51], v[50:51], v[56:57]
	v_mul_f64 v[56:57], v[58:59], v[54:55]
	v_mul_f64 v[60:61], v[48:49], v[56:57]
	v_fma_f64 v[48:49], v[56:57], v[48:49], -v[60:61]
	v_fmac_f64_e32 v[48:49], v[56:57], v[30:31]
	v_add_f64 v[30:31], v[60:61], v[48:49]
	v_add_f64 v[62:63], v[54:55], -v[30:31]
	v_add_f64 v[54:55], v[54:55], -v[62:63]
	;; [unrolled: 1-line block ×4, first 2 shown]
	v_add_f64 v[30:31], v[50:51], v[30:31]
	v_add_f64 v[48:49], v[60:61], -v[48:49]
	v_add_f64 v[30:31], v[48:49], v[30:31]
	v_add_f64 v[48:49], v[52:53], v[56:57]
	;; [unrolled: 1-line block ×3, first 2 shown]
	v_add_f64 v[50:51], v[48:49], -v[52:53]
	v_mul_f64 v[30:31], v[58:59], v[30:31]
	v_add_f64 v[50:51], v[56:57], -v[50:51]
	v_add_f64 v[30:31], v[50:51], v[30:31]
	v_add_f64 v[50:51], v[48:49], v[30:31]
	v_add_f64 v[48:49], v[50:51], -v[48:49]
	s_mov_b32 s0, 0xbf559e2b
	v_add_f64 v[30:31], v[30:31], -v[48:49]
	v_mul_f64 v[48:49], v[50:51], v[50:51]
	v_mov_b32_e32 v52, 0x6b47b09a
	v_mov_b32_e32 v53, 0x3fc38538
	s_mov_b32 s1, 0x3fc3ab76
	v_fmac_f64_e32 v[52:53], s[0:1], v[48:49]
	v_mov_b32_e32 v54, 0xd7f4df2e
	v_mov_b32_e32 v55, 0x3fc7474d
	v_fmac_f64_e32 v[54:55], v[48:49], v[52:53]
	v_mov_b32_e32 v52, 0x16291751
	v_mov_b32_e32 v53, 0x3fcc71c0
	;; [unrolled: 3-line block ×5, first 2 shown]
	v_fmac_f64_e32 v[54:55], v[48:49], v[52:53]
	v_cvt_f64_i32_e32 v[52:53], v66
	s_mov_b32 s7, 0x3fe62e42
	v_mul_f64 v[56:57], v[52:53], s[6:7]
	v_fma_f64 v[58:59], v[52:53], s[6:7], -v[56:57]
	s_mov_b32 s21, 0x3c7abc9e
	v_fmac_f64_e32 v[58:59], s[20:21], v[52:53]
	v_add_f64 v[52:53], v[56:57], v[58:59]
	v_add_f64 v[56:57], v[52:53], -v[56:57]
	v_mul_f64 v[48:49], v[50:51], v[48:49]
	v_add_f64 v[56:57], v[58:59], -v[56:57]
	v_ldexp_f64 v[58:59], v[50:51], 1
	v_mul_f64 v[48:49], v[48:49], v[54:55]
	v_add_f64 v[50:51], v[58:59], v[48:49]
	v_add_f64 v[54:55], v[50:51], -v[58:59]
	v_ldexp_f64 v[30:31], v[30:31], 1
	v_add_f64 v[48:49], v[48:49], -v[54:55]
	v_add_f64 v[30:31], v[30:31], v[48:49]
	v_add_f64 v[48:49], v[50:51], v[30:31]
	v_add_f64 v[50:51], v[48:49], -v[50:51]
	v_add_f64 v[30:31], v[30:31], -v[50:51]
	v_add_f64 v[50:51], v[52:53], v[48:49]
	v_add_f64 v[54:55], v[50:51], -v[52:53]
	v_add_f64 v[58:59], v[50:51], -v[54:55]
	v_add_f64 v[52:53], v[52:53], -v[58:59]
	v_add_f64 v[48:49], v[48:49], -v[54:55]
	v_add_f64 v[48:49], v[48:49], v[52:53]
	v_add_f64 v[52:53], v[56:57], v[30:31]
	v_add_f64 v[54:55], v[52:53], -v[56:57]
	v_add_f64 v[48:49], v[52:53], v[48:49]
	v_add_f64 v[58:59], v[52:53], -v[54:55]
	;; [unrolled: 2-line block ×3, first 2 shown]
	v_add_f64 v[30:31], v[30:31], -v[54:55]
	v_add_f64 v[50:51], v[52:53], -v[50:51]
	v_add_f64 v[30:31], v[30:31], v[56:57]
	v_add_f64 v[48:49], v[48:49], -v[50:51]
	s_mov_b32 s0, 0
	v_add_f64 v[30:31], v[30:31], v[48:49]
	s_mov_b32 s1, 0x7ff00000
	v_add_f64 v[30:31], v[52:53], v[30:31]
	v_cmp_eq_f64_e32 vcc, s[0:1], v[26:27]
	v_cndmask_b32_e32 v30, v30, v26, vcc
	v_cndmask_b32_e32 v31, v31, v27, vcc
	v_mov_b32_e32 v48, 0x7ff80000
	v_cmp_ngt_f64_e32 vcc, -1.0, v[26:27]
	v_cndmask_b32_e32 v31, v48, v31, vcc
	v_cmp_nge_f64_e32 vcc, -1.0, v[26:27]
	v_cndmask_b32_e32 v30, 0, v30, vcc
	v_mov_b32_e32 v48, 0xfff00000
	v_cmp_neq_f64_e32 vcc, -1.0, v[26:27]
	v_cndmask_b32_e32 v31, v48, v31, vcc
	v_add_f64 v[26:27], v[28:29], v[30:31]
.LBB49_164:
	s_or_b64 exec, exec, s[2:3]
	v_max_f64 v[28:29], v[26:27], v[26:27]
	v_min_f64 v[30:31], v[28:29], v[32:33]
	v_cmp_u_f64_e32 vcc, v[26:27], v[26:27]
	v_max_f64 v[28:29], v[28:29], v[32:33]
	v_cndmask_b32_e32 v30, v30, v26, vcc
	v_cndmask_b32_e32 v31, v31, v27, vcc
	;; [unrolled: 1-line block ×4, first 2 shown]
	v_cndmask_b32_e64 v49, v31, v21, s[24:25]
	v_cndmask_b32_e64 v48, v30, v20, s[24:25]
	;; [unrolled: 1-line block ×4, first 2 shown]
	v_cmp_neq_f64_e32 vcc, v[48:49], v[30:31]
	v_cmp_class_f64_e64 s[0:1], v[48:49], s22
	s_or_b64 s[0:1], vcc, s[0:1]
	v_pk_mov_b32 v[28:29], v[26:27], v[26:27] op_sel:[0,1]
	s_and_saveexec_b64 s[2:3], s[0:1]
	s_cbranch_execz .LBB49_166
; %bb.165:
	s_mov_b32 s0, 0x652b82fe
	v_add_f64 v[28:29], v[48:49], -v[30:31]
	s_mov_b32 s1, 0x3ff71547
	v_mul_f64 v[32:33], v[28:29], s[0:1]
	v_rndne_f64_e32 v[32:33], v[32:33]
	s_mov_b32 s7, 0xbfe62e42
	s_mov_b32 s6, 0xfefa39ef
	v_fma_f64 v[48:49], s[6:7], v[32:33], v[28:29]
	s_mov_b32 s21, 0xbc7abc9e
	s_mov_b32 s20, 0x3b39803f
	;; [unrolled: 1-line block ×3, first 2 shown]
	v_fmac_f64_e32 v[48:49], s[20:21], v[32:33]
	v_mov_b32_e32 v50, 0xfca7ab0c
	v_mov_b32_e32 v51, 0x3e928af3
	s_mov_b32 s1, 0x3e5ade15
	v_fmac_f64_e32 v[50:51], s[0:1], v[48:49]
	v_mov_b32_e32 v52, 0x623fde64
	v_mov_b32_e32 v53, 0x3ec71dee
	v_fmac_f64_e32 v[52:53], v[48:49], v[50:51]
	v_mov_b32_e32 v50, 0x7c89e6b0
	v_mov_b32_e32 v51, 0x3efa0199
	;; [unrolled: 3-line block ×8, first 2 shown]
	s_mov_b32 s0, 0
	v_fmac_f64_e32 v[50:51], v[48:49], v[52:53]
	s_mov_b32 s1, 0x40900000
	v_fma_f64 v[50:51], v[48:49], v[50:51], 1.0
	v_cmp_nlt_f64_e32 vcc, s[0:1], v[28:29]
	s_mov_b32 s0, 0
	v_fma_f64 v[48:49], v[48:49], v[50:51], 1.0
	v_cvt_i32_f64_e32 v32, v[32:33]
	s_mov_b32 s1, 0xc090cc00
	v_ldexp_f64 v[32:33], v[48:49], v32
	v_mov_b32_e32 v48, 0x7ff00000
	v_cmp_ngt_f64_e64 s[0:1], s[0:1], v[28:29]
	v_cndmask_b32_e32 v33, v48, v33, vcc
	s_and_b64 vcc, s[0:1], vcc
	v_cndmask_b32_e64 v29, 0, v33, s[0:1]
	v_cndmask_b32_e32 v28, 0, v32, vcc
	v_add_f64 v[32:33], v[28:29], 1.0
	v_add_f64 v[48:49], v[32:33], -1.0
	v_add_f64 v[50:51], v[48:49], -v[32:33]
	v_add_f64 v[50:51], v[50:51], 1.0
	v_add_f64 v[48:49], v[28:29], -v[48:49]
	s_mov_b32 s0, 0x55555555
	v_add_f64 v[48:49], v[48:49], v[50:51]
	v_frexp_mant_f64_e32 v[50:51], v[32:33]
	s_mov_b32 s1, 0x3fe55555
	v_frexp_exp_i32_f64_e32 v52, v[32:33]
	v_cmp_gt_f64_e32 vcc, s[0:1], v[50:51]
	v_subbrev_co_u32_e32 v66, vcc, 0, v52, vcc
	v_sub_u32_e32 v50, 0, v66
	v_ldexp_f64 v[32:33], v[32:33], v50
	v_ldexp_f64 v[48:49], v[48:49], v50
	v_add_f64 v[50:51], v[32:33], -1.0
	v_add_f64 v[56:57], v[32:33], 1.0
	v_add_f64 v[52:53], v[50:51], 1.0
	v_add_f64 v[58:59], v[56:57], -1.0
	v_add_f64 v[52:53], v[32:33], -v[52:53]
	v_add_f64 v[32:33], v[32:33], -v[58:59]
	v_add_f64 v[32:33], v[48:49], v[32:33]
	v_add_f64 v[52:53], v[48:49], v[52:53]
	;; [unrolled: 1-line block ×3, first 2 shown]
	v_rcp_f64_e32 v[58:59], v[48:49]
	v_add_f64 v[54:55], v[50:51], v[52:53]
	v_add_f64 v[50:51], v[54:55], -v[50:51]
	v_add_f64 v[50:51], v[52:53], -v[50:51]
	;; [unrolled: 1-line block ×4, first 2 shown]
	v_fma_f64 v[52:53], -v[48:49], v[58:59], 1.0
	v_fmac_f64_e32 v[58:59], v[52:53], v[58:59]
	v_fma_f64 v[52:53], -v[48:49], v[58:59], 1.0
	v_fmac_f64_e32 v[58:59], v[52:53], v[58:59]
	v_mul_f64 v[52:53], v[54:55], v[58:59]
	v_mul_f64 v[56:57], v[48:49], v[52:53]
	v_fma_f64 v[60:61], v[52:53], v[48:49], -v[56:57]
	v_fmac_f64_e32 v[60:61], v[52:53], v[32:33]
	v_add_f64 v[62:63], v[56:57], v[60:61]
	v_add_f64 v[64:65], v[54:55], -v[62:63]
	v_add_f64 v[54:55], v[54:55], -v[64:65]
	;; [unrolled: 1-line block ×4, first 2 shown]
	v_add_f64 v[50:51], v[50:51], v[54:55]
	v_add_f64 v[54:55], v[56:57], -v[60:61]
	v_add_f64 v[50:51], v[54:55], v[50:51]
	v_add_f64 v[54:55], v[64:65], v[50:51]
	v_add_f64 v[56:57], v[64:65], -v[54:55]
	v_add_f64 v[50:51], v[50:51], v[56:57]
	v_mul_f64 v[56:57], v[58:59], v[54:55]
	v_mul_f64 v[60:61], v[48:49], v[56:57]
	v_fma_f64 v[48:49], v[56:57], v[48:49], -v[60:61]
	v_fmac_f64_e32 v[48:49], v[56:57], v[32:33]
	v_add_f64 v[32:33], v[60:61], v[48:49]
	v_add_f64 v[62:63], v[54:55], -v[32:33]
	v_add_f64 v[54:55], v[54:55], -v[62:63]
	;; [unrolled: 1-line block ×4, first 2 shown]
	v_add_f64 v[32:33], v[50:51], v[32:33]
	v_add_f64 v[48:49], v[60:61], -v[48:49]
	v_add_f64 v[32:33], v[48:49], v[32:33]
	v_add_f64 v[48:49], v[52:53], v[56:57]
	;; [unrolled: 1-line block ×3, first 2 shown]
	v_add_f64 v[50:51], v[48:49], -v[52:53]
	v_mul_f64 v[32:33], v[58:59], v[32:33]
	v_add_f64 v[50:51], v[56:57], -v[50:51]
	v_add_f64 v[32:33], v[50:51], v[32:33]
	v_add_f64 v[50:51], v[48:49], v[32:33]
	v_add_f64 v[48:49], v[50:51], -v[48:49]
	s_mov_b32 s0, 0xbf559e2b
	v_add_f64 v[32:33], v[32:33], -v[48:49]
	v_mul_f64 v[48:49], v[50:51], v[50:51]
	v_mov_b32_e32 v52, 0x6b47b09a
	v_mov_b32_e32 v53, 0x3fc38538
	s_mov_b32 s1, 0x3fc3ab76
	v_fmac_f64_e32 v[52:53], s[0:1], v[48:49]
	v_mov_b32_e32 v54, 0xd7f4df2e
	v_mov_b32_e32 v55, 0x3fc7474d
	v_fmac_f64_e32 v[54:55], v[48:49], v[52:53]
	v_mov_b32_e32 v52, 0x16291751
	v_mov_b32_e32 v53, 0x3fcc71c0
	;; [unrolled: 3-line block ×5, first 2 shown]
	v_fmac_f64_e32 v[54:55], v[48:49], v[52:53]
	v_cvt_f64_i32_e32 v[52:53], v66
	s_mov_b32 s7, 0x3fe62e42
	v_mul_f64 v[56:57], v[52:53], s[6:7]
	v_fma_f64 v[58:59], v[52:53], s[6:7], -v[56:57]
	s_mov_b32 s21, 0x3c7abc9e
	v_fmac_f64_e32 v[58:59], s[20:21], v[52:53]
	v_add_f64 v[52:53], v[56:57], v[58:59]
	v_add_f64 v[56:57], v[52:53], -v[56:57]
	v_mul_f64 v[48:49], v[50:51], v[48:49]
	v_add_f64 v[56:57], v[58:59], -v[56:57]
	v_ldexp_f64 v[58:59], v[50:51], 1
	v_mul_f64 v[48:49], v[48:49], v[54:55]
	v_add_f64 v[50:51], v[58:59], v[48:49]
	v_add_f64 v[54:55], v[50:51], -v[58:59]
	v_ldexp_f64 v[32:33], v[32:33], 1
	v_add_f64 v[48:49], v[48:49], -v[54:55]
	v_add_f64 v[32:33], v[32:33], v[48:49]
	v_add_f64 v[48:49], v[50:51], v[32:33]
	v_add_f64 v[50:51], v[48:49], -v[50:51]
	v_add_f64 v[32:33], v[32:33], -v[50:51]
	v_add_f64 v[50:51], v[52:53], v[48:49]
	v_add_f64 v[54:55], v[50:51], -v[52:53]
	v_add_f64 v[58:59], v[50:51], -v[54:55]
	;; [unrolled: 1-line block ×4, first 2 shown]
	v_add_f64 v[48:49], v[48:49], v[52:53]
	v_add_f64 v[52:53], v[56:57], v[32:33]
	v_add_f64 v[54:55], v[52:53], -v[56:57]
	v_add_f64 v[48:49], v[52:53], v[48:49]
	v_add_f64 v[58:59], v[52:53], -v[54:55]
	;; [unrolled: 2-line block ×3, first 2 shown]
	v_add_f64 v[32:33], v[32:33], -v[54:55]
	v_add_f64 v[50:51], v[52:53], -v[50:51]
	v_add_f64 v[32:33], v[32:33], v[56:57]
	v_add_f64 v[48:49], v[48:49], -v[50:51]
	s_mov_b32 s0, 0
	v_add_f64 v[32:33], v[32:33], v[48:49]
	s_mov_b32 s1, 0x7ff00000
	v_add_f64 v[32:33], v[52:53], v[32:33]
	v_cmp_eq_f64_e32 vcc, s[0:1], v[28:29]
	v_cndmask_b32_e32 v32, v32, v28, vcc
	v_cndmask_b32_e32 v33, v33, v29, vcc
	v_mov_b32_e32 v48, 0x7ff80000
	v_cmp_ngt_f64_e32 vcc, -1.0, v[28:29]
	v_cndmask_b32_e32 v33, v48, v33, vcc
	v_cmp_nge_f64_e32 vcc, -1.0, v[28:29]
	v_cndmask_b32_e32 v32, 0, v32, vcc
	v_mov_b32_e32 v48, 0xfff00000
	v_cmp_neq_f64_e32 vcc, -1.0, v[28:29]
	v_cndmask_b32_e32 v33, v48, v33, vcc
	v_add_f64 v[28:29], v[30:31], v[32:33]
.LBB49_166:
	s_or_b64 exec, exec, s[2:3]
	v_max_f64 v[30:31], v[28:29], v[28:29]
	v_min_f64 v[32:33], v[30:31], v[34:35]
	v_cmp_u_f64_e32 vcc, v[28:29], v[28:29]
	v_max_f64 v[30:31], v[30:31], v[34:35]
	v_cndmask_b32_e32 v32, v32, v28, vcc
	v_cndmask_b32_e32 v33, v33, v29, vcc
	;; [unrolled: 1-line block ×4, first 2 shown]
	v_cndmask_b32_e64 v49, v33, v15, s[8:9]
	v_cndmask_b32_e64 v48, v32, v14, s[8:9]
	v_cndmask_b32_e64 v33, v31, v15, s[8:9]
	v_cndmask_b32_e64 v32, v30, v14, s[8:9]
	s_movk_i32 s20, 0x1f8
	v_cmp_neq_f64_e32 vcc, v[48:49], v[32:33]
	v_cmp_class_f64_e64 s[0:1], v[48:49], s20
	s_or_b64 s[0:1], vcc, s[0:1]
	v_pk_mov_b32 v[30:31], v[28:29], v[28:29] op_sel:[0,1]
	s_and_saveexec_b64 s[2:3], s[0:1]
	s_cbranch_execz .LBB49_168
; %bb.167:
	s_mov_b32 s0, 0x652b82fe
	v_add_f64 v[30:31], v[48:49], -v[32:33]
	s_mov_b32 s1, 0x3ff71547
	v_mul_f64 v[34:35], v[30:31], s[0:1]
	v_rndne_f64_e32 v[34:35], v[34:35]
	s_mov_b32 s7, 0xbfe62e42
	s_mov_b32 s6, 0xfefa39ef
	v_fma_f64 v[48:49], s[6:7], v[34:35], v[30:31]
	s_mov_b32 s9, 0xbc7abc9e
	s_mov_b32 s8, 0x3b39803f
	;; [unrolled: 1-line block ×3, first 2 shown]
	v_fmac_f64_e32 v[48:49], s[8:9], v[34:35]
	v_mov_b32_e32 v50, 0xfca7ab0c
	v_mov_b32_e32 v51, 0x3e928af3
	s_mov_b32 s1, 0x3e5ade15
	v_fmac_f64_e32 v[50:51], s[0:1], v[48:49]
	v_mov_b32_e32 v52, 0x623fde64
	v_mov_b32_e32 v53, 0x3ec71dee
	v_fmac_f64_e32 v[52:53], v[48:49], v[50:51]
	v_mov_b32_e32 v50, 0x7c89e6b0
	v_mov_b32_e32 v51, 0x3efa0199
	;; [unrolled: 3-line block ×8, first 2 shown]
	s_mov_b32 s0, 0
	v_fmac_f64_e32 v[50:51], v[48:49], v[52:53]
	s_mov_b32 s1, 0x40900000
	v_fma_f64 v[50:51], v[48:49], v[50:51], 1.0
	v_cmp_nlt_f64_e32 vcc, s[0:1], v[30:31]
	s_mov_b32 s0, 0
	v_fma_f64 v[48:49], v[48:49], v[50:51], 1.0
	v_cvt_i32_f64_e32 v34, v[34:35]
	s_mov_b32 s1, 0xc090cc00
	v_ldexp_f64 v[34:35], v[48:49], v34
	v_mov_b32_e32 v48, 0x7ff00000
	v_cmp_ngt_f64_e64 s[0:1], s[0:1], v[30:31]
	v_cndmask_b32_e32 v35, v48, v35, vcc
	s_and_b64 vcc, s[0:1], vcc
	v_cndmask_b32_e64 v31, 0, v35, s[0:1]
	v_cndmask_b32_e32 v30, 0, v34, vcc
	v_add_f64 v[34:35], v[30:31], 1.0
	v_add_f64 v[48:49], v[34:35], -1.0
	v_add_f64 v[50:51], v[48:49], -v[34:35]
	v_add_f64 v[50:51], v[50:51], 1.0
	v_add_f64 v[48:49], v[30:31], -v[48:49]
	s_mov_b32 s0, 0x55555555
	v_add_f64 v[48:49], v[48:49], v[50:51]
	v_frexp_mant_f64_e32 v[50:51], v[34:35]
	s_mov_b32 s1, 0x3fe55555
	v_frexp_exp_i32_f64_e32 v52, v[34:35]
	v_cmp_gt_f64_e32 vcc, s[0:1], v[50:51]
	v_subbrev_co_u32_e32 v66, vcc, 0, v52, vcc
	v_sub_u32_e32 v50, 0, v66
	v_ldexp_f64 v[34:35], v[34:35], v50
	v_ldexp_f64 v[48:49], v[48:49], v50
	v_add_f64 v[50:51], v[34:35], -1.0
	v_add_f64 v[56:57], v[34:35], 1.0
	v_add_f64 v[52:53], v[50:51], 1.0
	v_add_f64 v[58:59], v[56:57], -1.0
	v_add_f64 v[52:53], v[34:35], -v[52:53]
	v_add_f64 v[34:35], v[34:35], -v[58:59]
	v_add_f64 v[34:35], v[48:49], v[34:35]
	v_add_f64 v[52:53], v[48:49], v[52:53]
	;; [unrolled: 1-line block ×3, first 2 shown]
	v_rcp_f64_e32 v[58:59], v[48:49]
	v_add_f64 v[54:55], v[50:51], v[52:53]
	v_add_f64 v[50:51], v[54:55], -v[50:51]
	v_add_f64 v[50:51], v[52:53], -v[50:51]
	;; [unrolled: 1-line block ×4, first 2 shown]
	v_fma_f64 v[52:53], -v[48:49], v[58:59], 1.0
	v_fmac_f64_e32 v[58:59], v[52:53], v[58:59]
	v_fma_f64 v[52:53], -v[48:49], v[58:59], 1.0
	v_fmac_f64_e32 v[58:59], v[52:53], v[58:59]
	v_mul_f64 v[52:53], v[54:55], v[58:59]
	v_mul_f64 v[56:57], v[48:49], v[52:53]
	v_fma_f64 v[60:61], v[52:53], v[48:49], -v[56:57]
	v_fmac_f64_e32 v[60:61], v[52:53], v[34:35]
	v_add_f64 v[62:63], v[56:57], v[60:61]
	v_add_f64 v[64:65], v[54:55], -v[62:63]
	v_add_f64 v[54:55], v[54:55], -v[64:65]
	;; [unrolled: 1-line block ×4, first 2 shown]
	v_add_f64 v[50:51], v[50:51], v[54:55]
	v_add_f64 v[54:55], v[56:57], -v[60:61]
	v_add_f64 v[50:51], v[54:55], v[50:51]
	v_add_f64 v[54:55], v[64:65], v[50:51]
	v_add_f64 v[56:57], v[64:65], -v[54:55]
	v_add_f64 v[50:51], v[50:51], v[56:57]
	v_mul_f64 v[56:57], v[58:59], v[54:55]
	v_mul_f64 v[60:61], v[48:49], v[56:57]
	v_fma_f64 v[48:49], v[56:57], v[48:49], -v[60:61]
	v_fmac_f64_e32 v[48:49], v[56:57], v[34:35]
	v_add_f64 v[34:35], v[60:61], v[48:49]
	v_add_f64 v[62:63], v[54:55], -v[34:35]
	v_add_f64 v[54:55], v[54:55], -v[62:63]
	;; [unrolled: 1-line block ×4, first 2 shown]
	v_add_f64 v[34:35], v[50:51], v[34:35]
	v_add_f64 v[48:49], v[60:61], -v[48:49]
	v_add_f64 v[34:35], v[48:49], v[34:35]
	v_add_f64 v[48:49], v[52:53], v[56:57]
	;; [unrolled: 1-line block ×3, first 2 shown]
	v_add_f64 v[50:51], v[48:49], -v[52:53]
	v_mul_f64 v[34:35], v[58:59], v[34:35]
	v_add_f64 v[50:51], v[56:57], -v[50:51]
	v_add_f64 v[34:35], v[50:51], v[34:35]
	v_add_f64 v[50:51], v[48:49], v[34:35]
	v_add_f64 v[48:49], v[50:51], -v[48:49]
	s_mov_b32 s0, 0xbf559e2b
	v_add_f64 v[34:35], v[34:35], -v[48:49]
	v_mul_f64 v[48:49], v[50:51], v[50:51]
	v_mov_b32_e32 v52, 0x6b47b09a
	v_mov_b32_e32 v53, 0x3fc38538
	s_mov_b32 s1, 0x3fc3ab76
	v_fmac_f64_e32 v[52:53], s[0:1], v[48:49]
	v_mov_b32_e32 v54, 0xd7f4df2e
	v_mov_b32_e32 v55, 0x3fc7474d
	v_fmac_f64_e32 v[54:55], v[48:49], v[52:53]
	v_mov_b32_e32 v52, 0x16291751
	v_mov_b32_e32 v53, 0x3fcc71c0
	;; [unrolled: 3-line block ×5, first 2 shown]
	v_fmac_f64_e32 v[54:55], v[48:49], v[52:53]
	v_cvt_f64_i32_e32 v[52:53], v66
	s_mov_b32 s7, 0x3fe62e42
	v_mul_f64 v[56:57], v[52:53], s[6:7]
	v_fma_f64 v[58:59], v[52:53], s[6:7], -v[56:57]
	s_mov_b32 s9, 0x3c7abc9e
	v_fmac_f64_e32 v[58:59], s[8:9], v[52:53]
	v_add_f64 v[52:53], v[56:57], v[58:59]
	v_add_f64 v[56:57], v[52:53], -v[56:57]
	v_mul_f64 v[48:49], v[50:51], v[48:49]
	v_add_f64 v[56:57], v[58:59], -v[56:57]
	v_ldexp_f64 v[58:59], v[50:51], 1
	v_mul_f64 v[48:49], v[48:49], v[54:55]
	v_add_f64 v[50:51], v[58:59], v[48:49]
	v_add_f64 v[54:55], v[50:51], -v[58:59]
	v_ldexp_f64 v[34:35], v[34:35], 1
	v_add_f64 v[48:49], v[48:49], -v[54:55]
	v_add_f64 v[34:35], v[34:35], v[48:49]
	v_add_f64 v[48:49], v[50:51], v[34:35]
	v_add_f64 v[50:51], v[48:49], -v[50:51]
	v_add_f64 v[34:35], v[34:35], -v[50:51]
	v_add_f64 v[50:51], v[52:53], v[48:49]
	v_add_f64 v[54:55], v[50:51], -v[52:53]
	v_add_f64 v[58:59], v[50:51], -v[54:55]
	;; [unrolled: 1-line block ×4, first 2 shown]
	v_add_f64 v[48:49], v[48:49], v[52:53]
	v_add_f64 v[52:53], v[56:57], v[34:35]
	v_add_f64 v[54:55], v[52:53], -v[56:57]
	v_add_f64 v[48:49], v[52:53], v[48:49]
	v_add_f64 v[58:59], v[52:53], -v[54:55]
	;; [unrolled: 2-line block ×3, first 2 shown]
	v_add_f64 v[34:35], v[34:35], -v[54:55]
	v_add_f64 v[50:51], v[52:53], -v[50:51]
	v_add_f64 v[34:35], v[34:35], v[56:57]
	v_add_f64 v[48:49], v[48:49], -v[50:51]
	s_mov_b32 s0, 0
	v_add_f64 v[34:35], v[34:35], v[48:49]
	s_mov_b32 s1, 0x7ff00000
	v_add_f64 v[34:35], v[52:53], v[34:35]
	v_cmp_eq_f64_e32 vcc, s[0:1], v[30:31]
	v_cndmask_b32_e32 v34, v34, v30, vcc
	v_cndmask_b32_e32 v35, v35, v31, vcc
	v_mov_b32_e32 v48, 0x7ff80000
	v_cmp_ngt_f64_e32 vcc, -1.0, v[30:31]
	v_cndmask_b32_e32 v35, v48, v35, vcc
	v_cmp_nge_f64_e32 vcc, -1.0, v[30:31]
	v_cndmask_b32_e32 v34, 0, v34, vcc
	v_mov_b32_e32 v48, 0xfff00000
	v_cmp_neq_f64_e32 vcc, -1.0, v[30:31]
	v_cndmask_b32_e32 v35, v48, v35, vcc
	v_add_f64 v[30:31], v[32:33], v[34:35]
.LBB49_168:
	s_or_b64 exec, exec, s[2:3]
	v_max_f64 v[32:33], v[30:31], v[30:31]
	v_min_f64 v[34:35], v[32:33], v[36:37]
	v_cmp_u_f64_e32 vcc, v[30:31], v[30:31]
	v_max_f64 v[32:33], v[32:33], v[36:37]
	v_cndmask_b32_e32 v34, v34, v30, vcc
	v_cndmask_b32_e32 v35, v35, v31, vcc
	;; [unrolled: 1-line block ×4, first 2 shown]
	v_cndmask_b32_e64 v49, v35, v17, s[10:11]
	v_cndmask_b32_e64 v48, v34, v16, s[10:11]
	v_cndmask_b32_e64 v35, v33, v17, s[10:11]
	v_cndmask_b32_e64 v34, v32, v16, s[10:11]
	v_cmp_neq_f64_e32 vcc, v[48:49], v[34:35]
	v_cmp_class_f64_e64 s[0:1], v[48:49], s20
	s_or_b64 s[0:1], vcc, s[0:1]
	v_pk_mov_b32 v[32:33], v[30:31], v[30:31] op_sel:[0,1]
	s_and_saveexec_b64 s[2:3], s[0:1]
	s_cbranch_execz .LBB49_170
; %bb.169:
	s_mov_b32 s0, 0x652b82fe
	v_add_f64 v[32:33], v[48:49], -v[34:35]
	s_mov_b32 s1, 0x3ff71547
	v_mul_f64 v[36:37], v[32:33], s[0:1]
	v_rndne_f64_e32 v[36:37], v[36:37]
	s_mov_b32 s7, 0xbfe62e42
	s_mov_b32 s6, 0xfefa39ef
	v_fma_f64 v[48:49], s[6:7], v[36:37], v[32:33]
	s_mov_b32 s9, 0xbc7abc9e
	s_mov_b32 s8, 0x3b39803f
	;; [unrolled: 1-line block ×3, first 2 shown]
	v_fmac_f64_e32 v[48:49], s[8:9], v[36:37]
	v_mov_b32_e32 v50, 0xfca7ab0c
	v_mov_b32_e32 v51, 0x3e928af3
	s_mov_b32 s1, 0x3e5ade15
	v_fmac_f64_e32 v[50:51], s[0:1], v[48:49]
	v_mov_b32_e32 v52, 0x623fde64
	v_mov_b32_e32 v53, 0x3ec71dee
	v_fmac_f64_e32 v[52:53], v[48:49], v[50:51]
	v_mov_b32_e32 v50, 0x7c89e6b0
	v_mov_b32_e32 v51, 0x3efa0199
	;; [unrolled: 3-line block ×8, first 2 shown]
	s_mov_b32 s0, 0
	v_fmac_f64_e32 v[50:51], v[48:49], v[52:53]
	s_mov_b32 s1, 0x40900000
	v_fma_f64 v[50:51], v[48:49], v[50:51], 1.0
	v_cmp_nlt_f64_e32 vcc, s[0:1], v[32:33]
	s_mov_b32 s0, 0
	v_fma_f64 v[48:49], v[48:49], v[50:51], 1.0
	v_cvt_i32_f64_e32 v36, v[36:37]
	s_mov_b32 s1, 0xc090cc00
	v_ldexp_f64 v[36:37], v[48:49], v36
	v_mov_b32_e32 v48, 0x7ff00000
	v_cmp_ngt_f64_e64 s[0:1], s[0:1], v[32:33]
	v_cndmask_b32_e32 v37, v48, v37, vcc
	s_and_b64 vcc, s[0:1], vcc
	v_cndmask_b32_e64 v33, 0, v37, s[0:1]
	v_cndmask_b32_e32 v32, 0, v36, vcc
	v_add_f64 v[36:37], v[32:33], 1.0
	v_add_f64 v[48:49], v[36:37], -1.0
	v_add_f64 v[50:51], v[48:49], -v[36:37]
	v_add_f64 v[50:51], v[50:51], 1.0
	v_add_f64 v[48:49], v[32:33], -v[48:49]
	s_mov_b32 s0, 0x55555555
	v_add_f64 v[48:49], v[48:49], v[50:51]
	v_frexp_mant_f64_e32 v[50:51], v[36:37]
	s_mov_b32 s1, 0x3fe55555
	v_frexp_exp_i32_f64_e32 v52, v[36:37]
	v_cmp_gt_f64_e32 vcc, s[0:1], v[50:51]
	v_subbrev_co_u32_e32 v66, vcc, 0, v52, vcc
	v_sub_u32_e32 v50, 0, v66
	v_ldexp_f64 v[36:37], v[36:37], v50
	v_ldexp_f64 v[48:49], v[48:49], v50
	v_add_f64 v[50:51], v[36:37], -1.0
	v_add_f64 v[56:57], v[36:37], 1.0
	v_add_f64 v[52:53], v[50:51], 1.0
	v_add_f64 v[58:59], v[56:57], -1.0
	v_add_f64 v[52:53], v[36:37], -v[52:53]
	v_add_f64 v[36:37], v[36:37], -v[58:59]
	v_add_f64 v[36:37], v[48:49], v[36:37]
	v_add_f64 v[52:53], v[48:49], v[52:53]
	;; [unrolled: 1-line block ×3, first 2 shown]
	v_rcp_f64_e32 v[58:59], v[48:49]
	v_add_f64 v[54:55], v[50:51], v[52:53]
	v_add_f64 v[50:51], v[54:55], -v[50:51]
	v_add_f64 v[50:51], v[52:53], -v[50:51]
	;; [unrolled: 1-line block ×4, first 2 shown]
	v_fma_f64 v[52:53], -v[48:49], v[58:59], 1.0
	v_fmac_f64_e32 v[58:59], v[52:53], v[58:59]
	v_fma_f64 v[52:53], -v[48:49], v[58:59], 1.0
	v_fmac_f64_e32 v[58:59], v[52:53], v[58:59]
	v_mul_f64 v[52:53], v[54:55], v[58:59]
	v_mul_f64 v[56:57], v[48:49], v[52:53]
	v_fma_f64 v[60:61], v[52:53], v[48:49], -v[56:57]
	v_fmac_f64_e32 v[60:61], v[52:53], v[36:37]
	v_add_f64 v[62:63], v[56:57], v[60:61]
	v_add_f64 v[64:65], v[54:55], -v[62:63]
	v_add_f64 v[54:55], v[54:55], -v[64:65]
	;; [unrolled: 1-line block ×4, first 2 shown]
	v_add_f64 v[50:51], v[50:51], v[54:55]
	v_add_f64 v[54:55], v[56:57], -v[60:61]
	v_add_f64 v[50:51], v[54:55], v[50:51]
	v_add_f64 v[54:55], v[64:65], v[50:51]
	v_add_f64 v[56:57], v[64:65], -v[54:55]
	v_add_f64 v[50:51], v[50:51], v[56:57]
	v_mul_f64 v[56:57], v[58:59], v[54:55]
	v_mul_f64 v[60:61], v[48:49], v[56:57]
	v_fma_f64 v[48:49], v[56:57], v[48:49], -v[60:61]
	v_fmac_f64_e32 v[48:49], v[56:57], v[36:37]
	v_add_f64 v[36:37], v[60:61], v[48:49]
	v_add_f64 v[62:63], v[54:55], -v[36:37]
	v_add_f64 v[54:55], v[54:55], -v[62:63]
	;; [unrolled: 1-line block ×4, first 2 shown]
	v_add_f64 v[36:37], v[50:51], v[36:37]
	v_add_f64 v[48:49], v[60:61], -v[48:49]
	v_add_f64 v[36:37], v[48:49], v[36:37]
	v_add_f64 v[48:49], v[52:53], v[56:57]
	;; [unrolled: 1-line block ×3, first 2 shown]
	v_add_f64 v[50:51], v[48:49], -v[52:53]
	v_mul_f64 v[36:37], v[58:59], v[36:37]
	v_add_f64 v[50:51], v[56:57], -v[50:51]
	v_add_f64 v[36:37], v[50:51], v[36:37]
	v_add_f64 v[50:51], v[48:49], v[36:37]
	v_add_f64 v[48:49], v[50:51], -v[48:49]
	s_mov_b32 s0, 0xbf559e2b
	v_add_f64 v[36:37], v[36:37], -v[48:49]
	v_mul_f64 v[48:49], v[50:51], v[50:51]
	v_mov_b32_e32 v52, 0x6b47b09a
	v_mov_b32_e32 v53, 0x3fc38538
	s_mov_b32 s1, 0x3fc3ab76
	v_fmac_f64_e32 v[52:53], s[0:1], v[48:49]
	v_mov_b32_e32 v54, 0xd7f4df2e
	v_mov_b32_e32 v55, 0x3fc7474d
	v_fmac_f64_e32 v[54:55], v[48:49], v[52:53]
	v_mov_b32_e32 v52, 0x16291751
	v_mov_b32_e32 v53, 0x3fcc71c0
	;; [unrolled: 3-line block ×5, first 2 shown]
	v_fmac_f64_e32 v[54:55], v[48:49], v[52:53]
	v_cvt_f64_i32_e32 v[52:53], v66
	s_mov_b32 s7, 0x3fe62e42
	v_mul_f64 v[56:57], v[52:53], s[6:7]
	v_fma_f64 v[58:59], v[52:53], s[6:7], -v[56:57]
	s_mov_b32 s9, 0x3c7abc9e
	v_fmac_f64_e32 v[58:59], s[8:9], v[52:53]
	v_add_f64 v[52:53], v[56:57], v[58:59]
	v_add_f64 v[56:57], v[52:53], -v[56:57]
	v_mul_f64 v[48:49], v[50:51], v[48:49]
	v_add_f64 v[56:57], v[58:59], -v[56:57]
	v_ldexp_f64 v[58:59], v[50:51], 1
	v_mul_f64 v[48:49], v[48:49], v[54:55]
	v_add_f64 v[50:51], v[58:59], v[48:49]
	v_add_f64 v[54:55], v[50:51], -v[58:59]
	v_ldexp_f64 v[36:37], v[36:37], 1
	v_add_f64 v[48:49], v[48:49], -v[54:55]
	v_add_f64 v[36:37], v[36:37], v[48:49]
	v_add_f64 v[48:49], v[50:51], v[36:37]
	v_add_f64 v[50:51], v[48:49], -v[50:51]
	v_add_f64 v[36:37], v[36:37], -v[50:51]
	v_add_f64 v[50:51], v[52:53], v[48:49]
	v_add_f64 v[54:55], v[50:51], -v[52:53]
	v_add_f64 v[58:59], v[50:51], -v[54:55]
	;; [unrolled: 1-line block ×4, first 2 shown]
	v_add_f64 v[48:49], v[48:49], v[52:53]
	v_add_f64 v[52:53], v[56:57], v[36:37]
	v_add_f64 v[54:55], v[52:53], -v[56:57]
	v_add_f64 v[48:49], v[52:53], v[48:49]
	v_add_f64 v[58:59], v[52:53], -v[54:55]
	;; [unrolled: 2-line block ×3, first 2 shown]
	v_add_f64 v[36:37], v[36:37], -v[54:55]
	v_add_f64 v[50:51], v[52:53], -v[50:51]
	v_add_f64 v[36:37], v[36:37], v[56:57]
	v_add_f64 v[48:49], v[48:49], -v[50:51]
	s_mov_b32 s0, 0
	v_add_f64 v[36:37], v[36:37], v[48:49]
	s_mov_b32 s1, 0x7ff00000
	v_add_f64 v[36:37], v[52:53], v[36:37]
	v_cmp_eq_f64_e32 vcc, s[0:1], v[32:33]
	v_cndmask_b32_e32 v36, v36, v32, vcc
	v_cndmask_b32_e32 v37, v37, v33, vcc
	v_mov_b32_e32 v48, 0x7ff80000
	v_cmp_ngt_f64_e32 vcc, -1.0, v[32:33]
	v_cndmask_b32_e32 v37, v48, v37, vcc
	v_cmp_nge_f64_e32 vcc, -1.0, v[32:33]
	v_cndmask_b32_e32 v36, 0, v36, vcc
	v_mov_b32_e32 v48, 0xfff00000
	v_cmp_neq_f64_e32 vcc, -1.0, v[32:33]
	v_cndmask_b32_e32 v37, v48, v37, vcc
	v_add_f64 v[32:33], v[34:35], v[36:37]
.LBB49_170:
	s_or_b64 exec, exec, s[2:3]
	v_max_f64 v[34:35], v[32:33], v[32:33]
	v_min_f64 v[36:37], v[34:35], v[38:39]
	v_cmp_u_f64_e32 vcc, v[32:33], v[32:33]
	v_max_f64 v[34:35], v[34:35], v[38:39]
	v_cndmask_b32_e32 v36, v36, v32, vcc
	v_cndmask_b32_e32 v37, v37, v33, vcc
	v_cndmask_b32_e32 v34, v34, v32, vcc
	v_cndmask_b32_e32 v35, v35, v33, vcc
	v_cndmask_b32_e64 v49, v37, v11, s[12:13]
	v_cndmask_b32_e64 v48, v36, v10, s[12:13]
	;; [unrolled: 1-line block ×4, first 2 shown]
	s_movk_i32 s10, 0x1f8
	v_cmp_neq_f64_e32 vcc, v[48:49], v[36:37]
	v_cmp_class_f64_e64 s[0:1], v[48:49], s10
	s_or_b64 s[0:1], vcc, s[0:1]
	v_pk_mov_b32 v[34:35], v[32:33], v[32:33] op_sel:[0,1]
	s_and_saveexec_b64 s[2:3], s[0:1]
	s_cbranch_execz .LBB49_172
; %bb.171:
	s_mov_b32 s0, 0x652b82fe
	v_add_f64 v[34:35], v[48:49], -v[36:37]
	s_mov_b32 s1, 0x3ff71547
	v_mul_f64 v[38:39], v[34:35], s[0:1]
	v_rndne_f64_e32 v[38:39], v[38:39]
	s_mov_b32 s7, 0xbfe62e42
	s_mov_b32 s6, 0xfefa39ef
	v_fma_f64 v[48:49], s[6:7], v[38:39], v[34:35]
	s_mov_b32 s9, 0xbc7abc9e
	s_mov_b32 s8, 0x3b39803f
	;; [unrolled: 1-line block ×3, first 2 shown]
	v_fmac_f64_e32 v[48:49], s[8:9], v[38:39]
	v_mov_b32_e32 v50, 0xfca7ab0c
	v_mov_b32_e32 v51, 0x3e928af3
	s_mov_b32 s1, 0x3e5ade15
	v_fmac_f64_e32 v[50:51], s[0:1], v[48:49]
	v_mov_b32_e32 v52, 0x623fde64
	v_mov_b32_e32 v53, 0x3ec71dee
	v_fmac_f64_e32 v[52:53], v[48:49], v[50:51]
	v_mov_b32_e32 v50, 0x7c89e6b0
	v_mov_b32_e32 v51, 0x3efa0199
	;; [unrolled: 3-line block ×8, first 2 shown]
	s_mov_b32 s0, 0
	v_fmac_f64_e32 v[50:51], v[48:49], v[52:53]
	s_mov_b32 s1, 0x40900000
	v_fma_f64 v[50:51], v[48:49], v[50:51], 1.0
	v_cmp_nlt_f64_e32 vcc, s[0:1], v[34:35]
	s_mov_b32 s0, 0
	v_fma_f64 v[48:49], v[48:49], v[50:51], 1.0
	v_cvt_i32_f64_e32 v38, v[38:39]
	s_mov_b32 s1, 0xc090cc00
	v_ldexp_f64 v[38:39], v[48:49], v38
	v_mov_b32_e32 v48, 0x7ff00000
	v_cmp_ngt_f64_e64 s[0:1], s[0:1], v[34:35]
	v_cndmask_b32_e32 v39, v48, v39, vcc
	s_and_b64 vcc, s[0:1], vcc
	v_cndmask_b32_e64 v35, 0, v39, s[0:1]
	v_cndmask_b32_e32 v34, 0, v38, vcc
	v_add_f64 v[38:39], v[34:35], 1.0
	v_add_f64 v[48:49], v[38:39], -1.0
	v_add_f64 v[50:51], v[48:49], -v[38:39]
	v_add_f64 v[50:51], v[50:51], 1.0
	v_add_f64 v[48:49], v[34:35], -v[48:49]
	s_mov_b32 s0, 0x55555555
	v_add_f64 v[48:49], v[48:49], v[50:51]
	v_frexp_mant_f64_e32 v[50:51], v[38:39]
	s_mov_b32 s1, 0x3fe55555
	v_frexp_exp_i32_f64_e32 v52, v[38:39]
	v_cmp_gt_f64_e32 vcc, s[0:1], v[50:51]
	v_subbrev_co_u32_e32 v66, vcc, 0, v52, vcc
	v_sub_u32_e32 v50, 0, v66
	v_ldexp_f64 v[38:39], v[38:39], v50
	v_ldexp_f64 v[48:49], v[48:49], v50
	v_add_f64 v[50:51], v[38:39], -1.0
	v_add_f64 v[56:57], v[38:39], 1.0
	v_add_f64 v[52:53], v[50:51], 1.0
	v_add_f64 v[58:59], v[56:57], -1.0
	v_add_f64 v[52:53], v[38:39], -v[52:53]
	v_add_f64 v[38:39], v[38:39], -v[58:59]
	v_add_f64 v[38:39], v[48:49], v[38:39]
	v_add_f64 v[52:53], v[48:49], v[52:53]
	;; [unrolled: 1-line block ×3, first 2 shown]
	v_rcp_f64_e32 v[58:59], v[48:49]
	v_add_f64 v[54:55], v[50:51], v[52:53]
	v_add_f64 v[50:51], v[54:55], -v[50:51]
	v_add_f64 v[50:51], v[52:53], -v[50:51]
	;; [unrolled: 1-line block ×4, first 2 shown]
	v_fma_f64 v[52:53], -v[48:49], v[58:59], 1.0
	v_fmac_f64_e32 v[58:59], v[52:53], v[58:59]
	v_fma_f64 v[52:53], -v[48:49], v[58:59], 1.0
	v_fmac_f64_e32 v[58:59], v[52:53], v[58:59]
	v_mul_f64 v[52:53], v[54:55], v[58:59]
	v_mul_f64 v[56:57], v[48:49], v[52:53]
	v_fma_f64 v[60:61], v[52:53], v[48:49], -v[56:57]
	v_fmac_f64_e32 v[60:61], v[52:53], v[38:39]
	v_add_f64 v[62:63], v[56:57], v[60:61]
	v_add_f64 v[64:65], v[54:55], -v[62:63]
	v_add_f64 v[54:55], v[54:55], -v[64:65]
	;; [unrolled: 1-line block ×4, first 2 shown]
	v_add_f64 v[50:51], v[50:51], v[54:55]
	v_add_f64 v[54:55], v[56:57], -v[60:61]
	v_add_f64 v[50:51], v[54:55], v[50:51]
	v_add_f64 v[54:55], v[64:65], v[50:51]
	v_add_f64 v[56:57], v[64:65], -v[54:55]
	v_add_f64 v[50:51], v[50:51], v[56:57]
	v_mul_f64 v[56:57], v[58:59], v[54:55]
	v_mul_f64 v[60:61], v[48:49], v[56:57]
	v_fma_f64 v[48:49], v[56:57], v[48:49], -v[60:61]
	v_fmac_f64_e32 v[48:49], v[56:57], v[38:39]
	v_add_f64 v[38:39], v[60:61], v[48:49]
	v_add_f64 v[62:63], v[54:55], -v[38:39]
	v_add_f64 v[54:55], v[54:55], -v[62:63]
	;; [unrolled: 1-line block ×4, first 2 shown]
	v_add_f64 v[38:39], v[50:51], v[38:39]
	v_add_f64 v[48:49], v[60:61], -v[48:49]
	v_add_f64 v[38:39], v[48:49], v[38:39]
	v_add_f64 v[48:49], v[52:53], v[56:57]
	;; [unrolled: 1-line block ×3, first 2 shown]
	v_add_f64 v[50:51], v[48:49], -v[52:53]
	v_mul_f64 v[38:39], v[58:59], v[38:39]
	v_add_f64 v[50:51], v[56:57], -v[50:51]
	v_add_f64 v[38:39], v[50:51], v[38:39]
	v_add_f64 v[50:51], v[48:49], v[38:39]
	v_add_f64 v[48:49], v[50:51], -v[48:49]
	s_mov_b32 s0, 0xbf559e2b
	v_add_f64 v[38:39], v[38:39], -v[48:49]
	v_mul_f64 v[48:49], v[50:51], v[50:51]
	v_mov_b32_e32 v52, 0x6b47b09a
	v_mov_b32_e32 v53, 0x3fc38538
	s_mov_b32 s1, 0x3fc3ab76
	v_fmac_f64_e32 v[52:53], s[0:1], v[48:49]
	v_mov_b32_e32 v54, 0xd7f4df2e
	v_mov_b32_e32 v55, 0x3fc7474d
	v_fmac_f64_e32 v[54:55], v[48:49], v[52:53]
	v_mov_b32_e32 v52, 0x16291751
	v_mov_b32_e32 v53, 0x3fcc71c0
	;; [unrolled: 3-line block ×5, first 2 shown]
	v_fmac_f64_e32 v[54:55], v[48:49], v[52:53]
	v_cvt_f64_i32_e32 v[52:53], v66
	s_mov_b32 s7, 0x3fe62e42
	v_mul_f64 v[56:57], v[52:53], s[6:7]
	v_fma_f64 v[58:59], v[52:53], s[6:7], -v[56:57]
	s_mov_b32 s9, 0x3c7abc9e
	v_fmac_f64_e32 v[58:59], s[8:9], v[52:53]
	v_add_f64 v[52:53], v[56:57], v[58:59]
	v_add_f64 v[56:57], v[52:53], -v[56:57]
	v_mul_f64 v[48:49], v[50:51], v[48:49]
	v_add_f64 v[56:57], v[58:59], -v[56:57]
	v_ldexp_f64 v[58:59], v[50:51], 1
	v_mul_f64 v[48:49], v[48:49], v[54:55]
	v_add_f64 v[50:51], v[58:59], v[48:49]
	v_add_f64 v[54:55], v[50:51], -v[58:59]
	v_ldexp_f64 v[38:39], v[38:39], 1
	v_add_f64 v[48:49], v[48:49], -v[54:55]
	v_add_f64 v[38:39], v[38:39], v[48:49]
	v_add_f64 v[48:49], v[50:51], v[38:39]
	v_add_f64 v[50:51], v[48:49], -v[50:51]
	v_add_f64 v[38:39], v[38:39], -v[50:51]
	v_add_f64 v[50:51], v[52:53], v[48:49]
	v_add_f64 v[54:55], v[50:51], -v[52:53]
	v_add_f64 v[58:59], v[50:51], -v[54:55]
	;; [unrolled: 1-line block ×4, first 2 shown]
	v_add_f64 v[48:49], v[48:49], v[52:53]
	v_add_f64 v[52:53], v[56:57], v[38:39]
	v_add_f64 v[54:55], v[52:53], -v[56:57]
	v_add_f64 v[48:49], v[52:53], v[48:49]
	v_add_f64 v[58:59], v[52:53], -v[54:55]
	;; [unrolled: 2-line block ×3, first 2 shown]
	v_add_f64 v[38:39], v[38:39], -v[54:55]
	v_add_f64 v[50:51], v[52:53], -v[50:51]
	v_add_f64 v[38:39], v[38:39], v[56:57]
	v_add_f64 v[48:49], v[48:49], -v[50:51]
	s_mov_b32 s0, 0
	v_add_f64 v[38:39], v[38:39], v[48:49]
	s_mov_b32 s1, 0x7ff00000
	v_add_f64 v[38:39], v[52:53], v[38:39]
	v_cmp_eq_f64_e32 vcc, s[0:1], v[34:35]
	v_cndmask_b32_e32 v38, v38, v34, vcc
	v_cndmask_b32_e32 v39, v39, v35, vcc
	v_mov_b32_e32 v48, 0x7ff80000
	v_cmp_ngt_f64_e32 vcc, -1.0, v[34:35]
	v_cndmask_b32_e32 v39, v48, v39, vcc
	v_cmp_nge_f64_e32 vcc, -1.0, v[34:35]
	v_cndmask_b32_e32 v38, 0, v38, vcc
	v_mov_b32_e32 v48, 0xfff00000
	v_cmp_neq_f64_e32 vcc, -1.0, v[34:35]
	v_cndmask_b32_e32 v39, v48, v39, vcc
	v_add_f64 v[34:35], v[36:37], v[38:39]
.LBB49_172:
	s_or_b64 exec, exec, s[2:3]
	v_max_f64 v[36:37], v[34:35], v[34:35]
	v_min_f64 v[38:39], v[36:37], v[40:41]
	v_cmp_u_f64_e32 vcc, v[34:35], v[34:35]
	v_max_f64 v[36:37], v[36:37], v[40:41]
	v_cndmask_b32_e32 v38, v38, v34, vcc
	v_cndmask_b32_e32 v39, v39, v35, vcc
	;; [unrolled: 1-line block ×4, first 2 shown]
	v_cndmask_b32_e64 v49, v39, v13, s[14:15]
	v_cndmask_b32_e64 v48, v38, v12, s[14:15]
	;; [unrolled: 1-line block ×4, first 2 shown]
	v_cmp_neq_f64_e32 vcc, v[48:49], v[38:39]
	v_cmp_class_f64_e64 s[0:1], v[48:49], s10
	s_or_b64 s[0:1], vcc, s[0:1]
	v_pk_mov_b32 v[36:37], v[34:35], v[34:35] op_sel:[0,1]
	s_and_saveexec_b64 s[2:3], s[0:1]
	s_cbranch_execz .LBB49_174
; %bb.173:
	s_mov_b32 s0, 0x652b82fe
	v_add_f64 v[36:37], v[48:49], -v[38:39]
	s_mov_b32 s1, 0x3ff71547
	v_mul_f64 v[40:41], v[36:37], s[0:1]
	v_rndne_f64_e32 v[40:41], v[40:41]
	s_mov_b32 s7, 0xbfe62e42
	s_mov_b32 s6, 0xfefa39ef
	v_fma_f64 v[48:49], s[6:7], v[40:41], v[36:37]
	s_mov_b32 s9, 0xbc7abc9e
	s_mov_b32 s8, 0x3b39803f
	;; [unrolled: 1-line block ×3, first 2 shown]
	v_fmac_f64_e32 v[48:49], s[8:9], v[40:41]
	v_mov_b32_e32 v50, 0xfca7ab0c
	v_mov_b32_e32 v51, 0x3e928af3
	s_mov_b32 s1, 0x3e5ade15
	v_fmac_f64_e32 v[50:51], s[0:1], v[48:49]
	v_mov_b32_e32 v52, 0x623fde64
	v_mov_b32_e32 v53, 0x3ec71dee
	v_fmac_f64_e32 v[52:53], v[48:49], v[50:51]
	v_mov_b32_e32 v50, 0x7c89e6b0
	v_mov_b32_e32 v51, 0x3efa0199
	;; [unrolled: 3-line block ×8, first 2 shown]
	s_mov_b32 s0, 0
	v_fmac_f64_e32 v[50:51], v[48:49], v[52:53]
	s_mov_b32 s1, 0x40900000
	v_fma_f64 v[50:51], v[48:49], v[50:51], 1.0
	v_cmp_nlt_f64_e32 vcc, s[0:1], v[36:37]
	s_mov_b32 s0, 0
	v_fma_f64 v[48:49], v[48:49], v[50:51], 1.0
	v_cvt_i32_f64_e32 v40, v[40:41]
	s_mov_b32 s1, 0xc090cc00
	v_ldexp_f64 v[40:41], v[48:49], v40
	v_mov_b32_e32 v48, 0x7ff00000
	v_cmp_ngt_f64_e64 s[0:1], s[0:1], v[36:37]
	v_cndmask_b32_e32 v41, v48, v41, vcc
	s_and_b64 vcc, s[0:1], vcc
	v_cndmask_b32_e64 v37, 0, v41, s[0:1]
	v_cndmask_b32_e32 v36, 0, v40, vcc
	v_add_f64 v[40:41], v[36:37], 1.0
	v_add_f64 v[48:49], v[40:41], -1.0
	v_add_f64 v[50:51], v[48:49], -v[40:41]
	v_add_f64 v[50:51], v[50:51], 1.0
	v_add_f64 v[48:49], v[36:37], -v[48:49]
	s_mov_b32 s0, 0x55555555
	v_add_f64 v[48:49], v[48:49], v[50:51]
	v_frexp_mant_f64_e32 v[50:51], v[40:41]
	s_mov_b32 s1, 0x3fe55555
	v_frexp_exp_i32_f64_e32 v52, v[40:41]
	v_cmp_gt_f64_e32 vcc, s[0:1], v[50:51]
	v_subbrev_co_u32_e32 v66, vcc, 0, v52, vcc
	v_sub_u32_e32 v50, 0, v66
	v_ldexp_f64 v[40:41], v[40:41], v50
	v_ldexp_f64 v[48:49], v[48:49], v50
	v_add_f64 v[50:51], v[40:41], -1.0
	v_add_f64 v[56:57], v[40:41], 1.0
	v_add_f64 v[52:53], v[50:51], 1.0
	v_add_f64 v[58:59], v[56:57], -1.0
	v_add_f64 v[52:53], v[40:41], -v[52:53]
	v_add_f64 v[40:41], v[40:41], -v[58:59]
	v_add_f64 v[40:41], v[48:49], v[40:41]
	v_add_f64 v[52:53], v[48:49], v[52:53]
	;; [unrolled: 1-line block ×3, first 2 shown]
	v_rcp_f64_e32 v[58:59], v[48:49]
	v_add_f64 v[54:55], v[50:51], v[52:53]
	v_add_f64 v[50:51], v[54:55], -v[50:51]
	v_add_f64 v[50:51], v[52:53], -v[50:51]
	;; [unrolled: 1-line block ×4, first 2 shown]
	v_fma_f64 v[52:53], -v[48:49], v[58:59], 1.0
	v_fmac_f64_e32 v[58:59], v[52:53], v[58:59]
	v_fma_f64 v[52:53], -v[48:49], v[58:59], 1.0
	v_fmac_f64_e32 v[58:59], v[52:53], v[58:59]
	v_mul_f64 v[52:53], v[54:55], v[58:59]
	v_mul_f64 v[56:57], v[48:49], v[52:53]
	v_fma_f64 v[60:61], v[52:53], v[48:49], -v[56:57]
	v_fmac_f64_e32 v[60:61], v[52:53], v[40:41]
	v_add_f64 v[62:63], v[56:57], v[60:61]
	v_add_f64 v[64:65], v[54:55], -v[62:63]
	v_add_f64 v[54:55], v[54:55], -v[64:65]
	;; [unrolled: 1-line block ×4, first 2 shown]
	v_add_f64 v[50:51], v[50:51], v[54:55]
	v_add_f64 v[54:55], v[56:57], -v[60:61]
	v_add_f64 v[50:51], v[54:55], v[50:51]
	v_add_f64 v[54:55], v[64:65], v[50:51]
	v_add_f64 v[56:57], v[64:65], -v[54:55]
	v_add_f64 v[50:51], v[50:51], v[56:57]
	v_mul_f64 v[56:57], v[58:59], v[54:55]
	v_mul_f64 v[60:61], v[48:49], v[56:57]
	v_fma_f64 v[48:49], v[56:57], v[48:49], -v[60:61]
	v_fmac_f64_e32 v[48:49], v[56:57], v[40:41]
	v_add_f64 v[40:41], v[60:61], v[48:49]
	v_add_f64 v[62:63], v[54:55], -v[40:41]
	v_add_f64 v[54:55], v[54:55], -v[62:63]
	;; [unrolled: 1-line block ×4, first 2 shown]
	v_add_f64 v[40:41], v[50:51], v[40:41]
	v_add_f64 v[48:49], v[60:61], -v[48:49]
	v_add_f64 v[40:41], v[48:49], v[40:41]
	v_add_f64 v[48:49], v[52:53], v[56:57]
	v_add_f64 v[40:41], v[62:63], v[40:41]
	v_add_f64 v[50:51], v[48:49], -v[52:53]
	v_mul_f64 v[40:41], v[58:59], v[40:41]
	v_add_f64 v[50:51], v[56:57], -v[50:51]
	v_add_f64 v[40:41], v[50:51], v[40:41]
	v_add_f64 v[50:51], v[48:49], v[40:41]
	v_add_f64 v[48:49], v[50:51], -v[48:49]
	s_mov_b32 s0, 0xbf559e2b
	v_add_f64 v[40:41], v[40:41], -v[48:49]
	v_mul_f64 v[48:49], v[50:51], v[50:51]
	v_mov_b32_e32 v52, 0x6b47b09a
	v_mov_b32_e32 v53, 0x3fc38538
	s_mov_b32 s1, 0x3fc3ab76
	v_fmac_f64_e32 v[52:53], s[0:1], v[48:49]
	v_mov_b32_e32 v54, 0xd7f4df2e
	v_mov_b32_e32 v55, 0x3fc7474d
	v_fmac_f64_e32 v[54:55], v[48:49], v[52:53]
	v_mov_b32_e32 v52, 0x16291751
	v_mov_b32_e32 v53, 0x3fcc71c0
	;; [unrolled: 3-line block ×5, first 2 shown]
	v_fmac_f64_e32 v[54:55], v[48:49], v[52:53]
	v_cvt_f64_i32_e32 v[52:53], v66
	s_mov_b32 s7, 0x3fe62e42
	v_mul_f64 v[56:57], v[52:53], s[6:7]
	v_fma_f64 v[58:59], v[52:53], s[6:7], -v[56:57]
	s_mov_b32 s9, 0x3c7abc9e
	v_fmac_f64_e32 v[58:59], s[8:9], v[52:53]
	v_add_f64 v[52:53], v[56:57], v[58:59]
	v_add_f64 v[56:57], v[52:53], -v[56:57]
	v_mul_f64 v[48:49], v[50:51], v[48:49]
	v_add_f64 v[56:57], v[58:59], -v[56:57]
	v_ldexp_f64 v[58:59], v[50:51], 1
	v_mul_f64 v[48:49], v[48:49], v[54:55]
	v_add_f64 v[50:51], v[58:59], v[48:49]
	v_add_f64 v[54:55], v[50:51], -v[58:59]
	v_ldexp_f64 v[40:41], v[40:41], 1
	v_add_f64 v[48:49], v[48:49], -v[54:55]
	v_add_f64 v[40:41], v[40:41], v[48:49]
	v_add_f64 v[48:49], v[50:51], v[40:41]
	v_add_f64 v[50:51], v[48:49], -v[50:51]
	v_add_f64 v[40:41], v[40:41], -v[50:51]
	v_add_f64 v[50:51], v[52:53], v[48:49]
	v_add_f64 v[54:55], v[50:51], -v[52:53]
	v_add_f64 v[58:59], v[50:51], -v[54:55]
	;; [unrolled: 1-line block ×4, first 2 shown]
	v_add_f64 v[48:49], v[48:49], v[52:53]
	v_add_f64 v[52:53], v[56:57], v[40:41]
	v_add_f64 v[54:55], v[52:53], -v[56:57]
	v_add_f64 v[48:49], v[52:53], v[48:49]
	v_add_f64 v[58:59], v[52:53], -v[54:55]
	;; [unrolled: 2-line block ×3, first 2 shown]
	v_add_f64 v[40:41], v[40:41], -v[54:55]
	v_add_f64 v[50:51], v[52:53], -v[50:51]
	v_add_f64 v[40:41], v[40:41], v[56:57]
	v_add_f64 v[48:49], v[48:49], -v[50:51]
	s_mov_b32 s0, 0
	v_add_f64 v[40:41], v[40:41], v[48:49]
	s_mov_b32 s1, 0x7ff00000
	v_add_f64 v[40:41], v[52:53], v[40:41]
	v_cmp_eq_f64_e32 vcc, s[0:1], v[36:37]
	v_cndmask_b32_e32 v40, v40, v36, vcc
	v_cndmask_b32_e32 v41, v41, v37, vcc
	v_mov_b32_e32 v48, 0x7ff80000
	v_cmp_ngt_f64_e32 vcc, -1.0, v[36:37]
	v_cndmask_b32_e32 v41, v48, v41, vcc
	v_cmp_nge_f64_e32 vcc, -1.0, v[36:37]
	v_cndmask_b32_e32 v40, 0, v40, vcc
	v_mov_b32_e32 v48, 0xfff00000
	v_cmp_neq_f64_e32 vcc, -1.0, v[36:37]
	v_cndmask_b32_e32 v41, v48, v41, vcc
	v_add_f64 v[36:37], v[38:39], v[40:41]
.LBB49_174:
	s_or_b64 exec, exec, s[2:3]
	v_max_f64 v[38:39], v[36:37], v[36:37]
	v_min_f64 v[40:41], v[38:39], v[44:45]
	v_cmp_u_f64_e32 vcc, v[36:37], v[36:37]
	v_max_f64 v[38:39], v[38:39], v[44:45]
	v_cndmask_b32_e32 v40, v40, v36, vcc
	v_cndmask_b32_e32 v41, v41, v37, vcc
	;; [unrolled: 1-line block ×4, first 2 shown]
	v_cndmask_b32_e64 v49, v41, v7, s[16:17]
	v_cndmask_b32_e64 v48, v40, v6, s[16:17]
	;; [unrolled: 1-line block ×4, first 2 shown]
	v_cmp_neq_f64_e32 vcc, v[48:49], v[40:41]
	v_cmp_class_f64_e64 s[0:1], v[48:49], s10
	s_or_b64 s[0:1], vcc, s[0:1]
	v_pk_mov_b32 v[38:39], v[36:37], v[36:37] op_sel:[0,1]
	s_and_saveexec_b64 s[2:3], s[0:1]
	s_cbranch_execz .LBB49_176
; %bb.175:
	s_mov_b32 s0, 0x652b82fe
	v_add_f64 v[38:39], v[48:49], -v[40:41]
	s_mov_b32 s1, 0x3ff71547
	v_mul_f64 v[44:45], v[38:39], s[0:1]
	v_rndne_f64_e32 v[44:45], v[44:45]
	s_mov_b32 s7, 0xbfe62e42
	s_mov_b32 s6, 0xfefa39ef
	v_fma_f64 v[48:49], s[6:7], v[44:45], v[38:39]
	s_mov_b32 s9, 0xbc7abc9e
	s_mov_b32 s8, 0x3b39803f
	;; [unrolled: 1-line block ×3, first 2 shown]
	v_fmac_f64_e32 v[48:49], s[8:9], v[44:45]
	v_mov_b32_e32 v50, 0xfca7ab0c
	v_mov_b32_e32 v51, 0x3e928af3
	s_mov_b32 s1, 0x3e5ade15
	v_fmac_f64_e32 v[50:51], s[0:1], v[48:49]
	v_mov_b32_e32 v52, 0x623fde64
	v_mov_b32_e32 v53, 0x3ec71dee
	v_fmac_f64_e32 v[52:53], v[48:49], v[50:51]
	v_mov_b32_e32 v50, 0x7c89e6b0
	v_mov_b32_e32 v51, 0x3efa0199
	;; [unrolled: 3-line block ×8, first 2 shown]
	s_mov_b32 s0, 0
	v_fmac_f64_e32 v[50:51], v[48:49], v[52:53]
	s_mov_b32 s1, 0x40900000
	v_fma_f64 v[50:51], v[48:49], v[50:51], 1.0
	v_cmp_nlt_f64_e32 vcc, s[0:1], v[38:39]
	s_mov_b32 s0, 0
	v_fma_f64 v[48:49], v[48:49], v[50:51], 1.0
	v_cvt_i32_f64_e32 v44, v[44:45]
	s_mov_b32 s1, 0xc090cc00
	v_ldexp_f64 v[44:45], v[48:49], v44
	v_mov_b32_e32 v48, 0x7ff00000
	v_cmp_ngt_f64_e64 s[0:1], s[0:1], v[38:39]
	v_cndmask_b32_e32 v45, v48, v45, vcc
	s_and_b64 vcc, s[0:1], vcc
	v_cndmask_b32_e64 v39, 0, v45, s[0:1]
	v_cndmask_b32_e32 v38, 0, v44, vcc
	v_add_f64 v[44:45], v[38:39], 1.0
	v_add_f64 v[48:49], v[44:45], -1.0
	v_add_f64 v[50:51], v[48:49], -v[44:45]
	v_add_f64 v[50:51], v[50:51], 1.0
	v_add_f64 v[48:49], v[38:39], -v[48:49]
	s_mov_b32 s0, 0x55555555
	v_add_f64 v[48:49], v[48:49], v[50:51]
	v_frexp_mant_f64_e32 v[50:51], v[44:45]
	s_mov_b32 s1, 0x3fe55555
	v_frexp_exp_i32_f64_e32 v52, v[44:45]
	v_cmp_gt_f64_e32 vcc, s[0:1], v[50:51]
	v_subbrev_co_u32_e32 v66, vcc, 0, v52, vcc
	v_sub_u32_e32 v50, 0, v66
	v_ldexp_f64 v[44:45], v[44:45], v50
	v_ldexp_f64 v[48:49], v[48:49], v50
	v_add_f64 v[50:51], v[44:45], -1.0
	v_add_f64 v[56:57], v[44:45], 1.0
	v_add_f64 v[52:53], v[50:51], 1.0
	v_add_f64 v[58:59], v[56:57], -1.0
	v_add_f64 v[52:53], v[44:45], -v[52:53]
	v_add_f64 v[44:45], v[44:45], -v[58:59]
	v_add_f64 v[44:45], v[48:49], v[44:45]
	v_add_f64 v[52:53], v[48:49], v[52:53]
	;; [unrolled: 1-line block ×3, first 2 shown]
	v_rcp_f64_e32 v[58:59], v[48:49]
	v_add_f64 v[54:55], v[50:51], v[52:53]
	v_add_f64 v[50:51], v[54:55], -v[50:51]
	v_add_f64 v[50:51], v[52:53], -v[50:51]
	;; [unrolled: 1-line block ×4, first 2 shown]
	v_fma_f64 v[52:53], -v[48:49], v[58:59], 1.0
	v_fmac_f64_e32 v[58:59], v[52:53], v[58:59]
	v_fma_f64 v[52:53], -v[48:49], v[58:59], 1.0
	v_fmac_f64_e32 v[58:59], v[52:53], v[58:59]
	v_mul_f64 v[52:53], v[54:55], v[58:59]
	v_mul_f64 v[56:57], v[48:49], v[52:53]
	v_fma_f64 v[60:61], v[52:53], v[48:49], -v[56:57]
	v_fmac_f64_e32 v[60:61], v[52:53], v[44:45]
	v_add_f64 v[62:63], v[56:57], v[60:61]
	v_add_f64 v[64:65], v[54:55], -v[62:63]
	v_add_f64 v[54:55], v[54:55], -v[64:65]
	;; [unrolled: 1-line block ×4, first 2 shown]
	v_add_f64 v[50:51], v[50:51], v[54:55]
	v_add_f64 v[54:55], v[56:57], -v[60:61]
	v_add_f64 v[50:51], v[54:55], v[50:51]
	v_add_f64 v[54:55], v[64:65], v[50:51]
	v_add_f64 v[56:57], v[64:65], -v[54:55]
	v_add_f64 v[50:51], v[50:51], v[56:57]
	v_mul_f64 v[56:57], v[58:59], v[54:55]
	v_mul_f64 v[60:61], v[48:49], v[56:57]
	v_fma_f64 v[48:49], v[56:57], v[48:49], -v[60:61]
	v_fmac_f64_e32 v[48:49], v[56:57], v[44:45]
	v_add_f64 v[44:45], v[60:61], v[48:49]
	v_add_f64 v[62:63], v[54:55], -v[44:45]
	v_add_f64 v[54:55], v[54:55], -v[62:63]
	;; [unrolled: 1-line block ×4, first 2 shown]
	v_add_f64 v[44:45], v[50:51], v[44:45]
	v_add_f64 v[48:49], v[60:61], -v[48:49]
	v_add_f64 v[44:45], v[48:49], v[44:45]
	v_add_f64 v[48:49], v[52:53], v[56:57]
	;; [unrolled: 1-line block ×3, first 2 shown]
	v_add_f64 v[50:51], v[48:49], -v[52:53]
	v_mul_f64 v[44:45], v[58:59], v[44:45]
	v_add_f64 v[50:51], v[56:57], -v[50:51]
	v_add_f64 v[44:45], v[50:51], v[44:45]
	v_add_f64 v[50:51], v[48:49], v[44:45]
	v_add_f64 v[48:49], v[50:51], -v[48:49]
	s_mov_b32 s0, 0xbf559e2b
	v_add_f64 v[44:45], v[44:45], -v[48:49]
	v_mul_f64 v[48:49], v[50:51], v[50:51]
	v_mov_b32_e32 v52, 0x6b47b09a
	v_mov_b32_e32 v53, 0x3fc38538
	s_mov_b32 s1, 0x3fc3ab76
	v_fmac_f64_e32 v[52:53], s[0:1], v[48:49]
	v_mov_b32_e32 v54, 0xd7f4df2e
	v_mov_b32_e32 v55, 0x3fc7474d
	v_fmac_f64_e32 v[54:55], v[48:49], v[52:53]
	v_mov_b32_e32 v52, 0x16291751
	v_mov_b32_e32 v53, 0x3fcc71c0
	;; [unrolled: 3-line block ×5, first 2 shown]
	v_fmac_f64_e32 v[54:55], v[48:49], v[52:53]
	v_cvt_f64_i32_e32 v[52:53], v66
	s_mov_b32 s7, 0x3fe62e42
	v_mul_f64 v[56:57], v[52:53], s[6:7]
	v_fma_f64 v[58:59], v[52:53], s[6:7], -v[56:57]
	s_mov_b32 s9, 0x3c7abc9e
	v_fmac_f64_e32 v[58:59], s[8:9], v[52:53]
	v_add_f64 v[52:53], v[56:57], v[58:59]
	v_add_f64 v[56:57], v[52:53], -v[56:57]
	v_mul_f64 v[48:49], v[50:51], v[48:49]
	v_add_f64 v[56:57], v[58:59], -v[56:57]
	v_ldexp_f64 v[58:59], v[50:51], 1
	v_mul_f64 v[48:49], v[48:49], v[54:55]
	v_add_f64 v[50:51], v[58:59], v[48:49]
	v_add_f64 v[54:55], v[50:51], -v[58:59]
	v_ldexp_f64 v[44:45], v[44:45], 1
	v_add_f64 v[48:49], v[48:49], -v[54:55]
	v_add_f64 v[44:45], v[44:45], v[48:49]
	v_add_f64 v[48:49], v[50:51], v[44:45]
	v_add_f64 v[50:51], v[48:49], -v[50:51]
	v_add_f64 v[44:45], v[44:45], -v[50:51]
	v_add_f64 v[50:51], v[52:53], v[48:49]
	v_add_f64 v[54:55], v[50:51], -v[52:53]
	v_add_f64 v[58:59], v[50:51], -v[54:55]
	;; [unrolled: 1-line block ×4, first 2 shown]
	v_add_f64 v[48:49], v[48:49], v[52:53]
	v_add_f64 v[52:53], v[56:57], v[44:45]
	v_add_f64 v[54:55], v[52:53], -v[56:57]
	v_add_f64 v[48:49], v[52:53], v[48:49]
	v_add_f64 v[58:59], v[52:53], -v[54:55]
	;; [unrolled: 2-line block ×3, first 2 shown]
	v_add_f64 v[44:45], v[44:45], -v[54:55]
	v_add_f64 v[50:51], v[52:53], -v[50:51]
	v_add_f64 v[44:45], v[44:45], v[56:57]
	v_add_f64 v[48:49], v[48:49], -v[50:51]
	s_mov_b32 s0, 0
	v_add_f64 v[44:45], v[44:45], v[48:49]
	s_mov_b32 s1, 0x7ff00000
	v_add_f64 v[44:45], v[52:53], v[44:45]
	v_cmp_eq_f64_e32 vcc, s[0:1], v[38:39]
	v_cndmask_b32_e32 v44, v44, v38, vcc
	v_cndmask_b32_e32 v45, v45, v39, vcc
	v_mov_b32_e32 v48, 0x7ff80000
	v_cmp_ngt_f64_e32 vcc, -1.0, v[38:39]
	v_cndmask_b32_e32 v45, v48, v45, vcc
	v_cmp_nge_f64_e32 vcc, -1.0, v[38:39]
	v_cndmask_b32_e32 v44, 0, v44, vcc
	v_mov_b32_e32 v48, 0xfff00000
	v_cmp_neq_f64_e32 vcc, -1.0, v[38:39]
	v_cndmask_b32_e32 v45, v48, v45, vcc
	v_add_f64 v[38:39], v[40:41], v[44:45]
.LBB49_176:
	s_or_b64 exec, exec, s[2:3]
	v_max_f64 v[40:41], v[38:39], v[38:39]
	v_min_f64 v[44:45], v[40:41], v[46:47]
	v_cmp_u_f64_e32 vcc, v[38:39], v[38:39]
	v_max_f64 v[40:41], v[40:41], v[46:47]
	v_cndmask_b32_e32 v44, v44, v38, vcc
	v_cndmask_b32_e32 v45, v45, v39, vcc
	;; [unrolled: 1-line block ×4, first 2 shown]
	v_cndmask_b32_e64 v49, v45, v9, s[18:19]
	v_cndmask_b32_e64 v48, v44, v8, s[18:19]
	;; [unrolled: 1-line block ×4, first 2 shown]
	v_cmp_neq_f64_e32 vcc, v[48:49], v[44:45]
	v_cmp_class_f64_e64 s[0:1], v[48:49], s10
	s_or_b64 s[0:1], vcc, s[0:1]
	v_pk_mov_b32 v[40:41], v[38:39], v[38:39] op_sel:[0,1]
	s_and_saveexec_b64 s[2:3], s[0:1]
	s_cbranch_execz .LBB49_178
; %bb.177:
	s_mov_b32 s0, 0x652b82fe
	v_add_f64 v[40:41], v[48:49], -v[44:45]
	s_mov_b32 s1, 0x3ff71547
	v_mul_f64 v[46:47], v[40:41], s[0:1]
	v_rndne_f64_e32 v[46:47], v[46:47]
	s_mov_b32 s7, 0xbfe62e42
	s_mov_b32 s6, 0xfefa39ef
	v_fma_f64 v[48:49], s[6:7], v[46:47], v[40:41]
	s_mov_b32 s9, 0xbc7abc9e
	s_mov_b32 s8, 0x3b39803f
	;; [unrolled: 1-line block ×3, first 2 shown]
	v_fmac_f64_e32 v[48:49], s[8:9], v[46:47]
	v_mov_b32_e32 v50, 0xfca7ab0c
	v_mov_b32_e32 v51, 0x3e928af3
	s_mov_b32 s1, 0x3e5ade15
	v_fmac_f64_e32 v[50:51], s[0:1], v[48:49]
	v_mov_b32_e32 v52, 0x623fde64
	v_mov_b32_e32 v53, 0x3ec71dee
	v_fmac_f64_e32 v[52:53], v[48:49], v[50:51]
	v_mov_b32_e32 v50, 0x7c89e6b0
	v_mov_b32_e32 v51, 0x3efa0199
	;; [unrolled: 3-line block ×8, first 2 shown]
	s_mov_b32 s0, 0
	v_fmac_f64_e32 v[50:51], v[48:49], v[52:53]
	s_mov_b32 s1, 0x40900000
	v_fma_f64 v[50:51], v[48:49], v[50:51], 1.0
	v_cmp_nlt_f64_e32 vcc, s[0:1], v[40:41]
	s_mov_b32 s0, 0
	v_fma_f64 v[48:49], v[48:49], v[50:51], 1.0
	v_cvt_i32_f64_e32 v46, v[46:47]
	s_mov_b32 s1, 0xc090cc00
	v_ldexp_f64 v[46:47], v[48:49], v46
	v_mov_b32_e32 v48, 0x7ff00000
	v_cmp_ngt_f64_e64 s[0:1], s[0:1], v[40:41]
	v_cndmask_b32_e32 v47, v48, v47, vcc
	s_and_b64 vcc, s[0:1], vcc
	v_cndmask_b32_e64 v41, 0, v47, s[0:1]
	v_cndmask_b32_e32 v40, 0, v46, vcc
	v_add_f64 v[46:47], v[40:41], 1.0
	v_add_f64 v[48:49], v[46:47], -1.0
	v_add_f64 v[50:51], v[48:49], -v[46:47]
	v_add_f64 v[50:51], v[50:51], 1.0
	v_add_f64 v[48:49], v[40:41], -v[48:49]
	s_mov_b32 s0, 0x55555555
	v_add_f64 v[48:49], v[48:49], v[50:51]
	v_frexp_mant_f64_e32 v[50:51], v[46:47]
	s_mov_b32 s1, 0x3fe55555
	v_frexp_exp_i32_f64_e32 v52, v[46:47]
	v_cmp_gt_f64_e32 vcc, s[0:1], v[50:51]
	v_subbrev_co_u32_e32 v66, vcc, 0, v52, vcc
	v_sub_u32_e32 v50, 0, v66
	v_ldexp_f64 v[46:47], v[46:47], v50
	v_ldexp_f64 v[48:49], v[48:49], v50
	v_add_f64 v[50:51], v[46:47], -1.0
	v_add_f64 v[56:57], v[46:47], 1.0
	v_add_f64 v[52:53], v[50:51], 1.0
	v_add_f64 v[58:59], v[56:57], -1.0
	v_add_f64 v[52:53], v[46:47], -v[52:53]
	v_add_f64 v[46:47], v[46:47], -v[58:59]
	v_add_f64 v[46:47], v[48:49], v[46:47]
	v_add_f64 v[52:53], v[48:49], v[52:53]
	;; [unrolled: 1-line block ×3, first 2 shown]
	v_rcp_f64_e32 v[58:59], v[48:49]
	v_add_f64 v[54:55], v[50:51], v[52:53]
	v_add_f64 v[50:51], v[54:55], -v[50:51]
	v_add_f64 v[50:51], v[52:53], -v[50:51]
	;; [unrolled: 1-line block ×4, first 2 shown]
	v_fma_f64 v[52:53], -v[48:49], v[58:59], 1.0
	v_fmac_f64_e32 v[58:59], v[52:53], v[58:59]
	v_fma_f64 v[52:53], -v[48:49], v[58:59], 1.0
	v_fmac_f64_e32 v[58:59], v[52:53], v[58:59]
	v_mul_f64 v[52:53], v[54:55], v[58:59]
	v_mul_f64 v[56:57], v[48:49], v[52:53]
	v_fma_f64 v[60:61], v[52:53], v[48:49], -v[56:57]
	v_fmac_f64_e32 v[60:61], v[52:53], v[46:47]
	v_add_f64 v[62:63], v[56:57], v[60:61]
	v_add_f64 v[64:65], v[54:55], -v[62:63]
	v_add_f64 v[54:55], v[54:55], -v[64:65]
	;; [unrolled: 1-line block ×4, first 2 shown]
	v_add_f64 v[50:51], v[50:51], v[54:55]
	v_add_f64 v[54:55], v[56:57], -v[60:61]
	v_add_f64 v[50:51], v[54:55], v[50:51]
	v_add_f64 v[54:55], v[64:65], v[50:51]
	v_add_f64 v[56:57], v[64:65], -v[54:55]
	v_add_f64 v[50:51], v[50:51], v[56:57]
	v_mul_f64 v[56:57], v[58:59], v[54:55]
	v_mul_f64 v[60:61], v[48:49], v[56:57]
	v_fma_f64 v[48:49], v[56:57], v[48:49], -v[60:61]
	v_fmac_f64_e32 v[48:49], v[56:57], v[46:47]
	v_add_f64 v[46:47], v[60:61], v[48:49]
	v_add_f64 v[62:63], v[54:55], -v[46:47]
	v_add_f64 v[54:55], v[54:55], -v[62:63]
	v_add_f64 v[60:61], v[46:47], -v[60:61]
	v_add_f64 v[46:47], v[54:55], -v[46:47]
	v_add_f64 v[46:47], v[50:51], v[46:47]
	v_add_f64 v[48:49], v[60:61], -v[48:49]
	v_add_f64 v[46:47], v[48:49], v[46:47]
	v_add_f64 v[48:49], v[52:53], v[56:57]
	;; [unrolled: 1-line block ×3, first 2 shown]
	v_add_f64 v[50:51], v[48:49], -v[52:53]
	v_mul_f64 v[46:47], v[58:59], v[46:47]
	v_add_f64 v[50:51], v[56:57], -v[50:51]
	v_add_f64 v[46:47], v[50:51], v[46:47]
	v_add_f64 v[50:51], v[48:49], v[46:47]
	v_add_f64 v[48:49], v[50:51], -v[48:49]
	s_mov_b32 s0, 0xbf559e2b
	v_add_f64 v[46:47], v[46:47], -v[48:49]
	v_mul_f64 v[48:49], v[50:51], v[50:51]
	v_mov_b32_e32 v52, 0x6b47b09a
	v_mov_b32_e32 v53, 0x3fc38538
	s_mov_b32 s1, 0x3fc3ab76
	v_fmac_f64_e32 v[52:53], s[0:1], v[48:49]
	v_mov_b32_e32 v54, 0xd7f4df2e
	v_mov_b32_e32 v55, 0x3fc7474d
	v_fmac_f64_e32 v[54:55], v[48:49], v[52:53]
	v_mov_b32_e32 v52, 0x16291751
	v_mov_b32_e32 v53, 0x3fcc71c0
	;; [unrolled: 3-line block ×5, first 2 shown]
	v_fmac_f64_e32 v[54:55], v[48:49], v[52:53]
	v_cvt_f64_i32_e32 v[52:53], v66
	s_mov_b32 s7, 0x3fe62e42
	v_mul_f64 v[56:57], v[52:53], s[6:7]
	v_fma_f64 v[58:59], v[52:53], s[6:7], -v[56:57]
	s_mov_b32 s9, 0x3c7abc9e
	v_fmac_f64_e32 v[58:59], s[8:9], v[52:53]
	v_add_f64 v[52:53], v[56:57], v[58:59]
	v_add_f64 v[56:57], v[52:53], -v[56:57]
	v_mul_f64 v[48:49], v[50:51], v[48:49]
	v_add_f64 v[56:57], v[58:59], -v[56:57]
	v_ldexp_f64 v[58:59], v[50:51], 1
	v_mul_f64 v[48:49], v[48:49], v[54:55]
	v_add_f64 v[50:51], v[58:59], v[48:49]
	v_add_f64 v[54:55], v[50:51], -v[58:59]
	v_ldexp_f64 v[46:47], v[46:47], 1
	v_add_f64 v[48:49], v[48:49], -v[54:55]
	v_add_f64 v[46:47], v[46:47], v[48:49]
	v_add_f64 v[48:49], v[50:51], v[46:47]
	v_add_f64 v[50:51], v[48:49], -v[50:51]
	v_add_f64 v[46:47], v[46:47], -v[50:51]
	v_add_f64 v[50:51], v[52:53], v[48:49]
	v_add_f64 v[54:55], v[50:51], -v[52:53]
	v_add_f64 v[58:59], v[50:51], -v[54:55]
	;; [unrolled: 1-line block ×4, first 2 shown]
	v_add_f64 v[48:49], v[48:49], v[52:53]
	v_add_f64 v[52:53], v[56:57], v[46:47]
	v_add_f64 v[54:55], v[52:53], -v[56:57]
	v_add_f64 v[48:49], v[52:53], v[48:49]
	v_add_f64 v[58:59], v[52:53], -v[54:55]
	;; [unrolled: 2-line block ×3, first 2 shown]
	v_add_f64 v[46:47], v[46:47], -v[54:55]
	v_add_f64 v[50:51], v[52:53], -v[50:51]
	v_add_f64 v[46:47], v[46:47], v[56:57]
	v_add_f64 v[48:49], v[48:49], -v[50:51]
	s_mov_b32 s0, 0
	v_add_f64 v[46:47], v[46:47], v[48:49]
	s_mov_b32 s1, 0x7ff00000
	v_add_f64 v[46:47], v[52:53], v[46:47]
	v_cmp_eq_f64_e32 vcc, s[0:1], v[40:41]
	v_cndmask_b32_e32 v46, v46, v40, vcc
	v_cndmask_b32_e32 v47, v47, v41, vcc
	v_mov_b32_e32 v48, 0x7ff80000
	v_cmp_ngt_f64_e32 vcc, -1.0, v[40:41]
	v_cndmask_b32_e32 v47, v48, v47, vcc
	v_cmp_nge_f64_e32 vcc, -1.0, v[40:41]
	v_cndmask_b32_e32 v46, 0, v46, vcc
	v_mov_b32_e32 v48, 0xfff00000
	v_cmp_neq_f64_e32 vcc, -1.0, v[40:41]
	v_cndmask_b32_e32 v47, v48, v47, vcc
	v_add_f64 v[40:41], v[44:45], v[46:47]
.LBB49_178:
	s_or_b64 exec, exec, s[2:3]
	s_load_dwordx8 s[36:43], s[4:5], 0x40
	s_branch .LBB49_263
.LBB49_179:
                                        ; implicit-def: $vgpr40_vgpr41
                                        ; implicit-def: $vgpr36_vgpr37
                                        ; implicit-def: $vgpr32_vgpr33
                                        ; implicit-def: $vgpr28_vgpr29
                                        ; implicit-def: $vgpr24_vgpr25
	s_load_dwordx8 s[36:43], s[4:5], 0x40
	s_cbranch_execz .LBB49_263
; %bb.180:
	s_waitcnt lgkmcnt(0)
	s_cmp_lg_u64 s[40:41], 0
	s_cselect_b64 s[2:3], -1, 0
	v_cmp_eq_u32_e64 s[0:1], 0, v0
	v_cmp_ne_u32_e32 vcc, 0, v0
	s_and_b64 s[0:1], s[0:1], s[2:3]
	s_and_saveexec_b64 s[4:5], s[0:1]
	s_cbranch_execz .LBB49_184
; %bb.181:
	v_mov_b32_e32 v22, 0
	global_load_dwordx2 v[22:23], v22, s[36:37]
	v_max_f64 v[24:25], v[2:3], v[2:3]
	s_movk_i32 s2, 0x1f8
	s_waitcnt vmcnt(0)
	v_max_f64 v[26:27], v[22:23], v[22:23]
	v_min_f64 v[28:29], v[26:27], v[24:25]
	v_max_f64 v[24:25], v[26:27], v[24:25]
	v_cmp_u_f64_e64 s[0:1], v[22:23], v[22:23]
	v_cndmask_b32_e64 v26, v28, v22, s[0:1]
	v_cndmask_b32_e64 v27, v29, v23, s[0:1]
	;; [unrolled: 1-line block ×4, first 2 shown]
	v_cmp_u_f64_e64 s[0:1], v[2:3], v[2:3]
	v_cndmask_b32_e64 v25, v27, v3, s[0:1]
	v_cndmask_b32_e64 v24, v26, v2, s[0:1]
	;; [unrolled: 1-line block ×4, first 2 shown]
	v_cmp_neq_f64_e64 s[0:1], v[24:25], v[2:3]
	v_cmp_class_f64_e64 s[2:3], v[24:25], s2
	s_or_b64 s[0:1], s[0:1], s[2:3]
	s_and_saveexec_b64 s[6:7], s[0:1]
	s_cbranch_execz .LBB49_183
; %bb.182:
	s_mov_b32 s0, 0x652b82fe
	v_add_f64 v[22:23], v[24:25], -v[2:3]
	s_mov_b32 s1, 0x3ff71547
	v_mul_f64 v[24:25], v[22:23], s[0:1]
	v_rndne_f64_e32 v[24:25], v[24:25]
	s_mov_b32 s9, 0xbfe62e42
	s_mov_b32 s8, 0xfefa39ef
	v_fma_f64 v[26:27], s[8:9], v[24:25], v[22:23]
	s_mov_b32 s11, 0xbc7abc9e
	s_mov_b32 s10, 0x3b39803f
	;; [unrolled: 1-line block ×3, first 2 shown]
	v_fmac_f64_e32 v[26:27], s[10:11], v[24:25]
	v_mov_b32_e32 v28, 0xfca7ab0c
	v_mov_b32_e32 v29, 0x3e928af3
	s_mov_b32 s1, 0x3e5ade15
	v_fmac_f64_e32 v[28:29], s[0:1], v[26:27]
	v_mov_b32_e32 v30, 0x623fde64
	v_mov_b32_e32 v31, 0x3ec71dee
	v_fmac_f64_e32 v[30:31], v[26:27], v[28:29]
	v_mov_b32_e32 v28, 0x7c89e6b0
	v_mov_b32_e32 v29, 0x3efa0199
	;; [unrolled: 3-line block ×8, first 2 shown]
	v_fmac_f64_e32 v[28:29], v[26:27], v[30:31]
	v_fma_f64 v[28:29], v[26:27], v[28:29], 1.0
	s_mov_b32 s0, 0
	s_mov_b32 s2, 0
	v_fma_f64 v[26:27], v[26:27], v[28:29], 1.0
	v_cvt_i32_f64_e32 v24, v[24:25]
	s_mov_b32 s1, 0x40900000
	s_mov_b32 s3, 0xc090cc00
	v_ldexp_f64 v[24:25], v[26:27], v24
	v_mov_b32_e32 v26, 0x7ff00000
	v_cmp_nlt_f64_e64 s[0:1], s[0:1], v[22:23]
	v_cmp_ngt_f64_e64 s[2:3], s[2:3], v[22:23]
	v_cndmask_b32_e64 v25, v26, v25, s[0:1]
	s_and_b64 s[0:1], s[2:3], s[0:1]
	v_cndmask_b32_e64 v23, 0, v25, s[2:3]
	v_cndmask_b32_e64 v22, 0, v24, s[0:1]
	v_add_f64 v[24:25], v[22:23], 1.0
	v_add_f64 v[26:27], v[24:25], -1.0
	v_add_f64 v[28:29], v[26:27], -v[24:25]
	v_add_f64 v[28:29], v[28:29], 1.0
	v_add_f64 v[26:27], v[22:23], -v[26:27]
	s_mov_b32 s0, 0x55555555
	v_add_f64 v[26:27], v[26:27], v[28:29]
	v_frexp_mant_f64_e32 v[28:29], v[24:25]
	s_mov_b32 s1, 0x3fe55555
	v_frexp_exp_i32_f64_e32 v30, v[24:25]
	v_cmp_gt_f64_e64 s[0:1], s[0:1], v[28:29]
	v_subbrev_co_u32_e64 v46, s[0:1], 0, v30, s[0:1]
	v_sub_u32_e32 v28, 0, v46
	v_ldexp_f64 v[24:25], v[24:25], v28
	v_ldexp_f64 v[26:27], v[26:27], v28
	v_add_f64 v[28:29], v[24:25], -1.0
	v_add_f64 v[34:35], v[24:25], 1.0
	v_add_f64 v[30:31], v[28:29], 1.0
	v_add_f64 v[36:37], v[34:35], -1.0
	v_add_f64 v[30:31], v[24:25], -v[30:31]
	v_add_f64 v[24:25], v[24:25], -v[36:37]
	v_add_f64 v[24:25], v[26:27], v[24:25]
	v_add_f64 v[30:31], v[26:27], v[30:31]
	v_add_f64 v[26:27], v[34:35], v[24:25]
	v_rcp_f64_e32 v[36:37], v[26:27]
	v_add_f64 v[32:33], v[28:29], v[30:31]
	v_add_f64 v[28:29], v[32:33], -v[28:29]
	v_add_f64 v[28:29], v[30:31], -v[28:29]
	v_add_f64 v[30:31], v[26:27], -v[34:35]
	v_add_f64 v[24:25], v[24:25], -v[30:31]
	v_fma_f64 v[30:31], -v[26:27], v[36:37], 1.0
	v_fmac_f64_e32 v[36:37], v[30:31], v[36:37]
	v_fma_f64 v[30:31], -v[26:27], v[36:37], 1.0
	v_fmac_f64_e32 v[36:37], v[30:31], v[36:37]
	v_mul_f64 v[30:31], v[32:33], v[36:37]
	v_mul_f64 v[34:35], v[26:27], v[30:31]
	v_fma_f64 v[38:39], v[30:31], v[26:27], -v[34:35]
	v_fmac_f64_e32 v[38:39], v[30:31], v[24:25]
	v_add_f64 v[40:41], v[34:35], v[38:39]
	v_add_f64 v[44:45], v[32:33], -v[40:41]
	v_add_f64 v[32:33], v[32:33], -v[44:45]
	v_add_f64 v[34:35], v[40:41], -v[34:35]
	v_add_f64 v[32:33], v[32:33], -v[40:41]
	v_add_f64 v[28:29], v[28:29], v[32:33]
	v_add_f64 v[32:33], v[34:35], -v[38:39]
	v_add_f64 v[28:29], v[32:33], v[28:29]
	v_add_f64 v[32:33], v[44:45], v[28:29]
	v_add_f64 v[34:35], v[44:45], -v[32:33]
	v_add_f64 v[28:29], v[28:29], v[34:35]
	v_mul_f64 v[34:35], v[36:37], v[32:33]
	v_mul_f64 v[38:39], v[26:27], v[34:35]
	v_fma_f64 v[26:27], v[34:35], v[26:27], -v[38:39]
	v_fmac_f64_e32 v[26:27], v[34:35], v[24:25]
	v_add_f64 v[24:25], v[38:39], v[26:27]
	v_add_f64 v[40:41], v[32:33], -v[24:25]
	v_add_f64 v[32:33], v[32:33], -v[40:41]
	;; [unrolled: 1-line block ×4, first 2 shown]
	v_add_f64 v[24:25], v[28:29], v[24:25]
	v_add_f64 v[26:27], v[38:39], -v[26:27]
	v_add_f64 v[24:25], v[26:27], v[24:25]
	v_add_f64 v[26:27], v[30:31], v[34:35]
	;; [unrolled: 1-line block ×3, first 2 shown]
	v_add_f64 v[28:29], v[26:27], -v[30:31]
	v_mul_f64 v[24:25], v[36:37], v[24:25]
	v_add_f64 v[28:29], v[34:35], -v[28:29]
	v_add_f64 v[24:25], v[28:29], v[24:25]
	v_add_f64 v[28:29], v[26:27], v[24:25]
	v_add_f64 v[26:27], v[28:29], -v[26:27]
	s_mov_b32 s0, 0xbf559e2b
	v_add_f64 v[24:25], v[24:25], -v[26:27]
	v_mul_f64 v[26:27], v[28:29], v[28:29]
	v_mov_b32_e32 v30, 0x6b47b09a
	v_mov_b32_e32 v31, 0x3fc38538
	s_mov_b32 s1, 0x3fc3ab76
	v_fmac_f64_e32 v[30:31], s[0:1], v[26:27]
	v_mov_b32_e32 v32, 0xd7f4df2e
	v_mov_b32_e32 v33, 0x3fc7474d
	v_fmac_f64_e32 v[32:33], v[26:27], v[30:31]
	v_mov_b32_e32 v30, 0x16291751
	v_mov_b32_e32 v31, 0x3fcc71c0
	;; [unrolled: 3-line block ×5, first 2 shown]
	v_fmac_f64_e32 v[32:33], v[26:27], v[30:31]
	v_cvt_f64_i32_e32 v[30:31], v46
	s_mov_b32 s9, 0x3fe62e42
	v_mul_f64 v[34:35], v[30:31], s[8:9]
	v_fma_f64 v[36:37], v[30:31], s[8:9], -v[34:35]
	s_mov_b32 s11, 0x3c7abc9e
	v_fmac_f64_e32 v[36:37], s[10:11], v[30:31]
	v_add_f64 v[30:31], v[34:35], v[36:37]
	v_add_f64 v[34:35], v[30:31], -v[34:35]
	v_mul_f64 v[26:27], v[28:29], v[26:27]
	v_add_f64 v[34:35], v[36:37], -v[34:35]
	v_ldexp_f64 v[36:37], v[28:29], 1
	v_mul_f64 v[26:27], v[26:27], v[32:33]
	v_add_f64 v[28:29], v[36:37], v[26:27]
	v_add_f64 v[32:33], v[28:29], -v[36:37]
	v_ldexp_f64 v[24:25], v[24:25], 1
	v_add_f64 v[26:27], v[26:27], -v[32:33]
	v_add_f64 v[24:25], v[24:25], v[26:27]
	v_add_f64 v[26:27], v[28:29], v[24:25]
	v_add_f64 v[28:29], v[26:27], -v[28:29]
	v_add_f64 v[24:25], v[24:25], -v[28:29]
	v_add_f64 v[28:29], v[30:31], v[26:27]
	v_add_f64 v[32:33], v[28:29], -v[30:31]
	v_add_f64 v[36:37], v[28:29], -v[32:33]
	v_add_f64 v[30:31], v[30:31], -v[36:37]
	v_add_f64 v[26:27], v[26:27], -v[32:33]
	v_add_f64 v[26:27], v[26:27], v[30:31]
	v_add_f64 v[30:31], v[34:35], v[24:25]
	v_add_f64 v[32:33], v[30:31], -v[34:35]
	v_add_f64 v[26:27], v[30:31], v[26:27]
	v_add_f64 v[36:37], v[30:31], -v[32:33]
	;; [unrolled: 2-line block ×3, first 2 shown]
	v_add_f64 v[24:25], v[24:25], -v[32:33]
	v_add_f64 v[28:29], v[30:31], -v[28:29]
	v_add_f64 v[24:25], v[24:25], v[34:35]
	v_add_f64 v[26:27], v[26:27], -v[28:29]
	s_mov_b32 s0, 0
	v_add_f64 v[24:25], v[24:25], v[26:27]
	s_mov_b32 s1, 0x7ff00000
	v_add_f64 v[24:25], v[30:31], v[24:25]
	v_cmp_eq_f64_e64 s[0:1], s[0:1], v[22:23]
	v_cndmask_b32_e64 v24, v24, v22, s[0:1]
	v_cndmask_b32_e64 v25, v25, v23, s[0:1]
	v_mov_b32_e32 v26, 0x7ff80000
	v_cmp_ngt_f64_e64 s[0:1], -1.0, v[22:23]
	v_cndmask_b32_e64 v25, v26, v25, s[0:1]
	v_cmp_nge_f64_e64 s[0:1], -1.0, v[22:23]
	v_cndmask_b32_e64 v24, 0, v24, s[0:1]
	v_mov_b32_e32 v26, 0xfff00000
	v_cmp_neq_f64_e64 s[0:1], -1.0, v[22:23]
	v_cndmask_b32_e64 v25, v26, v25, s[0:1]
	v_add_f64 v[22:23], v[2:3], v[24:25]
.LBB49_183:
	s_or_b64 exec, exec, s[6:7]
	v_pk_mov_b32 v[2:3], v[22:23], v[22:23] op_sel:[0,1]
.LBB49_184:
	s_or_b64 exec, exec, s[4:5]
	v_max_f64 v[24:25], v[2:3], v[2:3]
	v_min_f64 v[26:27], v[24:25], v[42:43]
	v_cmp_u_f64_e64 s[18:19], v[2:3], v[2:3]
	v_cndmask_b32_e64 v22, v26, v2, s[18:19]
	v_cndmask_b32_e64 v23, v27, v3, s[18:19]
	v_cmp_u_f64_e64 s[0:1], v[4:5], v[4:5]
	v_max_f64 v[44:45], v[24:25], v[42:43]
	v_cndmask_b32_e64 v29, v23, v5, s[0:1]
	v_cndmask_b32_e64 v28, v22, v4, s[0:1]
	;; [unrolled: 1-line block ×6, first 2 shown]
	s_movk_i32 s12, 0x1f8
	v_cmp_neq_f64_e64 s[2:3], v[28:29], v[22:23]
	v_cmp_class_f64_e64 s[4:5], v[28:29], s12
	s_or_b64 s[2:3], s[2:3], s[4:5]
	v_pk_mov_b32 v[46:47], v[2:3], v[2:3] op_sel:[0,1]
	s_and_saveexec_b64 s[6:7], s[2:3]
	s_cbranch_execz .LBB49_186
; %bb.185:
	s_mov_b32 s2, 0x652b82fe
	v_add_f64 v[28:29], v[28:29], -v[22:23]
	s_mov_b32 s3, 0x3ff71547
	v_mul_f64 v[30:31], v[28:29], s[2:3]
	v_rndne_f64_e32 v[30:31], v[30:31]
	s_mov_b32 s9, 0xbfe62e42
	s_mov_b32 s8, 0xfefa39ef
	v_fma_f64 v[32:33], s[8:9], v[30:31], v[28:29]
	s_mov_b32 s11, 0xbc7abc9e
	s_mov_b32 s10, 0x3b39803f
	;; [unrolled: 1-line block ×3, first 2 shown]
	v_fmac_f64_e32 v[32:33], s[10:11], v[30:31]
	v_mov_b32_e32 v34, 0xfca7ab0c
	v_mov_b32_e32 v35, 0x3e928af3
	s_mov_b32 s3, 0x3e5ade15
	v_fmac_f64_e32 v[34:35], s[2:3], v[32:33]
	v_mov_b32_e32 v36, 0x623fde64
	v_mov_b32_e32 v37, 0x3ec71dee
	v_fmac_f64_e32 v[36:37], v[32:33], v[34:35]
	v_mov_b32_e32 v34, 0x7c89e6b0
	v_mov_b32_e32 v35, 0x3efa0199
	;; [unrolled: 3-line block ×8, first 2 shown]
	v_fmac_f64_e32 v[34:35], v[32:33], v[36:37]
	v_fma_f64 v[34:35], v[32:33], v[34:35], 1.0
	s_mov_b32 s2, 0
	s_mov_b32 s4, 0
	v_fma_f64 v[32:33], v[32:33], v[34:35], 1.0
	v_cvt_i32_f64_e32 v30, v[30:31]
	s_mov_b32 s3, 0x40900000
	s_mov_b32 s5, 0xc090cc00
	v_ldexp_f64 v[30:31], v[32:33], v30
	v_mov_b32_e32 v32, 0x7ff00000
	v_cmp_nlt_f64_e64 s[2:3], s[2:3], v[28:29]
	v_cmp_ngt_f64_e64 s[4:5], s[4:5], v[28:29]
	v_cndmask_b32_e64 v31, v32, v31, s[2:3]
	s_and_b64 s[2:3], s[4:5], s[2:3]
	v_cndmask_b32_e64 v29, 0, v31, s[4:5]
	v_cndmask_b32_e64 v28, 0, v30, s[2:3]
	v_add_f64 v[30:31], v[28:29], 1.0
	v_add_f64 v[32:33], v[30:31], -1.0
	v_add_f64 v[34:35], v[32:33], -v[30:31]
	v_add_f64 v[34:35], v[34:35], 1.0
	v_add_f64 v[32:33], v[28:29], -v[32:33]
	s_mov_b32 s2, 0x55555555
	v_add_f64 v[32:33], v[32:33], v[34:35]
	v_frexp_mant_f64_e32 v[34:35], v[30:31]
	s_mov_b32 s3, 0x3fe55555
	v_frexp_exp_i32_f64_e32 v36, v[30:31]
	v_cmp_gt_f64_e64 s[2:3], s[2:3], v[34:35]
	v_subbrev_co_u32_e64 v54, s[2:3], 0, v36, s[2:3]
	v_sub_u32_e32 v34, 0, v54
	v_ldexp_f64 v[30:31], v[30:31], v34
	v_ldexp_f64 v[32:33], v[32:33], v34
	v_add_f64 v[34:35], v[30:31], -1.0
	v_add_f64 v[40:41], v[30:31], 1.0
	v_add_f64 v[36:37], v[34:35], 1.0
	v_add_f64 v[46:47], v[40:41], -1.0
	v_add_f64 v[36:37], v[30:31], -v[36:37]
	v_add_f64 v[30:31], v[30:31], -v[46:47]
	v_add_f64 v[30:31], v[32:33], v[30:31]
	v_add_f64 v[36:37], v[32:33], v[36:37]
	;; [unrolled: 1-line block ×3, first 2 shown]
	v_rcp_f64_e32 v[46:47], v[32:33]
	v_add_f64 v[38:39], v[34:35], v[36:37]
	v_add_f64 v[34:35], v[38:39], -v[34:35]
	v_add_f64 v[34:35], v[36:37], -v[34:35]
	;; [unrolled: 1-line block ×4, first 2 shown]
	v_fma_f64 v[36:37], -v[32:33], v[46:47], 1.0
	v_fmac_f64_e32 v[46:47], v[36:37], v[46:47]
	v_fma_f64 v[36:37], -v[32:33], v[46:47], 1.0
	v_fmac_f64_e32 v[46:47], v[36:37], v[46:47]
	v_mul_f64 v[36:37], v[38:39], v[46:47]
	v_mul_f64 v[40:41], v[32:33], v[36:37]
	v_fma_f64 v[48:49], v[36:37], v[32:33], -v[40:41]
	v_fmac_f64_e32 v[48:49], v[36:37], v[30:31]
	v_add_f64 v[50:51], v[40:41], v[48:49]
	v_add_f64 v[52:53], v[38:39], -v[50:51]
	v_add_f64 v[38:39], v[38:39], -v[52:53]
	;; [unrolled: 1-line block ×4, first 2 shown]
	v_add_f64 v[34:35], v[34:35], v[38:39]
	v_add_f64 v[38:39], v[40:41], -v[48:49]
	v_add_f64 v[34:35], v[38:39], v[34:35]
	v_add_f64 v[38:39], v[52:53], v[34:35]
	v_add_f64 v[40:41], v[52:53], -v[38:39]
	v_add_f64 v[34:35], v[34:35], v[40:41]
	v_mul_f64 v[40:41], v[46:47], v[38:39]
	v_mul_f64 v[48:49], v[32:33], v[40:41]
	v_fma_f64 v[32:33], v[40:41], v[32:33], -v[48:49]
	v_fmac_f64_e32 v[32:33], v[40:41], v[30:31]
	v_add_f64 v[30:31], v[48:49], v[32:33]
	v_add_f64 v[50:51], v[38:39], -v[30:31]
	v_add_f64 v[38:39], v[38:39], -v[50:51]
	;; [unrolled: 1-line block ×4, first 2 shown]
	v_add_f64 v[30:31], v[34:35], v[30:31]
	v_add_f64 v[32:33], v[48:49], -v[32:33]
	v_add_f64 v[30:31], v[32:33], v[30:31]
	v_add_f64 v[32:33], v[36:37], v[40:41]
	;; [unrolled: 1-line block ×3, first 2 shown]
	v_add_f64 v[34:35], v[32:33], -v[36:37]
	v_mul_f64 v[30:31], v[46:47], v[30:31]
	v_add_f64 v[34:35], v[40:41], -v[34:35]
	v_add_f64 v[30:31], v[34:35], v[30:31]
	v_add_f64 v[34:35], v[32:33], v[30:31]
	v_add_f64 v[32:33], v[34:35], -v[32:33]
	s_mov_b32 s2, 0xbf559e2b
	v_add_f64 v[30:31], v[30:31], -v[32:33]
	v_mul_f64 v[32:33], v[34:35], v[34:35]
	v_mov_b32_e32 v36, 0x6b47b09a
	v_mov_b32_e32 v37, 0x3fc38538
	s_mov_b32 s3, 0x3fc3ab76
	v_fmac_f64_e32 v[36:37], s[2:3], v[32:33]
	v_mov_b32_e32 v38, 0xd7f4df2e
	v_mov_b32_e32 v39, 0x3fc7474d
	v_fmac_f64_e32 v[38:39], v[32:33], v[36:37]
	v_mov_b32_e32 v36, 0x16291751
	v_mov_b32_e32 v37, 0x3fcc71c0
	;; [unrolled: 3-line block ×5, first 2 shown]
	v_fmac_f64_e32 v[38:39], v[32:33], v[36:37]
	v_cvt_f64_i32_e32 v[36:37], v54
	s_mov_b32 s9, 0x3fe62e42
	v_mul_f64 v[40:41], v[36:37], s[8:9]
	v_fma_f64 v[46:47], v[36:37], s[8:9], -v[40:41]
	s_mov_b32 s11, 0x3c7abc9e
	v_fmac_f64_e32 v[46:47], s[10:11], v[36:37]
	v_add_f64 v[36:37], v[40:41], v[46:47]
	v_add_f64 v[40:41], v[36:37], -v[40:41]
	v_mul_f64 v[32:33], v[34:35], v[32:33]
	v_add_f64 v[40:41], v[46:47], -v[40:41]
	v_ldexp_f64 v[46:47], v[34:35], 1
	v_mul_f64 v[32:33], v[32:33], v[38:39]
	v_add_f64 v[34:35], v[46:47], v[32:33]
	v_add_f64 v[38:39], v[34:35], -v[46:47]
	v_ldexp_f64 v[30:31], v[30:31], 1
	v_add_f64 v[32:33], v[32:33], -v[38:39]
	v_add_f64 v[30:31], v[30:31], v[32:33]
	v_add_f64 v[32:33], v[34:35], v[30:31]
	v_add_f64 v[34:35], v[32:33], -v[34:35]
	v_add_f64 v[30:31], v[30:31], -v[34:35]
	v_add_f64 v[34:35], v[36:37], v[32:33]
	v_add_f64 v[38:39], v[34:35], -v[36:37]
	v_add_f64 v[46:47], v[34:35], -v[38:39]
	;; [unrolled: 1-line block ×4, first 2 shown]
	v_add_f64 v[32:33], v[32:33], v[36:37]
	v_add_f64 v[36:37], v[40:41], v[30:31]
	v_add_f64 v[38:39], v[36:37], -v[40:41]
	v_add_f64 v[32:33], v[36:37], v[32:33]
	v_add_f64 v[46:47], v[36:37], -v[38:39]
	;; [unrolled: 2-line block ×3, first 2 shown]
	v_add_f64 v[30:31], v[30:31], -v[38:39]
	v_add_f64 v[34:35], v[36:37], -v[34:35]
	v_add_f64 v[30:31], v[30:31], v[40:41]
	v_add_f64 v[32:33], v[32:33], -v[34:35]
	s_mov_b32 s2, 0
	v_add_f64 v[30:31], v[30:31], v[32:33]
	s_mov_b32 s3, 0x7ff00000
	v_add_f64 v[30:31], v[36:37], v[30:31]
	v_cmp_eq_f64_e64 s[2:3], s[2:3], v[28:29]
	v_cndmask_b32_e64 v30, v30, v28, s[2:3]
	v_cndmask_b32_e64 v31, v31, v29, s[2:3]
	v_mov_b32_e32 v32, 0x7ff80000
	v_cmp_ngt_f64_e64 s[2:3], -1.0, v[28:29]
	v_cndmask_b32_e64 v31, v32, v31, s[2:3]
	v_cmp_nge_f64_e64 s[2:3], -1.0, v[28:29]
	v_cndmask_b32_e64 v30, 0, v30, s[2:3]
	v_mov_b32_e32 v32, 0xfff00000
	v_cmp_neq_f64_e64 s[2:3], -1.0, v[28:29]
	v_cndmask_b32_e64 v31, v32, v31, s[2:3]
	v_add_f64 v[46:47], v[22:23], v[30:31]
.LBB49_186:
	s_or_b64 exec, exec, s[6:7]
	v_max_f64 v[22:23], v[18:19], v[18:19]
	v_max_f64 v[28:29], v[46:47], v[46:47]
	v_min_f64 v[30:31], v[28:29], v[22:23]
	v_cmp_u_f64_e64 s[4:5], v[46:47], v[46:47]
	v_max_f64 v[28:29], v[28:29], v[22:23]
	v_cndmask_b32_e64 v30, v30, v46, s[4:5]
	v_cndmask_b32_e64 v31, v31, v47, s[4:5]
	v_cmp_u_f64_e64 s[2:3], v[18:19], v[18:19]
	v_cndmask_b32_e64 v28, v28, v46, s[4:5]
	v_cndmask_b32_e64 v29, v29, v47, s[4:5]
	;; [unrolled: 1-line block ×6, first 2 shown]
	v_cmp_neq_f64_e64 s[4:5], v[30:31], v[28:29]
	v_cmp_class_f64_e64 s[6:7], v[30:31], s12
	s_or_b64 s[4:5], s[4:5], s[6:7]
	s_and_saveexec_b64 s[8:9], s[4:5]
	s_cbranch_execz .LBB49_188
; %bb.187:
	s_mov_b32 s4, 0x652b82fe
	v_add_f64 v[30:31], v[30:31], -v[28:29]
	s_mov_b32 s5, 0x3ff71547
	v_mul_f64 v[32:33], v[30:31], s[4:5]
	v_rndne_f64_e32 v[32:33], v[32:33]
	s_mov_b32 s11, 0xbfe62e42
	s_mov_b32 s10, 0xfefa39ef
	v_fma_f64 v[34:35], s[10:11], v[32:33], v[30:31]
	s_mov_b32 s13, 0xbc7abc9e
	s_mov_b32 s12, 0x3b39803f
	;; [unrolled: 1-line block ×3, first 2 shown]
	v_fmac_f64_e32 v[34:35], s[12:13], v[32:33]
	v_mov_b32_e32 v36, 0xfca7ab0c
	v_mov_b32_e32 v37, 0x3e928af3
	s_mov_b32 s5, 0x3e5ade15
	v_fmac_f64_e32 v[36:37], s[4:5], v[34:35]
	v_mov_b32_e32 v38, 0x623fde64
	v_mov_b32_e32 v39, 0x3ec71dee
	v_fmac_f64_e32 v[38:39], v[34:35], v[36:37]
	v_mov_b32_e32 v36, 0x7c89e6b0
	v_mov_b32_e32 v37, 0x3efa0199
	;; [unrolled: 3-line block ×8, first 2 shown]
	v_fmac_f64_e32 v[36:37], v[34:35], v[38:39]
	v_fma_f64 v[36:37], v[34:35], v[36:37], 1.0
	s_mov_b32 s4, 0
	s_mov_b32 s6, 0
	v_fma_f64 v[34:35], v[34:35], v[36:37], 1.0
	v_cvt_i32_f64_e32 v32, v[32:33]
	s_mov_b32 s5, 0x40900000
	s_mov_b32 s7, 0xc090cc00
	v_ldexp_f64 v[32:33], v[34:35], v32
	v_mov_b32_e32 v34, 0x7ff00000
	v_cmp_nlt_f64_e64 s[4:5], s[4:5], v[30:31]
	v_cmp_ngt_f64_e64 s[6:7], s[6:7], v[30:31]
	v_cndmask_b32_e64 v33, v34, v33, s[4:5]
	s_and_b64 s[4:5], s[6:7], s[4:5]
	v_cndmask_b32_e64 v31, 0, v33, s[6:7]
	v_cndmask_b32_e64 v30, 0, v32, s[4:5]
	v_add_f64 v[32:33], v[30:31], 1.0
	v_add_f64 v[34:35], v[32:33], -1.0
	v_add_f64 v[36:37], v[34:35], -v[32:33]
	v_add_f64 v[36:37], v[36:37], 1.0
	v_add_f64 v[34:35], v[30:31], -v[34:35]
	s_mov_b32 s4, 0x55555555
	v_add_f64 v[34:35], v[34:35], v[36:37]
	v_frexp_mant_f64_e32 v[36:37], v[32:33]
	s_mov_b32 s5, 0x3fe55555
	v_frexp_exp_i32_f64_e32 v38, v[32:33]
	v_cmp_gt_f64_e64 s[4:5], s[4:5], v[36:37]
	v_subbrev_co_u32_e64 v56, s[4:5], 0, v38, s[4:5]
	v_sub_u32_e32 v36, 0, v56
	v_ldexp_f64 v[32:33], v[32:33], v36
	v_ldexp_f64 v[34:35], v[34:35], v36
	v_add_f64 v[36:37], v[32:33], -1.0
	v_add_f64 v[46:47], v[32:33], 1.0
	v_add_f64 v[38:39], v[36:37], 1.0
	v_add_f64 v[48:49], v[46:47], -1.0
	v_add_f64 v[38:39], v[32:33], -v[38:39]
	v_add_f64 v[32:33], v[32:33], -v[48:49]
	v_add_f64 v[32:33], v[34:35], v[32:33]
	v_add_f64 v[38:39], v[34:35], v[38:39]
	;; [unrolled: 1-line block ×3, first 2 shown]
	v_rcp_f64_e32 v[48:49], v[34:35]
	v_add_f64 v[40:41], v[36:37], v[38:39]
	v_add_f64 v[36:37], v[40:41], -v[36:37]
	v_add_f64 v[36:37], v[38:39], -v[36:37]
	v_add_f64 v[38:39], v[34:35], -v[46:47]
	v_add_f64 v[32:33], v[32:33], -v[38:39]
	v_fma_f64 v[38:39], -v[34:35], v[48:49], 1.0
	v_fmac_f64_e32 v[48:49], v[38:39], v[48:49]
	v_fma_f64 v[38:39], -v[34:35], v[48:49], 1.0
	v_fmac_f64_e32 v[48:49], v[38:39], v[48:49]
	v_mul_f64 v[38:39], v[40:41], v[48:49]
	v_mul_f64 v[46:47], v[34:35], v[38:39]
	v_fma_f64 v[50:51], v[38:39], v[34:35], -v[46:47]
	v_fmac_f64_e32 v[50:51], v[38:39], v[32:33]
	v_add_f64 v[52:53], v[46:47], v[50:51]
	v_add_f64 v[54:55], v[40:41], -v[52:53]
	v_add_f64 v[40:41], v[40:41], -v[54:55]
	;; [unrolled: 1-line block ×4, first 2 shown]
	v_add_f64 v[36:37], v[36:37], v[40:41]
	v_add_f64 v[40:41], v[46:47], -v[50:51]
	v_add_f64 v[36:37], v[40:41], v[36:37]
	v_add_f64 v[40:41], v[54:55], v[36:37]
	v_add_f64 v[46:47], v[54:55], -v[40:41]
	v_add_f64 v[36:37], v[36:37], v[46:47]
	v_mul_f64 v[46:47], v[48:49], v[40:41]
	v_mul_f64 v[50:51], v[34:35], v[46:47]
	v_fma_f64 v[34:35], v[46:47], v[34:35], -v[50:51]
	v_fmac_f64_e32 v[34:35], v[46:47], v[32:33]
	v_add_f64 v[32:33], v[50:51], v[34:35]
	v_add_f64 v[52:53], v[40:41], -v[32:33]
	v_add_f64 v[40:41], v[40:41], -v[52:53]
	v_add_f64 v[50:51], v[32:33], -v[50:51]
	v_add_f64 v[32:33], v[40:41], -v[32:33]
	v_add_f64 v[32:33], v[36:37], v[32:33]
	v_add_f64 v[34:35], v[50:51], -v[34:35]
	v_add_f64 v[32:33], v[34:35], v[32:33]
	v_add_f64 v[34:35], v[38:39], v[46:47]
	;; [unrolled: 1-line block ×3, first 2 shown]
	v_add_f64 v[36:37], v[34:35], -v[38:39]
	v_mul_f64 v[32:33], v[48:49], v[32:33]
	v_add_f64 v[36:37], v[46:47], -v[36:37]
	v_add_f64 v[32:33], v[36:37], v[32:33]
	v_add_f64 v[36:37], v[34:35], v[32:33]
	v_add_f64 v[34:35], v[36:37], -v[34:35]
	s_mov_b32 s4, 0xbf559e2b
	v_add_f64 v[32:33], v[32:33], -v[34:35]
	v_mul_f64 v[34:35], v[36:37], v[36:37]
	v_mov_b32_e32 v38, 0x6b47b09a
	v_mov_b32_e32 v39, 0x3fc38538
	s_mov_b32 s5, 0x3fc3ab76
	v_fmac_f64_e32 v[38:39], s[4:5], v[34:35]
	v_mov_b32_e32 v40, 0xd7f4df2e
	v_mov_b32_e32 v41, 0x3fc7474d
	v_fmac_f64_e32 v[40:41], v[34:35], v[38:39]
	v_mov_b32_e32 v38, 0x16291751
	v_mov_b32_e32 v39, 0x3fcc71c0
	;; [unrolled: 3-line block ×5, first 2 shown]
	v_fmac_f64_e32 v[40:41], v[34:35], v[38:39]
	v_cvt_f64_i32_e32 v[38:39], v56
	s_mov_b32 s11, 0x3fe62e42
	v_mul_f64 v[46:47], v[38:39], s[10:11]
	v_fma_f64 v[48:49], v[38:39], s[10:11], -v[46:47]
	s_mov_b32 s13, 0x3c7abc9e
	v_fmac_f64_e32 v[48:49], s[12:13], v[38:39]
	v_add_f64 v[38:39], v[46:47], v[48:49]
	v_add_f64 v[46:47], v[38:39], -v[46:47]
	v_mul_f64 v[34:35], v[36:37], v[34:35]
	v_add_f64 v[46:47], v[48:49], -v[46:47]
	v_ldexp_f64 v[48:49], v[36:37], 1
	v_mul_f64 v[34:35], v[34:35], v[40:41]
	v_add_f64 v[36:37], v[48:49], v[34:35]
	v_add_f64 v[40:41], v[36:37], -v[48:49]
	v_ldexp_f64 v[32:33], v[32:33], 1
	v_add_f64 v[34:35], v[34:35], -v[40:41]
	v_add_f64 v[32:33], v[32:33], v[34:35]
	v_add_f64 v[34:35], v[36:37], v[32:33]
	v_add_f64 v[36:37], v[34:35], -v[36:37]
	v_add_f64 v[32:33], v[32:33], -v[36:37]
	v_add_f64 v[36:37], v[38:39], v[34:35]
	v_add_f64 v[40:41], v[36:37], -v[38:39]
	v_add_f64 v[48:49], v[36:37], -v[40:41]
	;; [unrolled: 1-line block ×4, first 2 shown]
	v_add_f64 v[34:35], v[34:35], v[38:39]
	v_add_f64 v[38:39], v[46:47], v[32:33]
	v_add_f64 v[40:41], v[38:39], -v[46:47]
	v_add_f64 v[34:35], v[38:39], v[34:35]
	v_add_f64 v[48:49], v[38:39], -v[40:41]
	;; [unrolled: 2-line block ×3, first 2 shown]
	v_add_f64 v[32:33], v[32:33], -v[40:41]
	v_add_f64 v[36:37], v[38:39], -v[36:37]
	v_add_f64 v[32:33], v[32:33], v[46:47]
	v_add_f64 v[34:35], v[34:35], -v[36:37]
	s_mov_b32 s4, 0
	v_add_f64 v[32:33], v[32:33], v[34:35]
	s_mov_b32 s5, 0x7ff00000
	v_add_f64 v[32:33], v[38:39], v[32:33]
	v_cmp_eq_f64_e64 s[4:5], s[4:5], v[30:31]
	v_cndmask_b32_e64 v32, v32, v30, s[4:5]
	v_cndmask_b32_e64 v33, v33, v31, s[4:5]
	v_mov_b32_e32 v34, 0x7ff80000
	v_cmp_ngt_f64_e64 s[4:5], -1.0, v[30:31]
	v_cndmask_b32_e64 v33, v34, v33, s[4:5]
	v_cmp_nge_f64_e64 s[4:5], -1.0, v[30:31]
	v_cndmask_b32_e64 v32, 0, v32, s[4:5]
	v_mov_b32_e32 v34, 0xfff00000
	v_cmp_neq_f64_e64 s[4:5], -1.0, v[30:31]
	v_cndmask_b32_e64 v33, v34, v33, s[4:5]
	v_add_f64 v[46:47], v[28:29], v[32:33]
.LBB49_188:
	s_or_b64 exec, exec, s[8:9]
	v_max_f64 v[28:29], v[20:21], v[20:21]
	v_max_f64 v[30:31], v[46:47], v[46:47]
	v_min_f64 v[32:33], v[30:31], v[28:29]
	v_cmp_u_f64_e64 s[6:7], v[46:47], v[46:47]
	v_max_f64 v[30:31], v[30:31], v[28:29]
	v_cndmask_b32_e64 v32, v32, v46, s[6:7]
	v_cndmask_b32_e64 v33, v33, v47, s[6:7]
	v_cmp_u_f64_e64 s[4:5], v[20:21], v[20:21]
	v_cndmask_b32_e64 v30, v30, v46, s[6:7]
	v_cndmask_b32_e64 v31, v31, v47, s[6:7]
	;; [unrolled: 1-line block ×6, first 2 shown]
	s_movk_i32 s16, 0x1f8
	v_cmp_neq_f64_e64 s[6:7], v[32:33], v[30:31]
	v_cmp_class_f64_e64 s[8:9], v[32:33], s16
	s_or_b64 s[6:7], s[6:7], s[8:9]
	s_and_saveexec_b64 s[10:11], s[6:7]
	s_cbranch_execz .LBB49_190
; %bb.189:
	s_mov_b32 s6, 0x652b82fe
	v_add_f64 v[32:33], v[32:33], -v[30:31]
	s_mov_b32 s7, 0x3ff71547
	v_mul_f64 v[34:35], v[32:33], s[6:7]
	v_rndne_f64_e32 v[34:35], v[34:35]
	s_mov_b32 s13, 0xbfe62e42
	s_mov_b32 s12, 0xfefa39ef
	v_fma_f64 v[36:37], s[12:13], v[34:35], v[32:33]
	s_mov_b32 s15, 0xbc7abc9e
	s_mov_b32 s14, 0x3b39803f
	;; [unrolled: 1-line block ×3, first 2 shown]
	v_fmac_f64_e32 v[36:37], s[14:15], v[34:35]
	v_mov_b32_e32 v38, 0xfca7ab0c
	v_mov_b32_e32 v39, 0x3e928af3
	s_mov_b32 s7, 0x3e5ade15
	v_fmac_f64_e32 v[38:39], s[6:7], v[36:37]
	v_mov_b32_e32 v40, 0x623fde64
	v_mov_b32_e32 v41, 0x3ec71dee
	v_fmac_f64_e32 v[40:41], v[36:37], v[38:39]
	v_mov_b32_e32 v38, 0x7c89e6b0
	v_mov_b32_e32 v39, 0x3efa0199
	;; [unrolled: 3-line block ×8, first 2 shown]
	v_fmac_f64_e32 v[38:39], v[36:37], v[40:41]
	v_fma_f64 v[38:39], v[36:37], v[38:39], 1.0
	s_mov_b32 s6, 0
	s_mov_b32 s8, 0
	v_fma_f64 v[36:37], v[36:37], v[38:39], 1.0
	v_cvt_i32_f64_e32 v34, v[34:35]
	s_mov_b32 s7, 0x40900000
	s_mov_b32 s9, 0xc090cc00
	v_ldexp_f64 v[34:35], v[36:37], v34
	v_mov_b32_e32 v36, 0x7ff00000
	v_cmp_nlt_f64_e64 s[6:7], s[6:7], v[32:33]
	v_cmp_ngt_f64_e64 s[8:9], s[8:9], v[32:33]
	v_cndmask_b32_e64 v35, v36, v35, s[6:7]
	s_and_b64 s[6:7], s[8:9], s[6:7]
	v_cndmask_b32_e64 v33, 0, v35, s[8:9]
	v_cndmask_b32_e64 v32, 0, v34, s[6:7]
	v_add_f64 v[34:35], v[32:33], 1.0
	v_add_f64 v[36:37], v[34:35], -1.0
	v_add_f64 v[38:39], v[36:37], -v[34:35]
	v_add_f64 v[38:39], v[38:39], 1.0
	v_add_f64 v[36:37], v[32:33], -v[36:37]
	s_mov_b32 s6, 0x55555555
	v_add_f64 v[36:37], v[36:37], v[38:39]
	v_frexp_mant_f64_e32 v[38:39], v[34:35]
	s_mov_b32 s7, 0x3fe55555
	v_frexp_exp_i32_f64_e32 v40, v[34:35]
	v_cmp_gt_f64_e64 s[6:7], s[6:7], v[38:39]
	v_subbrev_co_u32_e64 v58, s[6:7], 0, v40, s[6:7]
	v_sub_u32_e32 v38, 0, v58
	v_ldexp_f64 v[34:35], v[34:35], v38
	v_ldexp_f64 v[36:37], v[36:37], v38
	v_add_f64 v[38:39], v[34:35], -1.0
	v_add_f64 v[48:49], v[34:35], 1.0
	v_add_f64 v[40:41], v[38:39], 1.0
	v_add_f64 v[50:51], v[48:49], -1.0
	v_add_f64 v[40:41], v[34:35], -v[40:41]
	v_add_f64 v[34:35], v[34:35], -v[50:51]
	v_add_f64 v[34:35], v[36:37], v[34:35]
	v_add_f64 v[40:41], v[36:37], v[40:41]
	;; [unrolled: 1-line block ×3, first 2 shown]
	v_rcp_f64_e32 v[50:51], v[36:37]
	v_add_f64 v[46:47], v[38:39], v[40:41]
	v_add_f64 v[38:39], v[46:47], -v[38:39]
	v_add_f64 v[38:39], v[40:41], -v[38:39]
	;; [unrolled: 1-line block ×4, first 2 shown]
	v_fma_f64 v[40:41], -v[36:37], v[50:51], 1.0
	v_fmac_f64_e32 v[50:51], v[40:41], v[50:51]
	v_fma_f64 v[40:41], -v[36:37], v[50:51], 1.0
	v_fmac_f64_e32 v[50:51], v[40:41], v[50:51]
	v_mul_f64 v[40:41], v[46:47], v[50:51]
	v_mul_f64 v[48:49], v[36:37], v[40:41]
	v_fma_f64 v[52:53], v[40:41], v[36:37], -v[48:49]
	v_fmac_f64_e32 v[52:53], v[40:41], v[34:35]
	v_add_f64 v[54:55], v[48:49], v[52:53]
	v_add_f64 v[56:57], v[46:47], -v[54:55]
	v_add_f64 v[46:47], v[46:47], -v[56:57]
	;; [unrolled: 1-line block ×4, first 2 shown]
	v_add_f64 v[38:39], v[38:39], v[46:47]
	v_add_f64 v[46:47], v[48:49], -v[52:53]
	v_add_f64 v[38:39], v[46:47], v[38:39]
	v_add_f64 v[46:47], v[56:57], v[38:39]
	v_add_f64 v[48:49], v[56:57], -v[46:47]
	v_add_f64 v[38:39], v[38:39], v[48:49]
	v_mul_f64 v[48:49], v[50:51], v[46:47]
	v_mul_f64 v[52:53], v[36:37], v[48:49]
	v_fma_f64 v[36:37], v[48:49], v[36:37], -v[52:53]
	v_fmac_f64_e32 v[36:37], v[48:49], v[34:35]
	v_add_f64 v[34:35], v[52:53], v[36:37]
	v_add_f64 v[54:55], v[46:47], -v[34:35]
	v_add_f64 v[46:47], v[46:47], -v[54:55]
	;; [unrolled: 1-line block ×4, first 2 shown]
	v_add_f64 v[34:35], v[38:39], v[34:35]
	v_add_f64 v[36:37], v[52:53], -v[36:37]
	v_add_f64 v[34:35], v[36:37], v[34:35]
	v_add_f64 v[36:37], v[40:41], v[48:49]
	;; [unrolled: 1-line block ×3, first 2 shown]
	v_add_f64 v[38:39], v[36:37], -v[40:41]
	v_mul_f64 v[34:35], v[50:51], v[34:35]
	v_add_f64 v[38:39], v[48:49], -v[38:39]
	v_add_f64 v[34:35], v[38:39], v[34:35]
	v_add_f64 v[38:39], v[36:37], v[34:35]
	v_add_f64 v[36:37], v[38:39], -v[36:37]
	s_mov_b32 s6, 0xbf559e2b
	v_add_f64 v[34:35], v[34:35], -v[36:37]
	v_mul_f64 v[36:37], v[38:39], v[38:39]
	v_mov_b32_e32 v40, 0x6b47b09a
	v_mov_b32_e32 v41, 0x3fc38538
	s_mov_b32 s7, 0x3fc3ab76
	v_fmac_f64_e32 v[40:41], s[6:7], v[36:37]
	v_mov_b32_e32 v46, 0xd7f4df2e
	v_mov_b32_e32 v47, 0x3fc7474d
	v_fmac_f64_e32 v[46:47], v[36:37], v[40:41]
	v_mov_b32_e32 v40, 0x16291751
	v_mov_b32_e32 v41, 0x3fcc71c0
	;; [unrolled: 3-line block ×5, first 2 shown]
	v_fmac_f64_e32 v[46:47], v[36:37], v[40:41]
	v_cvt_f64_i32_e32 v[40:41], v58
	s_mov_b32 s13, 0x3fe62e42
	v_mul_f64 v[48:49], v[40:41], s[12:13]
	v_fma_f64 v[50:51], v[40:41], s[12:13], -v[48:49]
	s_mov_b32 s15, 0x3c7abc9e
	v_fmac_f64_e32 v[50:51], s[14:15], v[40:41]
	v_add_f64 v[40:41], v[48:49], v[50:51]
	v_add_f64 v[48:49], v[40:41], -v[48:49]
	v_mul_f64 v[36:37], v[38:39], v[36:37]
	v_add_f64 v[48:49], v[50:51], -v[48:49]
	v_ldexp_f64 v[50:51], v[38:39], 1
	v_mul_f64 v[36:37], v[36:37], v[46:47]
	v_add_f64 v[38:39], v[50:51], v[36:37]
	v_add_f64 v[46:47], v[38:39], -v[50:51]
	v_ldexp_f64 v[34:35], v[34:35], 1
	v_add_f64 v[36:37], v[36:37], -v[46:47]
	v_add_f64 v[34:35], v[34:35], v[36:37]
	v_add_f64 v[36:37], v[38:39], v[34:35]
	v_add_f64 v[38:39], v[36:37], -v[38:39]
	v_add_f64 v[34:35], v[34:35], -v[38:39]
	v_add_f64 v[38:39], v[40:41], v[36:37]
	v_add_f64 v[46:47], v[38:39], -v[40:41]
	v_add_f64 v[50:51], v[38:39], -v[46:47]
	;; [unrolled: 1-line block ×4, first 2 shown]
	v_add_f64 v[36:37], v[36:37], v[40:41]
	v_add_f64 v[40:41], v[48:49], v[34:35]
	v_add_f64 v[46:47], v[40:41], -v[48:49]
	v_add_f64 v[36:37], v[40:41], v[36:37]
	v_add_f64 v[50:51], v[40:41], -v[46:47]
	;; [unrolled: 2-line block ×3, first 2 shown]
	v_add_f64 v[34:35], v[34:35], -v[46:47]
	v_add_f64 v[38:39], v[40:41], -v[38:39]
	v_add_f64 v[34:35], v[34:35], v[48:49]
	v_add_f64 v[36:37], v[36:37], -v[38:39]
	s_mov_b32 s6, 0
	v_add_f64 v[34:35], v[34:35], v[36:37]
	s_mov_b32 s7, 0x7ff00000
	v_add_f64 v[34:35], v[40:41], v[34:35]
	v_cmp_eq_f64_e64 s[6:7], s[6:7], v[32:33]
	v_cndmask_b32_e64 v34, v34, v32, s[6:7]
	v_cndmask_b32_e64 v35, v35, v33, s[6:7]
	v_mov_b32_e32 v36, 0x7ff80000
	v_cmp_ngt_f64_e64 s[6:7], -1.0, v[32:33]
	v_cndmask_b32_e64 v35, v36, v35, s[6:7]
	v_cmp_nge_f64_e64 s[6:7], -1.0, v[32:33]
	v_cndmask_b32_e64 v34, 0, v34, s[6:7]
	v_mov_b32_e32 v36, 0xfff00000
	v_cmp_neq_f64_e64 s[6:7], -1.0, v[32:33]
	v_cndmask_b32_e64 v35, v36, v35, s[6:7]
	v_add_f64 v[46:47], v[30:31], v[34:35]
.LBB49_190:
	s_or_b64 exec, exec, s[10:11]
	v_max_f64 v[30:31], v[14:15], v[14:15]
	v_max_f64 v[32:33], v[46:47], v[46:47]
	v_min_f64 v[34:35], v[32:33], v[30:31]
	v_cmp_u_f64_e64 s[8:9], v[46:47], v[46:47]
	v_max_f64 v[32:33], v[32:33], v[30:31]
	v_cndmask_b32_e64 v34, v34, v46, s[8:9]
	v_cndmask_b32_e64 v35, v35, v47, s[8:9]
	v_cmp_u_f64_e64 s[6:7], v[14:15], v[14:15]
	v_cndmask_b32_e64 v32, v32, v46, s[8:9]
	v_cndmask_b32_e64 v33, v33, v47, s[8:9]
	;; [unrolled: 1-line block ×6, first 2 shown]
	v_cmp_neq_f64_e64 s[8:9], v[34:35], v[32:33]
	v_cmp_class_f64_e64 s[10:11], v[34:35], s16
	s_or_b64 s[8:9], s[8:9], s[10:11]
	s_and_saveexec_b64 s[12:13], s[8:9]
	s_cbranch_execz .LBB49_192
; %bb.191:
	s_mov_b32 s8, 0x652b82fe
	v_add_f64 v[34:35], v[34:35], -v[32:33]
	s_mov_b32 s9, 0x3ff71547
	v_mul_f64 v[36:37], v[34:35], s[8:9]
	v_rndne_f64_e32 v[36:37], v[36:37]
	s_mov_b32 s15, 0xbfe62e42
	s_mov_b32 s14, 0xfefa39ef
	v_fma_f64 v[38:39], s[14:15], v[36:37], v[34:35]
	s_mov_b32 s17, 0xbc7abc9e
	s_mov_b32 s16, 0x3b39803f
	;; [unrolled: 1-line block ×3, first 2 shown]
	v_fmac_f64_e32 v[38:39], s[16:17], v[36:37]
	v_mov_b32_e32 v40, 0xfca7ab0c
	v_mov_b32_e32 v41, 0x3e928af3
	s_mov_b32 s9, 0x3e5ade15
	v_fmac_f64_e32 v[40:41], s[8:9], v[38:39]
	v_mov_b32_e32 v46, 0x623fde64
	v_mov_b32_e32 v47, 0x3ec71dee
	v_fmac_f64_e32 v[46:47], v[38:39], v[40:41]
	v_mov_b32_e32 v40, 0x7c89e6b0
	v_mov_b32_e32 v41, 0x3efa0199
	;; [unrolled: 3-line block ×8, first 2 shown]
	v_fmac_f64_e32 v[40:41], v[38:39], v[46:47]
	v_fma_f64 v[40:41], v[38:39], v[40:41], 1.0
	s_mov_b32 s8, 0
	s_mov_b32 s10, 0
	v_fma_f64 v[38:39], v[38:39], v[40:41], 1.0
	v_cvt_i32_f64_e32 v36, v[36:37]
	s_mov_b32 s9, 0x40900000
	s_mov_b32 s11, 0xc090cc00
	v_ldexp_f64 v[36:37], v[38:39], v36
	v_mov_b32_e32 v38, 0x7ff00000
	v_cmp_nlt_f64_e64 s[8:9], s[8:9], v[34:35]
	v_cmp_ngt_f64_e64 s[10:11], s[10:11], v[34:35]
	v_cndmask_b32_e64 v37, v38, v37, s[8:9]
	s_and_b64 s[8:9], s[10:11], s[8:9]
	v_cndmask_b32_e64 v35, 0, v37, s[10:11]
	v_cndmask_b32_e64 v34, 0, v36, s[8:9]
	v_add_f64 v[36:37], v[34:35], 1.0
	v_add_f64 v[38:39], v[36:37], -1.0
	v_add_f64 v[40:41], v[38:39], -v[36:37]
	v_add_f64 v[40:41], v[40:41], 1.0
	v_add_f64 v[38:39], v[34:35], -v[38:39]
	s_mov_b32 s8, 0x55555555
	v_add_f64 v[38:39], v[38:39], v[40:41]
	v_frexp_mant_f64_e32 v[40:41], v[36:37]
	s_mov_b32 s9, 0x3fe55555
	v_frexp_exp_i32_f64_e32 v46, v[36:37]
	v_cmp_gt_f64_e64 s[8:9], s[8:9], v[40:41]
	v_subbrev_co_u32_e64 v60, s[8:9], 0, v46, s[8:9]
	v_sub_u32_e32 v40, 0, v60
	v_ldexp_f64 v[36:37], v[36:37], v40
	v_ldexp_f64 v[38:39], v[38:39], v40
	v_add_f64 v[40:41], v[36:37], -1.0
	v_add_f64 v[50:51], v[36:37], 1.0
	v_add_f64 v[46:47], v[40:41], 1.0
	v_add_f64 v[52:53], v[50:51], -1.0
	v_add_f64 v[46:47], v[36:37], -v[46:47]
	v_add_f64 v[36:37], v[36:37], -v[52:53]
	v_add_f64 v[36:37], v[38:39], v[36:37]
	v_add_f64 v[46:47], v[38:39], v[46:47]
	;; [unrolled: 1-line block ×3, first 2 shown]
	v_rcp_f64_e32 v[52:53], v[38:39]
	v_add_f64 v[48:49], v[40:41], v[46:47]
	v_add_f64 v[40:41], v[48:49], -v[40:41]
	v_add_f64 v[40:41], v[46:47], -v[40:41]
	;; [unrolled: 1-line block ×4, first 2 shown]
	v_fma_f64 v[46:47], -v[38:39], v[52:53], 1.0
	v_fmac_f64_e32 v[52:53], v[46:47], v[52:53]
	v_fma_f64 v[46:47], -v[38:39], v[52:53], 1.0
	v_fmac_f64_e32 v[52:53], v[46:47], v[52:53]
	v_mul_f64 v[46:47], v[48:49], v[52:53]
	v_mul_f64 v[50:51], v[38:39], v[46:47]
	v_fma_f64 v[54:55], v[46:47], v[38:39], -v[50:51]
	v_fmac_f64_e32 v[54:55], v[46:47], v[36:37]
	v_add_f64 v[56:57], v[50:51], v[54:55]
	v_add_f64 v[58:59], v[48:49], -v[56:57]
	v_add_f64 v[48:49], v[48:49], -v[58:59]
	v_add_f64 v[50:51], v[56:57], -v[50:51]
	v_add_f64 v[48:49], v[48:49], -v[56:57]
	v_add_f64 v[40:41], v[40:41], v[48:49]
	v_add_f64 v[48:49], v[50:51], -v[54:55]
	v_add_f64 v[40:41], v[48:49], v[40:41]
	v_add_f64 v[48:49], v[58:59], v[40:41]
	v_add_f64 v[50:51], v[58:59], -v[48:49]
	v_add_f64 v[40:41], v[40:41], v[50:51]
	v_mul_f64 v[50:51], v[52:53], v[48:49]
	v_mul_f64 v[54:55], v[38:39], v[50:51]
	v_fma_f64 v[38:39], v[50:51], v[38:39], -v[54:55]
	v_fmac_f64_e32 v[38:39], v[50:51], v[36:37]
	v_add_f64 v[36:37], v[54:55], v[38:39]
	v_add_f64 v[56:57], v[48:49], -v[36:37]
	v_add_f64 v[48:49], v[48:49], -v[56:57]
	;; [unrolled: 1-line block ×4, first 2 shown]
	v_add_f64 v[36:37], v[40:41], v[36:37]
	v_add_f64 v[38:39], v[54:55], -v[38:39]
	v_add_f64 v[36:37], v[38:39], v[36:37]
	v_add_f64 v[38:39], v[46:47], v[50:51]
	;; [unrolled: 1-line block ×3, first 2 shown]
	v_add_f64 v[40:41], v[38:39], -v[46:47]
	v_mul_f64 v[36:37], v[52:53], v[36:37]
	v_add_f64 v[40:41], v[50:51], -v[40:41]
	v_add_f64 v[36:37], v[40:41], v[36:37]
	v_add_f64 v[40:41], v[38:39], v[36:37]
	v_add_f64 v[38:39], v[40:41], -v[38:39]
	s_mov_b32 s8, 0xbf559e2b
	v_add_f64 v[36:37], v[36:37], -v[38:39]
	v_mul_f64 v[38:39], v[40:41], v[40:41]
	v_mov_b32_e32 v46, 0x6b47b09a
	v_mov_b32_e32 v47, 0x3fc38538
	s_mov_b32 s9, 0x3fc3ab76
	v_fmac_f64_e32 v[46:47], s[8:9], v[38:39]
	v_mov_b32_e32 v48, 0xd7f4df2e
	v_mov_b32_e32 v49, 0x3fc7474d
	v_fmac_f64_e32 v[48:49], v[38:39], v[46:47]
	v_mov_b32_e32 v46, 0x16291751
	v_mov_b32_e32 v47, 0x3fcc71c0
	;; [unrolled: 3-line block ×5, first 2 shown]
	v_fmac_f64_e32 v[48:49], v[38:39], v[46:47]
	v_cvt_f64_i32_e32 v[46:47], v60
	s_mov_b32 s15, 0x3fe62e42
	v_mul_f64 v[50:51], v[46:47], s[14:15]
	v_fma_f64 v[52:53], v[46:47], s[14:15], -v[50:51]
	s_mov_b32 s17, 0x3c7abc9e
	v_fmac_f64_e32 v[52:53], s[16:17], v[46:47]
	v_add_f64 v[46:47], v[50:51], v[52:53]
	v_add_f64 v[50:51], v[46:47], -v[50:51]
	v_mul_f64 v[38:39], v[40:41], v[38:39]
	v_add_f64 v[50:51], v[52:53], -v[50:51]
	v_ldexp_f64 v[52:53], v[40:41], 1
	v_mul_f64 v[38:39], v[38:39], v[48:49]
	v_add_f64 v[40:41], v[52:53], v[38:39]
	v_add_f64 v[48:49], v[40:41], -v[52:53]
	v_ldexp_f64 v[36:37], v[36:37], 1
	v_add_f64 v[38:39], v[38:39], -v[48:49]
	v_add_f64 v[36:37], v[36:37], v[38:39]
	v_add_f64 v[38:39], v[40:41], v[36:37]
	v_add_f64 v[40:41], v[38:39], -v[40:41]
	v_add_f64 v[36:37], v[36:37], -v[40:41]
	v_add_f64 v[40:41], v[46:47], v[38:39]
	v_add_f64 v[48:49], v[40:41], -v[46:47]
	v_add_f64 v[52:53], v[40:41], -v[48:49]
	;; [unrolled: 1-line block ×4, first 2 shown]
	v_add_f64 v[38:39], v[38:39], v[46:47]
	v_add_f64 v[46:47], v[50:51], v[36:37]
	v_add_f64 v[48:49], v[46:47], -v[50:51]
	v_add_f64 v[38:39], v[46:47], v[38:39]
	v_add_f64 v[52:53], v[46:47], -v[48:49]
	v_add_f64 v[46:47], v[40:41], v[38:39]
	v_add_f64 v[50:51], v[50:51], -v[52:53]
	v_add_f64 v[36:37], v[36:37], -v[48:49]
	v_add_f64 v[40:41], v[46:47], -v[40:41]
	v_add_f64 v[36:37], v[36:37], v[50:51]
	v_add_f64 v[38:39], v[38:39], -v[40:41]
	s_mov_b32 s8, 0
	v_add_f64 v[36:37], v[36:37], v[38:39]
	s_mov_b32 s9, 0x7ff00000
	v_add_f64 v[36:37], v[46:47], v[36:37]
	v_cmp_eq_f64_e64 s[8:9], s[8:9], v[34:35]
	v_cndmask_b32_e64 v36, v36, v34, s[8:9]
	v_cndmask_b32_e64 v37, v37, v35, s[8:9]
	v_mov_b32_e32 v38, 0x7ff80000
	v_cmp_ngt_f64_e64 s[8:9], -1.0, v[34:35]
	v_cndmask_b32_e64 v37, v38, v37, s[8:9]
	v_cmp_nge_f64_e64 s[8:9], -1.0, v[34:35]
	v_cndmask_b32_e64 v36, 0, v36, s[8:9]
	v_mov_b32_e32 v38, 0xfff00000
	v_cmp_neq_f64_e64 s[8:9], -1.0, v[34:35]
	v_cndmask_b32_e64 v37, v38, v37, s[8:9]
	v_add_f64 v[46:47], v[32:33], v[36:37]
.LBB49_192:
	s_or_b64 exec, exec, s[12:13]
	v_max_f64 v[32:33], v[16:17], v[16:17]
	v_max_f64 v[34:35], v[46:47], v[46:47]
	v_min_f64 v[36:37], v[34:35], v[32:33]
	v_cmp_u_f64_e64 s[10:11], v[46:47], v[46:47]
	v_max_f64 v[34:35], v[34:35], v[32:33]
	v_cndmask_b32_e64 v36, v36, v46, s[10:11]
	v_cndmask_b32_e64 v37, v37, v47, s[10:11]
	v_cmp_u_f64_e64 s[8:9], v[16:17], v[16:17]
	v_cndmask_b32_e64 v34, v34, v46, s[10:11]
	v_cndmask_b32_e64 v35, v35, v47, s[10:11]
	;; [unrolled: 1-line block ×6, first 2 shown]
	s_movk_i32 s22, 0x1f8
	v_cmp_neq_f64_e64 s[10:11], v[36:37], v[34:35]
	v_cmp_class_f64_e64 s[12:13], v[36:37], s22
	s_or_b64 s[10:11], s[10:11], s[12:13]
	s_and_saveexec_b64 s[14:15], s[10:11]
	s_cbranch_execz .LBB49_194
; %bb.193:
	s_mov_b32 s10, 0x652b82fe
	v_add_f64 v[36:37], v[36:37], -v[34:35]
	s_mov_b32 s11, 0x3ff71547
	v_mul_f64 v[38:39], v[36:37], s[10:11]
	v_rndne_f64_e32 v[38:39], v[38:39]
	s_mov_b32 s17, 0xbfe62e42
	s_mov_b32 s16, 0xfefa39ef
	v_fma_f64 v[40:41], s[16:17], v[38:39], v[36:37]
	s_mov_b32 s21, 0xbc7abc9e
	s_mov_b32 s20, 0x3b39803f
	;; [unrolled: 1-line block ×3, first 2 shown]
	v_fmac_f64_e32 v[40:41], s[20:21], v[38:39]
	v_mov_b32_e32 v46, 0xfca7ab0c
	v_mov_b32_e32 v47, 0x3e928af3
	s_mov_b32 s11, 0x3e5ade15
	v_fmac_f64_e32 v[46:47], s[10:11], v[40:41]
	v_mov_b32_e32 v48, 0x623fde64
	v_mov_b32_e32 v49, 0x3ec71dee
	v_fmac_f64_e32 v[48:49], v[40:41], v[46:47]
	v_mov_b32_e32 v46, 0x7c89e6b0
	v_mov_b32_e32 v47, 0x3efa0199
	;; [unrolled: 3-line block ×8, first 2 shown]
	v_fmac_f64_e32 v[46:47], v[40:41], v[48:49]
	v_fma_f64 v[46:47], v[40:41], v[46:47], 1.0
	s_mov_b32 s10, 0
	s_mov_b32 s12, 0
	v_fma_f64 v[40:41], v[40:41], v[46:47], 1.0
	v_cvt_i32_f64_e32 v38, v[38:39]
	s_mov_b32 s11, 0x40900000
	s_mov_b32 s13, 0xc090cc00
	v_ldexp_f64 v[38:39], v[40:41], v38
	v_mov_b32_e32 v40, 0x7ff00000
	v_cmp_nlt_f64_e64 s[10:11], s[10:11], v[36:37]
	v_cmp_ngt_f64_e64 s[12:13], s[12:13], v[36:37]
	v_cndmask_b32_e64 v39, v40, v39, s[10:11]
	s_and_b64 s[10:11], s[12:13], s[10:11]
	v_cndmask_b32_e64 v37, 0, v39, s[12:13]
	v_cndmask_b32_e64 v36, 0, v38, s[10:11]
	v_add_f64 v[38:39], v[36:37], 1.0
	v_add_f64 v[40:41], v[38:39], -1.0
	v_add_f64 v[46:47], v[40:41], -v[38:39]
	v_add_f64 v[46:47], v[46:47], 1.0
	v_add_f64 v[40:41], v[36:37], -v[40:41]
	s_mov_b32 s10, 0x55555555
	v_add_f64 v[40:41], v[40:41], v[46:47]
	v_frexp_mant_f64_e32 v[46:47], v[38:39]
	s_mov_b32 s11, 0x3fe55555
	v_frexp_exp_i32_f64_e32 v48, v[38:39]
	v_cmp_gt_f64_e64 s[10:11], s[10:11], v[46:47]
	v_subbrev_co_u32_e64 v62, s[10:11], 0, v48, s[10:11]
	v_sub_u32_e32 v46, 0, v62
	v_ldexp_f64 v[38:39], v[38:39], v46
	v_ldexp_f64 v[40:41], v[40:41], v46
	v_add_f64 v[46:47], v[38:39], -1.0
	v_add_f64 v[52:53], v[38:39], 1.0
	v_add_f64 v[48:49], v[46:47], 1.0
	v_add_f64 v[54:55], v[52:53], -1.0
	v_add_f64 v[48:49], v[38:39], -v[48:49]
	v_add_f64 v[38:39], v[38:39], -v[54:55]
	v_add_f64 v[38:39], v[40:41], v[38:39]
	v_add_f64 v[48:49], v[40:41], v[48:49]
	;; [unrolled: 1-line block ×3, first 2 shown]
	v_rcp_f64_e32 v[54:55], v[40:41]
	v_add_f64 v[50:51], v[46:47], v[48:49]
	v_add_f64 v[46:47], v[50:51], -v[46:47]
	v_add_f64 v[46:47], v[48:49], -v[46:47]
	;; [unrolled: 1-line block ×4, first 2 shown]
	v_fma_f64 v[48:49], -v[40:41], v[54:55], 1.0
	v_fmac_f64_e32 v[54:55], v[48:49], v[54:55]
	v_fma_f64 v[48:49], -v[40:41], v[54:55], 1.0
	v_fmac_f64_e32 v[54:55], v[48:49], v[54:55]
	v_mul_f64 v[48:49], v[50:51], v[54:55]
	v_mul_f64 v[52:53], v[40:41], v[48:49]
	v_fma_f64 v[56:57], v[48:49], v[40:41], -v[52:53]
	v_fmac_f64_e32 v[56:57], v[48:49], v[38:39]
	v_add_f64 v[58:59], v[52:53], v[56:57]
	v_add_f64 v[60:61], v[50:51], -v[58:59]
	v_add_f64 v[50:51], v[50:51], -v[60:61]
	;; [unrolled: 1-line block ×4, first 2 shown]
	v_add_f64 v[46:47], v[46:47], v[50:51]
	v_add_f64 v[50:51], v[52:53], -v[56:57]
	v_add_f64 v[46:47], v[50:51], v[46:47]
	v_add_f64 v[50:51], v[60:61], v[46:47]
	v_add_f64 v[52:53], v[60:61], -v[50:51]
	v_add_f64 v[46:47], v[46:47], v[52:53]
	v_mul_f64 v[52:53], v[54:55], v[50:51]
	v_mul_f64 v[56:57], v[40:41], v[52:53]
	v_fma_f64 v[40:41], v[52:53], v[40:41], -v[56:57]
	v_fmac_f64_e32 v[40:41], v[52:53], v[38:39]
	v_add_f64 v[38:39], v[56:57], v[40:41]
	v_add_f64 v[58:59], v[50:51], -v[38:39]
	v_add_f64 v[50:51], v[50:51], -v[58:59]
	;; [unrolled: 1-line block ×4, first 2 shown]
	v_add_f64 v[38:39], v[46:47], v[38:39]
	v_add_f64 v[40:41], v[56:57], -v[40:41]
	v_add_f64 v[38:39], v[40:41], v[38:39]
	v_add_f64 v[40:41], v[48:49], v[52:53]
	v_add_f64 v[38:39], v[58:59], v[38:39]
	v_add_f64 v[46:47], v[40:41], -v[48:49]
	v_mul_f64 v[38:39], v[54:55], v[38:39]
	v_add_f64 v[46:47], v[52:53], -v[46:47]
	v_add_f64 v[38:39], v[46:47], v[38:39]
	v_add_f64 v[46:47], v[40:41], v[38:39]
	v_add_f64 v[40:41], v[46:47], -v[40:41]
	s_mov_b32 s10, 0xbf559e2b
	v_add_f64 v[38:39], v[38:39], -v[40:41]
	v_mul_f64 v[40:41], v[46:47], v[46:47]
	v_mov_b32_e32 v48, 0x6b47b09a
	v_mov_b32_e32 v49, 0x3fc38538
	s_mov_b32 s11, 0x3fc3ab76
	v_fmac_f64_e32 v[48:49], s[10:11], v[40:41]
	v_mov_b32_e32 v50, 0xd7f4df2e
	v_mov_b32_e32 v51, 0x3fc7474d
	v_fmac_f64_e32 v[50:51], v[40:41], v[48:49]
	v_mov_b32_e32 v48, 0x16291751
	v_mov_b32_e32 v49, 0x3fcc71c0
	;; [unrolled: 3-line block ×5, first 2 shown]
	v_fmac_f64_e32 v[50:51], v[40:41], v[48:49]
	v_cvt_f64_i32_e32 v[48:49], v62
	s_mov_b32 s17, 0x3fe62e42
	v_mul_f64 v[52:53], v[48:49], s[16:17]
	v_fma_f64 v[54:55], v[48:49], s[16:17], -v[52:53]
	s_mov_b32 s21, 0x3c7abc9e
	v_fmac_f64_e32 v[54:55], s[20:21], v[48:49]
	v_add_f64 v[48:49], v[52:53], v[54:55]
	v_add_f64 v[52:53], v[48:49], -v[52:53]
	v_mul_f64 v[40:41], v[46:47], v[40:41]
	v_add_f64 v[52:53], v[54:55], -v[52:53]
	v_ldexp_f64 v[54:55], v[46:47], 1
	v_mul_f64 v[40:41], v[40:41], v[50:51]
	v_add_f64 v[46:47], v[54:55], v[40:41]
	v_add_f64 v[50:51], v[46:47], -v[54:55]
	v_ldexp_f64 v[38:39], v[38:39], 1
	v_add_f64 v[40:41], v[40:41], -v[50:51]
	v_add_f64 v[38:39], v[38:39], v[40:41]
	v_add_f64 v[40:41], v[46:47], v[38:39]
	v_add_f64 v[46:47], v[40:41], -v[46:47]
	v_add_f64 v[38:39], v[38:39], -v[46:47]
	v_add_f64 v[46:47], v[48:49], v[40:41]
	v_add_f64 v[50:51], v[46:47], -v[48:49]
	v_add_f64 v[54:55], v[46:47], -v[50:51]
	;; [unrolled: 1-line block ×4, first 2 shown]
	v_add_f64 v[40:41], v[40:41], v[48:49]
	v_add_f64 v[48:49], v[52:53], v[38:39]
	v_add_f64 v[50:51], v[48:49], -v[52:53]
	v_add_f64 v[40:41], v[48:49], v[40:41]
	v_add_f64 v[54:55], v[48:49], -v[50:51]
	;; [unrolled: 2-line block ×3, first 2 shown]
	v_add_f64 v[38:39], v[38:39], -v[50:51]
	v_add_f64 v[46:47], v[48:49], -v[46:47]
	v_add_f64 v[38:39], v[38:39], v[52:53]
	v_add_f64 v[40:41], v[40:41], -v[46:47]
	s_mov_b32 s10, 0
	v_add_f64 v[38:39], v[38:39], v[40:41]
	s_mov_b32 s11, 0x7ff00000
	v_add_f64 v[38:39], v[48:49], v[38:39]
	v_cmp_eq_f64_e64 s[10:11], s[10:11], v[36:37]
	v_cndmask_b32_e64 v38, v38, v36, s[10:11]
	v_cndmask_b32_e64 v39, v39, v37, s[10:11]
	v_mov_b32_e32 v40, 0x7ff80000
	v_cmp_ngt_f64_e64 s[10:11], -1.0, v[36:37]
	v_cndmask_b32_e64 v39, v40, v39, s[10:11]
	v_cmp_nge_f64_e64 s[10:11], -1.0, v[36:37]
	v_cndmask_b32_e64 v38, 0, v38, s[10:11]
	v_mov_b32_e32 v40, 0xfff00000
	v_cmp_neq_f64_e64 s[10:11], -1.0, v[36:37]
	v_cndmask_b32_e64 v39, v40, v39, s[10:11]
	v_add_f64 v[46:47], v[34:35], v[38:39]
.LBB49_194:
	s_or_b64 exec, exec, s[14:15]
	v_max_f64 v[34:35], v[10:11], v[10:11]
	v_max_f64 v[36:37], v[46:47], v[46:47]
	v_min_f64 v[38:39], v[36:37], v[34:35]
	v_cmp_u_f64_e64 s[12:13], v[46:47], v[46:47]
	v_max_f64 v[36:37], v[36:37], v[34:35]
	v_cndmask_b32_e64 v38, v38, v46, s[12:13]
	v_cndmask_b32_e64 v39, v39, v47, s[12:13]
	v_cmp_u_f64_e64 s[10:11], v[10:11], v[10:11]
	v_cndmask_b32_e64 v36, v36, v46, s[12:13]
	v_cndmask_b32_e64 v37, v37, v47, s[12:13]
	v_cndmask_b32_e64 v39, v39, v11, s[10:11]
	v_cndmask_b32_e64 v38, v38, v10, s[10:11]
	v_cndmask_b32_e64 v37, v37, v11, s[10:11]
	v_cndmask_b32_e64 v36, v36, v10, s[10:11]
	v_cmp_neq_f64_e64 s[12:13], v[38:39], v[36:37]
	v_cmp_class_f64_e64 s[14:15], v[38:39], s22
	s_or_b64 s[12:13], s[12:13], s[14:15]
	s_and_saveexec_b64 s[16:17], s[12:13]
	s_cbranch_execz .LBB49_196
; %bb.195:
	s_mov_b32 s12, 0x652b82fe
	v_add_f64 v[38:39], v[38:39], -v[36:37]
	s_mov_b32 s13, 0x3ff71547
	v_mul_f64 v[40:41], v[38:39], s[12:13]
	v_rndne_f64_e32 v[40:41], v[40:41]
	s_mov_b32 s21, 0xbfe62e42
	s_mov_b32 s20, 0xfefa39ef
	v_fma_f64 v[46:47], s[20:21], v[40:41], v[38:39]
	s_mov_b32 s23, 0xbc7abc9e
	s_mov_b32 s22, 0x3b39803f
	;; [unrolled: 1-line block ×3, first 2 shown]
	v_fmac_f64_e32 v[46:47], s[22:23], v[40:41]
	v_mov_b32_e32 v48, 0xfca7ab0c
	v_mov_b32_e32 v49, 0x3e928af3
	s_mov_b32 s13, 0x3e5ade15
	v_fmac_f64_e32 v[48:49], s[12:13], v[46:47]
	v_mov_b32_e32 v50, 0x623fde64
	v_mov_b32_e32 v51, 0x3ec71dee
	v_fmac_f64_e32 v[50:51], v[46:47], v[48:49]
	v_mov_b32_e32 v48, 0x7c89e6b0
	v_mov_b32_e32 v49, 0x3efa0199
	;; [unrolled: 3-line block ×8, first 2 shown]
	v_fmac_f64_e32 v[48:49], v[46:47], v[50:51]
	v_fma_f64 v[48:49], v[46:47], v[48:49], 1.0
	s_mov_b32 s12, 0
	s_mov_b32 s14, 0
	v_fma_f64 v[46:47], v[46:47], v[48:49], 1.0
	v_cvt_i32_f64_e32 v40, v[40:41]
	s_mov_b32 s13, 0x40900000
	s_mov_b32 s15, 0xc090cc00
	v_ldexp_f64 v[40:41], v[46:47], v40
	v_mov_b32_e32 v46, 0x7ff00000
	v_cmp_nlt_f64_e64 s[12:13], s[12:13], v[38:39]
	v_cmp_ngt_f64_e64 s[14:15], s[14:15], v[38:39]
	v_cndmask_b32_e64 v41, v46, v41, s[12:13]
	s_and_b64 s[12:13], s[14:15], s[12:13]
	v_cndmask_b32_e64 v39, 0, v41, s[14:15]
	v_cndmask_b32_e64 v38, 0, v40, s[12:13]
	v_add_f64 v[40:41], v[38:39], 1.0
	v_add_f64 v[46:47], v[40:41], -1.0
	v_add_f64 v[48:49], v[46:47], -v[40:41]
	v_add_f64 v[48:49], v[48:49], 1.0
	v_add_f64 v[46:47], v[38:39], -v[46:47]
	s_mov_b32 s12, 0x55555555
	v_add_f64 v[46:47], v[46:47], v[48:49]
	v_frexp_mant_f64_e32 v[48:49], v[40:41]
	s_mov_b32 s13, 0x3fe55555
	v_frexp_exp_i32_f64_e32 v50, v[40:41]
	v_cmp_gt_f64_e64 s[12:13], s[12:13], v[48:49]
	v_subbrev_co_u32_e64 v64, s[12:13], 0, v50, s[12:13]
	v_sub_u32_e32 v48, 0, v64
	v_ldexp_f64 v[40:41], v[40:41], v48
	v_ldexp_f64 v[46:47], v[46:47], v48
	v_add_f64 v[48:49], v[40:41], -1.0
	v_add_f64 v[54:55], v[40:41], 1.0
	v_add_f64 v[50:51], v[48:49], 1.0
	v_add_f64 v[56:57], v[54:55], -1.0
	v_add_f64 v[50:51], v[40:41], -v[50:51]
	v_add_f64 v[40:41], v[40:41], -v[56:57]
	v_add_f64 v[40:41], v[46:47], v[40:41]
	v_add_f64 v[50:51], v[46:47], v[50:51]
	;; [unrolled: 1-line block ×3, first 2 shown]
	v_rcp_f64_e32 v[56:57], v[46:47]
	v_add_f64 v[52:53], v[48:49], v[50:51]
	v_add_f64 v[48:49], v[52:53], -v[48:49]
	v_add_f64 v[48:49], v[50:51], -v[48:49]
	;; [unrolled: 1-line block ×4, first 2 shown]
	v_fma_f64 v[50:51], -v[46:47], v[56:57], 1.0
	v_fmac_f64_e32 v[56:57], v[50:51], v[56:57]
	v_fma_f64 v[50:51], -v[46:47], v[56:57], 1.0
	v_fmac_f64_e32 v[56:57], v[50:51], v[56:57]
	v_mul_f64 v[50:51], v[52:53], v[56:57]
	v_mul_f64 v[54:55], v[46:47], v[50:51]
	v_fma_f64 v[58:59], v[50:51], v[46:47], -v[54:55]
	v_fmac_f64_e32 v[58:59], v[50:51], v[40:41]
	v_add_f64 v[60:61], v[54:55], v[58:59]
	v_add_f64 v[62:63], v[52:53], -v[60:61]
	v_add_f64 v[52:53], v[52:53], -v[62:63]
	v_add_f64 v[54:55], v[60:61], -v[54:55]
	v_add_f64 v[52:53], v[52:53], -v[60:61]
	v_add_f64 v[48:49], v[48:49], v[52:53]
	v_add_f64 v[52:53], v[54:55], -v[58:59]
	v_add_f64 v[48:49], v[52:53], v[48:49]
	v_add_f64 v[52:53], v[62:63], v[48:49]
	v_add_f64 v[54:55], v[62:63], -v[52:53]
	v_add_f64 v[48:49], v[48:49], v[54:55]
	v_mul_f64 v[54:55], v[56:57], v[52:53]
	v_mul_f64 v[58:59], v[46:47], v[54:55]
	v_fma_f64 v[46:47], v[54:55], v[46:47], -v[58:59]
	v_fmac_f64_e32 v[46:47], v[54:55], v[40:41]
	v_add_f64 v[40:41], v[58:59], v[46:47]
	v_add_f64 v[60:61], v[52:53], -v[40:41]
	v_add_f64 v[52:53], v[52:53], -v[60:61]
	;; [unrolled: 1-line block ×4, first 2 shown]
	v_add_f64 v[40:41], v[48:49], v[40:41]
	v_add_f64 v[46:47], v[58:59], -v[46:47]
	v_add_f64 v[40:41], v[46:47], v[40:41]
	v_add_f64 v[46:47], v[50:51], v[54:55]
	;; [unrolled: 1-line block ×3, first 2 shown]
	v_add_f64 v[48:49], v[46:47], -v[50:51]
	v_mul_f64 v[40:41], v[56:57], v[40:41]
	v_add_f64 v[48:49], v[54:55], -v[48:49]
	v_add_f64 v[40:41], v[48:49], v[40:41]
	v_add_f64 v[48:49], v[46:47], v[40:41]
	v_add_f64 v[46:47], v[48:49], -v[46:47]
	s_mov_b32 s12, 0xbf559e2b
	v_add_f64 v[40:41], v[40:41], -v[46:47]
	v_mul_f64 v[46:47], v[48:49], v[48:49]
	v_mov_b32_e32 v50, 0x6b47b09a
	v_mov_b32_e32 v51, 0x3fc38538
	s_mov_b32 s13, 0x3fc3ab76
	v_fmac_f64_e32 v[50:51], s[12:13], v[46:47]
	v_mov_b32_e32 v52, 0xd7f4df2e
	v_mov_b32_e32 v53, 0x3fc7474d
	v_fmac_f64_e32 v[52:53], v[46:47], v[50:51]
	v_mov_b32_e32 v50, 0x16291751
	v_mov_b32_e32 v51, 0x3fcc71c0
	;; [unrolled: 3-line block ×5, first 2 shown]
	v_fmac_f64_e32 v[52:53], v[46:47], v[50:51]
	v_cvt_f64_i32_e32 v[50:51], v64
	s_mov_b32 s21, 0x3fe62e42
	v_mul_f64 v[54:55], v[50:51], s[20:21]
	v_fma_f64 v[56:57], v[50:51], s[20:21], -v[54:55]
	s_mov_b32 s23, 0x3c7abc9e
	v_fmac_f64_e32 v[56:57], s[22:23], v[50:51]
	v_add_f64 v[50:51], v[54:55], v[56:57]
	v_add_f64 v[54:55], v[50:51], -v[54:55]
	v_mul_f64 v[46:47], v[48:49], v[46:47]
	v_add_f64 v[54:55], v[56:57], -v[54:55]
	v_ldexp_f64 v[56:57], v[48:49], 1
	v_mul_f64 v[46:47], v[46:47], v[52:53]
	v_add_f64 v[48:49], v[56:57], v[46:47]
	v_add_f64 v[52:53], v[48:49], -v[56:57]
	v_ldexp_f64 v[40:41], v[40:41], 1
	v_add_f64 v[46:47], v[46:47], -v[52:53]
	v_add_f64 v[40:41], v[40:41], v[46:47]
	v_add_f64 v[46:47], v[48:49], v[40:41]
	v_add_f64 v[48:49], v[46:47], -v[48:49]
	v_add_f64 v[40:41], v[40:41], -v[48:49]
	v_add_f64 v[48:49], v[50:51], v[46:47]
	v_add_f64 v[52:53], v[48:49], -v[50:51]
	v_add_f64 v[56:57], v[48:49], -v[52:53]
	;; [unrolled: 1-line block ×4, first 2 shown]
	v_add_f64 v[46:47], v[46:47], v[50:51]
	v_add_f64 v[50:51], v[54:55], v[40:41]
	v_add_f64 v[52:53], v[50:51], -v[54:55]
	v_add_f64 v[46:47], v[50:51], v[46:47]
	v_add_f64 v[56:57], v[50:51], -v[52:53]
	;; [unrolled: 2-line block ×3, first 2 shown]
	v_add_f64 v[40:41], v[40:41], -v[52:53]
	v_add_f64 v[48:49], v[50:51], -v[48:49]
	v_add_f64 v[40:41], v[40:41], v[54:55]
	v_add_f64 v[46:47], v[46:47], -v[48:49]
	s_mov_b32 s12, 0
	v_add_f64 v[40:41], v[40:41], v[46:47]
	s_mov_b32 s13, 0x7ff00000
	v_add_f64 v[40:41], v[50:51], v[40:41]
	v_cmp_eq_f64_e64 s[12:13], s[12:13], v[38:39]
	v_cndmask_b32_e64 v40, v40, v38, s[12:13]
	v_cndmask_b32_e64 v41, v41, v39, s[12:13]
	v_mov_b32_e32 v46, 0x7ff80000
	v_cmp_ngt_f64_e64 s[12:13], -1.0, v[38:39]
	v_cndmask_b32_e64 v41, v46, v41, s[12:13]
	v_cmp_nge_f64_e64 s[12:13], -1.0, v[38:39]
	v_cndmask_b32_e64 v40, 0, v40, s[12:13]
	v_mov_b32_e32 v46, 0xfff00000
	v_cmp_neq_f64_e64 s[12:13], -1.0, v[38:39]
	v_cndmask_b32_e64 v41, v46, v41, s[12:13]
	v_add_f64 v[46:47], v[36:37], v[40:41]
.LBB49_196:
	s_or_b64 exec, exec, s[16:17]
	v_max_f64 v[36:37], v[12:13], v[12:13]
	v_max_f64 v[38:39], v[46:47], v[46:47]
	v_min_f64 v[40:41], v[38:39], v[36:37]
	v_cmp_u_f64_e64 s[14:15], v[46:47], v[46:47]
	v_max_f64 v[38:39], v[38:39], v[36:37]
	v_cndmask_b32_e64 v40, v40, v46, s[14:15]
	v_cndmask_b32_e64 v41, v41, v47, s[14:15]
	v_cmp_u_f64_e64 s[12:13], v[12:13], v[12:13]
	v_cndmask_b32_e64 v38, v38, v46, s[14:15]
	v_cndmask_b32_e64 v39, v39, v47, s[14:15]
	;; [unrolled: 1-line block ×6, first 2 shown]
	s_movk_i32 s26, 0x1f8
	v_cmp_neq_f64_e64 s[14:15], v[40:41], v[38:39]
	v_cmp_class_f64_e64 s[16:17], v[40:41], s26
	s_or_b64 s[14:15], s[14:15], s[16:17]
	s_and_saveexec_b64 s[20:21], s[14:15]
	s_cbranch_execz .LBB49_198
; %bb.197:
	s_mov_b32 s14, 0x652b82fe
	v_add_f64 v[40:41], v[40:41], -v[38:39]
	s_mov_b32 s15, 0x3ff71547
	v_mul_f64 v[46:47], v[40:41], s[14:15]
	v_rndne_f64_e32 v[46:47], v[46:47]
	s_mov_b32 s23, 0xbfe62e42
	s_mov_b32 s22, 0xfefa39ef
	v_fma_f64 v[48:49], s[22:23], v[46:47], v[40:41]
	s_mov_b32 s25, 0xbc7abc9e
	s_mov_b32 s24, 0x3b39803f
	;; [unrolled: 1-line block ×3, first 2 shown]
	v_fmac_f64_e32 v[48:49], s[24:25], v[46:47]
	v_mov_b32_e32 v50, 0xfca7ab0c
	v_mov_b32_e32 v51, 0x3e928af3
	s_mov_b32 s15, 0x3e5ade15
	v_fmac_f64_e32 v[50:51], s[14:15], v[48:49]
	v_mov_b32_e32 v52, 0x623fde64
	v_mov_b32_e32 v53, 0x3ec71dee
	v_fmac_f64_e32 v[52:53], v[48:49], v[50:51]
	v_mov_b32_e32 v50, 0x7c89e6b0
	v_mov_b32_e32 v51, 0x3efa0199
	;; [unrolled: 3-line block ×8, first 2 shown]
	v_fmac_f64_e32 v[50:51], v[48:49], v[52:53]
	v_fma_f64 v[50:51], v[48:49], v[50:51], 1.0
	s_mov_b32 s14, 0
	s_mov_b32 s16, 0
	v_fma_f64 v[48:49], v[48:49], v[50:51], 1.0
	v_cvt_i32_f64_e32 v46, v[46:47]
	s_mov_b32 s15, 0x40900000
	s_mov_b32 s17, 0xc090cc00
	v_ldexp_f64 v[46:47], v[48:49], v46
	v_mov_b32_e32 v48, 0x7ff00000
	v_cmp_nlt_f64_e64 s[14:15], s[14:15], v[40:41]
	v_cmp_ngt_f64_e64 s[16:17], s[16:17], v[40:41]
	v_cndmask_b32_e64 v47, v48, v47, s[14:15]
	s_and_b64 s[14:15], s[16:17], s[14:15]
	v_cndmask_b32_e64 v41, 0, v47, s[16:17]
	v_cndmask_b32_e64 v40, 0, v46, s[14:15]
	v_add_f64 v[46:47], v[40:41], 1.0
	v_add_f64 v[48:49], v[46:47], -1.0
	v_add_f64 v[50:51], v[48:49], -v[46:47]
	v_add_f64 v[50:51], v[50:51], 1.0
	v_add_f64 v[48:49], v[40:41], -v[48:49]
	s_mov_b32 s14, 0x55555555
	v_add_f64 v[48:49], v[48:49], v[50:51]
	v_frexp_mant_f64_e32 v[50:51], v[46:47]
	s_mov_b32 s15, 0x3fe55555
	v_frexp_exp_i32_f64_e32 v52, v[46:47]
	v_cmp_gt_f64_e64 s[14:15], s[14:15], v[50:51]
	v_subbrev_co_u32_e64 v66, s[14:15], 0, v52, s[14:15]
	v_sub_u32_e32 v50, 0, v66
	v_ldexp_f64 v[46:47], v[46:47], v50
	v_ldexp_f64 v[48:49], v[48:49], v50
	v_add_f64 v[50:51], v[46:47], -1.0
	v_add_f64 v[56:57], v[46:47], 1.0
	v_add_f64 v[52:53], v[50:51], 1.0
	v_add_f64 v[58:59], v[56:57], -1.0
	v_add_f64 v[52:53], v[46:47], -v[52:53]
	v_add_f64 v[46:47], v[46:47], -v[58:59]
	v_add_f64 v[46:47], v[48:49], v[46:47]
	v_add_f64 v[52:53], v[48:49], v[52:53]
	;; [unrolled: 1-line block ×3, first 2 shown]
	v_rcp_f64_e32 v[58:59], v[48:49]
	v_add_f64 v[54:55], v[50:51], v[52:53]
	v_add_f64 v[50:51], v[54:55], -v[50:51]
	v_add_f64 v[50:51], v[52:53], -v[50:51]
	;; [unrolled: 1-line block ×4, first 2 shown]
	v_fma_f64 v[52:53], -v[48:49], v[58:59], 1.0
	v_fmac_f64_e32 v[58:59], v[52:53], v[58:59]
	v_fma_f64 v[52:53], -v[48:49], v[58:59], 1.0
	v_fmac_f64_e32 v[58:59], v[52:53], v[58:59]
	v_mul_f64 v[52:53], v[54:55], v[58:59]
	v_mul_f64 v[56:57], v[48:49], v[52:53]
	v_fma_f64 v[60:61], v[52:53], v[48:49], -v[56:57]
	v_fmac_f64_e32 v[60:61], v[52:53], v[46:47]
	v_add_f64 v[62:63], v[56:57], v[60:61]
	v_add_f64 v[64:65], v[54:55], -v[62:63]
	v_add_f64 v[54:55], v[54:55], -v[64:65]
	;; [unrolled: 1-line block ×4, first 2 shown]
	v_add_f64 v[50:51], v[50:51], v[54:55]
	v_add_f64 v[54:55], v[56:57], -v[60:61]
	v_add_f64 v[50:51], v[54:55], v[50:51]
	v_add_f64 v[54:55], v[64:65], v[50:51]
	v_add_f64 v[56:57], v[64:65], -v[54:55]
	v_add_f64 v[50:51], v[50:51], v[56:57]
	v_mul_f64 v[56:57], v[58:59], v[54:55]
	v_mul_f64 v[60:61], v[48:49], v[56:57]
	v_fma_f64 v[48:49], v[56:57], v[48:49], -v[60:61]
	v_fmac_f64_e32 v[48:49], v[56:57], v[46:47]
	v_add_f64 v[46:47], v[60:61], v[48:49]
	v_add_f64 v[62:63], v[54:55], -v[46:47]
	v_add_f64 v[54:55], v[54:55], -v[62:63]
	;; [unrolled: 1-line block ×4, first 2 shown]
	v_add_f64 v[46:47], v[50:51], v[46:47]
	v_add_f64 v[48:49], v[60:61], -v[48:49]
	v_add_f64 v[46:47], v[48:49], v[46:47]
	v_add_f64 v[48:49], v[52:53], v[56:57]
	;; [unrolled: 1-line block ×3, first 2 shown]
	v_add_f64 v[50:51], v[48:49], -v[52:53]
	v_mul_f64 v[46:47], v[58:59], v[46:47]
	v_add_f64 v[50:51], v[56:57], -v[50:51]
	v_add_f64 v[46:47], v[50:51], v[46:47]
	v_add_f64 v[50:51], v[48:49], v[46:47]
	v_add_f64 v[48:49], v[50:51], -v[48:49]
	s_mov_b32 s14, 0xbf559e2b
	v_add_f64 v[46:47], v[46:47], -v[48:49]
	v_mul_f64 v[48:49], v[50:51], v[50:51]
	v_mov_b32_e32 v52, 0x6b47b09a
	v_mov_b32_e32 v53, 0x3fc38538
	s_mov_b32 s15, 0x3fc3ab76
	v_fmac_f64_e32 v[52:53], s[14:15], v[48:49]
	v_mov_b32_e32 v54, 0xd7f4df2e
	v_mov_b32_e32 v55, 0x3fc7474d
	v_fmac_f64_e32 v[54:55], v[48:49], v[52:53]
	v_mov_b32_e32 v52, 0x16291751
	v_mov_b32_e32 v53, 0x3fcc71c0
	;; [unrolled: 3-line block ×5, first 2 shown]
	v_fmac_f64_e32 v[54:55], v[48:49], v[52:53]
	v_cvt_f64_i32_e32 v[52:53], v66
	s_mov_b32 s23, 0x3fe62e42
	v_mul_f64 v[56:57], v[52:53], s[22:23]
	v_fma_f64 v[58:59], v[52:53], s[22:23], -v[56:57]
	s_mov_b32 s25, 0x3c7abc9e
	v_fmac_f64_e32 v[58:59], s[24:25], v[52:53]
	v_add_f64 v[52:53], v[56:57], v[58:59]
	v_add_f64 v[56:57], v[52:53], -v[56:57]
	v_mul_f64 v[48:49], v[50:51], v[48:49]
	v_add_f64 v[56:57], v[58:59], -v[56:57]
	v_ldexp_f64 v[58:59], v[50:51], 1
	v_mul_f64 v[48:49], v[48:49], v[54:55]
	v_add_f64 v[50:51], v[58:59], v[48:49]
	v_add_f64 v[54:55], v[50:51], -v[58:59]
	v_ldexp_f64 v[46:47], v[46:47], 1
	v_add_f64 v[48:49], v[48:49], -v[54:55]
	v_add_f64 v[46:47], v[46:47], v[48:49]
	v_add_f64 v[48:49], v[50:51], v[46:47]
	v_add_f64 v[50:51], v[48:49], -v[50:51]
	v_add_f64 v[46:47], v[46:47], -v[50:51]
	v_add_f64 v[50:51], v[52:53], v[48:49]
	v_add_f64 v[54:55], v[50:51], -v[52:53]
	v_add_f64 v[58:59], v[50:51], -v[54:55]
	v_add_f64 v[52:53], v[52:53], -v[58:59]
	v_add_f64 v[48:49], v[48:49], -v[54:55]
	v_add_f64 v[48:49], v[48:49], v[52:53]
	v_add_f64 v[52:53], v[56:57], v[46:47]
	v_add_f64 v[54:55], v[52:53], -v[56:57]
	v_add_f64 v[48:49], v[52:53], v[48:49]
	v_add_f64 v[58:59], v[52:53], -v[54:55]
	;; [unrolled: 2-line block ×3, first 2 shown]
	v_add_f64 v[46:47], v[46:47], -v[54:55]
	v_add_f64 v[50:51], v[52:53], -v[50:51]
	v_add_f64 v[46:47], v[46:47], v[56:57]
	v_add_f64 v[48:49], v[48:49], -v[50:51]
	s_mov_b32 s14, 0
	v_add_f64 v[46:47], v[46:47], v[48:49]
	s_mov_b32 s15, 0x7ff00000
	v_add_f64 v[46:47], v[52:53], v[46:47]
	v_cmp_eq_f64_e64 s[14:15], s[14:15], v[40:41]
	v_cndmask_b32_e64 v46, v46, v40, s[14:15]
	v_cndmask_b32_e64 v47, v47, v41, s[14:15]
	v_mov_b32_e32 v48, 0x7ff80000
	v_cmp_ngt_f64_e64 s[14:15], -1.0, v[40:41]
	v_cndmask_b32_e64 v47, v48, v47, s[14:15]
	v_cmp_nge_f64_e64 s[14:15], -1.0, v[40:41]
	v_cndmask_b32_e64 v46, 0, v46, s[14:15]
	v_mov_b32_e32 v48, 0xfff00000
	v_cmp_neq_f64_e64 s[14:15], -1.0, v[40:41]
	v_cndmask_b32_e64 v47, v48, v47, s[14:15]
	v_add_f64 v[46:47], v[38:39], v[46:47]
.LBB49_198:
	s_or_b64 exec, exec, s[20:21]
	v_max_f64 v[38:39], v[6:7], v[6:7]
	v_max_f64 v[40:41], v[46:47], v[46:47]
	v_min_f64 v[48:49], v[40:41], v[38:39]
	v_cmp_u_f64_e64 s[16:17], v[46:47], v[46:47]
	v_max_f64 v[40:41], v[40:41], v[38:39]
	v_cndmask_b32_e64 v48, v48, v46, s[16:17]
	v_cndmask_b32_e64 v49, v49, v47, s[16:17]
	v_cmp_u_f64_e64 s[14:15], v[6:7], v[6:7]
	v_cndmask_b32_e64 v40, v40, v46, s[16:17]
	v_cndmask_b32_e64 v41, v41, v47, s[16:17]
	;; [unrolled: 1-line block ×6, first 2 shown]
	v_cmp_neq_f64_e64 s[16:17], v[48:49], v[40:41]
	v_cmp_class_f64_e64 s[20:21], v[48:49], s26
	s_or_b64 s[16:17], s[16:17], s[20:21]
	s_and_saveexec_b64 s[22:23], s[16:17]
	s_cbranch_execz .LBB49_200
; %bb.199:
	s_mov_b32 s16, 0x652b82fe
	v_add_f64 v[46:47], v[48:49], -v[40:41]
	s_mov_b32 s17, 0x3ff71547
	v_mul_f64 v[48:49], v[46:47], s[16:17]
	v_rndne_f64_e32 v[48:49], v[48:49]
	s_mov_b32 s25, 0xbfe62e42
	s_mov_b32 s24, 0xfefa39ef
	v_fma_f64 v[50:51], s[24:25], v[48:49], v[46:47]
	s_mov_b32 s27, 0xbc7abc9e
	s_mov_b32 s26, 0x3b39803f
	;; [unrolled: 1-line block ×3, first 2 shown]
	v_fmac_f64_e32 v[50:51], s[26:27], v[48:49]
	v_mov_b32_e32 v52, 0xfca7ab0c
	v_mov_b32_e32 v53, 0x3e928af3
	s_mov_b32 s17, 0x3e5ade15
	v_fmac_f64_e32 v[52:53], s[16:17], v[50:51]
	v_mov_b32_e32 v54, 0x623fde64
	v_mov_b32_e32 v55, 0x3ec71dee
	v_fmac_f64_e32 v[54:55], v[50:51], v[52:53]
	v_mov_b32_e32 v52, 0x7c89e6b0
	v_mov_b32_e32 v53, 0x3efa0199
	;; [unrolled: 3-line block ×8, first 2 shown]
	v_fmac_f64_e32 v[52:53], v[50:51], v[54:55]
	v_fma_f64 v[52:53], v[50:51], v[52:53], 1.0
	s_mov_b32 s16, 0
	s_mov_b32 s20, 0
	v_fma_f64 v[50:51], v[50:51], v[52:53], 1.0
	v_cvt_i32_f64_e32 v48, v[48:49]
	s_mov_b32 s17, 0x40900000
	s_mov_b32 s21, 0xc090cc00
	v_ldexp_f64 v[48:49], v[50:51], v48
	v_mov_b32_e32 v50, 0x7ff00000
	v_cmp_nlt_f64_e64 s[16:17], s[16:17], v[46:47]
	v_cmp_ngt_f64_e64 s[20:21], s[20:21], v[46:47]
	v_cndmask_b32_e64 v49, v50, v49, s[16:17]
	s_and_b64 s[16:17], s[20:21], s[16:17]
	v_cndmask_b32_e64 v47, 0, v49, s[20:21]
	v_cndmask_b32_e64 v46, 0, v48, s[16:17]
	v_add_f64 v[48:49], v[46:47], 1.0
	v_add_f64 v[50:51], v[48:49], -1.0
	v_add_f64 v[52:53], v[50:51], -v[48:49]
	v_add_f64 v[52:53], v[52:53], 1.0
	v_add_f64 v[50:51], v[46:47], -v[50:51]
	s_mov_b32 s16, 0x55555555
	v_add_f64 v[50:51], v[50:51], v[52:53]
	v_frexp_mant_f64_e32 v[52:53], v[48:49]
	s_mov_b32 s17, 0x3fe55555
	v_frexp_exp_i32_f64_e32 v54, v[48:49]
	v_cmp_gt_f64_e64 s[16:17], s[16:17], v[52:53]
	v_subbrev_co_u32_e64 v68, s[16:17], 0, v54, s[16:17]
	v_sub_u32_e32 v52, 0, v68
	v_ldexp_f64 v[48:49], v[48:49], v52
	v_ldexp_f64 v[50:51], v[50:51], v52
	v_add_f64 v[52:53], v[48:49], -1.0
	v_add_f64 v[58:59], v[48:49], 1.0
	v_add_f64 v[54:55], v[52:53], 1.0
	v_add_f64 v[60:61], v[58:59], -1.0
	v_add_f64 v[54:55], v[48:49], -v[54:55]
	v_add_f64 v[48:49], v[48:49], -v[60:61]
	v_add_f64 v[48:49], v[50:51], v[48:49]
	v_add_f64 v[54:55], v[50:51], v[54:55]
	;; [unrolled: 1-line block ×3, first 2 shown]
	v_rcp_f64_e32 v[60:61], v[50:51]
	v_add_f64 v[56:57], v[52:53], v[54:55]
	v_add_f64 v[52:53], v[56:57], -v[52:53]
	v_add_f64 v[52:53], v[54:55], -v[52:53]
	v_add_f64 v[54:55], v[50:51], -v[58:59]
	v_add_f64 v[48:49], v[48:49], -v[54:55]
	v_fma_f64 v[54:55], -v[50:51], v[60:61], 1.0
	v_fmac_f64_e32 v[60:61], v[54:55], v[60:61]
	v_fma_f64 v[54:55], -v[50:51], v[60:61], 1.0
	v_fmac_f64_e32 v[60:61], v[54:55], v[60:61]
	v_mul_f64 v[54:55], v[56:57], v[60:61]
	v_mul_f64 v[58:59], v[50:51], v[54:55]
	v_fma_f64 v[62:63], v[54:55], v[50:51], -v[58:59]
	v_fmac_f64_e32 v[62:63], v[54:55], v[48:49]
	v_add_f64 v[64:65], v[58:59], v[62:63]
	v_add_f64 v[66:67], v[56:57], -v[64:65]
	v_add_f64 v[56:57], v[56:57], -v[66:67]
	;; [unrolled: 1-line block ×4, first 2 shown]
	v_add_f64 v[52:53], v[52:53], v[56:57]
	v_add_f64 v[56:57], v[58:59], -v[62:63]
	v_add_f64 v[52:53], v[56:57], v[52:53]
	v_add_f64 v[56:57], v[66:67], v[52:53]
	v_add_f64 v[58:59], v[66:67], -v[56:57]
	v_add_f64 v[52:53], v[52:53], v[58:59]
	v_mul_f64 v[58:59], v[60:61], v[56:57]
	v_mul_f64 v[62:63], v[50:51], v[58:59]
	v_fma_f64 v[50:51], v[58:59], v[50:51], -v[62:63]
	v_fmac_f64_e32 v[50:51], v[58:59], v[48:49]
	v_add_f64 v[48:49], v[62:63], v[50:51]
	v_add_f64 v[64:65], v[56:57], -v[48:49]
	v_add_f64 v[56:57], v[56:57], -v[64:65]
	;; [unrolled: 1-line block ×4, first 2 shown]
	v_add_f64 v[48:49], v[52:53], v[48:49]
	v_add_f64 v[50:51], v[62:63], -v[50:51]
	v_add_f64 v[48:49], v[50:51], v[48:49]
	v_add_f64 v[50:51], v[54:55], v[58:59]
	v_add_f64 v[48:49], v[64:65], v[48:49]
	v_add_f64 v[52:53], v[50:51], -v[54:55]
	v_mul_f64 v[48:49], v[60:61], v[48:49]
	v_add_f64 v[52:53], v[58:59], -v[52:53]
	v_add_f64 v[48:49], v[52:53], v[48:49]
	v_add_f64 v[52:53], v[50:51], v[48:49]
	v_add_f64 v[50:51], v[52:53], -v[50:51]
	s_mov_b32 s16, 0xbf559e2b
	v_add_f64 v[48:49], v[48:49], -v[50:51]
	v_mul_f64 v[50:51], v[52:53], v[52:53]
	v_mov_b32_e32 v54, 0x6b47b09a
	v_mov_b32_e32 v55, 0x3fc38538
	s_mov_b32 s17, 0x3fc3ab76
	v_fmac_f64_e32 v[54:55], s[16:17], v[50:51]
	v_mov_b32_e32 v56, 0xd7f4df2e
	v_mov_b32_e32 v57, 0x3fc7474d
	v_fmac_f64_e32 v[56:57], v[50:51], v[54:55]
	v_mov_b32_e32 v54, 0x16291751
	v_mov_b32_e32 v55, 0x3fcc71c0
	v_fmac_f64_e32 v[54:55], v[50:51], v[56:57]
	v_mov_b32_e32 v56, 0x9b27acf1
	v_mov_b32_e32 v57, 0x3fd24924
	v_fmac_f64_e32 v[56:57], v[50:51], v[54:55]
	v_mov_b32_e32 v54, 0x998ef7b6
	v_mov_b32_e32 v55, 0x3fd99999
	v_fmac_f64_e32 v[54:55], v[50:51], v[56:57]
	v_mov_b32_e32 v56, 0x55555780
	v_mov_b32_e32 v57, 0x3fe55555
	v_fmac_f64_e32 v[56:57], v[50:51], v[54:55]
	v_cvt_f64_i32_e32 v[54:55], v68
	s_mov_b32 s25, 0x3fe62e42
	v_mul_f64 v[58:59], v[54:55], s[24:25]
	v_fma_f64 v[60:61], v[54:55], s[24:25], -v[58:59]
	s_mov_b32 s27, 0x3c7abc9e
	v_fmac_f64_e32 v[60:61], s[26:27], v[54:55]
	v_add_f64 v[54:55], v[58:59], v[60:61]
	v_add_f64 v[58:59], v[54:55], -v[58:59]
	v_mul_f64 v[50:51], v[52:53], v[50:51]
	v_add_f64 v[58:59], v[60:61], -v[58:59]
	v_ldexp_f64 v[60:61], v[52:53], 1
	v_mul_f64 v[50:51], v[50:51], v[56:57]
	v_add_f64 v[52:53], v[60:61], v[50:51]
	v_add_f64 v[56:57], v[52:53], -v[60:61]
	v_ldexp_f64 v[48:49], v[48:49], 1
	v_add_f64 v[50:51], v[50:51], -v[56:57]
	v_add_f64 v[48:49], v[48:49], v[50:51]
	v_add_f64 v[50:51], v[52:53], v[48:49]
	v_add_f64 v[52:53], v[50:51], -v[52:53]
	v_add_f64 v[48:49], v[48:49], -v[52:53]
	v_add_f64 v[52:53], v[54:55], v[50:51]
	v_add_f64 v[56:57], v[52:53], -v[54:55]
	v_add_f64 v[60:61], v[52:53], -v[56:57]
	;; [unrolled: 1-line block ×4, first 2 shown]
	v_add_f64 v[50:51], v[50:51], v[54:55]
	v_add_f64 v[54:55], v[58:59], v[48:49]
	v_add_f64 v[56:57], v[54:55], -v[58:59]
	v_add_f64 v[50:51], v[54:55], v[50:51]
	v_add_f64 v[60:61], v[54:55], -v[56:57]
	;; [unrolled: 2-line block ×3, first 2 shown]
	v_add_f64 v[48:49], v[48:49], -v[56:57]
	v_add_f64 v[52:53], v[54:55], -v[52:53]
	v_add_f64 v[48:49], v[48:49], v[58:59]
	v_add_f64 v[50:51], v[50:51], -v[52:53]
	s_mov_b32 s16, 0
	v_add_f64 v[48:49], v[48:49], v[50:51]
	s_mov_b32 s17, 0x7ff00000
	v_add_f64 v[48:49], v[54:55], v[48:49]
	v_cmp_eq_f64_e64 s[16:17], s[16:17], v[46:47]
	v_cndmask_b32_e64 v48, v48, v46, s[16:17]
	v_cndmask_b32_e64 v49, v49, v47, s[16:17]
	v_mov_b32_e32 v50, 0x7ff80000
	v_cmp_ngt_f64_e64 s[16:17], -1.0, v[46:47]
	v_cndmask_b32_e64 v49, v50, v49, s[16:17]
	v_cmp_nge_f64_e64 s[16:17], -1.0, v[46:47]
	v_cndmask_b32_e64 v48, 0, v48, s[16:17]
	v_mov_b32_e32 v50, 0xfff00000
	v_cmp_neq_f64_e64 s[16:17], -1.0, v[46:47]
	v_cndmask_b32_e64 v49, v50, v49, s[16:17]
	v_add_f64 v[46:47], v[40:41], v[48:49]
.LBB49_200:
	s_or_b64 exec, exec, s[22:23]
	v_max_f64 v[40:41], v[8:9], v[8:9]
	v_max_f64 v[48:49], v[46:47], v[46:47]
	v_min_f64 v[50:51], v[48:49], v[40:41]
	v_cmp_u_f64_e64 s[20:21], v[46:47], v[46:47]
	v_max_f64 v[48:49], v[48:49], v[40:41]
	v_cndmask_b32_e64 v50, v50, v46, s[20:21]
	v_cndmask_b32_e64 v51, v51, v47, s[20:21]
	v_cmp_u_f64_e64 s[16:17], v[8:9], v[8:9]
	v_cndmask_b32_e64 v48, v48, v46, s[20:21]
	v_cndmask_b32_e64 v49, v49, v47, s[20:21]
	;; [unrolled: 1-line block ×6, first 2 shown]
	s_movk_i32 s22, 0x1f8
	v_cmp_neq_f64_e64 s[20:21], v[50:51], v[48:49]
	v_cmp_class_f64_e64 s[22:23], v[50:51], s22
	s_or_b64 s[20:21], s[20:21], s[22:23]
	s_and_saveexec_b64 s[24:25], s[20:21]
	s_cbranch_execz .LBB49_202
; %bb.201:
	s_mov_b32 s20, 0x652b82fe
	v_add_f64 v[46:47], v[50:51], -v[48:49]
	s_mov_b32 s21, 0x3ff71547
	v_mul_f64 v[50:51], v[46:47], s[20:21]
	v_rndne_f64_e32 v[50:51], v[50:51]
	s_mov_b32 s27, 0xbfe62e42
	s_mov_b32 s26, 0xfefa39ef
	v_fma_f64 v[52:53], s[26:27], v[50:51], v[46:47]
	s_mov_b32 s37, 0xbc7abc9e
	s_mov_b32 s36, 0x3b39803f
	;; [unrolled: 1-line block ×3, first 2 shown]
	v_fmac_f64_e32 v[52:53], s[36:37], v[50:51]
	v_mov_b32_e32 v54, 0xfca7ab0c
	v_mov_b32_e32 v55, 0x3e928af3
	s_mov_b32 s21, 0x3e5ade15
	v_fmac_f64_e32 v[54:55], s[20:21], v[52:53]
	v_mov_b32_e32 v56, 0x623fde64
	v_mov_b32_e32 v57, 0x3ec71dee
	v_fmac_f64_e32 v[56:57], v[52:53], v[54:55]
	v_mov_b32_e32 v54, 0x7c89e6b0
	v_mov_b32_e32 v55, 0x3efa0199
	;; [unrolled: 3-line block ×8, first 2 shown]
	v_fmac_f64_e32 v[54:55], v[52:53], v[56:57]
	v_fma_f64 v[54:55], v[52:53], v[54:55], 1.0
	s_mov_b32 s20, 0
	s_mov_b32 s22, 0
	v_fma_f64 v[52:53], v[52:53], v[54:55], 1.0
	v_cvt_i32_f64_e32 v50, v[50:51]
	s_mov_b32 s21, 0x40900000
	s_mov_b32 s23, 0xc090cc00
	v_ldexp_f64 v[50:51], v[52:53], v50
	v_mov_b32_e32 v52, 0x7ff00000
	v_cmp_nlt_f64_e64 s[20:21], s[20:21], v[46:47]
	v_cmp_ngt_f64_e64 s[22:23], s[22:23], v[46:47]
	v_cndmask_b32_e64 v51, v52, v51, s[20:21]
	s_and_b64 s[20:21], s[22:23], s[20:21]
	v_cndmask_b32_e64 v47, 0, v51, s[22:23]
	v_cndmask_b32_e64 v46, 0, v50, s[20:21]
	v_add_f64 v[50:51], v[46:47], 1.0
	v_add_f64 v[52:53], v[50:51], -1.0
	v_add_f64 v[54:55], v[52:53], -v[50:51]
	v_add_f64 v[54:55], v[54:55], 1.0
	v_add_f64 v[52:53], v[46:47], -v[52:53]
	s_mov_b32 s20, 0x55555555
	v_add_f64 v[52:53], v[52:53], v[54:55]
	v_frexp_mant_f64_e32 v[54:55], v[50:51]
	s_mov_b32 s21, 0x3fe55555
	v_frexp_exp_i32_f64_e32 v56, v[50:51]
	v_cmp_gt_f64_e64 s[20:21], s[20:21], v[54:55]
	v_subbrev_co_u32_e64 v70, s[20:21], 0, v56, s[20:21]
	v_sub_u32_e32 v54, 0, v70
	v_ldexp_f64 v[50:51], v[50:51], v54
	v_ldexp_f64 v[52:53], v[52:53], v54
	v_add_f64 v[54:55], v[50:51], -1.0
	v_add_f64 v[60:61], v[50:51], 1.0
	v_add_f64 v[56:57], v[54:55], 1.0
	v_add_f64 v[62:63], v[60:61], -1.0
	v_add_f64 v[56:57], v[50:51], -v[56:57]
	v_add_f64 v[50:51], v[50:51], -v[62:63]
	v_add_f64 v[50:51], v[52:53], v[50:51]
	v_add_f64 v[56:57], v[52:53], v[56:57]
	;; [unrolled: 1-line block ×3, first 2 shown]
	v_rcp_f64_e32 v[62:63], v[52:53]
	v_add_f64 v[58:59], v[54:55], v[56:57]
	v_add_f64 v[54:55], v[58:59], -v[54:55]
	v_add_f64 v[54:55], v[56:57], -v[54:55]
	;; [unrolled: 1-line block ×4, first 2 shown]
	v_fma_f64 v[56:57], -v[52:53], v[62:63], 1.0
	v_fmac_f64_e32 v[62:63], v[56:57], v[62:63]
	v_fma_f64 v[56:57], -v[52:53], v[62:63], 1.0
	v_fmac_f64_e32 v[62:63], v[56:57], v[62:63]
	v_mul_f64 v[56:57], v[58:59], v[62:63]
	v_mul_f64 v[60:61], v[52:53], v[56:57]
	v_fma_f64 v[64:65], v[56:57], v[52:53], -v[60:61]
	v_fmac_f64_e32 v[64:65], v[56:57], v[50:51]
	v_add_f64 v[66:67], v[60:61], v[64:65]
	v_add_f64 v[68:69], v[58:59], -v[66:67]
	v_add_f64 v[58:59], v[58:59], -v[68:69]
	;; [unrolled: 1-line block ×4, first 2 shown]
	v_add_f64 v[54:55], v[54:55], v[58:59]
	v_add_f64 v[58:59], v[60:61], -v[64:65]
	v_add_f64 v[54:55], v[58:59], v[54:55]
	v_add_f64 v[58:59], v[68:69], v[54:55]
	v_add_f64 v[60:61], v[68:69], -v[58:59]
	v_add_f64 v[54:55], v[54:55], v[60:61]
	v_mul_f64 v[60:61], v[62:63], v[58:59]
	v_mul_f64 v[64:65], v[52:53], v[60:61]
	v_fma_f64 v[52:53], v[60:61], v[52:53], -v[64:65]
	v_fmac_f64_e32 v[52:53], v[60:61], v[50:51]
	v_add_f64 v[50:51], v[64:65], v[52:53]
	v_add_f64 v[66:67], v[58:59], -v[50:51]
	v_add_f64 v[58:59], v[58:59], -v[66:67]
	;; [unrolled: 1-line block ×4, first 2 shown]
	v_add_f64 v[50:51], v[54:55], v[50:51]
	v_add_f64 v[52:53], v[64:65], -v[52:53]
	v_add_f64 v[50:51], v[52:53], v[50:51]
	v_add_f64 v[52:53], v[56:57], v[60:61]
	;; [unrolled: 1-line block ×3, first 2 shown]
	v_add_f64 v[54:55], v[52:53], -v[56:57]
	v_mul_f64 v[50:51], v[62:63], v[50:51]
	v_add_f64 v[54:55], v[60:61], -v[54:55]
	v_add_f64 v[50:51], v[54:55], v[50:51]
	v_add_f64 v[54:55], v[52:53], v[50:51]
	v_add_f64 v[52:53], v[54:55], -v[52:53]
	s_mov_b32 s20, 0xbf559e2b
	v_add_f64 v[50:51], v[50:51], -v[52:53]
	v_mul_f64 v[52:53], v[54:55], v[54:55]
	v_mov_b32_e32 v56, 0x6b47b09a
	v_mov_b32_e32 v57, 0x3fc38538
	s_mov_b32 s21, 0x3fc3ab76
	v_fmac_f64_e32 v[56:57], s[20:21], v[52:53]
	v_mov_b32_e32 v58, 0xd7f4df2e
	v_mov_b32_e32 v59, 0x3fc7474d
	v_fmac_f64_e32 v[58:59], v[52:53], v[56:57]
	v_mov_b32_e32 v56, 0x16291751
	v_mov_b32_e32 v57, 0x3fcc71c0
	;; [unrolled: 3-line block ×5, first 2 shown]
	v_fmac_f64_e32 v[58:59], v[52:53], v[56:57]
	v_cvt_f64_i32_e32 v[56:57], v70
	s_mov_b32 s27, 0x3fe62e42
	v_mul_f64 v[60:61], v[56:57], s[26:27]
	v_fma_f64 v[62:63], v[56:57], s[26:27], -v[60:61]
	s_mov_b32 s37, 0x3c7abc9e
	v_fmac_f64_e32 v[62:63], s[36:37], v[56:57]
	v_add_f64 v[56:57], v[60:61], v[62:63]
	v_add_f64 v[60:61], v[56:57], -v[60:61]
	v_mul_f64 v[52:53], v[54:55], v[52:53]
	v_add_f64 v[60:61], v[62:63], -v[60:61]
	v_ldexp_f64 v[62:63], v[54:55], 1
	v_mul_f64 v[52:53], v[52:53], v[58:59]
	v_add_f64 v[54:55], v[62:63], v[52:53]
	v_add_f64 v[58:59], v[54:55], -v[62:63]
	v_ldexp_f64 v[50:51], v[50:51], 1
	v_add_f64 v[52:53], v[52:53], -v[58:59]
	v_add_f64 v[50:51], v[50:51], v[52:53]
	v_add_f64 v[52:53], v[54:55], v[50:51]
	v_add_f64 v[54:55], v[52:53], -v[54:55]
	v_add_f64 v[50:51], v[50:51], -v[54:55]
	v_add_f64 v[54:55], v[56:57], v[52:53]
	v_add_f64 v[58:59], v[54:55], -v[56:57]
	v_add_f64 v[62:63], v[54:55], -v[58:59]
	;; [unrolled: 1-line block ×4, first 2 shown]
	v_add_f64 v[52:53], v[52:53], v[56:57]
	v_add_f64 v[56:57], v[60:61], v[50:51]
	v_add_f64 v[58:59], v[56:57], -v[60:61]
	v_add_f64 v[52:53], v[56:57], v[52:53]
	v_add_f64 v[62:63], v[56:57], -v[58:59]
	;; [unrolled: 2-line block ×3, first 2 shown]
	v_add_f64 v[50:51], v[50:51], -v[58:59]
	v_add_f64 v[54:55], v[56:57], -v[54:55]
	v_add_f64 v[50:51], v[50:51], v[60:61]
	v_add_f64 v[52:53], v[52:53], -v[54:55]
	s_mov_b32 s20, 0
	v_add_f64 v[50:51], v[50:51], v[52:53]
	s_mov_b32 s21, 0x7ff00000
	v_add_f64 v[50:51], v[56:57], v[50:51]
	v_cmp_eq_f64_e64 s[20:21], s[20:21], v[46:47]
	v_cndmask_b32_e64 v50, v50, v46, s[20:21]
	v_cndmask_b32_e64 v51, v51, v47, s[20:21]
	v_mov_b32_e32 v52, 0x7ff80000
	v_cmp_ngt_f64_e64 s[20:21], -1.0, v[46:47]
	v_cndmask_b32_e64 v51, v52, v51, s[20:21]
	v_cmp_nge_f64_e64 s[20:21], -1.0, v[46:47]
	v_cndmask_b32_e64 v50, 0, v50, s[20:21]
	v_mov_b32_e32 v52, 0xfff00000
	v_cmp_neq_f64_e64 s[20:21], -1.0, v[46:47]
	v_cndmask_b32_e64 v51, v52, v51, s[20:21]
	v_add_f64 v[46:47], v[48:49], v[50:51]
.LBB49_202:
	s_or_b64 exec, exec, s[24:25]
	v_mbcnt_lo_u32_b32 v48, -1, 0
	v_mbcnt_hi_u32_b32 v54, -1, v48
	v_and_b32_e32 v52, 15, v54
	v_mov_b32_dpp v48, v46 row_shr:1 row_mask:0xf bank_mask:0xf
	v_mov_b32_dpp v49, v47 row_shr:1 row_mask:0xf bank_mask:0xf
	v_cmp_ne_u32_e64 s[20:21], 0, v52
	v_mov_b32_e32 v50, v46
	v_mov_b32_e32 v51, v47
	s_and_saveexec_b64 s[24:25], s[20:21]
	s_cbranch_execz .LBB49_206
; %bb.203:
	v_max_f64 v[56:57], v[48:49], v[48:49]
	v_max_f64 v[58:59], v[46:47], v[46:47]
	v_min_f64 v[50:51], v[56:57], v[58:59]
	v_cmp_u_f64_e64 s[20:21], v[48:49], v[48:49]
	v_max_f64 v[56:57], v[56:57], v[58:59]
	v_cndmask_b32_e64 v50, v50, v48, s[20:21]
	v_cndmask_b32_e64 v51, v51, v49, s[20:21]
	v_cmp_u_f64_e64 s[22:23], v[46:47], v[46:47]
	v_cndmask_b32_e64 v53, v56, v48, s[20:21]
	v_cndmask_b32_e64 v55, v57, v49, s[20:21]
	v_cndmask_b32_e64 v51, v51, v47, s[22:23]
	v_cndmask_b32_e64 v50, v50, v46, s[22:23]
	v_cndmask_b32_e64 v47, v55, v47, s[22:23]
	v_cndmask_b32_e64 v46, v53, v46, s[22:23]
	s_movk_i32 s22, 0x1f8
	v_cmp_neq_f64_e64 s[20:21], v[50:51], v[46:47]
	v_cmp_class_f64_e64 s[22:23], v[50:51], s22
	s_or_b64 s[20:21], s[20:21], s[22:23]
	s_and_saveexec_b64 s[26:27], s[20:21]
	s_cbranch_execz .LBB49_205
; %bb.204:
	s_mov_b32 s20, 0x652b82fe
	v_add_f64 v[48:49], v[50:51], -v[46:47]
	s_mov_b32 s21, 0x3ff71547
	v_mul_f64 v[50:51], v[48:49], s[20:21]
	v_rndne_f64_e32 v[50:51], v[50:51]
	s_mov_b32 s37, 0xbfe62e42
	s_mov_b32 s36, 0xfefa39ef
	v_fma_f64 v[56:57], s[36:37], v[50:51], v[48:49]
	s_mov_b32 s41, 0xbc7abc9e
	s_mov_b32 s40, 0x3b39803f
	;; [unrolled: 1-line block ×3, first 2 shown]
	v_fmac_f64_e32 v[56:57], s[40:41], v[50:51]
	v_mov_b32_e32 v58, 0xfca7ab0c
	v_mov_b32_e32 v59, 0x3e928af3
	s_mov_b32 s21, 0x3e5ade15
	v_fmac_f64_e32 v[58:59], s[20:21], v[56:57]
	v_mov_b32_e32 v60, 0x623fde64
	v_mov_b32_e32 v61, 0x3ec71dee
	v_fmac_f64_e32 v[60:61], v[56:57], v[58:59]
	v_mov_b32_e32 v58, 0x7c89e6b0
	v_mov_b32_e32 v59, 0x3efa0199
	;; [unrolled: 3-line block ×8, first 2 shown]
	v_fmac_f64_e32 v[58:59], v[56:57], v[60:61]
	v_fma_f64 v[58:59], v[56:57], v[58:59], 1.0
	s_mov_b32 s20, 0
	s_mov_b32 s22, 0
	v_fma_f64 v[56:57], v[56:57], v[58:59], 1.0
	v_cvt_i32_f64_e32 v50, v[50:51]
	s_mov_b32 s21, 0x40900000
	s_mov_b32 s23, 0xc090cc00
	v_ldexp_f64 v[50:51], v[56:57], v50
	v_mov_b32_e32 v53, 0x7ff00000
	v_cmp_nlt_f64_e64 s[20:21], s[20:21], v[48:49]
	v_cmp_ngt_f64_e64 s[22:23], s[22:23], v[48:49]
	v_cndmask_b32_e64 v51, v53, v51, s[20:21]
	s_and_b64 s[20:21], s[22:23], s[20:21]
	v_cndmask_b32_e64 v49, 0, v51, s[22:23]
	v_cndmask_b32_e64 v48, 0, v50, s[20:21]
	v_add_f64 v[50:51], v[48:49], 1.0
	v_add_f64 v[56:57], v[50:51], -1.0
	v_add_f64 v[58:59], v[56:57], -v[50:51]
	v_add_f64 v[58:59], v[58:59], 1.0
	v_add_f64 v[56:57], v[48:49], -v[56:57]
	s_mov_b32 s20, 0x55555555
	v_add_f64 v[56:57], v[56:57], v[58:59]
	v_frexp_mant_f64_e32 v[58:59], v[50:51]
	s_mov_b32 s21, 0x3fe55555
	v_frexp_exp_i32_f64_e32 v53, v[50:51]
	v_cmp_gt_f64_e64 s[20:21], s[20:21], v[58:59]
	v_subbrev_co_u32_e64 v53, s[20:21], 0, v53, s[20:21]
	v_sub_u32_e32 v55, 0, v53
	v_ldexp_f64 v[50:51], v[50:51], v55
	v_add_f64 v[58:59], v[50:51], -1.0
	v_add_f64 v[64:65], v[50:51], 1.0
	v_add_f64 v[60:61], v[58:59], 1.0
	v_add_f64 v[66:67], v[64:65], -1.0
	v_ldexp_f64 v[56:57], v[56:57], v55
	v_add_f64 v[60:61], v[50:51], -v[60:61]
	v_add_f64 v[50:51], v[50:51], -v[66:67]
	v_add_f64 v[50:51], v[56:57], v[50:51]
	v_add_f64 v[60:61], v[56:57], v[60:61]
	;; [unrolled: 1-line block ×3, first 2 shown]
	v_rcp_f64_e32 v[66:67], v[56:57]
	v_add_f64 v[62:63], v[58:59], v[60:61]
	v_add_f64 v[58:59], v[62:63], -v[58:59]
	v_add_f64 v[58:59], v[60:61], -v[58:59]
	;; [unrolled: 1-line block ×4, first 2 shown]
	v_fma_f64 v[60:61], -v[56:57], v[66:67], 1.0
	v_fmac_f64_e32 v[66:67], v[60:61], v[66:67]
	v_fma_f64 v[60:61], -v[56:57], v[66:67], 1.0
	v_fmac_f64_e32 v[66:67], v[60:61], v[66:67]
	v_mul_f64 v[60:61], v[62:63], v[66:67]
	v_mul_f64 v[64:65], v[56:57], v[60:61]
	v_fma_f64 v[68:69], v[60:61], v[56:57], -v[64:65]
	v_fmac_f64_e32 v[68:69], v[60:61], v[50:51]
	v_add_f64 v[70:71], v[64:65], v[68:69]
	v_add_f64 v[72:73], v[62:63], -v[70:71]
	v_add_f64 v[62:63], v[62:63], -v[72:73]
	;; [unrolled: 1-line block ×4, first 2 shown]
	v_add_f64 v[58:59], v[58:59], v[62:63]
	v_add_f64 v[62:63], v[64:65], -v[68:69]
	v_add_f64 v[58:59], v[62:63], v[58:59]
	v_add_f64 v[62:63], v[72:73], v[58:59]
	v_add_f64 v[64:65], v[72:73], -v[62:63]
	v_add_f64 v[58:59], v[58:59], v[64:65]
	v_mul_f64 v[64:65], v[66:67], v[62:63]
	v_mul_f64 v[68:69], v[56:57], v[64:65]
	v_fma_f64 v[56:57], v[64:65], v[56:57], -v[68:69]
	v_fmac_f64_e32 v[56:57], v[64:65], v[50:51]
	v_add_f64 v[50:51], v[68:69], v[56:57]
	v_add_f64 v[70:71], v[62:63], -v[50:51]
	v_add_f64 v[62:63], v[62:63], -v[70:71]
	;; [unrolled: 1-line block ×4, first 2 shown]
	v_add_f64 v[50:51], v[58:59], v[50:51]
	v_add_f64 v[56:57], v[68:69], -v[56:57]
	v_add_f64 v[50:51], v[56:57], v[50:51]
	v_add_f64 v[56:57], v[60:61], v[64:65]
	;; [unrolled: 1-line block ×3, first 2 shown]
	v_add_f64 v[58:59], v[56:57], -v[60:61]
	v_mul_f64 v[50:51], v[66:67], v[50:51]
	v_add_f64 v[58:59], v[64:65], -v[58:59]
	v_add_f64 v[50:51], v[58:59], v[50:51]
	v_add_f64 v[58:59], v[56:57], v[50:51]
	v_add_f64 v[56:57], v[58:59], -v[56:57]
	s_mov_b32 s20, 0xbf559e2b
	v_add_f64 v[50:51], v[50:51], -v[56:57]
	v_mul_f64 v[56:57], v[58:59], v[58:59]
	v_mov_b32_e32 v60, 0x6b47b09a
	v_mov_b32_e32 v61, 0x3fc38538
	s_mov_b32 s21, 0x3fc3ab76
	v_fmac_f64_e32 v[60:61], s[20:21], v[56:57]
	v_mov_b32_e32 v62, 0xd7f4df2e
	v_mov_b32_e32 v63, 0x3fc7474d
	v_fmac_f64_e32 v[62:63], v[56:57], v[60:61]
	v_mov_b32_e32 v60, 0x16291751
	v_mov_b32_e32 v61, 0x3fcc71c0
	;; [unrolled: 3-line block ×5, first 2 shown]
	v_fmac_f64_e32 v[62:63], v[56:57], v[60:61]
	v_cvt_f64_i32_e32 v[60:61], v53
	s_mov_b32 s37, 0x3fe62e42
	v_mul_f64 v[64:65], v[60:61], s[36:37]
	v_fma_f64 v[66:67], v[60:61], s[36:37], -v[64:65]
	s_mov_b32 s41, 0x3c7abc9e
	v_fmac_f64_e32 v[66:67], s[40:41], v[60:61]
	v_add_f64 v[60:61], v[64:65], v[66:67]
	v_add_f64 v[64:65], v[60:61], -v[64:65]
	v_mul_f64 v[56:57], v[58:59], v[56:57]
	v_add_f64 v[64:65], v[66:67], -v[64:65]
	v_ldexp_f64 v[66:67], v[58:59], 1
	v_mul_f64 v[56:57], v[56:57], v[62:63]
	v_add_f64 v[58:59], v[66:67], v[56:57]
	v_add_f64 v[62:63], v[58:59], -v[66:67]
	v_ldexp_f64 v[50:51], v[50:51], 1
	v_add_f64 v[56:57], v[56:57], -v[62:63]
	v_add_f64 v[50:51], v[50:51], v[56:57]
	v_add_f64 v[56:57], v[58:59], v[50:51]
	v_add_f64 v[58:59], v[56:57], -v[58:59]
	v_add_f64 v[50:51], v[50:51], -v[58:59]
	v_add_f64 v[58:59], v[60:61], v[56:57]
	v_add_f64 v[62:63], v[58:59], -v[60:61]
	v_add_f64 v[66:67], v[58:59], -v[62:63]
	;; [unrolled: 1-line block ×4, first 2 shown]
	v_add_f64 v[56:57], v[56:57], v[60:61]
	v_add_f64 v[60:61], v[64:65], v[50:51]
	v_add_f64 v[62:63], v[60:61], -v[64:65]
	v_add_f64 v[56:57], v[60:61], v[56:57]
	v_add_f64 v[66:67], v[60:61], -v[62:63]
	;; [unrolled: 2-line block ×3, first 2 shown]
	v_add_f64 v[50:51], v[50:51], -v[62:63]
	v_add_f64 v[58:59], v[60:61], -v[58:59]
	v_add_f64 v[50:51], v[50:51], v[64:65]
	v_add_f64 v[56:57], v[56:57], -v[58:59]
	s_mov_b32 s20, 0
	v_add_f64 v[50:51], v[50:51], v[56:57]
	s_mov_b32 s21, 0x7ff00000
	v_add_f64 v[50:51], v[60:61], v[50:51]
	v_cmp_eq_f64_e64 s[20:21], s[20:21], v[48:49]
	v_cndmask_b32_e64 v50, v50, v48, s[20:21]
	v_cndmask_b32_e64 v51, v51, v49, s[20:21]
	v_mov_b32_e32 v53, 0x7ff80000
	v_cmp_ngt_f64_e64 s[20:21], -1.0, v[48:49]
	v_cndmask_b32_e64 v51, v53, v51, s[20:21]
	v_cmp_nge_f64_e64 s[20:21], -1.0, v[48:49]
	v_cndmask_b32_e64 v50, 0, v50, s[20:21]
	v_mov_b32_e32 v53, 0xfff00000
	v_cmp_neq_f64_e64 s[20:21], -1.0, v[48:49]
	v_cndmask_b32_e64 v51, v53, v51, s[20:21]
	v_add_f64 v[48:49], v[46:47], v[50:51]
.LBB49_205:
	s_or_b64 exec, exec, s[26:27]
	v_mov_b32_e32 v50, v48
	v_mov_b32_e32 v51, v49
	v_pk_mov_b32 v[46:47], v[48:49], v[48:49] op_sel:[0,1]
.LBB49_206:
	s_or_b64 exec, exec, s[24:25]
	v_mov_b32_dpp v48, v50 row_shr:2 row_mask:0xf bank_mask:0xf
	v_mov_b32_dpp v49, v51 row_shr:2 row_mask:0xf bank_mask:0xf
	v_cmp_lt_u32_e64 s[20:21], 1, v52
	s_and_saveexec_b64 s[24:25], s[20:21]
	s_cbranch_execz .LBB49_210
; %bb.207:
	v_max_f64 v[56:57], v[48:49], v[48:49]
	v_max_f64 v[58:59], v[46:47], v[46:47]
	v_min_f64 v[50:51], v[56:57], v[58:59]
	v_cmp_u_f64_e64 s[20:21], v[48:49], v[48:49]
	v_max_f64 v[56:57], v[56:57], v[58:59]
	v_cndmask_b32_e64 v50, v50, v48, s[20:21]
	v_cndmask_b32_e64 v51, v51, v49, s[20:21]
	v_cmp_u_f64_e64 s[22:23], v[46:47], v[46:47]
	v_cndmask_b32_e64 v53, v56, v48, s[20:21]
	v_cndmask_b32_e64 v55, v57, v49, s[20:21]
	;; [unrolled: 1-line block ×6, first 2 shown]
	s_movk_i32 s22, 0x1f8
	v_cmp_neq_f64_e64 s[20:21], v[50:51], v[46:47]
	v_cmp_class_f64_e64 s[22:23], v[50:51], s22
	s_or_b64 s[20:21], s[20:21], s[22:23]
	s_and_saveexec_b64 s[26:27], s[20:21]
	s_cbranch_execz .LBB49_209
; %bb.208:
	s_mov_b32 s20, 0x652b82fe
	v_add_f64 v[48:49], v[50:51], -v[46:47]
	s_mov_b32 s21, 0x3ff71547
	v_mul_f64 v[50:51], v[48:49], s[20:21]
	v_rndne_f64_e32 v[50:51], v[50:51]
	s_mov_b32 s37, 0xbfe62e42
	s_mov_b32 s36, 0xfefa39ef
	v_fma_f64 v[56:57], s[36:37], v[50:51], v[48:49]
	s_mov_b32 s41, 0xbc7abc9e
	s_mov_b32 s40, 0x3b39803f
	;; [unrolled: 1-line block ×3, first 2 shown]
	v_fmac_f64_e32 v[56:57], s[40:41], v[50:51]
	v_mov_b32_e32 v58, 0xfca7ab0c
	v_mov_b32_e32 v59, 0x3e928af3
	s_mov_b32 s21, 0x3e5ade15
	v_fmac_f64_e32 v[58:59], s[20:21], v[56:57]
	v_mov_b32_e32 v60, 0x623fde64
	v_mov_b32_e32 v61, 0x3ec71dee
	v_fmac_f64_e32 v[60:61], v[56:57], v[58:59]
	v_mov_b32_e32 v58, 0x7c89e6b0
	v_mov_b32_e32 v59, 0x3efa0199
	;; [unrolled: 3-line block ×8, first 2 shown]
	v_fmac_f64_e32 v[58:59], v[56:57], v[60:61]
	v_fma_f64 v[58:59], v[56:57], v[58:59], 1.0
	s_mov_b32 s20, 0
	s_mov_b32 s22, 0
	v_fma_f64 v[56:57], v[56:57], v[58:59], 1.0
	v_cvt_i32_f64_e32 v50, v[50:51]
	s_mov_b32 s21, 0x40900000
	s_mov_b32 s23, 0xc090cc00
	v_ldexp_f64 v[50:51], v[56:57], v50
	v_mov_b32_e32 v53, 0x7ff00000
	v_cmp_nlt_f64_e64 s[20:21], s[20:21], v[48:49]
	v_cmp_ngt_f64_e64 s[22:23], s[22:23], v[48:49]
	v_cndmask_b32_e64 v51, v53, v51, s[20:21]
	s_and_b64 s[20:21], s[22:23], s[20:21]
	v_cndmask_b32_e64 v49, 0, v51, s[22:23]
	v_cndmask_b32_e64 v48, 0, v50, s[20:21]
	v_add_f64 v[50:51], v[48:49], 1.0
	v_add_f64 v[56:57], v[50:51], -1.0
	v_add_f64 v[58:59], v[56:57], -v[50:51]
	v_add_f64 v[58:59], v[58:59], 1.0
	v_add_f64 v[56:57], v[48:49], -v[56:57]
	s_mov_b32 s20, 0x55555555
	v_add_f64 v[56:57], v[56:57], v[58:59]
	v_frexp_mant_f64_e32 v[58:59], v[50:51]
	s_mov_b32 s21, 0x3fe55555
	v_frexp_exp_i32_f64_e32 v53, v[50:51]
	v_cmp_gt_f64_e64 s[20:21], s[20:21], v[58:59]
	v_subbrev_co_u32_e64 v53, s[20:21], 0, v53, s[20:21]
	v_sub_u32_e32 v55, 0, v53
	v_ldexp_f64 v[50:51], v[50:51], v55
	v_add_f64 v[58:59], v[50:51], -1.0
	v_add_f64 v[64:65], v[50:51], 1.0
	v_add_f64 v[60:61], v[58:59], 1.0
	v_add_f64 v[66:67], v[64:65], -1.0
	v_ldexp_f64 v[56:57], v[56:57], v55
	v_add_f64 v[60:61], v[50:51], -v[60:61]
	v_add_f64 v[50:51], v[50:51], -v[66:67]
	v_add_f64 v[50:51], v[56:57], v[50:51]
	v_add_f64 v[60:61], v[56:57], v[60:61]
	v_add_f64 v[56:57], v[64:65], v[50:51]
	v_rcp_f64_e32 v[66:67], v[56:57]
	v_add_f64 v[62:63], v[58:59], v[60:61]
	v_add_f64 v[58:59], v[62:63], -v[58:59]
	v_add_f64 v[58:59], v[60:61], -v[58:59]
	;; [unrolled: 1-line block ×4, first 2 shown]
	v_fma_f64 v[60:61], -v[56:57], v[66:67], 1.0
	v_fmac_f64_e32 v[66:67], v[60:61], v[66:67]
	v_fma_f64 v[60:61], -v[56:57], v[66:67], 1.0
	v_fmac_f64_e32 v[66:67], v[60:61], v[66:67]
	v_mul_f64 v[60:61], v[62:63], v[66:67]
	v_mul_f64 v[64:65], v[56:57], v[60:61]
	v_fma_f64 v[68:69], v[60:61], v[56:57], -v[64:65]
	v_fmac_f64_e32 v[68:69], v[60:61], v[50:51]
	v_add_f64 v[70:71], v[64:65], v[68:69]
	v_add_f64 v[72:73], v[62:63], -v[70:71]
	v_add_f64 v[62:63], v[62:63], -v[72:73]
	;; [unrolled: 1-line block ×4, first 2 shown]
	v_add_f64 v[58:59], v[58:59], v[62:63]
	v_add_f64 v[62:63], v[64:65], -v[68:69]
	v_add_f64 v[58:59], v[62:63], v[58:59]
	v_add_f64 v[62:63], v[72:73], v[58:59]
	v_add_f64 v[64:65], v[72:73], -v[62:63]
	v_add_f64 v[58:59], v[58:59], v[64:65]
	v_mul_f64 v[64:65], v[66:67], v[62:63]
	v_mul_f64 v[68:69], v[56:57], v[64:65]
	v_fma_f64 v[56:57], v[64:65], v[56:57], -v[68:69]
	v_fmac_f64_e32 v[56:57], v[64:65], v[50:51]
	v_add_f64 v[50:51], v[68:69], v[56:57]
	v_add_f64 v[70:71], v[62:63], -v[50:51]
	v_add_f64 v[62:63], v[62:63], -v[70:71]
	;; [unrolled: 1-line block ×4, first 2 shown]
	v_add_f64 v[50:51], v[58:59], v[50:51]
	v_add_f64 v[56:57], v[68:69], -v[56:57]
	v_add_f64 v[50:51], v[56:57], v[50:51]
	v_add_f64 v[56:57], v[60:61], v[64:65]
	;; [unrolled: 1-line block ×3, first 2 shown]
	v_add_f64 v[58:59], v[56:57], -v[60:61]
	v_mul_f64 v[50:51], v[66:67], v[50:51]
	v_add_f64 v[58:59], v[64:65], -v[58:59]
	v_add_f64 v[50:51], v[58:59], v[50:51]
	v_add_f64 v[58:59], v[56:57], v[50:51]
	v_add_f64 v[56:57], v[58:59], -v[56:57]
	s_mov_b32 s20, 0xbf559e2b
	v_add_f64 v[50:51], v[50:51], -v[56:57]
	v_mul_f64 v[56:57], v[58:59], v[58:59]
	v_mov_b32_e32 v60, 0x6b47b09a
	v_mov_b32_e32 v61, 0x3fc38538
	s_mov_b32 s21, 0x3fc3ab76
	v_fmac_f64_e32 v[60:61], s[20:21], v[56:57]
	v_mov_b32_e32 v62, 0xd7f4df2e
	v_mov_b32_e32 v63, 0x3fc7474d
	v_fmac_f64_e32 v[62:63], v[56:57], v[60:61]
	v_mov_b32_e32 v60, 0x16291751
	v_mov_b32_e32 v61, 0x3fcc71c0
	;; [unrolled: 3-line block ×5, first 2 shown]
	v_fmac_f64_e32 v[62:63], v[56:57], v[60:61]
	v_cvt_f64_i32_e32 v[60:61], v53
	s_mov_b32 s37, 0x3fe62e42
	v_mul_f64 v[64:65], v[60:61], s[36:37]
	v_fma_f64 v[66:67], v[60:61], s[36:37], -v[64:65]
	s_mov_b32 s41, 0x3c7abc9e
	v_fmac_f64_e32 v[66:67], s[40:41], v[60:61]
	v_add_f64 v[60:61], v[64:65], v[66:67]
	v_add_f64 v[64:65], v[60:61], -v[64:65]
	v_mul_f64 v[56:57], v[58:59], v[56:57]
	v_add_f64 v[64:65], v[66:67], -v[64:65]
	v_ldexp_f64 v[66:67], v[58:59], 1
	v_mul_f64 v[56:57], v[56:57], v[62:63]
	v_add_f64 v[58:59], v[66:67], v[56:57]
	v_add_f64 v[62:63], v[58:59], -v[66:67]
	v_ldexp_f64 v[50:51], v[50:51], 1
	v_add_f64 v[56:57], v[56:57], -v[62:63]
	v_add_f64 v[50:51], v[50:51], v[56:57]
	v_add_f64 v[56:57], v[58:59], v[50:51]
	v_add_f64 v[58:59], v[56:57], -v[58:59]
	v_add_f64 v[50:51], v[50:51], -v[58:59]
	v_add_f64 v[58:59], v[60:61], v[56:57]
	v_add_f64 v[62:63], v[58:59], -v[60:61]
	v_add_f64 v[66:67], v[58:59], -v[62:63]
	;; [unrolled: 1-line block ×4, first 2 shown]
	v_add_f64 v[56:57], v[56:57], v[60:61]
	v_add_f64 v[60:61], v[64:65], v[50:51]
	v_add_f64 v[62:63], v[60:61], -v[64:65]
	v_add_f64 v[56:57], v[60:61], v[56:57]
	v_add_f64 v[66:67], v[60:61], -v[62:63]
	;; [unrolled: 2-line block ×3, first 2 shown]
	v_add_f64 v[50:51], v[50:51], -v[62:63]
	v_add_f64 v[58:59], v[60:61], -v[58:59]
	v_add_f64 v[50:51], v[50:51], v[64:65]
	v_add_f64 v[56:57], v[56:57], -v[58:59]
	s_mov_b32 s20, 0
	v_add_f64 v[50:51], v[50:51], v[56:57]
	s_mov_b32 s21, 0x7ff00000
	v_add_f64 v[50:51], v[60:61], v[50:51]
	v_cmp_eq_f64_e64 s[20:21], s[20:21], v[48:49]
	v_cndmask_b32_e64 v50, v50, v48, s[20:21]
	v_cndmask_b32_e64 v51, v51, v49, s[20:21]
	v_mov_b32_e32 v53, 0x7ff80000
	v_cmp_ngt_f64_e64 s[20:21], -1.0, v[48:49]
	v_cndmask_b32_e64 v51, v53, v51, s[20:21]
	v_cmp_nge_f64_e64 s[20:21], -1.0, v[48:49]
	v_cndmask_b32_e64 v50, 0, v50, s[20:21]
	v_mov_b32_e32 v53, 0xfff00000
	v_cmp_neq_f64_e64 s[20:21], -1.0, v[48:49]
	v_cndmask_b32_e64 v51, v53, v51, s[20:21]
	v_add_f64 v[48:49], v[46:47], v[50:51]
.LBB49_209:
	s_or_b64 exec, exec, s[26:27]
	v_pk_mov_b32 v[46:47], v[48:49], v[48:49] op_sel:[0,1]
	v_mov_b32_e32 v50, v48
	v_mov_b32_e32 v51, v49
.LBB49_210:
	s_or_b64 exec, exec, s[24:25]
	v_mov_b32_dpp v48, v50 row_shr:4 row_mask:0xf bank_mask:0xf
	v_mov_b32_dpp v49, v51 row_shr:4 row_mask:0xf bank_mask:0xf
	v_cmp_lt_u32_e64 s[20:21], 3, v52
	s_and_saveexec_b64 s[24:25], s[20:21]
	s_cbranch_execz .LBB49_214
; %bb.211:
	v_max_f64 v[56:57], v[48:49], v[48:49]
	v_max_f64 v[58:59], v[46:47], v[46:47]
	v_min_f64 v[50:51], v[56:57], v[58:59]
	v_cmp_u_f64_e64 s[20:21], v[48:49], v[48:49]
	v_max_f64 v[56:57], v[56:57], v[58:59]
	v_cndmask_b32_e64 v50, v50, v48, s[20:21]
	v_cndmask_b32_e64 v51, v51, v49, s[20:21]
	v_cmp_u_f64_e64 s[22:23], v[46:47], v[46:47]
	v_cndmask_b32_e64 v53, v56, v48, s[20:21]
	v_cndmask_b32_e64 v55, v57, v49, s[20:21]
	;; [unrolled: 1-line block ×6, first 2 shown]
	s_movk_i32 s22, 0x1f8
	v_cmp_neq_f64_e64 s[20:21], v[50:51], v[46:47]
	v_cmp_class_f64_e64 s[22:23], v[50:51], s22
	s_or_b64 s[20:21], s[20:21], s[22:23]
	s_and_saveexec_b64 s[26:27], s[20:21]
	s_cbranch_execz .LBB49_213
; %bb.212:
	s_mov_b32 s20, 0x652b82fe
	v_add_f64 v[48:49], v[50:51], -v[46:47]
	s_mov_b32 s21, 0x3ff71547
	v_mul_f64 v[50:51], v[48:49], s[20:21]
	v_rndne_f64_e32 v[50:51], v[50:51]
	s_mov_b32 s37, 0xbfe62e42
	s_mov_b32 s36, 0xfefa39ef
	v_fma_f64 v[56:57], s[36:37], v[50:51], v[48:49]
	s_mov_b32 s41, 0xbc7abc9e
	s_mov_b32 s40, 0x3b39803f
	;; [unrolled: 1-line block ×3, first 2 shown]
	v_fmac_f64_e32 v[56:57], s[40:41], v[50:51]
	v_mov_b32_e32 v58, 0xfca7ab0c
	v_mov_b32_e32 v59, 0x3e928af3
	s_mov_b32 s21, 0x3e5ade15
	v_fmac_f64_e32 v[58:59], s[20:21], v[56:57]
	v_mov_b32_e32 v60, 0x623fde64
	v_mov_b32_e32 v61, 0x3ec71dee
	v_fmac_f64_e32 v[60:61], v[56:57], v[58:59]
	v_mov_b32_e32 v58, 0x7c89e6b0
	v_mov_b32_e32 v59, 0x3efa0199
	;; [unrolled: 3-line block ×8, first 2 shown]
	v_fmac_f64_e32 v[58:59], v[56:57], v[60:61]
	v_fma_f64 v[58:59], v[56:57], v[58:59], 1.0
	s_mov_b32 s20, 0
	s_mov_b32 s22, 0
	v_fma_f64 v[56:57], v[56:57], v[58:59], 1.0
	v_cvt_i32_f64_e32 v50, v[50:51]
	s_mov_b32 s21, 0x40900000
	s_mov_b32 s23, 0xc090cc00
	v_ldexp_f64 v[50:51], v[56:57], v50
	v_mov_b32_e32 v53, 0x7ff00000
	v_cmp_nlt_f64_e64 s[20:21], s[20:21], v[48:49]
	v_cmp_ngt_f64_e64 s[22:23], s[22:23], v[48:49]
	v_cndmask_b32_e64 v51, v53, v51, s[20:21]
	s_and_b64 s[20:21], s[22:23], s[20:21]
	v_cndmask_b32_e64 v49, 0, v51, s[22:23]
	v_cndmask_b32_e64 v48, 0, v50, s[20:21]
	v_add_f64 v[50:51], v[48:49], 1.0
	v_add_f64 v[56:57], v[50:51], -1.0
	v_add_f64 v[58:59], v[56:57], -v[50:51]
	v_add_f64 v[58:59], v[58:59], 1.0
	v_add_f64 v[56:57], v[48:49], -v[56:57]
	s_mov_b32 s20, 0x55555555
	v_add_f64 v[56:57], v[56:57], v[58:59]
	v_frexp_mant_f64_e32 v[58:59], v[50:51]
	s_mov_b32 s21, 0x3fe55555
	v_frexp_exp_i32_f64_e32 v53, v[50:51]
	v_cmp_gt_f64_e64 s[20:21], s[20:21], v[58:59]
	v_subbrev_co_u32_e64 v53, s[20:21], 0, v53, s[20:21]
	v_sub_u32_e32 v55, 0, v53
	v_ldexp_f64 v[50:51], v[50:51], v55
	v_add_f64 v[58:59], v[50:51], -1.0
	v_add_f64 v[64:65], v[50:51], 1.0
	v_add_f64 v[60:61], v[58:59], 1.0
	v_add_f64 v[66:67], v[64:65], -1.0
	v_ldexp_f64 v[56:57], v[56:57], v55
	v_add_f64 v[60:61], v[50:51], -v[60:61]
	v_add_f64 v[50:51], v[50:51], -v[66:67]
	v_add_f64 v[50:51], v[56:57], v[50:51]
	v_add_f64 v[60:61], v[56:57], v[60:61]
	;; [unrolled: 1-line block ×3, first 2 shown]
	v_rcp_f64_e32 v[66:67], v[56:57]
	v_add_f64 v[62:63], v[58:59], v[60:61]
	v_add_f64 v[58:59], v[62:63], -v[58:59]
	v_add_f64 v[58:59], v[60:61], -v[58:59]
	;; [unrolled: 1-line block ×4, first 2 shown]
	v_fma_f64 v[60:61], -v[56:57], v[66:67], 1.0
	v_fmac_f64_e32 v[66:67], v[60:61], v[66:67]
	v_fma_f64 v[60:61], -v[56:57], v[66:67], 1.0
	v_fmac_f64_e32 v[66:67], v[60:61], v[66:67]
	v_mul_f64 v[60:61], v[62:63], v[66:67]
	v_mul_f64 v[64:65], v[56:57], v[60:61]
	v_fma_f64 v[68:69], v[60:61], v[56:57], -v[64:65]
	v_fmac_f64_e32 v[68:69], v[60:61], v[50:51]
	v_add_f64 v[70:71], v[64:65], v[68:69]
	v_add_f64 v[72:73], v[62:63], -v[70:71]
	v_add_f64 v[62:63], v[62:63], -v[72:73]
	;; [unrolled: 1-line block ×4, first 2 shown]
	v_add_f64 v[58:59], v[58:59], v[62:63]
	v_add_f64 v[62:63], v[64:65], -v[68:69]
	v_add_f64 v[58:59], v[62:63], v[58:59]
	v_add_f64 v[62:63], v[72:73], v[58:59]
	v_add_f64 v[64:65], v[72:73], -v[62:63]
	v_add_f64 v[58:59], v[58:59], v[64:65]
	v_mul_f64 v[64:65], v[66:67], v[62:63]
	v_mul_f64 v[68:69], v[56:57], v[64:65]
	v_fma_f64 v[56:57], v[64:65], v[56:57], -v[68:69]
	v_fmac_f64_e32 v[56:57], v[64:65], v[50:51]
	v_add_f64 v[50:51], v[68:69], v[56:57]
	v_add_f64 v[70:71], v[62:63], -v[50:51]
	v_add_f64 v[62:63], v[62:63], -v[70:71]
	;; [unrolled: 1-line block ×4, first 2 shown]
	v_add_f64 v[50:51], v[58:59], v[50:51]
	v_add_f64 v[56:57], v[68:69], -v[56:57]
	v_add_f64 v[50:51], v[56:57], v[50:51]
	v_add_f64 v[56:57], v[60:61], v[64:65]
	;; [unrolled: 1-line block ×3, first 2 shown]
	v_add_f64 v[58:59], v[56:57], -v[60:61]
	v_mul_f64 v[50:51], v[66:67], v[50:51]
	v_add_f64 v[58:59], v[64:65], -v[58:59]
	v_add_f64 v[50:51], v[58:59], v[50:51]
	v_add_f64 v[58:59], v[56:57], v[50:51]
	v_add_f64 v[56:57], v[58:59], -v[56:57]
	s_mov_b32 s20, 0xbf559e2b
	v_add_f64 v[50:51], v[50:51], -v[56:57]
	v_mul_f64 v[56:57], v[58:59], v[58:59]
	v_mov_b32_e32 v60, 0x6b47b09a
	v_mov_b32_e32 v61, 0x3fc38538
	s_mov_b32 s21, 0x3fc3ab76
	v_fmac_f64_e32 v[60:61], s[20:21], v[56:57]
	v_mov_b32_e32 v62, 0xd7f4df2e
	v_mov_b32_e32 v63, 0x3fc7474d
	v_fmac_f64_e32 v[62:63], v[56:57], v[60:61]
	v_mov_b32_e32 v60, 0x16291751
	v_mov_b32_e32 v61, 0x3fcc71c0
	;; [unrolled: 3-line block ×5, first 2 shown]
	v_fmac_f64_e32 v[62:63], v[56:57], v[60:61]
	v_cvt_f64_i32_e32 v[60:61], v53
	s_mov_b32 s37, 0x3fe62e42
	v_mul_f64 v[64:65], v[60:61], s[36:37]
	v_fma_f64 v[66:67], v[60:61], s[36:37], -v[64:65]
	s_mov_b32 s41, 0x3c7abc9e
	v_fmac_f64_e32 v[66:67], s[40:41], v[60:61]
	v_add_f64 v[60:61], v[64:65], v[66:67]
	v_add_f64 v[64:65], v[60:61], -v[64:65]
	v_mul_f64 v[56:57], v[58:59], v[56:57]
	v_add_f64 v[64:65], v[66:67], -v[64:65]
	v_ldexp_f64 v[66:67], v[58:59], 1
	v_mul_f64 v[56:57], v[56:57], v[62:63]
	v_add_f64 v[58:59], v[66:67], v[56:57]
	v_add_f64 v[62:63], v[58:59], -v[66:67]
	v_ldexp_f64 v[50:51], v[50:51], 1
	v_add_f64 v[56:57], v[56:57], -v[62:63]
	v_add_f64 v[50:51], v[50:51], v[56:57]
	v_add_f64 v[56:57], v[58:59], v[50:51]
	v_add_f64 v[58:59], v[56:57], -v[58:59]
	v_add_f64 v[50:51], v[50:51], -v[58:59]
	v_add_f64 v[58:59], v[60:61], v[56:57]
	v_add_f64 v[62:63], v[58:59], -v[60:61]
	v_add_f64 v[66:67], v[58:59], -v[62:63]
	;; [unrolled: 1-line block ×4, first 2 shown]
	v_add_f64 v[56:57], v[56:57], v[60:61]
	v_add_f64 v[60:61], v[64:65], v[50:51]
	v_add_f64 v[62:63], v[60:61], -v[64:65]
	v_add_f64 v[56:57], v[60:61], v[56:57]
	v_add_f64 v[66:67], v[60:61], -v[62:63]
	;; [unrolled: 2-line block ×3, first 2 shown]
	v_add_f64 v[50:51], v[50:51], -v[62:63]
	v_add_f64 v[58:59], v[60:61], -v[58:59]
	v_add_f64 v[50:51], v[50:51], v[64:65]
	v_add_f64 v[56:57], v[56:57], -v[58:59]
	s_mov_b32 s20, 0
	v_add_f64 v[50:51], v[50:51], v[56:57]
	s_mov_b32 s21, 0x7ff00000
	v_add_f64 v[50:51], v[60:61], v[50:51]
	v_cmp_eq_f64_e64 s[20:21], s[20:21], v[48:49]
	v_cndmask_b32_e64 v50, v50, v48, s[20:21]
	v_cndmask_b32_e64 v51, v51, v49, s[20:21]
	v_mov_b32_e32 v53, 0x7ff80000
	v_cmp_ngt_f64_e64 s[20:21], -1.0, v[48:49]
	v_cndmask_b32_e64 v51, v53, v51, s[20:21]
	v_cmp_nge_f64_e64 s[20:21], -1.0, v[48:49]
	v_cndmask_b32_e64 v50, 0, v50, s[20:21]
	v_mov_b32_e32 v53, 0xfff00000
	v_cmp_neq_f64_e64 s[20:21], -1.0, v[48:49]
	v_cndmask_b32_e64 v51, v53, v51, s[20:21]
	v_add_f64 v[48:49], v[46:47], v[50:51]
.LBB49_213:
	s_or_b64 exec, exec, s[26:27]
	v_pk_mov_b32 v[46:47], v[48:49], v[48:49] op_sel:[0,1]
	v_mov_b32_e32 v50, v48
	v_mov_b32_e32 v51, v49
.LBB49_214:
	s_or_b64 exec, exec, s[24:25]
	v_mov_b32_dpp v48, v50 row_shr:8 row_mask:0xf bank_mask:0xf
	v_mov_b32_dpp v49, v51 row_shr:8 row_mask:0xf bank_mask:0xf
	v_cmp_lt_u32_e64 s[20:21], 7, v52
	s_and_saveexec_b64 s[24:25], s[20:21]
	s_cbranch_execz .LBB49_218
; %bb.215:
	v_max_f64 v[52:53], v[48:49], v[48:49]
	v_max_f64 v[56:57], v[46:47], v[46:47]
	v_min_f64 v[50:51], v[52:53], v[56:57]
	v_cmp_u_f64_e64 s[20:21], v[48:49], v[48:49]
	v_max_f64 v[52:53], v[52:53], v[56:57]
	v_cndmask_b32_e64 v50, v50, v48, s[20:21]
	v_cndmask_b32_e64 v51, v51, v49, s[20:21]
	v_cmp_u_f64_e64 s[22:23], v[46:47], v[46:47]
	v_cndmask_b32_e64 v52, v52, v48, s[20:21]
	v_cndmask_b32_e64 v53, v53, v49, s[20:21]
	;; [unrolled: 1-line block ×6, first 2 shown]
	s_movk_i32 s22, 0x1f8
	v_cmp_neq_f64_e64 s[20:21], v[50:51], v[46:47]
	v_cmp_class_f64_e64 s[22:23], v[50:51], s22
	s_or_b64 s[20:21], s[20:21], s[22:23]
	s_and_saveexec_b64 s[26:27], s[20:21]
	s_cbranch_execz .LBB49_217
; %bb.216:
	s_mov_b32 s20, 0x652b82fe
	v_add_f64 v[48:49], v[50:51], -v[46:47]
	s_mov_b32 s21, 0x3ff71547
	v_mul_f64 v[50:51], v[48:49], s[20:21]
	v_rndne_f64_e32 v[50:51], v[50:51]
	s_mov_b32 s37, 0xbfe62e42
	s_mov_b32 s36, 0xfefa39ef
	v_fma_f64 v[52:53], s[36:37], v[50:51], v[48:49]
	s_mov_b32 s41, 0xbc7abc9e
	s_mov_b32 s40, 0x3b39803f
	;; [unrolled: 1-line block ×3, first 2 shown]
	v_fmac_f64_e32 v[52:53], s[40:41], v[50:51]
	v_mov_b32_e32 v56, 0xfca7ab0c
	v_mov_b32_e32 v57, 0x3e928af3
	s_mov_b32 s21, 0x3e5ade15
	v_fmac_f64_e32 v[56:57], s[20:21], v[52:53]
	v_mov_b32_e32 v58, 0x623fde64
	v_mov_b32_e32 v59, 0x3ec71dee
	v_fmac_f64_e32 v[58:59], v[52:53], v[56:57]
	v_mov_b32_e32 v56, 0x7c89e6b0
	v_mov_b32_e32 v57, 0x3efa0199
	;; [unrolled: 3-line block ×8, first 2 shown]
	v_fmac_f64_e32 v[56:57], v[52:53], v[58:59]
	v_fma_f64 v[56:57], v[52:53], v[56:57], 1.0
	s_mov_b32 s20, 0
	s_mov_b32 s22, 0
	v_fma_f64 v[52:53], v[52:53], v[56:57], 1.0
	v_cvt_i32_f64_e32 v50, v[50:51]
	s_mov_b32 s21, 0x40900000
	s_mov_b32 s23, 0xc090cc00
	v_ldexp_f64 v[50:51], v[52:53], v50
	v_mov_b32_e32 v52, 0x7ff00000
	v_cmp_nlt_f64_e64 s[20:21], s[20:21], v[48:49]
	v_cmp_ngt_f64_e64 s[22:23], s[22:23], v[48:49]
	v_cndmask_b32_e64 v51, v52, v51, s[20:21]
	s_and_b64 s[20:21], s[22:23], s[20:21]
	v_cndmask_b32_e64 v49, 0, v51, s[22:23]
	v_cndmask_b32_e64 v48, 0, v50, s[20:21]
	v_add_f64 v[50:51], v[48:49], 1.0
	v_add_f64 v[52:53], v[50:51], -1.0
	v_add_f64 v[56:57], v[52:53], -v[50:51]
	v_add_f64 v[56:57], v[56:57], 1.0
	v_add_f64 v[52:53], v[48:49], -v[52:53]
	s_mov_b32 s20, 0x55555555
	v_add_f64 v[52:53], v[52:53], v[56:57]
	v_frexp_mant_f64_e32 v[56:57], v[50:51]
	s_mov_b32 s21, 0x3fe55555
	v_frexp_exp_i32_f64_e32 v55, v[50:51]
	v_cmp_gt_f64_e64 s[20:21], s[20:21], v[56:57]
	v_subbrev_co_u32_e64 v55, s[20:21], 0, v55, s[20:21]
	v_sub_u32_e32 v56, 0, v55
	v_ldexp_f64 v[50:51], v[50:51], v56
	v_ldexp_f64 v[52:53], v[52:53], v56
	v_add_f64 v[56:57], v[50:51], -1.0
	v_add_f64 v[62:63], v[50:51], 1.0
	v_add_f64 v[58:59], v[56:57], 1.0
	v_add_f64 v[64:65], v[62:63], -1.0
	v_add_f64 v[58:59], v[50:51], -v[58:59]
	v_add_f64 v[50:51], v[50:51], -v[64:65]
	v_add_f64 v[50:51], v[52:53], v[50:51]
	v_add_f64 v[58:59], v[52:53], v[58:59]
	;; [unrolled: 1-line block ×3, first 2 shown]
	v_rcp_f64_e32 v[64:65], v[52:53]
	v_add_f64 v[60:61], v[56:57], v[58:59]
	v_add_f64 v[56:57], v[60:61], -v[56:57]
	v_add_f64 v[56:57], v[58:59], -v[56:57]
	;; [unrolled: 1-line block ×4, first 2 shown]
	v_fma_f64 v[58:59], -v[52:53], v[64:65], 1.0
	v_fmac_f64_e32 v[64:65], v[58:59], v[64:65]
	v_fma_f64 v[58:59], -v[52:53], v[64:65], 1.0
	v_fmac_f64_e32 v[64:65], v[58:59], v[64:65]
	v_mul_f64 v[58:59], v[60:61], v[64:65]
	v_mul_f64 v[62:63], v[52:53], v[58:59]
	v_fma_f64 v[66:67], v[58:59], v[52:53], -v[62:63]
	v_fmac_f64_e32 v[66:67], v[58:59], v[50:51]
	v_add_f64 v[68:69], v[62:63], v[66:67]
	v_add_f64 v[70:71], v[60:61], -v[68:69]
	v_add_f64 v[60:61], v[60:61], -v[70:71]
	;; [unrolled: 1-line block ×4, first 2 shown]
	v_add_f64 v[56:57], v[56:57], v[60:61]
	v_add_f64 v[60:61], v[62:63], -v[66:67]
	v_add_f64 v[56:57], v[60:61], v[56:57]
	v_add_f64 v[60:61], v[70:71], v[56:57]
	v_add_f64 v[62:63], v[70:71], -v[60:61]
	v_add_f64 v[56:57], v[56:57], v[62:63]
	v_mul_f64 v[62:63], v[64:65], v[60:61]
	v_mul_f64 v[66:67], v[52:53], v[62:63]
	v_fma_f64 v[52:53], v[62:63], v[52:53], -v[66:67]
	v_fmac_f64_e32 v[52:53], v[62:63], v[50:51]
	v_add_f64 v[50:51], v[66:67], v[52:53]
	v_add_f64 v[68:69], v[60:61], -v[50:51]
	v_add_f64 v[60:61], v[60:61], -v[68:69]
	;; [unrolled: 1-line block ×4, first 2 shown]
	v_add_f64 v[50:51], v[56:57], v[50:51]
	v_add_f64 v[52:53], v[66:67], -v[52:53]
	v_add_f64 v[50:51], v[52:53], v[50:51]
	v_add_f64 v[52:53], v[58:59], v[62:63]
	;; [unrolled: 1-line block ×3, first 2 shown]
	v_add_f64 v[56:57], v[52:53], -v[58:59]
	v_mul_f64 v[50:51], v[64:65], v[50:51]
	v_add_f64 v[56:57], v[62:63], -v[56:57]
	v_add_f64 v[50:51], v[56:57], v[50:51]
	v_add_f64 v[56:57], v[52:53], v[50:51]
	v_add_f64 v[52:53], v[56:57], -v[52:53]
	s_mov_b32 s20, 0xbf559e2b
	v_add_f64 v[50:51], v[50:51], -v[52:53]
	v_mul_f64 v[52:53], v[56:57], v[56:57]
	v_mov_b32_e32 v58, 0x6b47b09a
	v_mov_b32_e32 v59, 0x3fc38538
	s_mov_b32 s21, 0x3fc3ab76
	v_fmac_f64_e32 v[58:59], s[20:21], v[52:53]
	v_mov_b32_e32 v60, 0xd7f4df2e
	v_mov_b32_e32 v61, 0x3fc7474d
	v_fmac_f64_e32 v[60:61], v[52:53], v[58:59]
	v_mov_b32_e32 v58, 0x16291751
	v_mov_b32_e32 v59, 0x3fcc71c0
	;; [unrolled: 3-line block ×5, first 2 shown]
	v_fmac_f64_e32 v[60:61], v[52:53], v[58:59]
	v_cvt_f64_i32_e32 v[58:59], v55
	s_mov_b32 s37, 0x3fe62e42
	v_mul_f64 v[62:63], v[58:59], s[36:37]
	v_fma_f64 v[64:65], v[58:59], s[36:37], -v[62:63]
	s_mov_b32 s41, 0x3c7abc9e
	v_fmac_f64_e32 v[64:65], s[40:41], v[58:59]
	v_add_f64 v[58:59], v[62:63], v[64:65]
	v_add_f64 v[62:63], v[58:59], -v[62:63]
	v_mul_f64 v[52:53], v[56:57], v[52:53]
	v_add_f64 v[62:63], v[64:65], -v[62:63]
	v_ldexp_f64 v[64:65], v[56:57], 1
	v_mul_f64 v[52:53], v[52:53], v[60:61]
	v_add_f64 v[56:57], v[64:65], v[52:53]
	v_add_f64 v[60:61], v[56:57], -v[64:65]
	v_ldexp_f64 v[50:51], v[50:51], 1
	v_add_f64 v[52:53], v[52:53], -v[60:61]
	v_add_f64 v[50:51], v[50:51], v[52:53]
	v_add_f64 v[52:53], v[56:57], v[50:51]
	v_add_f64 v[56:57], v[52:53], -v[56:57]
	v_add_f64 v[50:51], v[50:51], -v[56:57]
	v_add_f64 v[56:57], v[58:59], v[52:53]
	v_add_f64 v[60:61], v[56:57], -v[58:59]
	v_add_f64 v[64:65], v[56:57], -v[60:61]
	;; [unrolled: 1-line block ×4, first 2 shown]
	v_add_f64 v[52:53], v[52:53], v[58:59]
	v_add_f64 v[58:59], v[62:63], v[50:51]
	v_add_f64 v[60:61], v[58:59], -v[62:63]
	v_add_f64 v[52:53], v[58:59], v[52:53]
	v_add_f64 v[64:65], v[58:59], -v[60:61]
	;; [unrolled: 2-line block ×3, first 2 shown]
	v_add_f64 v[50:51], v[50:51], -v[60:61]
	v_add_f64 v[56:57], v[58:59], -v[56:57]
	v_add_f64 v[50:51], v[50:51], v[62:63]
	v_add_f64 v[52:53], v[52:53], -v[56:57]
	s_mov_b32 s20, 0
	v_add_f64 v[50:51], v[50:51], v[52:53]
	s_mov_b32 s21, 0x7ff00000
	v_add_f64 v[50:51], v[58:59], v[50:51]
	v_cmp_eq_f64_e64 s[20:21], s[20:21], v[48:49]
	v_cndmask_b32_e64 v50, v50, v48, s[20:21]
	v_cndmask_b32_e64 v51, v51, v49, s[20:21]
	v_mov_b32_e32 v52, 0x7ff80000
	v_cmp_ngt_f64_e64 s[20:21], -1.0, v[48:49]
	v_cndmask_b32_e64 v51, v52, v51, s[20:21]
	v_cmp_nge_f64_e64 s[20:21], -1.0, v[48:49]
	v_cndmask_b32_e64 v50, 0, v50, s[20:21]
	v_mov_b32_e32 v52, 0xfff00000
	v_cmp_neq_f64_e64 s[20:21], -1.0, v[48:49]
	v_cndmask_b32_e64 v51, v52, v51, s[20:21]
	v_add_f64 v[48:49], v[46:47], v[50:51]
.LBB49_217:
	s_or_b64 exec, exec, s[26:27]
	v_pk_mov_b32 v[46:47], v[48:49], v[48:49] op_sel:[0,1]
	v_mov_b32_e32 v50, v48
	v_mov_b32_e32 v51, v49
.LBB49_218:
	s_or_b64 exec, exec, s[24:25]
	v_and_b32_e32 v52, 16, v54
	v_mov_b32_dpp v48, v50 row_bcast:15 row_mask:0xf bank_mask:0xf
	v_mov_b32_dpp v49, v51 row_bcast:15 row_mask:0xf bank_mask:0xf
	v_cmp_ne_u32_e64 s[20:21], 0, v52
	s_and_saveexec_b64 s[24:25], s[20:21]
	s_cbranch_execz .LBB49_222
; %bb.219:
	v_max_f64 v[52:53], v[48:49], v[48:49]
	v_max_f64 v[56:57], v[46:47], v[46:47]
	v_min_f64 v[50:51], v[52:53], v[56:57]
	v_cmp_u_f64_e64 s[20:21], v[48:49], v[48:49]
	v_max_f64 v[52:53], v[52:53], v[56:57]
	v_cndmask_b32_e64 v50, v50, v48, s[20:21]
	v_cndmask_b32_e64 v51, v51, v49, s[20:21]
	v_cmp_u_f64_e64 s[22:23], v[46:47], v[46:47]
	v_cndmask_b32_e64 v52, v52, v48, s[20:21]
	v_cndmask_b32_e64 v53, v53, v49, s[20:21]
	;; [unrolled: 1-line block ×6, first 2 shown]
	s_movk_i32 s22, 0x1f8
	v_cmp_neq_f64_e64 s[20:21], v[50:51], v[46:47]
	v_cmp_class_f64_e64 s[22:23], v[50:51], s22
	s_or_b64 s[20:21], s[20:21], s[22:23]
	s_and_saveexec_b64 s[26:27], s[20:21]
	s_cbranch_execz .LBB49_221
; %bb.220:
	s_mov_b32 s20, 0x652b82fe
	v_add_f64 v[48:49], v[50:51], -v[46:47]
	s_mov_b32 s21, 0x3ff71547
	v_mul_f64 v[50:51], v[48:49], s[20:21]
	v_rndne_f64_e32 v[50:51], v[50:51]
	s_mov_b32 s37, 0xbfe62e42
	s_mov_b32 s36, 0xfefa39ef
	v_fma_f64 v[52:53], s[36:37], v[50:51], v[48:49]
	s_mov_b32 s41, 0xbc7abc9e
	s_mov_b32 s40, 0x3b39803f
	;; [unrolled: 1-line block ×3, first 2 shown]
	v_fmac_f64_e32 v[52:53], s[40:41], v[50:51]
	v_mov_b32_e32 v56, 0xfca7ab0c
	v_mov_b32_e32 v57, 0x3e928af3
	s_mov_b32 s21, 0x3e5ade15
	v_fmac_f64_e32 v[56:57], s[20:21], v[52:53]
	v_mov_b32_e32 v58, 0x623fde64
	v_mov_b32_e32 v59, 0x3ec71dee
	v_fmac_f64_e32 v[58:59], v[52:53], v[56:57]
	v_mov_b32_e32 v56, 0x7c89e6b0
	v_mov_b32_e32 v57, 0x3efa0199
	;; [unrolled: 3-line block ×8, first 2 shown]
	v_fmac_f64_e32 v[56:57], v[52:53], v[58:59]
	v_fma_f64 v[56:57], v[52:53], v[56:57], 1.0
	s_mov_b32 s20, 0
	s_mov_b32 s22, 0
	v_fma_f64 v[52:53], v[52:53], v[56:57], 1.0
	v_cvt_i32_f64_e32 v50, v[50:51]
	s_mov_b32 s21, 0x40900000
	s_mov_b32 s23, 0xc090cc00
	v_ldexp_f64 v[50:51], v[52:53], v50
	v_mov_b32_e32 v52, 0x7ff00000
	v_cmp_nlt_f64_e64 s[20:21], s[20:21], v[48:49]
	v_cmp_ngt_f64_e64 s[22:23], s[22:23], v[48:49]
	v_cndmask_b32_e64 v51, v52, v51, s[20:21]
	s_and_b64 s[20:21], s[22:23], s[20:21]
	v_cndmask_b32_e64 v49, 0, v51, s[22:23]
	v_cndmask_b32_e64 v48, 0, v50, s[20:21]
	v_add_f64 v[50:51], v[48:49], 1.0
	v_add_f64 v[52:53], v[50:51], -1.0
	v_add_f64 v[56:57], v[52:53], -v[50:51]
	v_add_f64 v[56:57], v[56:57], 1.0
	v_add_f64 v[52:53], v[48:49], -v[52:53]
	s_mov_b32 s20, 0x55555555
	v_add_f64 v[52:53], v[52:53], v[56:57]
	v_frexp_mant_f64_e32 v[56:57], v[50:51]
	s_mov_b32 s21, 0x3fe55555
	v_frexp_exp_i32_f64_e32 v55, v[50:51]
	v_cmp_gt_f64_e64 s[20:21], s[20:21], v[56:57]
	v_subbrev_co_u32_e64 v55, s[20:21], 0, v55, s[20:21]
	v_sub_u32_e32 v56, 0, v55
	v_ldexp_f64 v[50:51], v[50:51], v56
	v_ldexp_f64 v[52:53], v[52:53], v56
	v_add_f64 v[56:57], v[50:51], -1.0
	v_add_f64 v[62:63], v[50:51], 1.0
	v_add_f64 v[58:59], v[56:57], 1.0
	v_add_f64 v[64:65], v[62:63], -1.0
	v_add_f64 v[58:59], v[50:51], -v[58:59]
	v_add_f64 v[50:51], v[50:51], -v[64:65]
	v_add_f64 v[50:51], v[52:53], v[50:51]
	v_add_f64 v[58:59], v[52:53], v[58:59]
	;; [unrolled: 1-line block ×3, first 2 shown]
	v_rcp_f64_e32 v[64:65], v[52:53]
	v_add_f64 v[60:61], v[56:57], v[58:59]
	v_add_f64 v[56:57], v[60:61], -v[56:57]
	v_add_f64 v[56:57], v[58:59], -v[56:57]
	;; [unrolled: 1-line block ×4, first 2 shown]
	v_fma_f64 v[58:59], -v[52:53], v[64:65], 1.0
	v_fmac_f64_e32 v[64:65], v[58:59], v[64:65]
	v_fma_f64 v[58:59], -v[52:53], v[64:65], 1.0
	v_fmac_f64_e32 v[64:65], v[58:59], v[64:65]
	v_mul_f64 v[58:59], v[60:61], v[64:65]
	v_mul_f64 v[62:63], v[52:53], v[58:59]
	v_fma_f64 v[66:67], v[58:59], v[52:53], -v[62:63]
	v_fmac_f64_e32 v[66:67], v[58:59], v[50:51]
	v_add_f64 v[68:69], v[62:63], v[66:67]
	v_add_f64 v[70:71], v[60:61], -v[68:69]
	v_add_f64 v[60:61], v[60:61], -v[70:71]
	;; [unrolled: 1-line block ×4, first 2 shown]
	v_add_f64 v[56:57], v[56:57], v[60:61]
	v_add_f64 v[60:61], v[62:63], -v[66:67]
	v_add_f64 v[56:57], v[60:61], v[56:57]
	v_add_f64 v[60:61], v[70:71], v[56:57]
	v_add_f64 v[62:63], v[70:71], -v[60:61]
	v_add_f64 v[56:57], v[56:57], v[62:63]
	v_mul_f64 v[62:63], v[64:65], v[60:61]
	v_mul_f64 v[66:67], v[52:53], v[62:63]
	v_fma_f64 v[52:53], v[62:63], v[52:53], -v[66:67]
	v_fmac_f64_e32 v[52:53], v[62:63], v[50:51]
	v_add_f64 v[50:51], v[66:67], v[52:53]
	v_add_f64 v[68:69], v[60:61], -v[50:51]
	v_add_f64 v[60:61], v[60:61], -v[68:69]
	;; [unrolled: 1-line block ×4, first 2 shown]
	v_add_f64 v[50:51], v[56:57], v[50:51]
	v_add_f64 v[52:53], v[66:67], -v[52:53]
	v_add_f64 v[50:51], v[52:53], v[50:51]
	v_add_f64 v[52:53], v[58:59], v[62:63]
	;; [unrolled: 1-line block ×3, first 2 shown]
	v_add_f64 v[56:57], v[52:53], -v[58:59]
	v_mul_f64 v[50:51], v[64:65], v[50:51]
	v_add_f64 v[56:57], v[62:63], -v[56:57]
	v_add_f64 v[50:51], v[56:57], v[50:51]
	v_add_f64 v[56:57], v[52:53], v[50:51]
	v_add_f64 v[52:53], v[56:57], -v[52:53]
	s_mov_b32 s20, 0xbf559e2b
	v_add_f64 v[50:51], v[50:51], -v[52:53]
	v_mul_f64 v[52:53], v[56:57], v[56:57]
	v_mov_b32_e32 v58, 0x6b47b09a
	v_mov_b32_e32 v59, 0x3fc38538
	s_mov_b32 s21, 0x3fc3ab76
	v_fmac_f64_e32 v[58:59], s[20:21], v[52:53]
	v_mov_b32_e32 v60, 0xd7f4df2e
	v_mov_b32_e32 v61, 0x3fc7474d
	v_fmac_f64_e32 v[60:61], v[52:53], v[58:59]
	v_mov_b32_e32 v58, 0x16291751
	v_mov_b32_e32 v59, 0x3fcc71c0
	;; [unrolled: 3-line block ×5, first 2 shown]
	v_fmac_f64_e32 v[60:61], v[52:53], v[58:59]
	v_cvt_f64_i32_e32 v[58:59], v55
	s_mov_b32 s37, 0x3fe62e42
	v_mul_f64 v[62:63], v[58:59], s[36:37]
	v_fma_f64 v[64:65], v[58:59], s[36:37], -v[62:63]
	s_mov_b32 s41, 0x3c7abc9e
	v_fmac_f64_e32 v[64:65], s[40:41], v[58:59]
	v_add_f64 v[58:59], v[62:63], v[64:65]
	v_add_f64 v[62:63], v[58:59], -v[62:63]
	v_mul_f64 v[52:53], v[56:57], v[52:53]
	v_add_f64 v[62:63], v[64:65], -v[62:63]
	v_ldexp_f64 v[64:65], v[56:57], 1
	v_mul_f64 v[52:53], v[52:53], v[60:61]
	v_add_f64 v[56:57], v[64:65], v[52:53]
	v_add_f64 v[60:61], v[56:57], -v[64:65]
	v_ldexp_f64 v[50:51], v[50:51], 1
	v_add_f64 v[52:53], v[52:53], -v[60:61]
	v_add_f64 v[50:51], v[50:51], v[52:53]
	v_add_f64 v[52:53], v[56:57], v[50:51]
	v_add_f64 v[56:57], v[52:53], -v[56:57]
	v_add_f64 v[50:51], v[50:51], -v[56:57]
	v_add_f64 v[56:57], v[58:59], v[52:53]
	v_add_f64 v[60:61], v[56:57], -v[58:59]
	v_add_f64 v[64:65], v[56:57], -v[60:61]
	;; [unrolled: 1-line block ×4, first 2 shown]
	v_add_f64 v[52:53], v[52:53], v[58:59]
	v_add_f64 v[58:59], v[62:63], v[50:51]
	v_add_f64 v[60:61], v[58:59], -v[62:63]
	v_add_f64 v[52:53], v[58:59], v[52:53]
	v_add_f64 v[64:65], v[58:59], -v[60:61]
	v_add_f64 v[58:59], v[56:57], v[52:53]
	v_add_f64 v[62:63], v[62:63], -v[64:65]
	v_add_f64 v[50:51], v[50:51], -v[60:61]
	v_add_f64 v[56:57], v[58:59], -v[56:57]
	v_add_f64 v[50:51], v[50:51], v[62:63]
	v_add_f64 v[52:53], v[52:53], -v[56:57]
	s_mov_b32 s20, 0
	v_add_f64 v[50:51], v[50:51], v[52:53]
	s_mov_b32 s21, 0x7ff00000
	v_add_f64 v[50:51], v[58:59], v[50:51]
	v_cmp_eq_f64_e64 s[20:21], s[20:21], v[48:49]
	v_cndmask_b32_e64 v50, v50, v48, s[20:21]
	v_cndmask_b32_e64 v51, v51, v49, s[20:21]
	v_mov_b32_e32 v52, 0x7ff80000
	v_cmp_ngt_f64_e64 s[20:21], -1.0, v[48:49]
	v_cndmask_b32_e64 v51, v52, v51, s[20:21]
	v_cmp_nge_f64_e64 s[20:21], -1.0, v[48:49]
	v_cndmask_b32_e64 v50, 0, v50, s[20:21]
	v_mov_b32_e32 v52, 0xfff00000
	v_cmp_neq_f64_e64 s[20:21], -1.0, v[48:49]
	v_cndmask_b32_e64 v51, v52, v51, s[20:21]
	v_add_f64 v[48:49], v[46:47], v[50:51]
.LBB49_221:
	s_or_b64 exec, exec, s[26:27]
	v_mov_b32_e32 v50, v48
	v_mov_b32_e32 v51, v49
	v_pk_mov_b32 v[46:47], v[48:49], v[48:49] op_sel:[0,1]
.LBB49_222:
	s_or_b64 exec, exec, s[24:25]
	v_mov_b32_dpp v48, v50 row_bcast:31 row_mask:0xf bank_mask:0xf
	v_mov_b32_dpp v49, v51 row_bcast:31 row_mask:0xf bank_mask:0xf
	v_cmp_lt_u32_e64 s[20:21], 31, v54
	s_and_saveexec_b64 s[24:25], s[20:21]
	s_cbranch_execz .LBB49_226
; %bb.223:
	v_max_f64 v[52:53], v[48:49], v[48:49]
	v_max_f64 v[56:57], v[46:47], v[46:47]
	v_min_f64 v[50:51], v[52:53], v[56:57]
	v_cmp_u_f64_e64 s[20:21], v[48:49], v[48:49]
	v_max_f64 v[52:53], v[52:53], v[56:57]
	v_cndmask_b32_e64 v50, v50, v48, s[20:21]
	v_cndmask_b32_e64 v51, v51, v49, s[20:21]
	v_cmp_u_f64_e64 s[22:23], v[46:47], v[46:47]
	v_cndmask_b32_e64 v52, v52, v48, s[20:21]
	v_cndmask_b32_e64 v53, v53, v49, s[20:21]
	;; [unrolled: 1-line block ×6, first 2 shown]
	s_movk_i32 s22, 0x1f8
	v_cmp_neq_f64_e64 s[20:21], v[50:51], v[46:47]
	v_cmp_class_f64_e64 s[22:23], v[50:51], s22
	s_or_b64 s[20:21], s[20:21], s[22:23]
	s_and_saveexec_b64 s[26:27], s[20:21]
	s_cbranch_execz .LBB49_225
; %bb.224:
	s_mov_b32 s20, 0x652b82fe
	v_add_f64 v[48:49], v[50:51], -v[46:47]
	s_mov_b32 s21, 0x3ff71547
	v_mul_f64 v[50:51], v[48:49], s[20:21]
	v_rndne_f64_e32 v[50:51], v[50:51]
	s_mov_b32 s37, 0xbfe62e42
	s_mov_b32 s36, 0xfefa39ef
	v_fma_f64 v[52:53], s[36:37], v[50:51], v[48:49]
	s_mov_b32 s41, 0xbc7abc9e
	s_mov_b32 s40, 0x3b39803f
	;; [unrolled: 1-line block ×3, first 2 shown]
	v_fmac_f64_e32 v[52:53], s[40:41], v[50:51]
	v_mov_b32_e32 v56, 0xfca7ab0c
	v_mov_b32_e32 v57, 0x3e928af3
	s_mov_b32 s21, 0x3e5ade15
	v_fmac_f64_e32 v[56:57], s[20:21], v[52:53]
	v_mov_b32_e32 v58, 0x623fde64
	v_mov_b32_e32 v59, 0x3ec71dee
	v_fmac_f64_e32 v[58:59], v[52:53], v[56:57]
	v_mov_b32_e32 v56, 0x7c89e6b0
	v_mov_b32_e32 v57, 0x3efa0199
	;; [unrolled: 3-line block ×8, first 2 shown]
	v_fmac_f64_e32 v[56:57], v[52:53], v[58:59]
	v_fma_f64 v[56:57], v[52:53], v[56:57], 1.0
	s_mov_b32 s20, 0
	s_mov_b32 s22, 0
	v_fma_f64 v[52:53], v[52:53], v[56:57], 1.0
	v_cvt_i32_f64_e32 v50, v[50:51]
	s_mov_b32 s21, 0x40900000
	s_mov_b32 s23, 0xc090cc00
	v_ldexp_f64 v[50:51], v[52:53], v50
	v_mov_b32_e32 v52, 0x7ff00000
	v_cmp_nlt_f64_e64 s[20:21], s[20:21], v[48:49]
	v_cmp_ngt_f64_e64 s[22:23], s[22:23], v[48:49]
	v_cndmask_b32_e64 v51, v52, v51, s[20:21]
	s_and_b64 s[20:21], s[22:23], s[20:21]
	v_cndmask_b32_e64 v49, 0, v51, s[22:23]
	v_cndmask_b32_e64 v48, 0, v50, s[20:21]
	v_add_f64 v[50:51], v[48:49], 1.0
	v_add_f64 v[52:53], v[50:51], -1.0
	v_add_f64 v[56:57], v[52:53], -v[50:51]
	v_add_f64 v[56:57], v[56:57], 1.0
	v_add_f64 v[52:53], v[48:49], -v[52:53]
	s_mov_b32 s20, 0x55555555
	v_add_f64 v[52:53], v[52:53], v[56:57]
	v_frexp_mant_f64_e32 v[56:57], v[50:51]
	s_mov_b32 s21, 0x3fe55555
	v_frexp_exp_i32_f64_e32 v55, v[50:51]
	v_cmp_gt_f64_e64 s[20:21], s[20:21], v[56:57]
	v_subbrev_co_u32_e64 v55, s[20:21], 0, v55, s[20:21]
	v_sub_u32_e32 v56, 0, v55
	v_ldexp_f64 v[50:51], v[50:51], v56
	v_ldexp_f64 v[52:53], v[52:53], v56
	v_add_f64 v[56:57], v[50:51], -1.0
	v_add_f64 v[62:63], v[50:51], 1.0
	v_add_f64 v[58:59], v[56:57], 1.0
	v_add_f64 v[64:65], v[62:63], -1.0
	v_add_f64 v[58:59], v[50:51], -v[58:59]
	v_add_f64 v[50:51], v[50:51], -v[64:65]
	v_add_f64 v[50:51], v[52:53], v[50:51]
	v_add_f64 v[58:59], v[52:53], v[58:59]
	;; [unrolled: 1-line block ×3, first 2 shown]
	v_rcp_f64_e32 v[64:65], v[52:53]
	v_add_f64 v[60:61], v[56:57], v[58:59]
	v_add_f64 v[56:57], v[60:61], -v[56:57]
	v_add_f64 v[56:57], v[58:59], -v[56:57]
	;; [unrolled: 1-line block ×4, first 2 shown]
	v_fma_f64 v[58:59], -v[52:53], v[64:65], 1.0
	v_fmac_f64_e32 v[64:65], v[58:59], v[64:65]
	v_fma_f64 v[58:59], -v[52:53], v[64:65], 1.0
	v_fmac_f64_e32 v[64:65], v[58:59], v[64:65]
	v_mul_f64 v[58:59], v[60:61], v[64:65]
	v_mul_f64 v[62:63], v[52:53], v[58:59]
	v_fma_f64 v[66:67], v[58:59], v[52:53], -v[62:63]
	v_fmac_f64_e32 v[66:67], v[58:59], v[50:51]
	v_add_f64 v[68:69], v[62:63], v[66:67]
	v_add_f64 v[70:71], v[60:61], -v[68:69]
	v_add_f64 v[60:61], v[60:61], -v[70:71]
	;; [unrolled: 1-line block ×4, first 2 shown]
	v_add_f64 v[56:57], v[56:57], v[60:61]
	v_add_f64 v[60:61], v[62:63], -v[66:67]
	v_add_f64 v[56:57], v[60:61], v[56:57]
	v_add_f64 v[60:61], v[70:71], v[56:57]
	v_add_f64 v[62:63], v[70:71], -v[60:61]
	v_add_f64 v[56:57], v[56:57], v[62:63]
	v_mul_f64 v[62:63], v[64:65], v[60:61]
	v_mul_f64 v[66:67], v[52:53], v[62:63]
	v_fma_f64 v[52:53], v[62:63], v[52:53], -v[66:67]
	v_fmac_f64_e32 v[52:53], v[62:63], v[50:51]
	v_add_f64 v[50:51], v[66:67], v[52:53]
	v_add_f64 v[68:69], v[60:61], -v[50:51]
	v_add_f64 v[60:61], v[60:61], -v[68:69]
	;; [unrolled: 1-line block ×4, first 2 shown]
	v_add_f64 v[50:51], v[56:57], v[50:51]
	v_add_f64 v[52:53], v[66:67], -v[52:53]
	v_add_f64 v[50:51], v[52:53], v[50:51]
	v_add_f64 v[52:53], v[58:59], v[62:63]
	;; [unrolled: 1-line block ×3, first 2 shown]
	v_add_f64 v[56:57], v[52:53], -v[58:59]
	v_mul_f64 v[50:51], v[64:65], v[50:51]
	v_add_f64 v[56:57], v[62:63], -v[56:57]
	v_add_f64 v[50:51], v[56:57], v[50:51]
	v_add_f64 v[56:57], v[52:53], v[50:51]
	v_add_f64 v[52:53], v[56:57], -v[52:53]
	s_mov_b32 s20, 0xbf559e2b
	v_add_f64 v[50:51], v[50:51], -v[52:53]
	v_mul_f64 v[52:53], v[56:57], v[56:57]
	v_mov_b32_e32 v58, 0x6b47b09a
	v_mov_b32_e32 v59, 0x3fc38538
	s_mov_b32 s21, 0x3fc3ab76
	v_fmac_f64_e32 v[58:59], s[20:21], v[52:53]
	v_mov_b32_e32 v60, 0xd7f4df2e
	v_mov_b32_e32 v61, 0x3fc7474d
	v_fmac_f64_e32 v[60:61], v[52:53], v[58:59]
	v_mov_b32_e32 v58, 0x16291751
	v_mov_b32_e32 v59, 0x3fcc71c0
	;; [unrolled: 3-line block ×5, first 2 shown]
	v_fmac_f64_e32 v[60:61], v[52:53], v[58:59]
	v_cvt_f64_i32_e32 v[58:59], v55
	s_mov_b32 s37, 0x3fe62e42
	v_mul_f64 v[62:63], v[58:59], s[36:37]
	v_fma_f64 v[64:65], v[58:59], s[36:37], -v[62:63]
	s_mov_b32 s41, 0x3c7abc9e
	v_fmac_f64_e32 v[64:65], s[40:41], v[58:59]
	v_add_f64 v[58:59], v[62:63], v[64:65]
	v_add_f64 v[62:63], v[58:59], -v[62:63]
	v_mul_f64 v[52:53], v[56:57], v[52:53]
	v_add_f64 v[62:63], v[64:65], -v[62:63]
	v_ldexp_f64 v[64:65], v[56:57], 1
	v_mul_f64 v[52:53], v[52:53], v[60:61]
	v_add_f64 v[56:57], v[64:65], v[52:53]
	v_add_f64 v[60:61], v[56:57], -v[64:65]
	v_ldexp_f64 v[50:51], v[50:51], 1
	v_add_f64 v[52:53], v[52:53], -v[60:61]
	v_add_f64 v[50:51], v[50:51], v[52:53]
	v_add_f64 v[52:53], v[56:57], v[50:51]
	v_add_f64 v[56:57], v[52:53], -v[56:57]
	v_add_f64 v[50:51], v[50:51], -v[56:57]
	v_add_f64 v[56:57], v[58:59], v[52:53]
	v_add_f64 v[60:61], v[56:57], -v[58:59]
	v_add_f64 v[64:65], v[56:57], -v[60:61]
	;; [unrolled: 1-line block ×4, first 2 shown]
	v_add_f64 v[52:53], v[52:53], v[58:59]
	v_add_f64 v[58:59], v[62:63], v[50:51]
	v_add_f64 v[60:61], v[58:59], -v[62:63]
	v_add_f64 v[52:53], v[58:59], v[52:53]
	v_add_f64 v[64:65], v[58:59], -v[60:61]
	;; [unrolled: 2-line block ×3, first 2 shown]
	v_add_f64 v[50:51], v[50:51], -v[60:61]
	v_add_f64 v[56:57], v[58:59], -v[56:57]
	v_add_f64 v[50:51], v[50:51], v[62:63]
	v_add_f64 v[52:53], v[52:53], -v[56:57]
	s_mov_b32 s20, 0
	v_add_f64 v[50:51], v[50:51], v[52:53]
	s_mov_b32 s21, 0x7ff00000
	v_add_f64 v[50:51], v[58:59], v[50:51]
	v_cmp_eq_f64_e64 s[20:21], s[20:21], v[48:49]
	v_cndmask_b32_e64 v50, v50, v48, s[20:21]
	v_cndmask_b32_e64 v51, v51, v49, s[20:21]
	v_mov_b32_e32 v52, 0x7ff80000
	v_cmp_ngt_f64_e64 s[20:21], -1.0, v[48:49]
	v_cndmask_b32_e64 v51, v52, v51, s[20:21]
	v_cmp_nge_f64_e64 s[20:21], -1.0, v[48:49]
	v_cndmask_b32_e64 v50, 0, v50, s[20:21]
	v_mov_b32_e32 v52, 0xfff00000
	v_cmp_neq_f64_e64 s[20:21], -1.0, v[48:49]
	v_cndmask_b32_e64 v51, v52, v51, s[20:21]
	v_add_f64 v[48:49], v[46:47], v[50:51]
.LBB49_225:
	s_or_b64 exec, exec, s[26:27]
	v_pk_mov_b32 v[46:47], v[48:49], v[48:49] op_sel:[0,1]
.LBB49_226:
	s_or_b64 exec, exec, s[24:25]
	v_or_b32_e32 v48, 63, v0
	v_lshrrev_b32_e32 v55, 6, v0
	v_cmp_eq_u32_e64 s[20:21], v48, v0
	s_and_saveexec_b64 s[22:23], s[20:21]
	s_cbranch_execz .LBB49_228
; %bb.227:
	v_lshlrev_b32_e32 v48, 3, v55
	ds_write_b64 v48, v[46:47]
.LBB49_228:
	s_or_b64 exec, exec, s[22:23]
	v_cmp_gt_u32_e64 s[20:21], 2, v0
	s_waitcnt lgkmcnt(0)
	s_barrier
	s_and_saveexec_b64 s[24:25], s[20:21]
	s_cbranch_execz .LBB49_234
; %bb.229:
	s_movk_i32 s20, 0xffb8
	v_mad_i32_i24 v48, v0, s20, v1
	ds_read_b64 v[48:49], v48
	v_and_b32_e32 v52, 1, v54
	v_mul_i32_i24_e32 v56, 0xffffffb8, v0
	v_cmp_eq_u32_e64 s[20:21], 1, v52
	s_waitcnt lgkmcnt(0)
	v_mov_b32_dpp v50, v48 row_shr:1 row_mask:0xf bank_mask:0xf
	v_mov_b32_dpp v51, v49 row_shr:1 row_mask:0xf bank_mask:0xf
	s_and_saveexec_b64 s[26:27], s[20:21]
	s_cbranch_execz .LBB49_233
; %bb.230:
	v_max_f64 v[58:59], v[50:51], v[50:51]
	v_max_f64 v[60:61], v[48:49], v[48:49]
	v_min_f64 v[52:53], v[58:59], v[60:61]
	v_cmp_u_f64_e64 s[20:21], v[50:51], v[50:51]
	v_max_f64 v[58:59], v[58:59], v[60:61]
	v_cndmask_b32_e64 v52, v52, v50, s[20:21]
	v_cndmask_b32_e64 v53, v53, v51, s[20:21]
	v_cmp_u_f64_e64 s[22:23], v[48:49], v[48:49]
	v_cndmask_b32_e64 v57, v58, v50, s[20:21]
	v_cndmask_b32_e64 v58, v59, v51, s[20:21]
	;; [unrolled: 1-line block ×6, first 2 shown]
	s_movk_i32 s22, 0x1f8
	v_cmp_neq_f64_e64 s[20:21], v[52:53], v[48:49]
	v_cmp_class_f64_e64 s[22:23], v[52:53], s22
	s_or_b64 s[20:21], s[20:21], s[22:23]
	s_and_saveexec_b64 s[36:37], s[20:21]
	s_cbranch_execz .LBB49_232
; %bb.231:
	s_mov_b32 s20, 0x652b82fe
	v_add_f64 v[50:51], v[52:53], -v[48:49]
	s_mov_b32 s21, 0x3ff71547
	v_mul_f64 v[52:53], v[50:51], s[20:21]
	v_rndne_f64_e32 v[52:53], v[52:53]
	s_mov_b32 s41, 0xbfe62e42
	s_mov_b32 s40, 0xfefa39ef
	v_fma_f64 v[58:59], s[40:41], v[52:53], v[50:51]
	s_mov_b32 s45, 0xbc7abc9e
	s_mov_b32 s44, 0x3b39803f
	;; [unrolled: 1-line block ×3, first 2 shown]
	v_fmac_f64_e32 v[58:59], s[44:45], v[52:53]
	v_mov_b32_e32 v60, 0xfca7ab0c
	v_mov_b32_e32 v61, 0x3e928af3
	s_mov_b32 s21, 0x3e5ade15
	v_fmac_f64_e32 v[60:61], s[20:21], v[58:59]
	v_mov_b32_e32 v62, 0x623fde64
	v_mov_b32_e32 v63, 0x3ec71dee
	v_fmac_f64_e32 v[62:63], v[58:59], v[60:61]
	v_mov_b32_e32 v60, 0x7c89e6b0
	v_mov_b32_e32 v61, 0x3efa0199
	;; [unrolled: 3-line block ×8, first 2 shown]
	v_fmac_f64_e32 v[60:61], v[58:59], v[62:63]
	v_fma_f64 v[60:61], v[58:59], v[60:61], 1.0
	s_mov_b32 s20, 0
	s_mov_b32 s22, 0
	v_fma_f64 v[58:59], v[58:59], v[60:61], 1.0
	v_cvt_i32_f64_e32 v52, v[52:53]
	s_mov_b32 s21, 0x40900000
	s_mov_b32 s23, 0xc090cc00
	v_ldexp_f64 v[52:53], v[58:59], v52
	v_mov_b32_e32 v57, 0x7ff00000
	v_cmp_nlt_f64_e64 s[20:21], s[20:21], v[50:51]
	v_cmp_ngt_f64_e64 s[22:23], s[22:23], v[50:51]
	v_cndmask_b32_e64 v53, v57, v53, s[20:21]
	s_and_b64 s[20:21], s[22:23], s[20:21]
	v_cndmask_b32_e64 v51, 0, v53, s[22:23]
	v_cndmask_b32_e64 v50, 0, v52, s[20:21]
	v_add_f64 v[52:53], v[50:51], 1.0
	v_add_f64 v[58:59], v[52:53], -1.0
	v_add_f64 v[60:61], v[58:59], -v[52:53]
	v_add_f64 v[60:61], v[60:61], 1.0
	v_add_f64 v[58:59], v[50:51], -v[58:59]
	s_mov_b32 s20, 0x55555555
	v_add_f64 v[58:59], v[58:59], v[60:61]
	v_frexp_mant_f64_e32 v[60:61], v[52:53]
	s_mov_b32 s21, 0x3fe55555
	v_frexp_exp_i32_f64_e32 v57, v[52:53]
	v_cmp_gt_f64_e64 s[20:21], s[20:21], v[60:61]
	v_subbrev_co_u32_e64 v57, s[20:21], 0, v57, s[20:21]
	v_sub_u32_e32 v60, 0, v57
	v_ldexp_f64 v[52:53], v[52:53], v60
	v_ldexp_f64 v[58:59], v[58:59], v60
	v_add_f64 v[60:61], v[52:53], -1.0
	v_add_f64 v[66:67], v[52:53], 1.0
	v_add_f64 v[62:63], v[60:61], 1.0
	v_add_f64 v[68:69], v[66:67], -1.0
	v_add_f64 v[62:63], v[52:53], -v[62:63]
	v_add_f64 v[52:53], v[52:53], -v[68:69]
	v_add_f64 v[52:53], v[58:59], v[52:53]
	v_add_f64 v[62:63], v[58:59], v[62:63]
	;; [unrolled: 1-line block ×3, first 2 shown]
	v_rcp_f64_e32 v[68:69], v[58:59]
	v_add_f64 v[64:65], v[60:61], v[62:63]
	v_add_f64 v[60:61], v[64:65], -v[60:61]
	v_add_f64 v[60:61], v[62:63], -v[60:61]
	;; [unrolled: 1-line block ×4, first 2 shown]
	v_fma_f64 v[62:63], -v[58:59], v[68:69], 1.0
	v_fmac_f64_e32 v[68:69], v[62:63], v[68:69]
	v_fma_f64 v[62:63], -v[58:59], v[68:69], 1.0
	v_fmac_f64_e32 v[68:69], v[62:63], v[68:69]
	v_mul_f64 v[62:63], v[64:65], v[68:69]
	v_mul_f64 v[66:67], v[58:59], v[62:63]
	v_fma_f64 v[70:71], v[62:63], v[58:59], -v[66:67]
	v_fmac_f64_e32 v[70:71], v[62:63], v[52:53]
	v_add_f64 v[72:73], v[66:67], v[70:71]
	v_add_f64 v[74:75], v[64:65], -v[72:73]
	v_add_f64 v[64:65], v[64:65], -v[74:75]
	;; [unrolled: 1-line block ×4, first 2 shown]
	v_add_f64 v[60:61], v[60:61], v[64:65]
	v_add_f64 v[64:65], v[66:67], -v[70:71]
	v_add_f64 v[60:61], v[64:65], v[60:61]
	v_add_f64 v[64:65], v[74:75], v[60:61]
	v_add_f64 v[66:67], v[74:75], -v[64:65]
	v_add_f64 v[60:61], v[60:61], v[66:67]
	v_mul_f64 v[66:67], v[68:69], v[64:65]
	v_mul_f64 v[70:71], v[58:59], v[66:67]
	v_fma_f64 v[58:59], v[66:67], v[58:59], -v[70:71]
	v_fmac_f64_e32 v[58:59], v[66:67], v[52:53]
	v_add_f64 v[52:53], v[70:71], v[58:59]
	v_add_f64 v[72:73], v[64:65], -v[52:53]
	v_add_f64 v[64:65], v[64:65], -v[72:73]
	;; [unrolled: 1-line block ×4, first 2 shown]
	v_add_f64 v[52:53], v[60:61], v[52:53]
	v_add_f64 v[58:59], v[70:71], -v[58:59]
	v_add_f64 v[52:53], v[58:59], v[52:53]
	v_add_f64 v[58:59], v[62:63], v[66:67]
	;; [unrolled: 1-line block ×3, first 2 shown]
	v_add_f64 v[60:61], v[58:59], -v[62:63]
	v_mul_f64 v[52:53], v[68:69], v[52:53]
	v_add_f64 v[60:61], v[66:67], -v[60:61]
	v_add_f64 v[52:53], v[60:61], v[52:53]
	v_add_f64 v[60:61], v[58:59], v[52:53]
	v_add_f64 v[58:59], v[60:61], -v[58:59]
	s_mov_b32 s20, 0xbf559e2b
	v_add_f64 v[52:53], v[52:53], -v[58:59]
	v_mul_f64 v[58:59], v[60:61], v[60:61]
	v_mov_b32_e32 v62, 0x6b47b09a
	v_mov_b32_e32 v63, 0x3fc38538
	s_mov_b32 s21, 0x3fc3ab76
	v_fmac_f64_e32 v[62:63], s[20:21], v[58:59]
	v_mov_b32_e32 v64, 0xd7f4df2e
	v_mov_b32_e32 v65, 0x3fc7474d
	v_fmac_f64_e32 v[64:65], v[58:59], v[62:63]
	v_mov_b32_e32 v62, 0x16291751
	v_mov_b32_e32 v63, 0x3fcc71c0
	;; [unrolled: 3-line block ×5, first 2 shown]
	v_fmac_f64_e32 v[64:65], v[58:59], v[62:63]
	v_cvt_f64_i32_e32 v[62:63], v57
	s_mov_b32 s41, 0x3fe62e42
	v_mul_f64 v[66:67], v[62:63], s[40:41]
	v_fma_f64 v[68:69], v[62:63], s[40:41], -v[66:67]
	s_mov_b32 s45, 0x3c7abc9e
	v_fmac_f64_e32 v[68:69], s[44:45], v[62:63]
	v_add_f64 v[62:63], v[66:67], v[68:69]
	v_add_f64 v[66:67], v[62:63], -v[66:67]
	v_mul_f64 v[58:59], v[60:61], v[58:59]
	v_add_f64 v[66:67], v[68:69], -v[66:67]
	v_ldexp_f64 v[68:69], v[60:61], 1
	v_mul_f64 v[58:59], v[58:59], v[64:65]
	v_add_f64 v[60:61], v[68:69], v[58:59]
	v_add_f64 v[64:65], v[60:61], -v[68:69]
	v_ldexp_f64 v[52:53], v[52:53], 1
	v_add_f64 v[58:59], v[58:59], -v[64:65]
	v_add_f64 v[52:53], v[52:53], v[58:59]
	v_add_f64 v[58:59], v[60:61], v[52:53]
	v_add_f64 v[60:61], v[58:59], -v[60:61]
	v_add_f64 v[52:53], v[52:53], -v[60:61]
	v_add_f64 v[60:61], v[62:63], v[58:59]
	v_add_f64 v[64:65], v[60:61], -v[62:63]
	v_add_f64 v[68:69], v[60:61], -v[64:65]
	v_add_f64 v[62:63], v[62:63], -v[68:69]
	v_add_f64 v[58:59], v[58:59], -v[64:65]
	v_add_f64 v[58:59], v[58:59], v[62:63]
	v_add_f64 v[62:63], v[66:67], v[52:53]
	v_add_f64 v[64:65], v[62:63], -v[66:67]
	v_add_f64 v[58:59], v[62:63], v[58:59]
	v_add_f64 v[68:69], v[62:63], -v[64:65]
	;; [unrolled: 2-line block ×3, first 2 shown]
	v_add_f64 v[52:53], v[52:53], -v[64:65]
	v_add_f64 v[60:61], v[62:63], -v[60:61]
	v_add_f64 v[52:53], v[52:53], v[66:67]
	v_add_f64 v[58:59], v[58:59], -v[60:61]
	s_mov_b32 s20, 0
	v_add_f64 v[52:53], v[52:53], v[58:59]
	s_mov_b32 s21, 0x7ff00000
	v_add_f64 v[52:53], v[62:63], v[52:53]
	v_cmp_eq_f64_e64 s[20:21], s[20:21], v[50:51]
	v_cndmask_b32_e64 v52, v52, v50, s[20:21]
	v_cndmask_b32_e64 v53, v53, v51, s[20:21]
	v_mov_b32_e32 v57, 0x7ff80000
	v_cmp_ngt_f64_e64 s[20:21], -1.0, v[50:51]
	v_cndmask_b32_e64 v53, v57, v53, s[20:21]
	v_cmp_nge_f64_e64 s[20:21], -1.0, v[50:51]
	v_cndmask_b32_e64 v52, 0, v52, s[20:21]
	v_mov_b32_e32 v57, 0xfff00000
	v_cmp_neq_f64_e64 s[20:21], -1.0, v[50:51]
	v_cndmask_b32_e64 v53, v57, v53, s[20:21]
	v_add_f64 v[50:51], v[48:49], v[52:53]
.LBB49_232:
	s_or_b64 exec, exec, s[36:37]
	v_pk_mov_b32 v[48:49], v[50:51], v[50:51] op_sel:[0,1]
.LBB49_233:
	s_or_b64 exec, exec, s[26:27]
	v_add_u32_e32 v50, v1, v56
	ds_write_b64 v50, v[48:49]
.LBB49_234:
	s_or_b64 exec, exec, s[24:25]
	v_cmp_lt_u32_e64 s[20:21], 63, v0
	s_waitcnt lgkmcnt(0)
	s_barrier
	s_waitcnt lgkmcnt(0)
                                        ; implicit-def: $vgpr48_vgpr49
	s_and_saveexec_b64 s[24:25], s[20:21]
	s_cbranch_execz .LBB49_238
; %bb.235:
	v_lshl_add_u32 v48, v55, 3, -8
	ds_read_b64 v[48:49], v48
	v_max_f64 v[50:51], v[46:47], v[46:47]
	v_cmp_u_f64_e64 s[22:23], v[46:47], v[46:47]
	s_waitcnt lgkmcnt(0)
	v_max_f64 v[56:57], v[48:49], v[48:49]
	v_min_f64 v[52:53], v[56:57], v[50:51]
	v_cmp_u_f64_e64 s[20:21], v[48:49], v[48:49]
	v_max_f64 v[50:51], v[56:57], v[50:51]
	v_cndmask_b32_e64 v52, v52, v48, s[20:21]
	v_cndmask_b32_e64 v53, v53, v49, s[20:21]
	;; [unrolled: 1-line block ×8, first 2 shown]
	s_movk_i32 s22, 0x1f8
	v_cmp_neq_f64_e64 s[20:21], v[52:53], v[50:51]
	v_cmp_class_f64_e64 s[22:23], v[52:53], s22
	s_or_b64 s[20:21], s[20:21], s[22:23]
	v_pk_mov_b32 v[46:47], v[48:49], v[48:49] op_sel:[0,1]
	s_and_saveexec_b64 s[26:27], s[20:21]
	s_cbranch_execz .LBB49_237
; %bb.236:
	s_mov_b32 s20, 0x652b82fe
	v_add_f64 v[46:47], v[52:53], -v[50:51]
	s_mov_b32 s21, 0x3ff71547
	v_mul_f64 v[52:53], v[46:47], s[20:21]
	v_rndne_f64_e32 v[52:53], v[52:53]
	s_mov_b32 s37, 0xbfe62e42
	s_mov_b32 s36, 0xfefa39ef
	v_fma_f64 v[56:57], s[36:37], v[52:53], v[46:47]
	s_mov_b32 s41, 0xbc7abc9e
	s_mov_b32 s40, 0x3b39803f
	;; [unrolled: 1-line block ×3, first 2 shown]
	v_fmac_f64_e32 v[56:57], s[40:41], v[52:53]
	v_mov_b32_e32 v58, 0xfca7ab0c
	v_mov_b32_e32 v59, 0x3e928af3
	s_mov_b32 s21, 0x3e5ade15
	v_fmac_f64_e32 v[58:59], s[20:21], v[56:57]
	v_mov_b32_e32 v60, 0x623fde64
	v_mov_b32_e32 v61, 0x3ec71dee
	v_fmac_f64_e32 v[60:61], v[56:57], v[58:59]
	v_mov_b32_e32 v58, 0x7c89e6b0
	v_mov_b32_e32 v59, 0x3efa0199
	;; [unrolled: 3-line block ×8, first 2 shown]
	v_fmac_f64_e32 v[58:59], v[56:57], v[60:61]
	v_fma_f64 v[58:59], v[56:57], v[58:59], 1.0
	s_mov_b32 s20, 0
	s_mov_b32 s22, 0
	v_fma_f64 v[56:57], v[56:57], v[58:59], 1.0
	v_cvt_i32_f64_e32 v52, v[52:53]
	s_mov_b32 s21, 0x40900000
	s_mov_b32 s23, 0xc090cc00
	v_ldexp_f64 v[52:53], v[56:57], v52
	v_mov_b32_e32 v55, 0x7ff00000
	v_cmp_nlt_f64_e64 s[20:21], s[20:21], v[46:47]
	v_cmp_ngt_f64_e64 s[22:23], s[22:23], v[46:47]
	v_cndmask_b32_e64 v53, v55, v53, s[20:21]
	s_and_b64 s[20:21], s[22:23], s[20:21]
	v_cndmask_b32_e64 v47, 0, v53, s[22:23]
	v_cndmask_b32_e64 v46, 0, v52, s[20:21]
	v_add_f64 v[52:53], v[46:47], 1.0
	v_add_f64 v[56:57], v[52:53], -1.0
	v_add_f64 v[58:59], v[56:57], -v[52:53]
	v_add_f64 v[58:59], v[58:59], 1.0
	v_add_f64 v[56:57], v[46:47], -v[56:57]
	s_mov_b32 s20, 0x55555555
	v_add_f64 v[56:57], v[56:57], v[58:59]
	v_frexp_mant_f64_e32 v[58:59], v[52:53]
	s_mov_b32 s21, 0x3fe55555
	v_frexp_exp_i32_f64_e32 v55, v[52:53]
	v_cmp_gt_f64_e64 s[20:21], s[20:21], v[58:59]
	v_subbrev_co_u32_e64 v55, s[20:21], 0, v55, s[20:21]
	v_sub_u32_e32 v58, 0, v55
	v_ldexp_f64 v[52:53], v[52:53], v58
	v_ldexp_f64 v[56:57], v[56:57], v58
	v_add_f64 v[58:59], v[52:53], -1.0
	v_add_f64 v[64:65], v[52:53], 1.0
	v_add_f64 v[60:61], v[58:59], 1.0
	v_add_f64 v[66:67], v[64:65], -1.0
	v_add_f64 v[60:61], v[52:53], -v[60:61]
	v_add_f64 v[52:53], v[52:53], -v[66:67]
	v_add_f64 v[52:53], v[56:57], v[52:53]
	v_add_f64 v[60:61], v[56:57], v[60:61]
	v_add_f64 v[56:57], v[64:65], v[52:53]
	v_rcp_f64_e32 v[66:67], v[56:57]
	v_add_f64 v[62:63], v[58:59], v[60:61]
	v_add_f64 v[58:59], v[62:63], -v[58:59]
	v_add_f64 v[58:59], v[60:61], -v[58:59]
	v_add_f64 v[60:61], v[56:57], -v[64:65]
	v_add_f64 v[52:53], v[52:53], -v[60:61]
	v_fma_f64 v[60:61], -v[56:57], v[66:67], 1.0
	v_fmac_f64_e32 v[66:67], v[60:61], v[66:67]
	v_fma_f64 v[60:61], -v[56:57], v[66:67], 1.0
	v_fmac_f64_e32 v[66:67], v[60:61], v[66:67]
	v_mul_f64 v[60:61], v[62:63], v[66:67]
	v_mul_f64 v[64:65], v[56:57], v[60:61]
	v_fma_f64 v[68:69], v[60:61], v[56:57], -v[64:65]
	v_fmac_f64_e32 v[68:69], v[60:61], v[52:53]
	v_add_f64 v[70:71], v[64:65], v[68:69]
	v_add_f64 v[72:73], v[62:63], -v[70:71]
	v_add_f64 v[62:63], v[62:63], -v[72:73]
	;; [unrolled: 1-line block ×4, first 2 shown]
	v_add_f64 v[58:59], v[58:59], v[62:63]
	v_add_f64 v[62:63], v[64:65], -v[68:69]
	v_add_f64 v[58:59], v[62:63], v[58:59]
	v_add_f64 v[62:63], v[72:73], v[58:59]
	v_add_f64 v[64:65], v[72:73], -v[62:63]
	v_add_f64 v[58:59], v[58:59], v[64:65]
	v_mul_f64 v[64:65], v[66:67], v[62:63]
	v_mul_f64 v[68:69], v[56:57], v[64:65]
	v_fma_f64 v[56:57], v[64:65], v[56:57], -v[68:69]
	v_fmac_f64_e32 v[56:57], v[64:65], v[52:53]
	v_add_f64 v[52:53], v[68:69], v[56:57]
	v_add_f64 v[70:71], v[62:63], -v[52:53]
	v_add_f64 v[62:63], v[62:63], -v[70:71]
	;; [unrolled: 1-line block ×4, first 2 shown]
	v_add_f64 v[52:53], v[58:59], v[52:53]
	v_add_f64 v[56:57], v[68:69], -v[56:57]
	v_add_f64 v[52:53], v[56:57], v[52:53]
	v_add_f64 v[56:57], v[60:61], v[64:65]
	;; [unrolled: 1-line block ×3, first 2 shown]
	v_add_f64 v[58:59], v[56:57], -v[60:61]
	v_mul_f64 v[52:53], v[66:67], v[52:53]
	v_add_f64 v[58:59], v[64:65], -v[58:59]
	v_add_f64 v[52:53], v[58:59], v[52:53]
	v_add_f64 v[58:59], v[56:57], v[52:53]
	v_add_f64 v[56:57], v[58:59], -v[56:57]
	s_mov_b32 s20, 0xbf559e2b
	v_add_f64 v[52:53], v[52:53], -v[56:57]
	v_mul_f64 v[56:57], v[58:59], v[58:59]
	v_mov_b32_e32 v60, 0x6b47b09a
	v_mov_b32_e32 v61, 0x3fc38538
	s_mov_b32 s21, 0x3fc3ab76
	v_fmac_f64_e32 v[60:61], s[20:21], v[56:57]
	v_mov_b32_e32 v62, 0xd7f4df2e
	v_mov_b32_e32 v63, 0x3fc7474d
	v_fmac_f64_e32 v[62:63], v[56:57], v[60:61]
	v_mov_b32_e32 v60, 0x16291751
	v_mov_b32_e32 v61, 0x3fcc71c0
	;; [unrolled: 3-line block ×5, first 2 shown]
	v_fmac_f64_e32 v[62:63], v[56:57], v[60:61]
	v_cvt_f64_i32_e32 v[60:61], v55
	s_mov_b32 s37, 0x3fe62e42
	v_mul_f64 v[64:65], v[60:61], s[36:37]
	v_fma_f64 v[66:67], v[60:61], s[36:37], -v[64:65]
	s_mov_b32 s41, 0x3c7abc9e
	v_fmac_f64_e32 v[66:67], s[40:41], v[60:61]
	v_add_f64 v[60:61], v[64:65], v[66:67]
	v_add_f64 v[64:65], v[60:61], -v[64:65]
	v_mul_f64 v[56:57], v[58:59], v[56:57]
	v_add_f64 v[64:65], v[66:67], -v[64:65]
	v_ldexp_f64 v[66:67], v[58:59], 1
	v_mul_f64 v[56:57], v[56:57], v[62:63]
	v_add_f64 v[58:59], v[66:67], v[56:57]
	v_add_f64 v[62:63], v[58:59], -v[66:67]
	v_ldexp_f64 v[52:53], v[52:53], 1
	v_add_f64 v[56:57], v[56:57], -v[62:63]
	v_add_f64 v[52:53], v[52:53], v[56:57]
	v_add_f64 v[56:57], v[58:59], v[52:53]
	v_add_f64 v[58:59], v[56:57], -v[58:59]
	v_add_f64 v[52:53], v[52:53], -v[58:59]
	v_add_f64 v[58:59], v[60:61], v[56:57]
	v_add_f64 v[62:63], v[58:59], -v[60:61]
	v_add_f64 v[66:67], v[58:59], -v[62:63]
	;; [unrolled: 1-line block ×4, first 2 shown]
	v_add_f64 v[56:57], v[56:57], v[60:61]
	v_add_f64 v[60:61], v[64:65], v[52:53]
	v_add_f64 v[62:63], v[60:61], -v[64:65]
	v_add_f64 v[56:57], v[60:61], v[56:57]
	v_add_f64 v[66:67], v[60:61], -v[62:63]
	;; [unrolled: 2-line block ×3, first 2 shown]
	v_add_f64 v[52:53], v[52:53], -v[62:63]
	v_add_f64 v[58:59], v[60:61], -v[58:59]
	v_add_f64 v[52:53], v[52:53], v[64:65]
	v_add_f64 v[56:57], v[56:57], -v[58:59]
	s_mov_b32 s20, 0
	v_add_f64 v[52:53], v[52:53], v[56:57]
	s_mov_b32 s21, 0x7ff00000
	v_add_f64 v[52:53], v[60:61], v[52:53]
	v_cmp_eq_f64_e64 s[20:21], s[20:21], v[46:47]
	v_cndmask_b32_e64 v52, v52, v46, s[20:21]
	v_cndmask_b32_e64 v53, v53, v47, s[20:21]
	v_mov_b32_e32 v55, 0x7ff80000
	v_cmp_ngt_f64_e64 s[20:21], -1.0, v[46:47]
	v_cndmask_b32_e64 v53, v55, v53, s[20:21]
	v_cmp_nge_f64_e64 s[20:21], -1.0, v[46:47]
	v_cndmask_b32_e64 v52, 0, v52, s[20:21]
	v_mov_b32_e32 v55, 0xfff00000
	v_cmp_neq_f64_e64 s[20:21], -1.0, v[46:47]
	v_cndmask_b32_e64 v53, v55, v53, s[20:21]
	v_add_f64 v[46:47], v[50:51], v[52:53]
.LBB49_237:
	s_or_b64 exec, exec, s[26:27]
.LBB49_238:
	s_or_b64 exec, exec, s[24:25]
	v_add_u32_e32 v50, -1, v54
	v_and_b32_e32 v51, 64, v54
	v_cmp_lt_i32_e64 s[20:21], v50, v51
	v_cndmask_b32_e64 v50, v50, v54, s[20:21]
	v_lshlrev_b32_e32 v50, 2, v50
	ds_bpermute_b32 v46, v50, v46
	ds_bpermute_b32 v47, v50, v47
	s_and_saveexec_b64 s[20:21], vcc
	s_cbranch_execz .LBB49_242
; %bb.239:
	v_cmp_eq_u32_e32 vcc, 0, v54
	s_waitcnt lgkmcnt(0)
	v_cndmask_b32_e32 v47, v47, v49, vcc
	v_cndmask_b32_e32 v46, v46, v48, vcc
	v_max_f64 v[44:45], v[46:47], v[46:47]
	v_min_f64 v[26:27], v[44:45], v[24:25]
	v_cmp_u_f64_e32 vcc, v[46:47], v[46:47]
	v_max_f64 v[24:25], v[44:45], v[24:25]
	v_cndmask_b32_e32 v26, v26, v46, vcc
	v_cndmask_b32_e32 v27, v27, v47, vcc
	;; [unrolled: 1-line block ×4, first 2 shown]
	v_cndmask_b32_e64 v27, v27, v3, s[18:19]
	v_cndmask_b32_e64 v26, v26, v2, s[18:19]
	;; [unrolled: 1-line block ×4, first 2 shown]
	s_movk_i32 s18, 0x1f8
	v_cmp_neq_f64_e32 vcc, v[26:27], v[2:3]
	v_cmp_class_f64_e64 s[18:19], v[26:27], s18
	s_or_b64 s[18:19], vcc, s[18:19]
	s_and_saveexec_b64 s[22:23], s[18:19]
	s_cbranch_execz .LBB49_241
; %bb.240:
	s_mov_b32 s18, 0x652b82fe
	v_add_f64 v[24:25], v[26:27], -v[2:3]
	s_mov_b32 s19, 0x3ff71547
	v_mul_f64 v[26:27], v[24:25], s[18:19]
	v_rndne_f64_e32 v[26:27], v[26:27]
	s_mov_b32 s25, 0xbfe62e42
	s_mov_b32 s24, 0xfefa39ef
	v_fma_f64 v[44:45], s[24:25], v[26:27], v[24:25]
	s_mov_b32 s27, 0xbc7abc9e
	s_mov_b32 s26, 0x3b39803f
	;; [unrolled: 1-line block ×3, first 2 shown]
	v_fmac_f64_e32 v[44:45], s[26:27], v[26:27]
	v_mov_b32_e32 v46, 0xfca7ab0c
	v_mov_b32_e32 v47, 0x3e928af3
	s_mov_b32 s19, 0x3e5ade15
	v_fmac_f64_e32 v[46:47], s[18:19], v[44:45]
	v_mov_b32_e32 v48, 0x623fde64
	v_mov_b32_e32 v49, 0x3ec71dee
	v_fmac_f64_e32 v[48:49], v[44:45], v[46:47]
	v_mov_b32_e32 v46, 0x7c89e6b0
	v_mov_b32_e32 v47, 0x3efa0199
	;; [unrolled: 3-line block ×8, first 2 shown]
	s_mov_b32 s18, 0
	v_fmac_f64_e32 v[46:47], v[44:45], v[48:49]
	s_mov_b32 s19, 0x40900000
	v_fma_f64 v[46:47], v[44:45], v[46:47], 1.0
	v_cmp_nlt_f64_e32 vcc, s[18:19], v[24:25]
	s_mov_b32 s18, 0
	v_fma_f64 v[44:45], v[44:45], v[46:47], 1.0
	v_cvt_i32_f64_e32 v26, v[26:27]
	s_mov_b32 s19, 0xc090cc00
	v_ldexp_f64 v[26:27], v[44:45], v26
	v_mov_b32_e32 v44, 0x7ff00000
	v_cmp_ngt_f64_e64 s[18:19], s[18:19], v[24:25]
	v_cndmask_b32_e32 v27, v44, v27, vcc
	s_and_b64 vcc, s[18:19], vcc
	v_cndmask_b32_e64 v25, 0, v27, s[18:19]
	v_cndmask_b32_e32 v24, 0, v26, vcc
	v_add_f64 v[26:27], v[24:25], 1.0
	v_add_f64 v[44:45], v[26:27], -1.0
	v_add_f64 v[46:47], v[44:45], -v[26:27]
	v_add_f64 v[46:47], v[46:47], 1.0
	v_add_f64 v[44:45], v[24:25], -v[44:45]
	s_mov_b32 s18, 0x55555555
	v_add_f64 v[44:45], v[44:45], v[46:47]
	v_frexp_mant_f64_e32 v[46:47], v[26:27]
	s_mov_b32 s19, 0x3fe55555
	v_frexp_exp_i32_f64_e32 v48, v[26:27]
	v_cmp_gt_f64_e32 vcc, s[18:19], v[46:47]
	v_subbrev_co_u32_e32 v62, vcc, 0, v48, vcc
	v_sub_u32_e32 v46, 0, v62
	v_ldexp_f64 v[26:27], v[26:27], v46
	v_ldexp_f64 v[44:45], v[44:45], v46
	v_add_f64 v[46:47], v[26:27], -1.0
	v_add_f64 v[52:53], v[26:27], 1.0
	v_add_f64 v[48:49], v[46:47], 1.0
	v_add_f64 v[54:55], v[52:53], -1.0
	v_add_f64 v[48:49], v[26:27], -v[48:49]
	v_add_f64 v[26:27], v[26:27], -v[54:55]
	v_add_f64 v[26:27], v[44:45], v[26:27]
	v_add_f64 v[48:49], v[44:45], v[48:49]
	;; [unrolled: 1-line block ×3, first 2 shown]
	v_rcp_f64_e32 v[54:55], v[44:45]
	v_add_f64 v[50:51], v[46:47], v[48:49]
	v_add_f64 v[46:47], v[50:51], -v[46:47]
	v_add_f64 v[46:47], v[48:49], -v[46:47]
	;; [unrolled: 1-line block ×4, first 2 shown]
	v_fma_f64 v[48:49], -v[44:45], v[54:55], 1.0
	v_fmac_f64_e32 v[54:55], v[48:49], v[54:55]
	v_fma_f64 v[48:49], -v[44:45], v[54:55], 1.0
	v_fmac_f64_e32 v[54:55], v[48:49], v[54:55]
	v_mul_f64 v[48:49], v[50:51], v[54:55]
	v_mul_f64 v[52:53], v[44:45], v[48:49]
	v_fma_f64 v[56:57], v[48:49], v[44:45], -v[52:53]
	v_fmac_f64_e32 v[56:57], v[48:49], v[26:27]
	v_add_f64 v[58:59], v[52:53], v[56:57]
	v_add_f64 v[60:61], v[50:51], -v[58:59]
	v_add_f64 v[50:51], v[50:51], -v[60:61]
	;; [unrolled: 1-line block ×4, first 2 shown]
	v_add_f64 v[46:47], v[46:47], v[50:51]
	v_add_f64 v[50:51], v[52:53], -v[56:57]
	v_add_f64 v[46:47], v[50:51], v[46:47]
	v_add_f64 v[50:51], v[60:61], v[46:47]
	v_add_f64 v[52:53], v[60:61], -v[50:51]
	v_add_f64 v[46:47], v[46:47], v[52:53]
	v_mul_f64 v[52:53], v[54:55], v[50:51]
	v_mul_f64 v[56:57], v[44:45], v[52:53]
	v_fma_f64 v[44:45], v[52:53], v[44:45], -v[56:57]
	v_fmac_f64_e32 v[44:45], v[52:53], v[26:27]
	v_add_f64 v[26:27], v[56:57], v[44:45]
	v_add_f64 v[58:59], v[50:51], -v[26:27]
	v_add_f64 v[50:51], v[50:51], -v[58:59]
	;; [unrolled: 1-line block ×4, first 2 shown]
	v_add_f64 v[26:27], v[46:47], v[26:27]
	v_add_f64 v[44:45], v[56:57], -v[44:45]
	v_add_f64 v[26:27], v[44:45], v[26:27]
	v_add_f64 v[44:45], v[48:49], v[52:53]
	;; [unrolled: 1-line block ×3, first 2 shown]
	v_add_f64 v[46:47], v[44:45], -v[48:49]
	v_mul_f64 v[26:27], v[54:55], v[26:27]
	v_add_f64 v[46:47], v[52:53], -v[46:47]
	v_add_f64 v[26:27], v[46:47], v[26:27]
	v_add_f64 v[46:47], v[44:45], v[26:27]
	v_add_f64 v[44:45], v[46:47], -v[44:45]
	s_mov_b32 s18, 0xbf559e2b
	v_add_f64 v[26:27], v[26:27], -v[44:45]
	v_mul_f64 v[44:45], v[46:47], v[46:47]
	v_mov_b32_e32 v48, 0x6b47b09a
	v_mov_b32_e32 v49, 0x3fc38538
	s_mov_b32 s19, 0x3fc3ab76
	v_fmac_f64_e32 v[48:49], s[18:19], v[44:45]
	v_mov_b32_e32 v50, 0xd7f4df2e
	v_mov_b32_e32 v51, 0x3fc7474d
	v_fmac_f64_e32 v[50:51], v[44:45], v[48:49]
	v_mov_b32_e32 v48, 0x16291751
	v_mov_b32_e32 v49, 0x3fcc71c0
	;; [unrolled: 3-line block ×5, first 2 shown]
	v_fmac_f64_e32 v[50:51], v[44:45], v[48:49]
	v_cvt_f64_i32_e32 v[48:49], v62
	s_mov_b32 s25, 0x3fe62e42
	v_mul_f64 v[52:53], v[48:49], s[24:25]
	v_fma_f64 v[54:55], v[48:49], s[24:25], -v[52:53]
	s_mov_b32 s27, 0x3c7abc9e
	v_fmac_f64_e32 v[54:55], s[26:27], v[48:49]
	v_add_f64 v[48:49], v[52:53], v[54:55]
	v_add_f64 v[52:53], v[48:49], -v[52:53]
	v_mul_f64 v[44:45], v[46:47], v[44:45]
	v_add_f64 v[52:53], v[54:55], -v[52:53]
	v_ldexp_f64 v[54:55], v[46:47], 1
	v_mul_f64 v[44:45], v[44:45], v[50:51]
	v_add_f64 v[46:47], v[54:55], v[44:45]
	v_add_f64 v[50:51], v[46:47], -v[54:55]
	v_ldexp_f64 v[26:27], v[26:27], 1
	v_add_f64 v[44:45], v[44:45], -v[50:51]
	v_add_f64 v[26:27], v[26:27], v[44:45]
	v_add_f64 v[44:45], v[46:47], v[26:27]
	v_add_f64 v[46:47], v[44:45], -v[46:47]
	v_add_f64 v[26:27], v[26:27], -v[46:47]
	v_add_f64 v[46:47], v[48:49], v[44:45]
	v_add_f64 v[50:51], v[46:47], -v[48:49]
	v_add_f64 v[54:55], v[46:47], -v[50:51]
	;; [unrolled: 1-line block ×4, first 2 shown]
	v_add_f64 v[44:45], v[44:45], v[48:49]
	v_add_f64 v[48:49], v[52:53], v[26:27]
	v_add_f64 v[50:51], v[48:49], -v[52:53]
	v_add_f64 v[44:45], v[48:49], v[44:45]
	v_add_f64 v[54:55], v[48:49], -v[50:51]
	;; [unrolled: 2-line block ×3, first 2 shown]
	v_add_f64 v[26:27], v[26:27], -v[50:51]
	v_add_f64 v[46:47], v[48:49], -v[46:47]
	v_add_f64 v[26:27], v[26:27], v[52:53]
	v_add_f64 v[44:45], v[44:45], -v[46:47]
	s_mov_b32 s18, 0
	v_add_f64 v[26:27], v[26:27], v[44:45]
	s_mov_b32 s19, 0x7ff00000
	v_add_f64 v[26:27], v[48:49], v[26:27]
	v_cmp_eq_f64_e32 vcc, s[18:19], v[24:25]
	v_cndmask_b32_e32 v26, v26, v24, vcc
	v_cndmask_b32_e32 v27, v27, v25, vcc
	v_mov_b32_e32 v44, 0x7ff80000
	v_cmp_ngt_f64_e32 vcc, -1.0, v[24:25]
	v_cndmask_b32_e32 v27, v44, v27, vcc
	v_cmp_nge_f64_e32 vcc, -1.0, v[24:25]
	v_cndmask_b32_e32 v26, 0, v26, vcc
	v_mov_b32_e32 v44, 0xfff00000
	v_cmp_neq_f64_e32 vcc, -1.0, v[24:25]
	v_cndmask_b32_e32 v27, v44, v27, vcc
	v_add_f64 v[46:47], v[2:3], v[26:27]
.LBB49_241:
	s_or_b64 exec, exec, s[22:23]
	v_max_f64 v[2:3], v[46:47], v[46:47]
	v_min_f64 v[26:27], v[2:3], v[42:43]
	v_max_f64 v[44:45], v[2:3], v[42:43]
	v_pk_mov_b32 v[2:3], v[46:47], v[46:47] op_sel:[0,1]
	;;#ASMSTART
	;;#ASMEND
.LBB49_242:
	s_or_b64 exec, exec, s[20:21]
	v_cmp_u_f64_e32 vcc, v[2:3], v[2:3]
	v_cndmask_b32_e32 v24, v26, v2, vcc
	v_cndmask_b32_e32 v25, v27, v3, vcc
	v_cndmask_b32_e64 v27, v25, v5, s[0:1]
	v_cndmask_b32_e64 v26, v24, v4, s[0:1]
	v_cndmask_b32_e32 v24, v44, v2, vcc
	v_cndmask_b32_e32 v25, v45, v3, vcc
	v_cndmask_b32_e64 v5, v25, v5, s[0:1]
	v_cndmask_b32_e64 v4, v24, v4, s[0:1]
	s_movk_i32 s24, 0x1f8
	v_cmp_neq_f64_e32 vcc, v[26:27], v[4:5]
	v_cmp_class_f64_e64 s[0:1], v[26:27], s24
	s_or_b64 s[0:1], vcc, s[0:1]
	v_pk_mov_b32 v[24:25], v[2:3], v[2:3] op_sel:[0,1]
	s_and_saveexec_b64 s[18:19], s[0:1]
	s_cbranch_execz .LBB49_244
; %bb.243:
	s_mov_b32 s0, 0x652b82fe
	v_add_f64 v[24:25], v[26:27], -v[4:5]
	s_mov_b32 s1, 0x3ff71547
	v_mul_f64 v[26:27], v[24:25], s[0:1]
	v_rndne_f64_e32 v[26:27], v[26:27]
	s_mov_b32 s21, 0xbfe62e42
	s_mov_b32 s20, 0xfefa39ef
	v_fma_f64 v[42:43], s[20:21], v[26:27], v[24:25]
	s_mov_b32 s23, 0xbc7abc9e
	s_mov_b32 s22, 0x3b39803f
	;; [unrolled: 1-line block ×3, first 2 shown]
	v_fmac_f64_e32 v[42:43], s[22:23], v[26:27]
	v_mov_b32_e32 v44, 0xfca7ab0c
	v_mov_b32_e32 v45, 0x3e928af3
	s_mov_b32 s1, 0x3e5ade15
	v_fmac_f64_e32 v[44:45], s[0:1], v[42:43]
	s_waitcnt lgkmcnt(1)
	v_mov_b32_e32 v46, 0x623fde64
	s_waitcnt lgkmcnt(0)
	v_mov_b32_e32 v47, 0x3ec71dee
	v_fmac_f64_e32 v[46:47], v[42:43], v[44:45]
	v_mov_b32_e32 v44, 0x7c89e6b0
	v_mov_b32_e32 v45, 0x3efa0199
	v_fmac_f64_e32 v[44:45], v[42:43], v[46:47]
	v_mov_b32_e32 v46, 0x14761f6e
	;; [unrolled: 3-line block ×7, first 2 shown]
	v_mov_b32_e32 v45, 0x3fe00000
	s_mov_b32 s0, 0
	v_fmac_f64_e32 v[44:45], v[42:43], v[46:47]
	s_mov_b32 s1, 0x40900000
	v_fma_f64 v[44:45], v[42:43], v[44:45], 1.0
	v_cmp_nlt_f64_e32 vcc, s[0:1], v[24:25]
	s_mov_b32 s0, 0
	v_fma_f64 v[42:43], v[42:43], v[44:45], 1.0
	v_cvt_i32_f64_e32 v26, v[26:27]
	s_mov_b32 s1, 0xc090cc00
	v_ldexp_f64 v[26:27], v[42:43], v26
	v_mov_b32_e32 v42, 0x7ff00000
	v_cmp_ngt_f64_e64 s[0:1], s[0:1], v[24:25]
	v_cndmask_b32_e32 v27, v42, v27, vcc
	s_and_b64 vcc, s[0:1], vcc
	v_cndmask_b32_e64 v25, 0, v27, s[0:1]
	v_cndmask_b32_e32 v24, 0, v26, vcc
	v_add_f64 v[26:27], v[24:25], 1.0
	v_add_f64 v[42:43], v[26:27], -1.0
	v_add_f64 v[44:45], v[42:43], -v[26:27]
	v_add_f64 v[44:45], v[44:45], 1.0
	v_add_f64 v[42:43], v[24:25], -v[42:43]
	s_mov_b32 s0, 0x55555555
	v_add_f64 v[42:43], v[42:43], v[44:45]
	v_frexp_mant_f64_e32 v[44:45], v[26:27]
	s_mov_b32 s1, 0x3fe55555
	v_frexp_exp_i32_f64_e32 v46, v[26:27]
	v_cmp_gt_f64_e32 vcc, s[0:1], v[44:45]
	v_subbrev_co_u32_e32 v60, vcc, 0, v46, vcc
	v_sub_u32_e32 v44, 0, v60
	v_ldexp_f64 v[26:27], v[26:27], v44
	v_ldexp_f64 v[42:43], v[42:43], v44
	v_add_f64 v[44:45], v[26:27], -1.0
	v_add_f64 v[50:51], v[26:27], 1.0
	v_add_f64 v[46:47], v[44:45], 1.0
	v_add_f64 v[52:53], v[50:51], -1.0
	v_add_f64 v[46:47], v[26:27], -v[46:47]
	v_add_f64 v[26:27], v[26:27], -v[52:53]
	v_add_f64 v[26:27], v[42:43], v[26:27]
	v_add_f64 v[46:47], v[42:43], v[46:47]
	;; [unrolled: 1-line block ×3, first 2 shown]
	v_rcp_f64_e32 v[52:53], v[42:43]
	v_add_f64 v[48:49], v[44:45], v[46:47]
	v_add_f64 v[44:45], v[48:49], -v[44:45]
	v_add_f64 v[44:45], v[46:47], -v[44:45]
	;; [unrolled: 1-line block ×4, first 2 shown]
	v_fma_f64 v[46:47], -v[42:43], v[52:53], 1.0
	v_fmac_f64_e32 v[52:53], v[46:47], v[52:53]
	v_fma_f64 v[46:47], -v[42:43], v[52:53], 1.0
	v_fmac_f64_e32 v[52:53], v[46:47], v[52:53]
	v_mul_f64 v[46:47], v[48:49], v[52:53]
	v_mul_f64 v[50:51], v[42:43], v[46:47]
	v_fma_f64 v[54:55], v[46:47], v[42:43], -v[50:51]
	v_fmac_f64_e32 v[54:55], v[46:47], v[26:27]
	v_add_f64 v[56:57], v[50:51], v[54:55]
	v_add_f64 v[58:59], v[48:49], -v[56:57]
	v_add_f64 v[48:49], v[48:49], -v[58:59]
	;; [unrolled: 1-line block ×4, first 2 shown]
	v_add_f64 v[44:45], v[44:45], v[48:49]
	v_add_f64 v[48:49], v[50:51], -v[54:55]
	v_add_f64 v[44:45], v[48:49], v[44:45]
	v_add_f64 v[48:49], v[58:59], v[44:45]
	v_add_f64 v[50:51], v[58:59], -v[48:49]
	v_add_f64 v[44:45], v[44:45], v[50:51]
	v_mul_f64 v[50:51], v[52:53], v[48:49]
	v_mul_f64 v[54:55], v[42:43], v[50:51]
	v_fma_f64 v[42:43], v[50:51], v[42:43], -v[54:55]
	v_fmac_f64_e32 v[42:43], v[50:51], v[26:27]
	v_add_f64 v[26:27], v[54:55], v[42:43]
	v_add_f64 v[56:57], v[48:49], -v[26:27]
	v_add_f64 v[48:49], v[48:49], -v[56:57]
	;; [unrolled: 1-line block ×4, first 2 shown]
	v_add_f64 v[26:27], v[44:45], v[26:27]
	v_add_f64 v[42:43], v[54:55], -v[42:43]
	v_add_f64 v[26:27], v[42:43], v[26:27]
	v_add_f64 v[42:43], v[46:47], v[50:51]
	;; [unrolled: 1-line block ×3, first 2 shown]
	v_add_f64 v[44:45], v[42:43], -v[46:47]
	v_mul_f64 v[26:27], v[52:53], v[26:27]
	v_add_f64 v[44:45], v[50:51], -v[44:45]
	v_add_f64 v[26:27], v[44:45], v[26:27]
	v_add_f64 v[44:45], v[42:43], v[26:27]
	v_add_f64 v[42:43], v[44:45], -v[42:43]
	s_mov_b32 s0, 0xbf559e2b
	v_add_f64 v[26:27], v[26:27], -v[42:43]
	v_mul_f64 v[42:43], v[44:45], v[44:45]
	v_mov_b32_e32 v46, 0x6b47b09a
	v_mov_b32_e32 v47, 0x3fc38538
	s_mov_b32 s1, 0x3fc3ab76
	v_fmac_f64_e32 v[46:47], s[0:1], v[42:43]
	v_mov_b32_e32 v48, 0xd7f4df2e
	v_mov_b32_e32 v49, 0x3fc7474d
	v_fmac_f64_e32 v[48:49], v[42:43], v[46:47]
	v_mov_b32_e32 v46, 0x16291751
	v_mov_b32_e32 v47, 0x3fcc71c0
	v_fmac_f64_e32 v[46:47], v[42:43], v[48:49]
	v_mov_b32_e32 v48, 0x9b27acf1
	v_mov_b32_e32 v49, 0x3fd24924
	v_fmac_f64_e32 v[48:49], v[42:43], v[46:47]
	v_mov_b32_e32 v46, 0x998ef7b6
	v_mov_b32_e32 v47, 0x3fd99999
	v_fmac_f64_e32 v[46:47], v[42:43], v[48:49]
	v_mov_b32_e32 v48, 0x55555780
	v_mov_b32_e32 v49, 0x3fe55555
	v_fmac_f64_e32 v[48:49], v[42:43], v[46:47]
	v_cvt_f64_i32_e32 v[46:47], v60
	s_mov_b32 s21, 0x3fe62e42
	v_mul_f64 v[50:51], v[46:47], s[20:21]
	v_fma_f64 v[52:53], v[46:47], s[20:21], -v[50:51]
	s_mov_b32 s23, 0x3c7abc9e
	v_fmac_f64_e32 v[52:53], s[22:23], v[46:47]
	v_add_f64 v[46:47], v[50:51], v[52:53]
	v_add_f64 v[50:51], v[46:47], -v[50:51]
	v_mul_f64 v[42:43], v[44:45], v[42:43]
	v_add_f64 v[50:51], v[52:53], -v[50:51]
	v_ldexp_f64 v[52:53], v[44:45], 1
	v_mul_f64 v[42:43], v[42:43], v[48:49]
	v_add_f64 v[44:45], v[52:53], v[42:43]
	v_add_f64 v[48:49], v[44:45], -v[52:53]
	v_ldexp_f64 v[26:27], v[26:27], 1
	v_add_f64 v[42:43], v[42:43], -v[48:49]
	v_add_f64 v[26:27], v[26:27], v[42:43]
	v_add_f64 v[42:43], v[44:45], v[26:27]
	v_add_f64 v[44:45], v[42:43], -v[44:45]
	v_add_f64 v[26:27], v[26:27], -v[44:45]
	v_add_f64 v[44:45], v[46:47], v[42:43]
	v_add_f64 v[48:49], v[44:45], -v[46:47]
	v_add_f64 v[52:53], v[44:45], -v[48:49]
	;; [unrolled: 1-line block ×4, first 2 shown]
	v_add_f64 v[42:43], v[42:43], v[46:47]
	v_add_f64 v[46:47], v[50:51], v[26:27]
	v_add_f64 v[48:49], v[46:47], -v[50:51]
	v_add_f64 v[42:43], v[46:47], v[42:43]
	v_add_f64 v[52:53], v[46:47], -v[48:49]
	;; [unrolled: 2-line block ×3, first 2 shown]
	v_add_f64 v[26:27], v[26:27], -v[48:49]
	v_add_f64 v[44:45], v[46:47], -v[44:45]
	v_add_f64 v[26:27], v[26:27], v[50:51]
	v_add_f64 v[42:43], v[42:43], -v[44:45]
	s_mov_b32 s0, 0
	v_add_f64 v[26:27], v[26:27], v[42:43]
	s_mov_b32 s1, 0x7ff00000
	v_add_f64 v[26:27], v[46:47], v[26:27]
	v_cmp_eq_f64_e32 vcc, s[0:1], v[24:25]
	v_cndmask_b32_e32 v26, v26, v24, vcc
	v_cndmask_b32_e32 v27, v27, v25, vcc
	v_mov_b32_e32 v42, 0x7ff80000
	v_cmp_ngt_f64_e32 vcc, -1.0, v[24:25]
	v_cndmask_b32_e32 v27, v42, v27, vcc
	v_cmp_nge_f64_e32 vcc, -1.0, v[24:25]
	v_cndmask_b32_e32 v26, 0, v26, vcc
	v_mov_b32_e32 v42, 0xfff00000
	v_cmp_neq_f64_e32 vcc, -1.0, v[24:25]
	v_cndmask_b32_e32 v27, v42, v27, vcc
	v_add_f64 v[24:25], v[4:5], v[26:27]
.LBB49_244:
	s_or_b64 exec, exec, s[18:19]
	v_max_f64 v[4:5], v[24:25], v[24:25]
	v_min_f64 v[26:27], v[4:5], v[22:23]
	v_cmp_u_f64_e32 vcc, v[24:25], v[24:25]
	v_max_f64 v[4:5], v[4:5], v[22:23]
	v_cndmask_b32_e32 v26, v26, v24, vcc
	v_cndmask_b32_e32 v27, v27, v25, vcc
	;; [unrolled: 1-line block ×4, first 2 shown]
	v_cndmask_b32_e64 v43, v27, v19, s[2:3]
	v_cndmask_b32_e64 v42, v26, v18, s[2:3]
	;; [unrolled: 1-line block ×4, first 2 shown]
	v_cmp_neq_f64_e32 vcc, v[42:43], v[4:5]
	v_cmp_class_f64_e64 s[0:1], v[42:43], s24
	s_or_b64 s[0:1], vcc, s[0:1]
	v_pk_mov_b32 v[26:27], v[24:25], v[24:25] op_sel:[0,1]
	s_and_saveexec_b64 s[2:3], s[0:1]
	s_cbranch_execz .LBB49_246
; %bb.245:
	s_mov_b32 s0, 0x652b82fe
	v_add_f64 v[18:19], v[42:43], -v[4:5]
	s_mov_b32 s1, 0x3ff71547
	v_mul_f64 v[22:23], v[18:19], s[0:1]
	v_rndne_f64_e32 v[22:23], v[22:23]
	s_mov_b32 s19, 0xbfe62e42
	s_mov_b32 s18, 0xfefa39ef
	v_fma_f64 v[26:27], s[18:19], v[22:23], v[18:19]
	s_mov_b32 s21, 0xbc7abc9e
	s_mov_b32 s20, 0x3b39803f
	s_mov_b32 s0, 0x6a5dcb37
	v_fmac_f64_e32 v[26:27], s[20:21], v[22:23]
	v_mov_b32_e32 v42, 0xfca7ab0c
	v_mov_b32_e32 v43, 0x3e928af3
	s_mov_b32 s1, 0x3e5ade15
	v_fmac_f64_e32 v[42:43], s[0:1], v[26:27]
	v_mov_b32_e32 v44, 0x623fde64
	v_mov_b32_e32 v45, 0x3ec71dee
	v_fmac_f64_e32 v[44:45], v[26:27], v[42:43]
	v_mov_b32_e32 v42, 0x7c89e6b0
	v_mov_b32_e32 v43, 0x3efa0199
	;; [unrolled: 3-line block ×8, first 2 shown]
	s_mov_b32 s0, 0
	v_fmac_f64_e32 v[42:43], v[26:27], v[44:45]
	s_mov_b32 s1, 0x40900000
	v_fma_f64 v[42:43], v[26:27], v[42:43], 1.0
	v_cmp_nlt_f64_e32 vcc, s[0:1], v[18:19]
	s_mov_b32 s0, 0
	v_fma_f64 v[26:27], v[26:27], v[42:43], 1.0
	v_cvt_i32_f64_e32 v22, v[22:23]
	s_mov_b32 s1, 0xc090cc00
	v_ldexp_f64 v[22:23], v[26:27], v22
	v_mov_b32_e32 v26, 0x7ff00000
	v_cmp_ngt_f64_e64 s[0:1], s[0:1], v[18:19]
	v_cndmask_b32_e32 v23, v26, v23, vcc
	s_and_b64 vcc, s[0:1], vcc
	v_cndmask_b32_e64 v19, 0, v23, s[0:1]
	v_cndmask_b32_e32 v18, 0, v22, vcc
	v_add_f64 v[22:23], v[18:19], 1.0
	v_add_f64 v[26:27], v[22:23], -1.0
	v_add_f64 v[42:43], v[26:27], -v[22:23]
	v_add_f64 v[42:43], v[42:43], 1.0
	v_add_f64 v[26:27], v[18:19], -v[26:27]
	s_mov_b32 s0, 0x55555555
	v_add_f64 v[26:27], v[26:27], v[42:43]
	v_frexp_mant_f64_e32 v[42:43], v[22:23]
	s_mov_b32 s1, 0x3fe55555
	v_frexp_exp_i32_f64_e32 v44, v[22:23]
	v_cmp_gt_f64_e32 vcc, s[0:1], v[42:43]
	v_subbrev_co_u32_e32 v58, vcc, 0, v44, vcc
	v_sub_u32_e32 v42, 0, v58
	v_ldexp_f64 v[22:23], v[22:23], v42
	v_ldexp_f64 v[26:27], v[26:27], v42
	v_add_f64 v[42:43], v[22:23], -1.0
	v_add_f64 v[48:49], v[22:23], 1.0
	v_add_f64 v[44:45], v[42:43], 1.0
	v_add_f64 v[50:51], v[48:49], -1.0
	v_add_f64 v[44:45], v[22:23], -v[44:45]
	v_add_f64 v[22:23], v[22:23], -v[50:51]
	v_add_f64 v[22:23], v[26:27], v[22:23]
	v_add_f64 v[44:45], v[26:27], v[44:45]
	;; [unrolled: 1-line block ×3, first 2 shown]
	v_rcp_f64_e32 v[50:51], v[26:27]
	s_waitcnt lgkmcnt(0)
	v_add_f64 v[46:47], v[42:43], v[44:45]
	v_add_f64 v[42:43], v[46:47], -v[42:43]
	v_add_f64 v[42:43], v[44:45], -v[42:43]
	;; [unrolled: 1-line block ×4, first 2 shown]
	v_fma_f64 v[44:45], -v[26:27], v[50:51], 1.0
	v_fmac_f64_e32 v[50:51], v[44:45], v[50:51]
	v_fma_f64 v[44:45], -v[26:27], v[50:51], 1.0
	v_fmac_f64_e32 v[50:51], v[44:45], v[50:51]
	v_mul_f64 v[44:45], v[46:47], v[50:51]
	v_mul_f64 v[48:49], v[26:27], v[44:45]
	v_fma_f64 v[52:53], v[44:45], v[26:27], -v[48:49]
	v_fmac_f64_e32 v[52:53], v[44:45], v[22:23]
	v_add_f64 v[54:55], v[48:49], v[52:53]
	v_add_f64 v[56:57], v[46:47], -v[54:55]
	v_add_f64 v[46:47], v[46:47], -v[56:57]
	;; [unrolled: 1-line block ×4, first 2 shown]
	v_add_f64 v[42:43], v[42:43], v[46:47]
	v_add_f64 v[46:47], v[48:49], -v[52:53]
	v_add_f64 v[42:43], v[46:47], v[42:43]
	v_add_f64 v[46:47], v[56:57], v[42:43]
	v_add_f64 v[48:49], v[56:57], -v[46:47]
	v_add_f64 v[42:43], v[42:43], v[48:49]
	v_mul_f64 v[48:49], v[50:51], v[46:47]
	v_mul_f64 v[52:53], v[26:27], v[48:49]
	v_fma_f64 v[26:27], v[48:49], v[26:27], -v[52:53]
	v_fmac_f64_e32 v[26:27], v[48:49], v[22:23]
	v_add_f64 v[22:23], v[52:53], v[26:27]
	v_add_f64 v[54:55], v[46:47], -v[22:23]
	v_add_f64 v[46:47], v[46:47], -v[54:55]
	;; [unrolled: 1-line block ×4, first 2 shown]
	v_add_f64 v[22:23], v[42:43], v[22:23]
	v_add_f64 v[26:27], v[52:53], -v[26:27]
	v_add_f64 v[22:23], v[26:27], v[22:23]
	v_add_f64 v[26:27], v[44:45], v[48:49]
	;; [unrolled: 1-line block ×3, first 2 shown]
	v_add_f64 v[42:43], v[26:27], -v[44:45]
	v_mul_f64 v[22:23], v[50:51], v[22:23]
	v_add_f64 v[42:43], v[48:49], -v[42:43]
	v_add_f64 v[22:23], v[42:43], v[22:23]
	v_add_f64 v[42:43], v[26:27], v[22:23]
	v_add_f64 v[26:27], v[42:43], -v[26:27]
	s_mov_b32 s0, 0xbf559e2b
	v_add_f64 v[22:23], v[22:23], -v[26:27]
	v_mul_f64 v[26:27], v[42:43], v[42:43]
	v_mov_b32_e32 v44, 0x6b47b09a
	v_mov_b32_e32 v45, 0x3fc38538
	s_mov_b32 s1, 0x3fc3ab76
	v_fmac_f64_e32 v[44:45], s[0:1], v[26:27]
	v_mov_b32_e32 v46, 0xd7f4df2e
	v_mov_b32_e32 v47, 0x3fc7474d
	v_fmac_f64_e32 v[46:47], v[26:27], v[44:45]
	v_mov_b32_e32 v44, 0x16291751
	v_mov_b32_e32 v45, 0x3fcc71c0
	;; [unrolled: 3-line block ×5, first 2 shown]
	v_fmac_f64_e32 v[46:47], v[26:27], v[44:45]
	v_cvt_f64_i32_e32 v[44:45], v58
	s_mov_b32 s19, 0x3fe62e42
	v_mul_f64 v[48:49], v[44:45], s[18:19]
	v_fma_f64 v[50:51], v[44:45], s[18:19], -v[48:49]
	s_mov_b32 s21, 0x3c7abc9e
	v_fmac_f64_e32 v[50:51], s[20:21], v[44:45]
	v_add_f64 v[44:45], v[48:49], v[50:51]
	v_add_f64 v[48:49], v[44:45], -v[48:49]
	v_mul_f64 v[26:27], v[42:43], v[26:27]
	v_add_f64 v[48:49], v[50:51], -v[48:49]
	v_ldexp_f64 v[50:51], v[42:43], 1
	v_mul_f64 v[26:27], v[26:27], v[46:47]
	v_add_f64 v[42:43], v[50:51], v[26:27]
	v_add_f64 v[46:47], v[42:43], -v[50:51]
	v_ldexp_f64 v[22:23], v[22:23], 1
	v_add_f64 v[26:27], v[26:27], -v[46:47]
	v_add_f64 v[22:23], v[22:23], v[26:27]
	v_add_f64 v[26:27], v[42:43], v[22:23]
	v_add_f64 v[42:43], v[26:27], -v[42:43]
	v_add_f64 v[22:23], v[22:23], -v[42:43]
	v_add_f64 v[42:43], v[44:45], v[26:27]
	v_add_f64 v[46:47], v[42:43], -v[44:45]
	v_add_f64 v[50:51], v[42:43], -v[46:47]
	;; [unrolled: 1-line block ×4, first 2 shown]
	v_add_f64 v[26:27], v[26:27], v[44:45]
	v_add_f64 v[44:45], v[48:49], v[22:23]
	v_add_f64 v[46:47], v[44:45], -v[48:49]
	v_add_f64 v[26:27], v[44:45], v[26:27]
	v_add_f64 v[50:51], v[44:45], -v[46:47]
	;; [unrolled: 2-line block ×3, first 2 shown]
	v_add_f64 v[22:23], v[22:23], -v[46:47]
	v_add_f64 v[42:43], v[44:45], -v[42:43]
	v_add_f64 v[22:23], v[22:23], v[48:49]
	v_add_f64 v[26:27], v[26:27], -v[42:43]
	s_mov_b32 s0, 0
	v_add_f64 v[22:23], v[22:23], v[26:27]
	s_mov_b32 s1, 0x7ff00000
	v_add_f64 v[22:23], v[44:45], v[22:23]
	v_cmp_eq_f64_e32 vcc, s[0:1], v[18:19]
	v_cndmask_b32_e32 v22, v22, v18, vcc
	v_cndmask_b32_e32 v23, v23, v19, vcc
	v_mov_b32_e32 v26, 0x7ff80000
	v_cmp_ngt_f64_e32 vcc, -1.0, v[18:19]
	v_cndmask_b32_e32 v23, v26, v23, vcc
	v_cmp_nge_f64_e32 vcc, -1.0, v[18:19]
	v_cndmask_b32_e32 v22, 0, v22, vcc
	v_mov_b32_e32 v26, 0xfff00000
	v_cmp_neq_f64_e32 vcc, -1.0, v[18:19]
	v_cndmask_b32_e32 v23, v26, v23, vcc
	v_add_f64 v[26:27], v[4:5], v[22:23]
.LBB49_246:
	s_or_b64 exec, exec, s[2:3]
	v_max_f64 v[4:5], v[26:27], v[26:27]
	v_min_f64 v[18:19], v[4:5], v[28:29]
	v_cmp_u_f64_e32 vcc, v[26:27], v[26:27]
	v_max_f64 v[4:5], v[4:5], v[28:29]
	v_cndmask_b32_e32 v18, v18, v26, vcc
	v_cndmask_b32_e32 v19, v19, v27, vcc
	;; [unrolled: 1-line block ×4, first 2 shown]
	v_cndmask_b32_e64 v19, v19, v21, s[4:5]
	v_cndmask_b32_e64 v18, v18, v20, s[4:5]
	;; [unrolled: 1-line block ×4, first 2 shown]
	s_movk_i32 s20, 0x1f8
	v_cmp_neq_f64_e32 vcc, v[18:19], v[4:5]
	v_cmp_class_f64_e64 s[0:1], v[18:19], s20
	s_or_b64 s[0:1], vcc, s[0:1]
	v_pk_mov_b32 v[28:29], v[26:27], v[26:27] op_sel:[0,1]
	s_and_saveexec_b64 s[2:3], s[0:1]
	s_cbranch_execz .LBB49_248
; %bb.247:
	s_mov_b32 s0, 0x652b82fe
	v_add_f64 v[18:19], v[18:19], -v[4:5]
	s_mov_b32 s1, 0x3ff71547
	v_mul_f64 v[20:21], v[18:19], s[0:1]
	v_rndne_f64_e32 v[20:21], v[20:21]
	s_mov_b32 s5, 0xbfe62e42
	s_mov_b32 s4, 0xfefa39ef
	v_fma_f64 v[22:23], s[4:5], v[20:21], v[18:19]
	s_mov_b32 s19, 0xbc7abc9e
	s_mov_b32 s18, 0x3b39803f
	;; [unrolled: 1-line block ×3, first 2 shown]
	v_fmac_f64_e32 v[22:23], s[18:19], v[20:21]
	v_mov_b32_e32 v28, 0xfca7ab0c
	v_mov_b32_e32 v29, 0x3e928af3
	s_mov_b32 s1, 0x3e5ade15
	v_fmac_f64_e32 v[28:29], s[0:1], v[22:23]
	v_mov_b32_e32 v42, 0x623fde64
	v_mov_b32_e32 v43, 0x3ec71dee
	v_fmac_f64_e32 v[42:43], v[22:23], v[28:29]
	v_mov_b32_e32 v28, 0x7c89e6b0
	v_mov_b32_e32 v29, 0x3efa0199
	;; [unrolled: 3-line block ×8, first 2 shown]
	s_mov_b32 s0, 0
	v_fmac_f64_e32 v[28:29], v[22:23], v[42:43]
	s_mov_b32 s1, 0x40900000
	v_fma_f64 v[28:29], v[22:23], v[28:29], 1.0
	v_cmp_nlt_f64_e32 vcc, s[0:1], v[18:19]
	s_mov_b32 s0, 0
	v_fma_f64 v[22:23], v[22:23], v[28:29], 1.0
	v_cvt_i32_f64_e32 v20, v[20:21]
	s_mov_b32 s1, 0xc090cc00
	v_ldexp_f64 v[20:21], v[22:23], v20
	v_mov_b32_e32 v22, 0x7ff00000
	v_cmp_ngt_f64_e64 s[0:1], s[0:1], v[18:19]
	v_cndmask_b32_e32 v21, v22, v21, vcc
	s_and_b64 vcc, s[0:1], vcc
	v_cndmask_b32_e64 v19, 0, v21, s[0:1]
	v_cndmask_b32_e32 v18, 0, v20, vcc
	v_add_f64 v[20:21], v[18:19], 1.0
	v_add_f64 v[22:23], v[20:21], -1.0
	v_add_f64 v[28:29], v[22:23], -v[20:21]
	v_add_f64 v[28:29], v[28:29], 1.0
	v_add_f64 v[22:23], v[18:19], -v[22:23]
	s_mov_b32 s0, 0x55555555
	v_add_f64 v[22:23], v[22:23], v[28:29]
	v_frexp_mant_f64_e32 v[28:29], v[20:21]
	s_mov_b32 s1, 0x3fe55555
	v_frexp_exp_i32_f64_e32 v42, v[20:21]
	v_cmp_gt_f64_e32 vcc, s[0:1], v[28:29]
	v_subbrev_co_u32_e32 v56, vcc, 0, v42, vcc
	v_sub_u32_e32 v28, 0, v56
	v_ldexp_f64 v[20:21], v[20:21], v28
	v_ldexp_f64 v[22:23], v[22:23], v28
	v_add_f64 v[28:29], v[20:21], -1.0
	s_waitcnt lgkmcnt(0)
	v_add_f64 v[46:47], v[20:21], 1.0
	v_add_f64 v[42:43], v[28:29], 1.0
	v_add_f64 v[48:49], v[46:47], -1.0
	v_add_f64 v[42:43], v[20:21], -v[42:43]
	v_add_f64 v[20:21], v[20:21], -v[48:49]
	v_add_f64 v[20:21], v[22:23], v[20:21]
	v_add_f64 v[42:43], v[22:23], v[42:43]
	;; [unrolled: 1-line block ×3, first 2 shown]
	v_rcp_f64_e32 v[48:49], v[22:23]
	v_add_f64 v[44:45], v[28:29], v[42:43]
	v_add_f64 v[28:29], v[44:45], -v[28:29]
	v_add_f64 v[28:29], v[42:43], -v[28:29]
	;; [unrolled: 1-line block ×4, first 2 shown]
	v_fma_f64 v[42:43], -v[22:23], v[48:49], 1.0
	v_fmac_f64_e32 v[48:49], v[42:43], v[48:49]
	v_fma_f64 v[42:43], -v[22:23], v[48:49], 1.0
	v_fmac_f64_e32 v[48:49], v[42:43], v[48:49]
	v_mul_f64 v[42:43], v[44:45], v[48:49]
	v_mul_f64 v[46:47], v[22:23], v[42:43]
	v_fma_f64 v[50:51], v[42:43], v[22:23], -v[46:47]
	v_fmac_f64_e32 v[50:51], v[42:43], v[20:21]
	v_add_f64 v[52:53], v[46:47], v[50:51]
	v_add_f64 v[54:55], v[44:45], -v[52:53]
	v_add_f64 v[44:45], v[44:45], -v[54:55]
	;; [unrolled: 1-line block ×4, first 2 shown]
	v_add_f64 v[28:29], v[28:29], v[44:45]
	v_add_f64 v[44:45], v[46:47], -v[50:51]
	v_add_f64 v[28:29], v[44:45], v[28:29]
	v_add_f64 v[44:45], v[54:55], v[28:29]
	v_add_f64 v[46:47], v[54:55], -v[44:45]
	v_add_f64 v[28:29], v[28:29], v[46:47]
	v_mul_f64 v[46:47], v[48:49], v[44:45]
	v_mul_f64 v[50:51], v[22:23], v[46:47]
	v_fma_f64 v[22:23], v[46:47], v[22:23], -v[50:51]
	v_fmac_f64_e32 v[22:23], v[46:47], v[20:21]
	v_add_f64 v[20:21], v[50:51], v[22:23]
	v_add_f64 v[52:53], v[44:45], -v[20:21]
	v_add_f64 v[44:45], v[44:45], -v[52:53]
	;; [unrolled: 1-line block ×4, first 2 shown]
	v_add_f64 v[20:21], v[28:29], v[20:21]
	v_add_f64 v[22:23], v[50:51], -v[22:23]
	v_add_f64 v[20:21], v[22:23], v[20:21]
	v_add_f64 v[22:23], v[42:43], v[46:47]
	v_add_f64 v[20:21], v[52:53], v[20:21]
	v_add_f64 v[28:29], v[22:23], -v[42:43]
	v_mul_f64 v[20:21], v[48:49], v[20:21]
	v_add_f64 v[28:29], v[46:47], -v[28:29]
	v_add_f64 v[20:21], v[28:29], v[20:21]
	v_add_f64 v[28:29], v[22:23], v[20:21]
	v_add_f64 v[22:23], v[28:29], -v[22:23]
	s_mov_b32 s0, 0xbf559e2b
	v_add_f64 v[20:21], v[20:21], -v[22:23]
	v_mul_f64 v[22:23], v[28:29], v[28:29]
	v_mov_b32_e32 v42, 0x6b47b09a
	v_mov_b32_e32 v43, 0x3fc38538
	s_mov_b32 s1, 0x3fc3ab76
	v_fmac_f64_e32 v[42:43], s[0:1], v[22:23]
	v_mov_b32_e32 v44, 0xd7f4df2e
	v_mov_b32_e32 v45, 0x3fc7474d
	v_fmac_f64_e32 v[44:45], v[22:23], v[42:43]
	v_mov_b32_e32 v42, 0x16291751
	v_mov_b32_e32 v43, 0x3fcc71c0
	;; [unrolled: 3-line block ×5, first 2 shown]
	v_fmac_f64_e32 v[44:45], v[22:23], v[42:43]
	v_cvt_f64_i32_e32 v[42:43], v56
	s_mov_b32 s5, 0x3fe62e42
	v_mul_f64 v[46:47], v[42:43], s[4:5]
	v_fma_f64 v[48:49], v[42:43], s[4:5], -v[46:47]
	s_mov_b32 s19, 0x3c7abc9e
	v_fmac_f64_e32 v[48:49], s[18:19], v[42:43]
	v_add_f64 v[42:43], v[46:47], v[48:49]
	v_add_f64 v[46:47], v[42:43], -v[46:47]
	v_mul_f64 v[22:23], v[28:29], v[22:23]
	v_add_f64 v[46:47], v[48:49], -v[46:47]
	v_ldexp_f64 v[48:49], v[28:29], 1
	v_mul_f64 v[22:23], v[22:23], v[44:45]
	v_add_f64 v[28:29], v[48:49], v[22:23]
	v_add_f64 v[44:45], v[28:29], -v[48:49]
	v_ldexp_f64 v[20:21], v[20:21], 1
	v_add_f64 v[22:23], v[22:23], -v[44:45]
	v_add_f64 v[20:21], v[20:21], v[22:23]
	v_add_f64 v[22:23], v[28:29], v[20:21]
	v_add_f64 v[28:29], v[22:23], -v[28:29]
	v_add_f64 v[20:21], v[20:21], -v[28:29]
	v_add_f64 v[28:29], v[42:43], v[22:23]
	v_add_f64 v[44:45], v[28:29], -v[42:43]
	v_add_f64 v[48:49], v[28:29], -v[44:45]
	;; [unrolled: 1-line block ×4, first 2 shown]
	v_add_f64 v[22:23], v[22:23], v[42:43]
	v_add_f64 v[42:43], v[46:47], v[20:21]
	v_add_f64 v[44:45], v[42:43], -v[46:47]
	v_add_f64 v[22:23], v[42:43], v[22:23]
	v_add_f64 v[48:49], v[42:43], -v[44:45]
	;; [unrolled: 2-line block ×3, first 2 shown]
	v_add_f64 v[20:21], v[20:21], -v[44:45]
	v_add_f64 v[28:29], v[42:43], -v[28:29]
	v_add_f64 v[20:21], v[20:21], v[46:47]
	v_add_f64 v[22:23], v[22:23], -v[28:29]
	s_mov_b32 s0, 0
	v_add_f64 v[20:21], v[20:21], v[22:23]
	s_mov_b32 s1, 0x7ff00000
	v_add_f64 v[20:21], v[42:43], v[20:21]
	v_cmp_eq_f64_e32 vcc, s[0:1], v[18:19]
	v_cndmask_b32_e32 v20, v20, v18, vcc
	v_cndmask_b32_e32 v21, v21, v19, vcc
	v_mov_b32_e32 v22, 0x7ff80000
	v_cmp_ngt_f64_e32 vcc, -1.0, v[18:19]
	v_cndmask_b32_e32 v21, v22, v21, vcc
	v_cmp_nge_f64_e32 vcc, -1.0, v[18:19]
	v_cndmask_b32_e32 v20, 0, v20, vcc
	v_mov_b32_e32 v22, 0xfff00000
	v_cmp_neq_f64_e32 vcc, -1.0, v[18:19]
	v_cndmask_b32_e32 v21, v22, v21, vcc
	v_add_f64 v[28:29], v[4:5], v[20:21]
.LBB49_248:
	s_or_b64 exec, exec, s[2:3]
	v_max_f64 v[4:5], v[28:29], v[28:29]
	v_min_f64 v[18:19], v[4:5], v[30:31]
	v_cmp_u_f64_e32 vcc, v[28:29], v[28:29]
	v_max_f64 v[4:5], v[4:5], v[30:31]
	v_cndmask_b32_e32 v18, v18, v28, vcc
	v_cndmask_b32_e32 v19, v19, v29, vcc
	;; [unrolled: 1-line block ×4, first 2 shown]
	v_cndmask_b32_e64 v19, v19, v15, s[6:7]
	v_cndmask_b32_e64 v18, v18, v14, s[6:7]
	;; [unrolled: 1-line block ×4, first 2 shown]
	v_cmp_neq_f64_e32 vcc, v[18:19], v[4:5]
	v_cmp_class_f64_e64 s[0:1], v[18:19], s20
	s_or_b64 s[0:1], vcc, s[0:1]
	v_pk_mov_b32 v[30:31], v[28:29], v[28:29] op_sel:[0,1]
	s_and_saveexec_b64 s[2:3], s[0:1]
	s_cbranch_execz .LBB49_250
; %bb.249:
	s_mov_b32 s0, 0x652b82fe
	v_add_f64 v[14:15], v[18:19], -v[4:5]
	s_mov_b32 s1, 0x3ff71547
	v_mul_f64 v[18:19], v[14:15], s[0:1]
	v_rndne_f64_e32 v[18:19], v[18:19]
	s_mov_b32 s5, 0xbfe62e42
	s_mov_b32 s4, 0xfefa39ef
	v_fma_f64 v[20:21], s[4:5], v[18:19], v[14:15]
	s_mov_b32 s7, 0xbc7abc9e
	s_mov_b32 s6, 0x3b39803f
	;; [unrolled: 1-line block ×3, first 2 shown]
	v_fmac_f64_e32 v[20:21], s[6:7], v[18:19]
	v_mov_b32_e32 v22, 0xfca7ab0c
	v_mov_b32_e32 v23, 0x3e928af3
	s_mov_b32 s1, 0x3e5ade15
	v_fmac_f64_e32 v[22:23], s[0:1], v[20:21]
	v_mov_b32_e32 v30, 0x623fde64
	v_mov_b32_e32 v31, 0x3ec71dee
	v_fmac_f64_e32 v[30:31], v[20:21], v[22:23]
	v_mov_b32_e32 v22, 0x7c89e6b0
	v_mov_b32_e32 v23, 0x3efa0199
	v_fmac_f64_e32 v[22:23], v[20:21], v[30:31]
	v_mov_b32_e32 v30, 0x14761f6e
	v_mov_b32_e32 v31, 0x3f2a01a0
	v_fmac_f64_e32 v[30:31], v[20:21], v[22:23]
	v_mov_b32_e32 v22, 0x1852b7b0
	v_mov_b32_e32 v23, 0x3f56c16c
	v_fmac_f64_e32 v[22:23], v[20:21], v[30:31]
	v_mov_b32_e32 v30, 0x11122322
	v_mov_b32_e32 v31, 0x3f811111
	v_fmac_f64_e32 v[30:31], v[20:21], v[22:23]
	v_mov_b32_e32 v22, 0x555502a1
	v_mov_b32_e32 v23, 0x3fa55555
	v_fmac_f64_e32 v[22:23], v[20:21], v[30:31]
	v_mov_b32_e32 v30, 0x55555511
	v_mov_b32_e32 v31, 0x3fc55555
	v_fmac_f64_e32 v[30:31], v[20:21], v[22:23]
	v_mov_b32_e32 v22, 11
	v_mov_b32_e32 v23, 0x3fe00000
	s_mov_b32 s0, 0
	v_fmac_f64_e32 v[22:23], v[20:21], v[30:31]
	s_mov_b32 s1, 0x40900000
	v_fma_f64 v[22:23], v[20:21], v[22:23], 1.0
	v_cmp_nlt_f64_e32 vcc, s[0:1], v[14:15]
	s_mov_b32 s0, 0
	v_fma_f64 v[20:21], v[20:21], v[22:23], 1.0
	v_cvt_i32_f64_e32 v18, v[18:19]
	s_mov_b32 s1, 0xc090cc00
	v_ldexp_f64 v[18:19], v[20:21], v18
	v_mov_b32_e32 v20, 0x7ff00000
	v_cmp_ngt_f64_e64 s[0:1], s[0:1], v[14:15]
	v_cndmask_b32_e32 v19, v20, v19, vcc
	s_and_b64 vcc, s[0:1], vcc
	v_cndmask_b32_e64 v15, 0, v19, s[0:1]
	v_cndmask_b32_e32 v14, 0, v18, vcc
	v_add_f64 v[18:19], v[14:15], 1.0
	v_add_f64 v[20:21], v[18:19], -1.0
	v_add_f64 v[22:23], v[20:21], -v[18:19]
	v_add_f64 v[22:23], v[22:23], 1.0
	v_add_f64 v[20:21], v[14:15], -v[20:21]
	s_mov_b32 s0, 0x55555555
	v_add_f64 v[20:21], v[20:21], v[22:23]
	v_frexp_mant_f64_e32 v[22:23], v[18:19]
	s_mov_b32 s1, 0x3fe55555
	v_frexp_exp_i32_f64_e32 v30, v[18:19]
	v_cmp_gt_f64_e32 vcc, s[0:1], v[22:23]
	v_subbrev_co_u32_e32 v54, vcc, 0, v30, vcc
	v_sub_u32_e32 v22, 0, v54
	v_ldexp_f64 v[18:19], v[18:19], v22
	v_ldexp_f64 v[20:21], v[20:21], v22
	v_add_f64 v[22:23], v[18:19], -1.0
	v_add_f64 v[44:45], v[18:19], 1.0
	v_add_f64 v[30:31], v[22:23], 1.0
	s_waitcnt lgkmcnt(0)
	v_add_f64 v[46:47], v[44:45], -1.0
	v_add_f64 v[30:31], v[18:19], -v[30:31]
	v_add_f64 v[18:19], v[18:19], -v[46:47]
	v_add_f64 v[18:19], v[20:21], v[18:19]
	v_add_f64 v[30:31], v[20:21], v[30:31]
	;; [unrolled: 1-line block ×3, first 2 shown]
	v_rcp_f64_e32 v[46:47], v[20:21]
	v_add_f64 v[42:43], v[22:23], v[30:31]
	v_add_f64 v[22:23], v[42:43], -v[22:23]
	v_add_f64 v[22:23], v[30:31], -v[22:23]
	;; [unrolled: 1-line block ×4, first 2 shown]
	v_fma_f64 v[30:31], -v[20:21], v[46:47], 1.0
	v_fmac_f64_e32 v[46:47], v[30:31], v[46:47]
	v_fma_f64 v[30:31], -v[20:21], v[46:47], 1.0
	v_fmac_f64_e32 v[46:47], v[30:31], v[46:47]
	v_mul_f64 v[30:31], v[42:43], v[46:47]
	v_mul_f64 v[44:45], v[20:21], v[30:31]
	v_fma_f64 v[48:49], v[30:31], v[20:21], -v[44:45]
	v_fmac_f64_e32 v[48:49], v[30:31], v[18:19]
	v_add_f64 v[50:51], v[44:45], v[48:49]
	v_add_f64 v[52:53], v[42:43], -v[50:51]
	v_add_f64 v[42:43], v[42:43], -v[52:53]
	;; [unrolled: 1-line block ×4, first 2 shown]
	v_add_f64 v[22:23], v[22:23], v[42:43]
	v_add_f64 v[42:43], v[44:45], -v[48:49]
	v_add_f64 v[22:23], v[42:43], v[22:23]
	v_add_f64 v[42:43], v[52:53], v[22:23]
	v_add_f64 v[44:45], v[52:53], -v[42:43]
	v_add_f64 v[22:23], v[22:23], v[44:45]
	v_mul_f64 v[44:45], v[46:47], v[42:43]
	v_mul_f64 v[48:49], v[20:21], v[44:45]
	v_fma_f64 v[20:21], v[44:45], v[20:21], -v[48:49]
	v_fmac_f64_e32 v[20:21], v[44:45], v[18:19]
	v_add_f64 v[18:19], v[48:49], v[20:21]
	v_add_f64 v[50:51], v[42:43], -v[18:19]
	v_add_f64 v[42:43], v[42:43], -v[50:51]
	;; [unrolled: 1-line block ×4, first 2 shown]
	v_add_f64 v[18:19], v[22:23], v[18:19]
	v_add_f64 v[20:21], v[48:49], -v[20:21]
	v_add_f64 v[18:19], v[20:21], v[18:19]
	v_add_f64 v[20:21], v[30:31], v[44:45]
	;; [unrolled: 1-line block ×3, first 2 shown]
	v_add_f64 v[22:23], v[20:21], -v[30:31]
	v_mul_f64 v[18:19], v[46:47], v[18:19]
	v_add_f64 v[22:23], v[44:45], -v[22:23]
	v_add_f64 v[18:19], v[22:23], v[18:19]
	v_add_f64 v[22:23], v[20:21], v[18:19]
	v_add_f64 v[20:21], v[22:23], -v[20:21]
	s_mov_b32 s0, 0xbf559e2b
	v_add_f64 v[18:19], v[18:19], -v[20:21]
	v_mul_f64 v[20:21], v[22:23], v[22:23]
	v_mov_b32_e32 v30, 0x6b47b09a
	v_mov_b32_e32 v31, 0x3fc38538
	s_mov_b32 s1, 0x3fc3ab76
	v_fmac_f64_e32 v[30:31], s[0:1], v[20:21]
	v_mov_b32_e32 v42, 0xd7f4df2e
	v_mov_b32_e32 v43, 0x3fc7474d
	v_fmac_f64_e32 v[42:43], v[20:21], v[30:31]
	v_mov_b32_e32 v30, 0x16291751
	v_mov_b32_e32 v31, 0x3fcc71c0
	;; [unrolled: 3-line block ×5, first 2 shown]
	v_fmac_f64_e32 v[42:43], v[20:21], v[30:31]
	v_cvt_f64_i32_e32 v[30:31], v54
	s_mov_b32 s5, 0x3fe62e42
	v_mul_f64 v[44:45], v[30:31], s[4:5]
	v_fma_f64 v[46:47], v[30:31], s[4:5], -v[44:45]
	s_mov_b32 s7, 0x3c7abc9e
	v_fmac_f64_e32 v[46:47], s[6:7], v[30:31]
	v_add_f64 v[30:31], v[44:45], v[46:47]
	v_add_f64 v[44:45], v[30:31], -v[44:45]
	v_mul_f64 v[20:21], v[22:23], v[20:21]
	v_add_f64 v[44:45], v[46:47], -v[44:45]
	v_ldexp_f64 v[46:47], v[22:23], 1
	v_mul_f64 v[20:21], v[20:21], v[42:43]
	v_add_f64 v[22:23], v[46:47], v[20:21]
	v_add_f64 v[42:43], v[22:23], -v[46:47]
	v_ldexp_f64 v[18:19], v[18:19], 1
	v_add_f64 v[20:21], v[20:21], -v[42:43]
	v_add_f64 v[18:19], v[18:19], v[20:21]
	v_add_f64 v[20:21], v[22:23], v[18:19]
	v_add_f64 v[22:23], v[20:21], -v[22:23]
	v_add_f64 v[18:19], v[18:19], -v[22:23]
	v_add_f64 v[22:23], v[30:31], v[20:21]
	v_add_f64 v[42:43], v[22:23], -v[30:31]
	v_add_f64 v[46:47], v[22:23], -v[42:43]
	;; [unrolled: 1-line block ×4, first 2 shown]
	v_add_f64 v[20:21], v[20:21], v[30:31]
	v_add_f64 v[30:31], v[44:45], v[18:19]
	v_add_f64 v[42:43], v[30:31], -v[44:45]
	v_add_f64 v[20:21], v[30:31], v[20:21]
	v_add_f64 v[46:47], v[30:31], -v[42:43]
	;; [unrolled: 2-line block ×3, first 2 shown]
	v_add_f64 v[18:19], v[18:19], -v[42:43]
	v_add_f64 v[22:23], v[30:31], -v[22:23]
	v_add_f64 v[18:19], v[18:19], v[44:45]
	v_add_f64 v[20:21], v[20:21], -v[22:23]
	s_mov_b32 s0, 0
	v_add_f64 v[18:19], v[18:19], v[20:21]
	s_mov_b32 s1, 0x7ff00000
	v_add_f64 v[18:19], v[30:31], v[18:19]
	v_cmp_eq_f64_e32 vcc, s[0:1], v[14:15]
	v_cndmask_b32_e32 v18, v18, v14, vcc
	v_cndmask_b32_e32 v19, v19, v15, vcc
	v_mov_b32_e32 v20, 0x7ff80000
	v_cmp_ngt_f64_e32 vcc, -1.0, v[14:15]
	v_cndmask_b32_e32 v19, v20, v19, vcc
	v_cmp_nge_f64_e32 vcc, -1.0, v[14:15]
	v_cndmask_b32_e32 v18, 0, v18, vcc
	v_mov_b32_e32 v20, 0xfff00000
	v_cmp_neq_f64_e32 vcc, -1.0, v[14:15]
	v_cndmask_b32_e32 v19, v20, v19, vcc
	v_add_f64 v[30:31], v[4:5], v[18:19]
.LBB49_250:
	s_or_b64 exec, exec, s[2:3]
	v_max_f64 v[4:5], v[30:31], v[30:31]
	v_min_f64 v[14:15], v[4:5], v[32:33]
	v_cmp_u_f64_e32 vcc, v[30:31], v[30:31]
	v_max_f64 v[4:5], v[4:5], v[32:33]
	v_cndmask_b32_e32 v14, v14, v30, vcc
	v_cndmask_b32_e32 v15, v15, v31, vcc
	;; [unrolled: 1-line block ×4, first 2 shown]
	v_cndmask_b32_e64 v15, v15, v17, s[8:9]
	v_cndmask_b32_e64 v14, v14, v16, s[8:9]
	;; [unrolled: 1-line block ×4, first 2 shown]
	s_movk_i32 s8, 0x1f8
	v_cmp_neq_f64_e32 vcc, v[14:15], v[4:5]
	v_cmp_class_f64_e64 s[0:1], v[14:15], s8
	s_or_b64 s[0:1], vcc, s[0:1]
	v_pk_mov_b32 v[32:33], v[30:31], v[30:31] op_sel:[0,1]
	s_and_saveexec_b64 s[2:3], s[0:1]
	s_cbranch_execz .LBB49_252
; %bb.251:
	s_mov_b32 s0, 0x652b82fe
	v_add_f64 v[14:15], v[14:15], -v[4:5]
	s_mov_b32 s1, 0x3ff71547
	v_mul_f64 v[16:17], v[14:15], s[0:1]
	v_rndne_f64_e32 v[16:17], v[16:17]
	s_mov_b32 s5, 0xbfe62e42
	s_mov_b32 s4, 0xfefa39ef
	v_fma_f64 v[18:19], s[4:5], v[16:17], v[14:15]
	s_mov_b32 s7, 0xbc7abc9e
	s_mov_b32 s6, 0x3b39803f
	;; [unrolled: 1-line block ×3, first 2 shown]
	v_fmac_f64_e32 v[18:19], s[6:7], v[16:17]
	v_mov_b32_e32 v20, 0xfca7ab0c
	v_mov_b32_e32 v21, 0x3e928af3
	s_mov_b32 s1, 0x3e5ade15
	v_fmac_f64_e32 v[20:21], s[0:1], v[18:19]
	v_mov_b32_e32 v22, 0x623fde64
	v_mov_b32_e32 v23, 0x3ec71dee
	v_fmac_f64_e32 v[22:23], v[18:19], v[20:21]
	v_mov_b32_e32 v20, 0x7c89e6b0
	v_mov_b32_e32 v21, 0x3efa0199
	;; [unrolled: 3-line block ×8, first 2 shown]
	s_mov_b32 s0, 0
	v_fmac_f64_e32 v[20:21], v[18:19], v[22:23]
	s_mov_b32 s1, 0x40900000
	v_fma_f64 v[20:21], v[18:19], v[20:21], 1.0
	v_cmp_nlt_f64_e32 vcc, s[0:1], v[14:15]
	s_mov_b32 s0, 0
	v_fma_f64 v[18:19], v[18:19], v[20:21], 1.0
	v_cvt_i32_f64_e32 v16, v[16:17]
	s_mov_b32 s1, 0xc090cc00
	v_ldexp_f64 v[16:17], v[18:19], v16
	v_mov_b32_e32 v18, 0x7ff00000
	v_cmp_ngt_f64_e64 s[0:1], s[0:1], v[14:15]
	v_cndmask_b32_e32 v17, v18, v17, vcc
	s_and_b64 vcc, s[0:1], vcc
	v_cndmask_b32_e64 v15, 0, v17, s[0:1]
	v_cndmask_b32_e32 v14, 0, v16, vcc
	v_add_f64 v[16:17], v[14:15], 1.0
	v_add_f64 v[18:19], v[16:17], -1.0
	v_add_f64 v[20:21], v[18:19], -v[16:17]
	v_add_f64 v[20:21], v[20:21], 1.0
	v_add_f64 v[18:19], v[14:15], -v[18:19]
	s_mov_b32 s0, 0x55555555
	v_add_f64 v[18:19], v[18:19], v[20:21]
	v_frexp_mant_f64_e32 v[20:21], v[16:17]
	s_mov_b32 s1, 0x3fe55555
	v_frexp_exp_i32_f64_e32 v22, v[16:17]
	v_cmp_gt_f64_e32 vcc, s[0:1], v[20:21]
	v_subbrev_co_u32_e32 v52, vcc, 0, v22, vcc
	v_sub_u32_e32 v20, 0, v52
	v_ldexp_f64 v[16:17], v[16:17], v20
	v_ldexp_f64 v[18:19], v[18:19], v20
	v_add_f64 v[20:21], v[16:17], -1.0
	v_add_f64 v[42:43], v[16:17], 1.0
	v_add_f64 v[22:23], v[20:21], 1.0
	v_add_f64 v[44:45], v[42:43], -1.0
	v_add_f64 v[22:23], v[16:17], -v[22:23]
	v_add_f64 v[16:17], v[16:17], -v[44:45]
	v_add_f64 v[16:17], v[18:19], v[16:17]
	v_add_f64 v[22:23], v[18:19], v[22:23]
	v_add_f64 v[18:19], v[42:43], v[16:17]
	v_rcp_f64_e32 v[44:45], v[18:19]
	v_add_f64 v[32:33], v[20:21], v[22:23]
	v_add_f64 v[20:21], v[32:33], -v[20:21]
	v_add_f64 v[20:21], v[22:23], -v[20:21]
	;; [unrolled: 1-line block ×4, first 2 shown]
	v_fma_f64 v[22:23], -v[18:19], v[44:45], 1.0
	v_fmac_f64_e32 v[44:45], v[22:23], v[44:45]
	v_fma_f64 v[22:23], -v[18:19], v[44:45], 1.0
	v_fmac_f64_e32 v[44:45], v[22:23], v[44:45]
	v_mul_f64 v[22:23], v[32:33], v[44:45]
	v_mul_f64 v[42:43], v[18:19], v[22:23]
	s_waitcnt lgkmcnt(0)
	v_fma_f64 v[46:47], v[22:23], v[18:19], -v[42:43]
	v_fmac_f64_e32 v[46:47], v[22:23], v[16:17]
	v_add_f64 v[48:49], v[42:43], v[46:47]
	v_add_f64 v[50:51], v[32:33], -v[48:49]
	v_add_f64 v[32:33], v[32:33], -v[50:51]
	v_add_f64 v[42:43], v[48:49], -v[42:43]
	v_add_f64 v[32:33], v[32:33], -v[48:49]
	v_add_f64 v[20:21], v[20:21], v[32:33]
	v_add_f64 v[32:33], v[42:43], -v[46:47]
	v_add_f64 v[20:21], v[32:33], v[20:21]
	v_add_f64 v[32:33], v[50:51], v[20:21]
	v_add_f64 v[42:43], v[50:51], -v[32:33]
	v_add_f64 v[20:21], v[20:21], v[42:43]
	v_mul_f64 v[42:43], v[44:45], v[32:33]
	v_mul_f64 v[46:47], v[18:19], v[42:43]
	v_fma_f64 v[18:19], v[42:43], v[18:19], -v[46:47]
	v_fmac_f64_e32 v[18:19], v[42:43], v[16:17]
	v_add_f64 v[16:17], v[46:47], v[18:19]
	v_add_f64 v[48:49], v[32:33], -v[16:17]
	v_add_f64 v[32:33], v[32:33], -v[48:49]
	;; [unrolled: 1-line block ×4, first 2 shown]
	v_add_f64 v[16:17], v[20:21], v[16:17]
	v_add_f64 v[18:19], v[46:47], -v[18:19]
	v_add_f64 v[16:17], v[18:19], v[16:17]
	v_add_f64 v[18:19], v[22:23], v[42:43]
	;; [unrolled: 1-line block ×3, first 2 shown]
	v_add_f64 v[20:21], v[18:19], -v[22:23]
	v_mul_f64 v[16:17], v[44:45], v[16:17]
	v_add_f64 v[20:21], v[42:43], -v[20:21]
	v_add_f64 v[16:17], v[20:21], v[16:17]
	v_add_f64 v[20:21], v[18:19], v[16:17]
	v_add_f64 v[18:19], v[20:21], -v[18:19]
	s_mov_b32 s0, 0xbf559e2b
	v_add_f64 v[16:17], v[16:17], -v[18:19]
	v_mul_f64 v[18:19], v[20:21], v[20:21]
	v_mov_b32_e32 v22, 0x6b47b09a
	v_mov_b32_e32 v23, 0x3fc38538
	s_mov_b32 s1, 0x3fc3ab76
	v_fmac_f64_e32 v[22:23], s[0:1], v[18:19]
	v_mov_b32_e32 v32, 0xd7f4df2e
	v_mov_b32_e32 v33, 0x3fc7474d
	v_fmac_f64_e32 v[32:33], v[18:19], v[22:23]
	v_mov_b32_e32 v22, 0x16291751
	v_mov_b32_e32 v23, 0x3fcc71c0
	;; [unrolled: 3-line block ×5, first 2 shown]
	v_fmac_f64_e32 v[32:33], v[18:19], v[22:23]
	v_cvt_f64_i32_e32 v[22:23], v52
	s_mov_b32 s5, 0x3fe62e42
	v_mul_f64 v[42:43], v[22:23], s[4:5]
	v_fma_f64 v[44:45], v[22:23], s[4:5], -v[42:43]
	s_mov_b32 s7, 0x3c7abc9e
	v_fmac_f64_e32 v[44:45], s[6:7], v[22:23]
	v_add_f64 v[22:23], v[42:43], v[44:45]
	v_add_f64 v[42:43], v[22:23], -v[42:43]
	v_mul_f64 v[18:19], v[20:21], v[18:19]
	v_add_f64 v[42:43], v[44:45], -v[42:43]
	v_ldexp_f64 v[44:45], v[20:21], 1
	v_mul_f64 v[18:19], v[18:19], v[32:33]
	v_add_f64 v[20:21], v[44:45], v[18:19]
	v_add_f64 v[32:33], v[20:21], -v[44:45]
	v_ldexp_f64 v[16:17], v[16:17], 1
	v_add_f64 v[18:19], v[18:19], -v[32:33]
	v_add_f64 v[16:17], v[16:17], v[18:19]
	v_add_f64 v[18:19], v[20:21], v[16:17]
	v_add_f64 v[20:21], v[18:19], -v[20:21]
	v_add_f64 v[16:17], v[16:17], -v[20:21]
	v_add_f64 v[20:21], v[22:23], v[18:19]
	v_add_f64 v[32:33], v[20:21], -v[22:23]
	v_add_f64 v[44:45], v[20:21], -v[32:33]
	;; [unrolled: 1-line block ×4, first 2 shown]
	v_add_f64 v[18:19], v[18:19], v[22:23]
	v_add_f64 v[22:23], v[42:43], v[16:17]
	v_add_f64 v[32:33], v[22:23], -v[42:43]
	v_add_f64 v[18:19], v[22:23], v[18:19]
	v_add_f64 v[44:45], v[22:23], -v[32:33]
	;; [unrolled: 2-line block ×3, first 2 shown]
	v_add_f64 v[16:17], v[16:17], -v[32:33]
	v_add_f64 v[20:21], v[22:23], -v[20:21]
	v_add_f64 v[16:17], v[16:17], v[42:43]
	v_add_f64 v[18:19], v[18:19], -v[20:21]
	s_mov_b32 s0, 0
	v_add_f64 v[16:17], v[16:17], v[18:19]
	s_mov_b32 s1, 0x7ff00000
	v_add_f64 v[16:17], v[22:23], v[16:17]
	v_cmp_eq_f64_e32 vcc, s[0:1], v[14:15]
	v_cndmask_b32_e32 v16, v16, v14, vcc
	v_cndmask_b32_e32 v17, v17, v15, vcc
	v_mov_b32_e32 v18, 0x7ff80000
	v_cmp_ngt_f64_e32 vcc, -1.0, v[14:15]
	v_cndmask_b32_e32 v17, v18, v17, vcc
	v_cmp_nge_f64_e32 vcc, -1.0, v[14:15]
	v_cndmask_b32_e32 v16, 0, v16, vcc
	v_mov_b32_e32 v18, 0xfff00000
	v_cmp_neq_f64_e32 vcc, -1.0, v[14:15]
	v_cndmask_b32_e32 v17, v18, v17, vcc
	v_add_f64 v[32:33], v[4:5], v[16:17]
.LBB49_252:
	s_or_b64 exec, exec, s[2:3]
	v_max_f64 v[4:5], v[32:33], v[32:33]
	v_min_f64 v[14:15], v[4:5], v[34:35]
	v_cmp_u_f64_e32 vcc, v[32:33], v[32:33]
	v_max_f64 v[4:5], v[4:5], v[34:35]
	v_cndmask_b32_e32 v14, v14, v32, vcc
	v_cndmask_b32_e32 v15, v15, v33, vcc
	;; [unrolled: 1-line block ×4, first 2 shown]
	v_cndmask_b32_e64 v15, v15, v11, s[10:11]
	v_cndmask_b32_e64 v14, v14, v10, s[10:11]
	;; [unrolled: 1-line block ×4, first 2 shown]
	v_cmp_neq_f64_e32 vcc, v[14:15], v[4:5]
	v_cmp_class_f64_e64 s[0:1], v[14:15], s8
	s_or_b64 s[0:1], vcc, s[0:1]
	v_pk_mov_b32 v[34:35], v[32:33], v[32:33] op_sel:[0,1]
	s_and_saveexec_b64 s[2:3], s[0:1]
	s_cbranch_execz .LBB49_254
; %bb.253:
	s_mov_b32 s0, 0x652b82fe
	v_add_f64 v[10:11], v[14:15], -v[4:5]
	s_mov_b32 s1, 0x3ff71547
	v_mul_f64 v[14:15], v[10:11], s[0:1]
	v_rndne_f64_e32 v[14:15], v[14:15]
	s_mov_b32 s5, 0xbfe62e42
	s_mov_b32 s4, 0xfefa39ef
	v_fma_f64 v[16:17], s[4:5], v[14:15], v[10:11]
	s_mov_b32 s7, 0xbc7abc9e
	s_mov_b32 s6, 0x3b39803f
	;; [unrolled: 1-line block ×3, first 2 shown]
	v_fmac_f64_e32 v[16:17], s[6:7], v[14:15]
	v_mov_b32_e32 v18, 0xfca7ab0c
	v_mov_b32_e32 v19, 0x3e928af3
	s_mov_b32 s1, 0x3e5ade15
	v_fmac_f64_e32 v[18:19], s[0:1], v[16:17]
	v_mov_b32_e32 v20, 0x623fde64
	v_mov_b32_e32 v21, 0x3ec71dee
	v_fmac_f64_e32 v[20:21], v[16:17], v[18:19]
	v_mov_b32_e32 v18, 0x7c89e6b0
	v_mov_b32_e32 v19, 0x3efa0199
	;; [unrolled: 3-line block ×8, first 2 shown]
	s_mov_b32 s0, 0
	v_fmac_f64_e32 v[18:19], v[16:17], v[20:21]
	s_mov_b32 s1, 0x40900000
	v_fma_f64 v[18:19], v[16:17], v[18:19], 1.0
	v_cmp_nlt_f64_e32 vcc, s[0:1], v[10:11]
	s_mov_b32 s0, 0
	v_fma_f64 v[16:17], v[16:17], v[18:19], 1.0
	v_cvt_i32_f64_e32 v14, v[14:15]
	s_mov_b32 s1, 0xc090cc00
	v_ldexp_f64 v[14:15], v[16:17], v14
	v_mov_b32_e32 v16, 0x7ff00000
	v_cmp_ngt_f64_e64 s[0:1], s[0:1], v[10:11]
	v_cndmask_b32_e32 v15, v16, v15, vcc
	s_and_b64 vcc, s[0:1], vcc
	v_cndmask_b32_e64 v11, 0, v15, s[0:1]
	v_cndmask_b32_e32 v10, 0, v14, vcc
	v_add_f64 v[14:15], v[10:11], 1.0
	v_add_f64 v[16:17], v[14:15], -1.0
	v_add_f64 v[18:19], v[16:17], -v[14:15]
	v_add_f64 v[18:19], v[18:19], 1.0
	v_add_f64 v[16:17], v[10:11], -v[16:17]
	s_mov_b32 s0, 0x55555555
	v_add_f64 v[16:17], v[16:17], v[18:19]
	v_frexp_mant_f64_e32 v[18:19], v[14:15]
	s_mov_b32 s1, 0x3fe55555
	v_frexp_exp_i32_f64_e32 v20, v[14:15]
	v_cmp_gt_f64_e32 vcc, s[0:1], v[18:19]
	v_subbrev_co_u32_e32 v50, vcc, 0, v20, vcc
	v_sub_u32_e32 v18, 0, v50
	v_ldexp_f64 v[14:15], v[14:15], v18
	v_ldexp_f64 v[16:17], v[16:17], v18
	v_add_f64 v[18:19], v[14:15], -1.0
	v_add_f64 v[34:35], v[14:15], 1.0
	v_add_f64 v[20:21], v[18:19], 1.0
	v_add_f64 v[42:43], v[34:35], -1.0
	v_add_f64 v[20:21], v[14:15], -v[20:21]
	v_add_f64 v[14:15], v[14:15], -v[42:43]
	v_add_f64 v[14:15], v[16:17], v[14:15]
	v_add_f64 v[20:21], v[16:17], v[20:21]
	;; [unrolled: 1-line block ×3, first 2 shown]
	v_rcp_f64_e32 v[42:43], v[16:17]
	v_add_f64 v[22:23], v[18:19], v[20:21]
	v_add_f64 v[18:19], v[22:23], -v[18:19]
	v_add_f64 v[18:19], v[20:21], -v[18:19]
	;; [unrolled: 1-line block ×4, first 2 shown]
	v_fma_f64 v[20:21], -v[16:17], v[42:43], 1.0
	v_fmac_f64_e32 v[42:43], v[20:21], v[42:43]
	v_fma_f64 v[20:21], -v[16:17], v[42:43], 1.0
	v_fmac_f64_e32 v[42:43], v[20:21], v[42:43]
	v_mul_f64 v[20:21], v[22:23], v[42:43]
	v_mul_f64 v[34:35], v[16:17], v[20:21]
	v_fma_f64 v[44:45], v[20:21], v[16:17], -v[34:35]
	v_fmac_f64_e32 v[44:45], v[20:21], v[14:15]
	s_waitcnt lgkmcnt(0)
	v_add_f64 v[46:47], v[34:35], v[44:45]
	v_add_f64 v[48:49], v[22:23], -v[46:47]
	v_add_f64 v[22:23], v[22:23], -v[48:49]
	;; [unrolled: 1-line block ×4, first 2 shown]
	v_add_f64 v[18:19], v[18:19], v[22:23]
	v_add_f64 v[22:23], v[34:35], -v[44:45]
	v_add_f64 v[18:19], v[22:23], v[18:19]
	v_add_f64 v[22:23], v[48:49], v[18:19]
	v_add_f64 v[34:35], v[48:49], -v[22:23]
	v_add_f64 v[18:19], v[18:19], v[34:35]
	v_mul_f64 v[34:35], v[42:43], v[22:23]
	v_mul_f64 v[44:45], v[16:17], v[34:35]
	v_fma_f64 v[16:17], v[34:35], v[16:17], -v[44:45]
	v_fmac_f64_e32 v[16:17], v[34:35], v[14:15]
	v_add_f64 v[14:15], v[44:45], v[16:17]
	v_add_f64 v[46:47], v[22:23], -v[14:15]
	v_add_f64 v[22:23], v[22:23], -v[46:47]
	;; [unrolled: 1-line block ×4, first 2 shown]
	v_add_f64 v[14:15], v[18:19], v[14:15]
	v_add_f64 v[16:17], v[44:45], -v[16:17]
	v_add_f64 v[14:15], v[16:17], v[14:15]
	v_add_f64 v[16:17], v[20:21], v[34:35]
	;; [unrolled: 1-line block ×3, first 2 shown]
	v_add_f64 v[18:19], v[16:17], -v[20:21]
	v_mul_f64 v[14:15], v[42:43], v[14:15]
	v_add_f64 v[18:19], v[34:35], -v[18:19]
	v_add_f64 v[14:15], v[18:19], v[14:15]
	v_add_f64 v[18:19], v[16:17], v[14:15]
	v_add_f64 v[16:17], v[18:19], -v[16:17]
	s_mov_b32 s0, 0xbf559e2b
	v_add_f64 v[14:15], v[14:15], -v[16:17]
	v_mul_f64 v[16:17], v[18:19], v[18:19]
	v_mov_b32_e32 v20, 0x6b47b09a
	v_mov_b32_e32 v21, 0x3fc38538
	s_mov_b32 s1, 0x3fc3ab76
	v_fmac_f64_e32 v[20:21], s[0:1], v[16:17]
	v_mov_b32_e32 v22, 0xd7f4df2e
	v_mov_b32_e32 v23, 0x3fc7474d
	v_fmac_f64_e32 v[22:23], v[16:17], v[20:21]
	v_mov_b32_e32 v20, 0x16291751
	v_mov_b32_e32 v21, 0x3fcc71c0
	;; [unrolled: 3-line block ×5, first 2 shown]
	v_fmac_f64_e32 v[22:23], v[16:17], v[20:21]
	v_cvt_f64_i32_e32 v[20:21], v50
	s_mov_b32 s5, 0x3fe62e42
	v_mul_f64 v[34:35], v[20:21], s[4:5]
	v_fma_f64 v[42:43], v[20:21], s[4:5], -v[34:35]
	s_mov_b32 s7, 0x3c7abc9e
	v_fmac_f64_e32 v[42:43], s[6:7], v[20:21]
	v_add_f64 v[20:21], v[34:35], v[42:43]
	v_add_f64 v[34:35], v[20:21], -v[34:35]
	v_mul_f64 v[16:17], v[18:19], v[16:17]
	v_add_f64 v[34:35], v[42:43], -v[34:35]
	v_ldexp_f64 v[42:43], v[18:19], 1
	v_mul_f64 v[16:17], v[16:17], v[22:23]
	v_add_f64 v[18:19], v[42:43], v[16:17]
	v_add_f64 v[22:23], v[18:19], -v[42:43]
	v_ldexp_f64 v[14:15], v[14:15], 1
	v_add_f64 v[16:17], v[16:17], -v[22:23]
	v_add_f64 v[14:15], v[14:15], v[16:17]
	v_add_f64 v[16:17], v[18:19], v[14:15]
	v_add_f64 v[18:19], v[16:17], -v[18:19]
	v_add_f64 v[14:15], v[14:15], -v[18:19]
	v_add_f64 v[18:19], v[20:21], v[16:17]
	v_add_f64 v[22:23], v[18:19], -v[20:21]
	v_add_f64 v[42:43], v[18:19], -v[22:23]
	;; [unrolled: 1-line block ×4, first 2 shown]
	v_add_f64 v[16:17], v[16:17], v[20:21]
	v_add_f64 v[20:21], v[34:35], v[14:15]
	v_add_f64 v[22:23], v[20:21], -v[34:35]
	v_add_f64 v[16:17], v[20:21], v[16:17]
	v_add_f64 v[42:43], v[20:21], -v[22:23]
	;; [unrolled: 2-line block ×3, first 2 shown]
	v_add_f64 v[14:15], v[14:15], -v[22:23]
	v_add_f64 v[18:19], v[20:21], -v[18:19]
	v_add_f64 v[14:15], v[14:15], v[34:35]
	v_add_f64 v[16:17], v[16:17], -v[18:19]
	s_mov_b32 s0, 0
	v_add_f64 v[14:15], v[14:15], v[16:17]
	s_mov_b32 s1, 0x7ff00000
	v_add_f64 v[14:15], v[20:21], v[14:15]
	v_cmp_eq_f64_e32 vcc, s[0:1], v[10:11]
	v_cndmask_b32_e32 v14, v14, v10, vcc
	v_cndmask_b32_e32 v15, v15, v11, vcc
	v_mov_b32_e32 v16, 0x7ff80000
	v_cmp_ngt_f64_e32 vcc, -1.0, v[10:11]
	v_cndmask_b32_e32 v15, v16, v15, vcc
	v_cmp_nge_f64_e32 vcc, -1.0, v[10:11]
	v_cndmask_b32_e32 v14, 0, v14, vcc
	v_mov_b32_e32 v16, 0xfff00000
	v_cmp_neq_f64_e32 vcc, -1.0, v[10:11]
	v_cndmask_b32_e32 v15, v16, v15, vcc
	v_add_f64 v[34:35], v[4:5], v[14:15]
.LBB49_254:
	s_or_b64 exec, exec, s[2:3]
	v_max_f64 v[4:5], v[34:35], v[34:35]
	v_min_f64 v[10:11], v[4:5], v[36:37]
	v_cmp_u_f64_e32 vcc, v[34:35], v[34:35]
	v_max_f64 v[4:5], v[4:5], v[36:37]
	v_cndmask_b32_e32 v10, v10, v34, vcc
	v_cndmask_b32_e32 v11, v11, v35, vcc
	;; [unrolled: 1-line block ×4, first 2 shown]
	v_cndmask_b32_e64 v11, v11, v13, s[12:13]
	v_cndmask_b32_e64 v10, v10, v12, s[12:13]
	;; [unrolled: 1-line block ×4, first 2 shown]
	v_cmp_neq_f64_e32 vcc, v[10:11], v[4:5]
	v_cmp_class_f64_e64 s[0:1], v[10:11], s8
	s_or_b64 s[0:1], vcc, s[0:1]
	v_pk_mov_b32 v[36:37], v[34:35], v[34:35] op_sel:[0,1]
	s_and_saveexec_b64 s[2:3], s[0:1]
	s_cbranch_execz .LBB49_256
; %bb.255:
	s_mov_b32 s0, 0x652b82fe
	v_add_f64 v[10:11], v[10:11], -v[4:5]
	s_mov_b32 s1, 0x3ff71547
	v_mul_f64 v[12:13], v[10:11], s[0:1]
	v_rndne_f64_e32 v[12:13], v[12:13]
	s_mov_b32 s5, 0xbfe62e42
	s_mov_b32 s4, 0xfefa39ef
	v_fma_f64 v[14:15], s[4:5], v[12:13], v[10:11]
	s_mov_b32 s7, 0xbc7abc9e
	s_mov_b32 s6, 0x3b39803f
	;; [unrolled: 1-line block ×3, first 2 shown]
	v_fmac_f64_e32 v[14:15], s[6:7], v[12:13]
	v_mov_b32_e32 v16, 0xfca7ab0c
	v_mov_b32_e32 v17, 0x3e928af3
	s_mov_b32 s1, 0x3e5ade15
	v_fmac_f64_e32 v[16:17], s[0:1], v[14:15]
	v_mov_b32_e32 v18, 0x623fde64
	v_mov_b32_e32 v19, 0x3ec71dee
	v_fmac_f64_e32 v[18:19], v[14:15], v[16:17]
	v_mov_b32_e32 v16, 0x7c89e6b0
	v_mov_b32_e32 v17, 0x3efa0199
	;; [unrolled: 3-line block ×8, first 2 shown]
	s_mov_b32 s0, 0
	v_fmac_f64_e32 v[16:17], v[14:15], v[18:19]
	s_mov_b32 s1, 0x40900000
	v_fma_f64 v[16:17], v[14:15], v[16:17], 1.0
	v_cmp_nlt_f64_e32 vcc, s[0:1], v[10:11]
	s_mov_b32 s0, 0
	v_fma_f64 v[14:15], v[14:15], v[16:17], 1.0
	v_cvt_i32_f64_e32 v12, v[12:13]
	s_mov_b32 s1, 0xc090cc00
	v_ldexp_f64 v[12:13], v[14:15], v12
	v_mov_b32_e32 v14, 0x7ff00000
	v_cmp_ngt_f64_e64 s[0:1], s[0:1], v[10:11]
	v_cndmask_b32_e32 v13, v14, v13, vcc
	s_and_b64 vcc, s[0:1], vcc
	v_cndmask_b32_e64 v11, 0, v13, s[0:1]
	v_cndmask_b32_e32 v10, 0, v12, vcc
	v_add_f64 v[12:13], v[10:11], 1.0
	v_add_f64 v[14:15], v[12:13], -1.0
	v_add_f64 v[16:17], v[14:15], -v[12:13]
	v_add_f64 v[16:17], v[16:17], 1.0
	v_add_f64 v[14:15], v[10:11], -v[14:15]
	s_mov_b32 s0, 0x55555555
	v_add_f64 v[14:15], v[14:15], v[16:17]
	v_frexp_mant_f64_e32 v[16:17], v[12:13]
	s_mov_b32 s1, 0x3fe55555
	v_frexp_exp_i32_f64_e32 v18, v[12:13]
	v_cmp_gt_f64_e32 vcc, s[0:1], v[16:17]
	v_subbrev_co_u32_e32 v48, vcc, 0, v18, vcc
	v_sub_u32_e32 v16, 0, v48
	v_ldexp_f64 v[12:13], v[12:13], v16
	v_ldexp_f64 v[14:15], v[14:15], v16
	v_add_f64 v[16:17], v[12:13], -1.0
	v_add_f64 v[22:23], v[12:13], 1.0
	v_add_f64 v[18:19], v[16:17], 1.0
	v_add_f64 v[36:37], v[22:23], -1.0
	v_add_f64 v[18:19], v[12:13], -v[18:19]
	v_add_f64 v[12:13], v[12:13], -v[36:37]
	v_add_f64 v[12:13], v[14:15], v[12:13]
	v_add_f64 v[18:19], v[14:15], v[18:19]
	;; [unrolled: 1-line block ×3, first 2 shown]
	v_rcp_f64_e32 v[36:37], v[14:15]
	v_add_f64 v[20:21], v[16:17], v[18:19]
	v_add_f64 v[16:17], v[20:21], -v[16:17]
	v_add_f64 v[16:17], v[18:19], -v[16:17]
	;; [unrolled: 1-line block ×4, first 2 shown]
	v_fma_f64 v[18:19], -v[14:15], v[36:37], 1.0
	v_fmac_f64_e32 v[36:37], v[18:19], v[36:37]
	v_fma_f64 v[18:19], -v[14:15], v[36:37], 1.0
	v_fmac_f64_e32 v[36:37], v[18:19], v[36:37]
	v_mul_f64 v[18:19], v[20:21], v[36:37]
	v_mul_f64 v[22:23], v[14:15], v[18:19]
	v_fma_f64 v[42:43], v[18:19], v[14:15], -v[22:23]
	v_fmac_f64_e32 v[42:43], v[18:19], v[12:13]
	v_add_f64 v[44:45], v[22:23], v[42:43]
	s_waitcnt lgkmcnt(0)
	v_add_f64 v[46:47], v[20:21], -v[44:45]
	v_add_f64 v[20:21], v[20:21], -v[46:47]
	;; [unrolled: 1-line block ×4, first 2 shown]
	v_add_f64 v[16:17], v[16:17], v[20:21]
	v_add_f64 v[20:21], v[22:23], -v[42:43]
	v_add_f64 v[16:17], v[20:21], v[16:17]
	v_add_f64 v[20:21], v[46:47], v[16:17]
	v_add_f64 v[22:23], v[46:47], -v[20:21]
	v_add_f64 v[16:17], v[16:17], v[22:23]
	v_mul_f64 v[22:23], v[36:37], v[20:21]
	v_mul_f64 v[42:43], v[14:15], v[22:23]
	v_fma_f64 v[14:15], v[22:23], v[14:15], -v[42:43]
	v_fmac_f64_e32 v[14:15], v[22:23], v[12:13]
	v_add_f64 v[12:13], v[42:43], v[14:15]
	v_add_f64 v[44:45], v[20:21], -v[12:13]
	v_add_f64 v[20:21], v[20:21], -v[44:45]
	;; [unrolled: 1-line block ×4, first 2 shown]
	v_add_f64 v[12:13], v[16:17], v[12:13]
	v_add_f64 v[14:15], v[42:43], -v[14:15]
	v_add_f64 v[12:13], v[14:15], v[12:13]
	v_add_f64 v[14:15], v[18:19], v[22:23]
	;; [unrolled: 1-line block ×3, first 2 shown]
	v_add_f64 v[16:17], v[14:15], -v[18:19]
	v_mul_f64 v[12:13], v[36:37], v[12:13]
	v_add_f64 v[16:17], v[22:23], -v[16:17]
	v_add_f64 v[12:13], v[16:17], v[12:13]
	v_add_f64 v[16:17], v[14:15], v[12:13]
	v_add_f64 v[14:15], v[16:17], -v[14:15]
	s_mov_b32 s0, 0xbf559e2b
	v_add_f64 v[12:13], v[12:13], -v[14:15]
	v_mul_f64 v[14:15], v[16:17], v[16:17]
	v_mov_b32_e32 v18, 0x6b47b09a
	v_mov_b32_e32 v19, 0x3fc38538
	s_mov_b32 s1, 0x3fc3ab76
	v_fmac_f64_e32 v[18:19], s[0:1], v[14:15]
	v_mov_b32_e32 v20, 0xd7f4df2e
	v_mov_b32_e32 v21, 0x3fc7474d
	v_fmac_f64_e32 v[20:21], v[14:15], v[18:19]
	v_mov_b32_e32 v18, 0x16291751
	v_mov_b32_e32 v19, 0x3fcc71c0
	;; [unrolled: 3-line block ×5, first 2 shown]
	v_fmac_f64_e32 v[20:21], v[14:15], v[18:19]
	v_cvt_f64_i32_e32 v[18:19], v48
	s_mov_b32 s5, 0x3fe62e42
	v_mul_f64 v[22:23], v[18:19], s[4:5]
	v_fma_f64 v[36:37], v[18:19], s[4:5], -v[22:23]
	s_mov_b32 s7, 0x3c7abc9e
	v_fmac_f64_e32 v[36:37], s[6:7], v[18:19]
	v_add_f64 v[18:19], v[22:23], v[36:37]
	v_add_f64 v[22:23], v[18:19], -v[22:23]
	v_mul_f64 v[14:15], v[16:17], v[14:15]
	v_add_f64 v[22:23], v[36:37], -v[22:23]
	v_ldexp_f64 v[36:37], v[16:17], 1
	v_mul_f64 v[14:15], v[14:15], v[20:21]
	v_add_f64 v[16:17], v[36:37], v[14:15]
	v_add_f64 v[20:21], v[16:17], -v[36:37]
	v_ldexp_f64 v[12:13], v[12:13], 1
	v_add_f64 v[14:15], v[14:15], -v[20:21]
	v_add_f64 v[12:13], v[12:13], v[14:15]
	v_add_f64 v[14:15], v[16:17], v[12:13]
	v_add_f64 v[16:17], v[14:15], -v[16:17]
	v_add_f64 v[12:13], v[12:13], -v[16:17]
	v_add_f64 v[16:17], v[18:19], v[14:15]
	v_add_f64 v[20:21], v[16:17], -v[18:19]
	v_add_f64 v[36:37], v[16:17], -v[20:21]
	v_add_f64 v[18:19], v[18:19], -v[36:37]
	v_add_f64 v[14:15], v[14:15], -v[20:21]
	v_add_f64 v[14:15], v[14:15], v[18:19]
	v_add_f64 v[18:19], v[22:23], v[12:13]
	v_add_f64 v[20:21], v[18:19], -v[22:23]
	v_add_f64 v[14:15], v[18:19], v[14:15]
	v_add_f64 v[36:37], v[18:19], -v[20:21]
	;; [unrolled: 2-line block ×3, first 2 shown]
	v_add_f64 v[12:13], v[12:13], -v[20:21]
	v_add_f64 v[16:17], v[18:19], -v[16:17]
	v_add_f64 v[12:13], v[12:13], v[22:23]
	v_add_f64 v[14:15], v[14:15], -v[16:17]
	s_mov_b32 s0, 0
	v_add_f64 v[12:13], v[12:13], v[14:15]
	s_mov_b32 s1, 0x7ff00000
	v_add_f64 v[12:13], v[18:19], v[12:13]
	v_cmp_eq_f64_e32 vcc, s[0:1], v[10:11]
	v_cndmask_b32_e32 v12, v12, v10, vcc
	v_cndmask_b32_e32 v13, v13, v11, vcc
	v_mov_b32_e32 v14, 0x7ff80000
	v_cmp_ngt_f64_e32 vcc, -1.0, v[10:11]
	v_cndmask_b32_e32 v13, v14, v13, vcc
	v_cmp_nge_f64_e32 vcc, -1.0, v[10:11]
	v_cndmask_b32_e32 v12, 0, v12, vcc
	v_mov_b32_e32 v14, 0xfff00000
	v_cmp_neq_f64_e32 vcc, -1.0, v[10:11]
	v_cndmask_b32_e32 v13, v14, v13, vcc
	v_add_f64 v[36:37], v[4:5], v[12:13]
.LBB49_256:
	s_or_b64 exec, exec, s[2:3]
	v_max_f64 v[4:5], v[36:37], v[36:37]
	v_min_f64 v[10:11], v[4:5], v[38:39]
	v_cmp_u_f64_e32 vcc, v[36:37], v[36:37]
	v_max_f64 v[4:5], v[4:5], v[38:39]
	v_cndmask_b32_e32 v10, v10, v36, vcc
	v_cndmask_b32_e32 v11, v11, v37, vcc
	;; [unrolled: 1-line block ×4, first 2 shown]
	v_cndmask_b32_e64 v11, v11, v7, s[14:15]
	v_cndmask_b32_e64 v10, v10, v6, s[14:15]
	;; [unrolled: 1-line block ×4, first 2 shown]
	v_cmp_neq_f64_e32 vcc, v[10:11], v[4:5]
	v_cmp_class_f64_e64 s[0:1], v[10:11], s8
	s_or_b64 s[0:1], vcc, s[0:1]
	v_pk_mov_b32 v[38:39], v[36:37], v[36:37] op_sel:[0,1]
	s_and_saveexec_b64 s[2:3], s[0:1]
	s_cbranch_execz .LBB49_258
; %bb.257:
	s_mov_b32 s0, 0x652b82fe
	v_add_f64 v[6:7], v[10:11], -v[4:5]
	s_mov_b32 s1, 0x3ff71547
	v_mul_f64 v[10:11], v[6:7], s[0:1]
	v_rndne_f64_e32 v[10:11], v[10:11]
	s_mov_b32 s5, 0xbfe62e42
	s_mov_b32 s4, 0xfefa39ef
	v_fma_f64 v[12:13], s[4:5], v[10:11], v[6:7]
	s_mov_b32 s7, 0xbc7abc9e
	s_mov_b32 s6, 0x3b39803f
	;; [unrolled: 1-line block ×3, first 2 shown]
	v_fmac_f64_e32 v[12:13], s[6:7], v[10:11]
	v_mov_b32_e32 v14, 0xfca7ab0c
	v_mov_b32_e32 v15, 0x3e928af3
	s_mov_b32 s1, 0x3e5ade15
	v_fmac_f64_e32 v[14:15], s[0:1], v[12:13]
	v_mov_b32_e32 v16, 0x623fde64
	v_mov_b32_e32 v17, 0x3ec71dee
	v_fmac_f64_e32 v[16:17], v[12:13], v[14:15]
	v_mov_b32_e32 v14, 0x7c89e6b0
	v_mov_b32_e32 v15, 0x3efa0199
	;; [unrolled: 3-line block ×8, first 2 shown]
	s_mov_b32 s0, 0
	v_fmac_f64_e32 v[14:15], v[12:13], v[16:17]
	s_mov_b32 s1, 0x40900000
	v_fma_f64 v[14:15], v[12:13], v[14:15], 1.0
	v_cmp_nlt_f64_e32 vcc, s[0:1], v[6:7]
	s_mov_b32 s0, 0
	v_fma_f64 v[12:13], v[12:13], v[14:15], 1.0
	v_cvt_i32_f64_e32 v10, v[10:11]
	s_mov_b32 s1, 0xc090cc00
	v_ldexp_f64 v[10:11], v[12:13], v10
	v_mov_b32_e32 v12, 0x7ff00000
	v_cmp_ngt_f64_e64 s[0:1], s[0:1], v[6:7]
	v_cndmask_b32_e32 v11, v12, v11, vcc
	s_and_b64 vcc, s[0:1], vcc
	v_cndmask_b32_e64 v7, 0, v11, s[0:1]
	v_cndmask_b32_e32 v6, 0, v10, vcc
	v_add_f64 v[10:11], v[6:7], 1.0
	v_add_f64 v[12:13], v[10:11], -1.0
	v_add_f64 v[14:15], v[12:13], -v[10:11]
	v_add_f64 v[14:15], v[14:15], 1.0
	v_add_f64 v[12:13], v[6:7], -v[12:13]
	s_mov_b32 s0, 0x55555555
	v_add_f64 v[12:13], v[12:13], v[14:15]
	v_frexp_mant_f64_e32 v[14:15], v[10:11]
	s_mov_b32 s1, 0x3fe55555
	v_frexp_exp_i32_f64_e32 v16, v[10:11]
	v_cmp_gt_f64_e32 vcc, s[0:1], v[14:15]
	s_waitcnt lgkmcnt(1)
	v_subbrev_co_u32_e32 v46, vcc, 0, v16, vcc
	v_sub_u32_e32 v14, 0, v46
	v_ldexp_f64 v[10:11], v[10:11], v14
	v_ldexp_f64 v[12:13], v[12:13], v14
	v_add_f64 v[14:15], v[10:11], -1.0
	v_add_f64 v[20:21], v[10:11], 1.0
	v_add_f64 v[16:17], v[14:15], 1.0
	v_add_f64 v[22:23], v[20:21], -1.0
	v_add_f64 v[16:17], v[10:11], -v[16:17]
	v_add_f64 v[10:11], v[10:11], -v[22:23]
	v_add_f64 v[10:11], v[12:13], v[10:11]
	v_add_f64 v[16:17], v[12:13], v[16:17]
	;; [unrolled: 1-line block ×3, first 2 shown]
	v_rcp_f64_e32 v[22:23], v[12:13]
	v_add_f64 v[18:19], v[14:15], v[16:17]
	v_add_f64 v[14:15], v[18:19], -v[14:15]
	v_add_f64 v[14:15], v[16:17], -v[14:15]
	;; [unrolled: 1-line block ×4, first 2 shown]
	v_fma_f64 v[16:17], -v[12:13], v[22:23], 1.0
	v_fmac_f64_e32 v[22:23], v[16:17], v[22:23]
	v_fma_f64 v[16:17], -v[12:13], v[22:23], 1.0
	v_fmac_f64_e32 v[22:23], v[16:17], v[22:23]
	v_mul_f64 v[16:17], v[18:19], v[22:23]
	v_mul_f64 v[20:21], v[12:13], v[16:17]
	v_fma_f64 v[38:39], v[16:17], v[12:13], -v[20:21]
	v_fmac_f64_e32 v[38:39], v[16:17], v[10:11]
	v_add_f64 v[42:43], v[20:21], v[38:39]
	v_add_f64 v[44:45], v[18:19], -v[42:43]
	v_add_f64 v[18:19], v[18:19], -v[44:45]
	;; [unrolled: 1-line block ×4, first 2 shown]
	v_add_f64 v[14:15], v[14:15], v[18:19]
	v_add_f64 v[18:19], v[20:21], -v[38:39]
	v_add_f64 v[14:15], v[18:19], v[14:15]
	v_add_f64 v[18:19], v[44:45], v[14:15]
	v_add_f64 v[20:21], v[44:45], -v[18:19]
	v_add_f64 v[14:15], v[14:15], v[20:21]
	v_mul_f64 v[20:21], v[22:23], v[18:19]
	v_mul_f64 v[38:39], v[12:13], v[20:21]
	v_fma_f64 v[12:13], v[20:21], v[12:13], -v[38:39]
	v_fmac_f64_e32 v[12:13], v[20:21], v[10:11]
	v_add_f64 v[10:11], v[38:39], v[12:13]
	v_add_f64 v[42:43], v[18:19], -v[10:11]
	v_add_f64 v[18:19], v[18:19], -v[42:43]
	;; [unrolled: 1-line block ×4, first 2 shown]
	v_add_f64 v[10:11], v[14:15], v[10:11]
	v_add_f64 v[12:13], v[38:39], -v[12:13]
	v_add_f64 v[10:11], v[12:13], v[10:11]
	v_add_f64 v[12:13], v[16:17], v[20:21]
	;; [unrolled: 1-line block ×3, first 2 shown]
	v_add_f64 v[14:15], v[12:13], -v[16:17]
	v_mul_f64 v[10:11], v[22:23], v[10:11]
	v_add_f64 v[14:15], v[20:21], -v[14:15]
	v_add_f64 v[10:11], v[14:15], v[10:11]
	v_add_f64 v[14:15], v[12:13], v[10:11]
	v_add_f64 v[12:13], v[14:15], -v[12:13]
	s_mov_b32 s0, 0xbf559e2b
	v_add_f64 v[10:11], v[10:11], -v[12:13]
	v_mul_f64 v[12:13], v[14:15], v[14:15]
	v_mov_b32_e32 v16, 0x6b47b09a
	v_mov_b32_e32 v17, 0x3fc38538
	s_mov_b32 s1, 0x3fc3ab76
	v_fmac_f64_e32 v[16:17], s[0:1], v[12:13]
	v_mov_b32_e32 v18, 0xd7f4df2e
	v_mov_b32_e32 v19, 0x3fc7474d
	v_fmac_f64_e32 v[18:19], v[12:13], v[16:17]
	v_mov_b32_e32 v16, 0x16291751
	v_mov_b32_e32 v17, 0x3fcc71c0
	;; [unrolled: 3-line block ×5, first 2 shown]
	v_fmac_f64_e32 v[18:19], v[12:13], v[16:17]
	v_cvt_f64_i32_e32 v[16:17], v46
	s_mov_b32 s5, 0x3fe62e42
	v_mul_f64 v[20:21], v[16:17], s[4:5]
	v_fma_f64 v[22:23], v[16:17], s[4:5], -v[20:21]
	s_mov_b32 s7, 0x3c7abc9e
	v_fmac_f64_e32 v[22:23], s[6:7], v[16:17]
	v_add_f64 v[16:17], v[20:21], v[22:23]
	v_add_f64 v[20:21], v[16:17], -v[20:21]
	v_mul_f64 v[12:13], v[14:15], v[12:13]
	v_add_f64 v[20:21], v[22:23], -v[20:21]
	v_ldexp_f64 v[22:23], v[14:15], 1
	v_mul_f64 v[12:13], v[12:13], v[18:19]
	v_add_f64 v[14:15], v[22:23], v[12:13]
	v_add_f64 v[18:19], v[14:15], -v[22:23]
	v_ldexp_f64 v[10:11], v[10:11], 1
	v_add_f64 v[12:13], v[12:13], -v[18:19]
	v_add_f64 v[10:11], v[10:11], v[12:13]
	v_add_f64 v[12:13], v[14:15], v[10:11]
	v_add_f64 v[14:15], v[12:13], -v[14:15]
	v_add_f64 v[10:11], v[10:11], -v[14:15]
	v_add_f64 v[14:15], v[16:17], v[12:13]
	v_add_f64 v[18:19], v[14:15], -v[16:17]
	v_add_f64 v[22:23], v[14:15], -v[18:19]
	;; [unrolled: 1-line block ×4, first 2 shown]
	v_add_f64 v[12:13], v[12:13], v[16:17]
	v_add_f64 v[16:17], v[20:21], v[10:11]
	v_add_f64 v[18:19], v[16:17], -v[20:21]
	v_add_f64 v[12:13], v[16:17], v[12:13]
	v_add_f64 v[22:23], v[16:17], -v[18:19]
	;; [unrolled: 2-line block ×3, first 2 shown]
	v_add_f64 v[10:11], v[10:11], -v[18:19]
	v_add_f64 v[14:15], v[16:17], -v[14:15]
	v_add_f64 v[10:11], v[10:11], v[20:21]
	v_add_f64 v[12:13], v[12:13], -v[14:15]
	s_mov_b32 s0, 0
	v_add_f64 v[10:11], v[10:11], v[12:13]
	s_mov_b32 s1, 0x7ff00000
	v_add_f64 v[10:11], v[16:17], v[10:11]
	v_cmp_eq_f64_e32 vcc, s[0:1], v[6:7]
	v_cndmask_b32_e32 v10, v10, v6, vcc
	v_cndmask_b32_e32 v11, v11, v7, vcc
	v_mov_b32_e32 v12, 0x7ff80000
	v_cmp_ngt_f64_e32 vcc, -1.0, v[6:7]
	v_cndmask_b32_e32 v11, v12, v11, vcc
	v_cmp_nge_f64_e32 vcc, -1.0, v[6:7]
	v_cndmask_b32_e32 v10, 0, v10, vcc
	v_mov_b32_e32 v12, 0xfff00000
	v_cmp_neq_f64_e32 vcc, -1.0, v[6:7]
	v_cndmask_b32_e32 v11, v12, v11, vcc
	v_add_f64 v[38:39], v[4:5], v[10:11]
.LBB49_258:
	s_or_b64 exec, exec, s[2:3]
	v_max_f64 v[4:5], v[38:39], v[38:39]
	v_min_f64 v[6:7], v[4:5], v[40:41]
	v_cmp_u_f64_e32 vcc, v[38:39], v[38:39]
	v_max_f64 v[4:5], v[4:5], v[40:41]
	v_cndmask_b32_e32 v6, v6, v38, vcc
	v_cndmask_b32_e32 v7, v7, v39, vcc
	;; [unrolled: 1-line block ×4, first 2 shown]
	v_cndmask_b32_e64 v7, v7, v9, s[16:17]
	v_cndmask_b32_e64 v6, v6, v8, s[16:17]
	;; [unrolled: 1-line block ×4, first 2 shown]
	s_movk_i32 s0, 0x1f8
	v_cmp_neq_f64_e32 vcc, v[6:7], v[4:5]
	v_cmp_class_f64_e64 s[0:1], v[6:7], s0
	s_or_b64 s[0:1], vcc, s[0:1]
	v_pk_mov_b32 v[40:41], v[38:39], v[38:39] op_sel:[0,1]
	s_and_saveexec_b64 s[2:3], s[0:1]
	s_cbranch_execz .LBB49_260
; %bb.259:
	s_mov_b32 s0, 0x652b82fe
	v_add_f64 v[6:7], v[6:7], -v[4:5]
	s_mov_b32 s1, 0x3ff71547
	v_mul_f64 v[8:9], v[6:7], s[0:1]
	v_rndne_f64_e32 v[8:9], v[8:9]
	s_mov_b32 s5, 0xbfe62e42
	s_mov_b32 s4, 0xfefa39ef
	v_fma_f64 v[10:11], s[4:5], v[8:9], v[6:7]
	s_mov_b32 s7, 0xbc7abc9e
	s_mov_b32 s6, 0x3b39803f
	s_mov_b32 s0, 0x6a5dcb37
	v_fmac_f64_e32 v[10:11], s[6:7], v[8:9]
	v_mov_b32_e32 v12, 0xfca7ab0c
	v_mov_b32_e32 v13, 0x3e928af3
	s_mov_b32 s1, 0x3e5ade15
	v_fmac_f64_e32 v[12:13], s[0:1], v[10:11]
	v_mov_b32_e32 v14, 0x623fde64
	v_mov_b32_e32 v15, 0x3ec71dee
	v_fmac_f64_e32 v[14:15], v[10:11], v[12:13]
	v_mov_b32_e32 v12, 0x7c89e6b0
	v_mov_b32_e32 v13, 0x3efa0199
	;; [unrolled: 3-line block ×8, first 2 shown]
	s_mov_b32 s0, 0
	v_fmac_f64_e32 v[12:13], v[10:11], v[14:15]
	s_mov_b32 s1, 0x40900000
	v_fma_f64 v[12:13], v[10:11], v[12:13], 1.0
	v_cmp_nlt_f64_e32 vcc, s[0:1], v[6:7]
	s_mov_b32 s0, 0
	v_fma_f64 v[10:11], v[10:11], v[12:13], 1.0
	v_cvt_i32_f64_e32 v8, v[8:9]
	s_mov_b32 s1, 0xc090cc00
	v_ldexp_f64 v[8:9], v[10:11], v8
	v_mov_b32_e32 v10, 0x7ff00000
	v_cmp_ngt_f64_e64 s[0:1], s[0:1], v[6:7]
	v_cndmask_b32_e32 v9, v10, v9, vcc
	s_and_b64 vcc, s[0:1], vcc
	v_cndmask_b32_e64 v7, 0, v9, s[0:1]
	v_cndmask_b32_e32 v6, 0, v8, vcc
	v_add_f64 v[8:9], v[6:7], 1.0
	v_add_f64 v[10:11], v[8:9], -1.0
	v_add_f64 v[12:13], v[10:11], -v[8:9]
	v_add_f64 v[12:13], v[12:13], 1.0
	v_add_f64 v[10:11], v[6:7], -v[10:11]
	s_mov_b32 s0, 0x55555555
	v_add_f64 v[10:11], v[10:11], v[12:13]
	v_frexp_mant_f64_e32 v[12:13], v[8:9]
	s_mov_b32 s1, 0x3fe55555
	v_frexp_exp_i32_f64_e32 v14, v[8:9]
	v_cmp_gt_f64_e32 vcc, s[0:1], v[12:13]
	v_subbrev_co_u32_e32 v44, vcc, 0, v14, vcc
	v_sub_u32_e32 v12, 0, v44
	v_ldexp_f64 v[8:9], v[8:9], v12
	v_ldexp_f64 v[10:11], v[10:11], v12
	v_add_f64 v[12:13], v[8:9], -1.0
	v_add_f64 v[18:19], v[8:9], 1.0
	v_add_f64 v[14:15], v[12:13], 1.0
	v_add_f64 v[20:21], v[18:19], -1.0
	v_add_f64 v[14:15], v[8:9], -v[14:15]
	v_add_f64 v[8:9], v[8:9], -v[20:21]
	v_add_f64 v[8:9], v[10:11], v[8:9]
	v_add_f64 v[14:15], v[10:11], v[14:15]
	;; [unrolled: 1-line block ×3, first 2 shown]
	v_rcp_f64_e32 v[20:21], v[10:11]
	v_add_f64 v[16:17], v[12:13], v[14:15]
	v_add_f64 v[12:13], v[16:17], -v[12:13]
	v_add_f64 v[12:13], v[14:15], -v[12:13]
	;; [unrolled: 1-line block ×4, first 2 shown]
	v_fma_f64 v[14:15], -v[10:11], v[20:21], 1.0
	v_fmac_f64_e32 v[20:21], v[14:15], v[20:21]
	v_fma_f64 v[14:15], -v[10:11], v[20:21], 1.0
	v_fmac_f64_e32 v[20:21], v[14:15], v[20:21]
	v_mul_f64 v[14:15], v[16:17], v[20:21]
	v_mul_f64 v[18:19], v[10:11], v[14:15]
	v_fma_f64 v[22:23], v[14:15], v[10:11], -v[18:19]
	v_fmac_f64_e32 v[22:23], v[14:15], v[8:9]
	v_add_f64 v[40:41], v[18:19], v[22:23]
	v_add_f64 v[42:43], v[16:17], -v[40:41]
	v_add_f64 v[16:17], v[16:17], -v[42:43]
	v_add_f64 v[18:19], v[40:41], -v[18:19]
	v_add_f64 v[16:17], v[16:17], -v[40:41]
	v_add_f64 v[12:13], v[12:13], v[16:17]
	v_add_f64 v[16:17], v[18:19], -v[22:23]
	v_add_f64 v[12:13], v[16:17], v[12:13]
	v_add_f64 v[16:17], v[42:43], v[12:13]
	v_add_f64 v[18:19], v[42:43], -v[16:17]
	v_add_f64 v[12:13], v[12:13], v[18:19]
	v_mul_f64 v[18:19], v[20:21], v[16:17]
	v_mul_f64 v[22:23], v[10:11], v[18:19]
	v_fma_f64 v[10:11], v[18:19], v[10:11], -v[22:23]
	v_fmac_f64_e32 v[10:11], v[18:19], v[8:9]
	v_add_f64 v[8:9], v[22:23], v[10:11]
	v_add_f64 v[40:41], v[16:17], -v[8:9]
	v_add_f64 v[16:17], v[16:17], -v[40:41]
	;; [unrolled: 1-line block ×4, first 2 shown]
	v_add_f64 v[8:9], v[12:13], v[8:9]
	v_add_f64 v[10:11], v[22:23], -v[10:11]
	v_add_f64 v[8:9], v[10:11], v[8:9]
	v_add_f64 v[10:11], v[14:15], v[18:19]
	;; [unrolled: 1-line block ×3, first 2 shown]
	v_add_f64 v[12:13], v[10:11], -v[14:15]
	v_mul_f64 v[8:9], v[20:21], v[8:9]
	v_add_f64 v[12:13], v[18:19], -v[12:13]
	v_add_f64 v[8:9], v[12:13], v[8:9]
	v_add_f64 v[12:13], v[10:11], v[8:9]
	v_add_f64 v[10:11], v[12:13], -v[10:11]
	s_mov_b32 s0, 0xbf559e2b
	v_add_f64 v[8:9], v[8:9], -v[10:11]
	v_mul_f64 v[10:11], v[12:13], v[12:13]
	v_mov_b32_e32 v14, 0x6b47b09a
	v_mov_b32_e32 v15, 0x3fc38538
	s_mov_b32 s1, 0x3fc3ab76
	v_fmac_f64_e32 v[14:15], s[0:1], v[10:11]
	v_mov_b32_e32 v16, 0xd7f4df2e
	v_mov_b32_e32 v17, 0x3fc7474d
	v_fmac_f64_e32 v[16:17], v[10:11], v[14:15]
	v_mov_b32_e32 v14, 0x16291751
	v_mov_b32_e32 v15, 0x3fcc71c0
	;; [unrolled: 3-line block ×5, first 2 shown]
	v_fmac_f64_e32 v[16:17], v[10:11], v[14:15]
	v_cvt_f64_i32_e32 v[14:15], v44
	s_mov_b32 s5, 0x3fe62e42
	v_mul_f64 v[18:19], v[14:15], s[4:5]
	v_fma_f64 v[20:21], v[14:15], s[4:5], -v[18:19]
	s_mov_b32 s7, 0x3c7abc9e
	v_fmac_f64_e32 v[20:21], s[6:7], v[14:15]
	v_add_f64 v[14:15], v[18:19], v[20:21]
	v_add_f64 v[18:19], v[14:15], -v[18:19]
	v_mul_f64 v[10:11], v[12:13], v[10:11]
	v_add_f64 v[18:19], v[20:21], -v[18:19]
	v_ldexp_f64 v[20:21], v[12:13], 1
	v_mul_f64 v[10:11], v[10:11], v[16:17]
	v_add_f64 v[12:13], v[20:21], v[10:11]
	v_add_f64 v[16:17], v[12:13], -v[20:21]
	v_ldexp_f64 v[8:9], v[8:9], 1
	v_add_f64 v[10:11], v[10:11], -v[16:17]
	v_add_f64 v[8:9], v[8:9], v[10:11]
	v_add_f64 v[10:11], v[12:13], v[8:9]
	v_add_f64 v[12:13], v[10:11], -v[12:13]
	v_add_f64 v[8:9], v[8:9], -v[12:13]
	v_add_f64 v[12:13], v[14:15], v[10:11]
	v_add_f64 v[16:17], v[12:13], -v[14:15]
	v_add_f64 v[20:21], v[12:13], -v[16:17]
	;; [unrolled: 1-line block ×4, first 2 shown]
	v_add_f64 v[10:11], v[10:11], v[14:15]
	v_add_f64 v[14:15], v[18:19], v[8:9]
	v_add_f64 v[16:17], v[14:15], -v[18:19]
	v_add_f64 v[10:11], v[14:15], v[10:11]
	v_add_f64 v[20:21], v[14:15], -v[16:17]
	;; [unrolled: 2-line block ×3, first 2 shown]
	v_add_f64 v[8:9], v[8:9], -v[16:17]
	v_add_f64 v[12:13], v[14:15], -v[12:13]
	v_add_f64 v[8:9], v[8:9], v[18:19]
	v_add_f64 v[10:11], v[10:11], -v[12:13]
	s_mov_b32 s0, 0
	v_add_f64 v[8:9], v[8:9], v[10:11]
	s_mov_b32 s1, 0x7ff00000
	v_add_f64 v[8:9], v[14:15], v[8:9]
	v_cmp_eq_f64_e32 vcc, s[0:1], v[6:7]
	v_cndmask_b32_e32 v8, v8, v6, vcc
	v_cndmask_b32_e32 v9, v9, v7, vcc
	v_mov_b32_e32 v10, 0x7ff80000
	v_cmp_ngt_f64_e32 vcc, -1.0, v[6:7]
	v_cndmask_b32_e32 v9, v10, v9, vcc
	v_cmp_nge_f64_e32 vcc, -1.0, v[6:7]
	v_cndmask_b32_e32 v8, 0, v8, vcc
	v_mov_b32_e32 v10, 0xfff00000
	v_cmp_neq_f64_e32 vcc, -1.0, v[6:7]
	v_cndmask_b32_e32 v9, v10, v9, vcc
	v_add_f64 v[40:41], v[4:5], v[8:9]
.LBB49_260:
	s_or_b64 exec, exec, s[2:3]
	s_movk_i32 s0, 0x7f
	v_cmp_eq_u32_e32 vcc, s0, v0
	s_and_saveexec_b64 s[0:1], vcc
	s_cbranch_execz .LBB49_262
; %bb.261:
	s_add_u32 s2, s58, 0x400
	s_addc_u32 s3, s59, 0
	v_mov_b32_e32 v6, 2
	v_mov_b32_e32 v7, 0
	;; [unrolled: 1-line block ×4, first 2 shown]
	v_pk_mov_b32 v[8:9], s[2:3], s[2:3] op_sel:[0,1]
	;;#ASMSTART
	global_store_dwordx4 v[8:9], v[4:7] off	
s_waitcnt vmcnt(0)
	;;#ASMEND
.LBB49_262:
	s_or_b64 exec, exec, s[0:1]
	v_pk_mov_b32 v[22:23], v[2:3], v[2:3] op_sel:[0,1]
.LBB49_263:
	s_add_u32 s0, s28, s34
	s_addc_u32 s1, s29, s35
	s_add_u32 s0, s0, s56
	s_addc_u32 s1, s1, s57
	s_mov_b64 s[2:3], -1
	s_and_b64 vcc, exec, s[30:31]
	s_waitcnt lgkmcnt(0)
	s_barrier
	s_cbranch_vccz .LBB49_265
; %bb.264:
	ds_write_b128 v1, v[22:25]
	ds_write_b128 v1, v[26:29] offset:16
	ds_write_b128 v1, v[30:33] offset:32
	;; [unrolled: 1-line block ×4, first 2 shown]
	s_waitcnt lgkmcnt(0)
	s_barrier
	ds_read2st64_b64 v[2:5], v92 offset1:2
	ds_read2st64_b64 v[6:9], v92 offset0:4 offset1:6
	ds_read2st64_b64 v[10:13], v92 offset0:8 offset1:10
	;; [unrolled: 1-line block ×4, first 2 shown]
	v_mov_b32_e32 v42, s1
	v_add_co_u32_e32 v43, vcc, s0, v92
	v_addc_co_u32_e32 v42, vcc, 0, v42, vcc
	s_movk_i32 s2, 0x1000
	s_waitcnt lgkmcnt(4)
	global_store_dwordx2 v92, v[2:3], s[0:1]
	global_store_dwordx2 v92, v[4:5], s[0:1] offset:1024
	s_waitcnt lgkmcnt(3)
	global_store_dwordx2 v92, v[6:7], s[0:1] offset:2048
	global_store_dwordx2 v92, v[8:9], s[0:1] offset:3072
	v_add_co_u32_e32 v2, vcc, s2, v43
	v_addc_co_u32_e32 v3, vcc, 0, v42, vcc
	s_waitcnt lgkmcnt(2)
	global_store_dwordx2 v[2:3], v[10:11], off
	global_store_dwordx2 v[2:3], v[12:13], off offset:1024
	s_waitcnt lgkmcnt(1)
	global_store_dwordx2 v[2:3], v[14:15], off offset:2048
	global_store_dwordx2 v[2:3], v[16:17], off offset:3072
	v_add_co_u32_e32 v2, vcc, 0x2000, v43
	v_addc_co_u32_e32 v3, vcc, 0, v42, vcc
	s_waitcnt lgkmcnt(0)
	global_store_dwordx2 v[2:3], v[18:19], off
	global_store_dwordx2 v[2:3], v[20:21], off offset:1024
	s_mov_b64 s[2:3], 0
.LBB49_265:
	s_andn2_b64 vcc, exec, s[2:3]
	s_cbranch_vccnz .LBB49_321
; %bb.266:
	ds_write_b128 v1, v[22:25]
	ds_write_b128 v1, v[26:29] offset:16
	ds_write_b128 v1, v[30:33] offset:32
	;; [unrolled: 1-line block ×4, first 2 shown]
	s_waitcnt lgkmcnt(0)
	s_barrier
	ds_read2st64_b64 v[2:5], v92 offset1:2
	ds_read2st64_b64 v[10:13], v92 offset0:4 offset1:6
	ds_read2st64_b64 v[6:9], v92 offset0:8 offset1:10
	;; [unrolled: 1-line block ×4, first 2 shown]
	v_mov_b32_e32 v23, s1
	v_add_co_u32_e32 v22, vcc, s0, v92
	v_addc_co_u32_e32 v23, vcc, 0, v23, vcc
	v_mov_b32_e32 v1, 0
	v_cmp_gt_u32_e32 vcc, s33, v0
	s_and_saveexec_b64 s[0:1], vcc
	s_cbranch_execz .LBB49_268
; %bb.267:
	s_waitcnt lgkmcnt(4)
	global_store_dwordx2 v[22:23], v[2:3], off
.LBB49_268:
	s_or_b64 exec, exec, s[0:1]
	v_or_b32_e32 v24, 0x80, v0
	v_cmp_gt_u32_e32 vcc, s33, v24
	s_and_saveexec_b64 s[0:1], vcc
	s_cbranch_execz .LBB49_270
; %bb.269:
	s_waitcnt lgkmcnt(4)
	global_store_dwordx2 v[22:23], v[4:5], off offset:1024
.LBB49_270:
	s_or_b64 exec, exec, s[0:1]
	v_or_b32_e32 v24, 0x100, v0
	v_cmp_gt_u32_e32 vcc, s33, v24
	s_and_saveexec_b64 s[0:1], vcc
	s_cbranch_execz .LBB49_272
; %bb.271:
	s_waitcnt lgkmcnt(3)
	global_store_dwordx2 v[22:23], v[10:11], off offset:2048
.LBB49_272:
	;; [unrolled: 9-line block ×3, first 2 shown]
	s_or_b64 exec, exec, s[0:1]
	v_or_b32_e32 v24, 0x200, v0
	v_cmp_gt_u32_e32 vcc, s33, v24
	s_and_saveexec_b64 s[0:1], vcc
	s_cbranch_execz .LBB49_276
; %bb.275:
	v_add_co_u32_e32 v24, vcc, 0x1000, v22
	v_addc_co_u32_e32 v25, vcc, 0, v23, vcc
	s_waitcnt lgkmcnt(2)
	global_store_dwordx2 v[24:25], v[6:7], off
.LBB49_276:
	s_or_b64 exec, exec, s[0:1]
	v_or_b32_e32 v24, 0x280, v0
	v_cmp_gt_u32_e32 vcc, s33, v24
	s_and_saveexec_b64 s[0:1], vcc
	s_cbranch_execz .LBB49_278
; %bb.277:
	v_add_co_u32_e32 v24, vcc, 0x1000, v22
	v_addc_co_u32_e32 v25, vcc, 0, v23, vcc
	s_waitcnt lgkmcnt(2)
	global_store_dwordx2 v[24:25], v[8:9], off offset:1024
.LBB49_278:
	s_or_b64 exec, exec, s[0:1]
	v_or_b32_e32 v24, 0x300, v0
	v_cmp_gt_u32_e32 vcc, s33, v24
	s_and_saveexec_b64 s[0:1], vcc
	s_cbranch_execz .LBB49_280
; %bb.279:
	v_add_co_u32_e32 v24, vcc, 0x1000, v22
	v_addc_co_u32_e32 v25, vcc, 0, v23, vcc
	s_waitcnt lgkmcnt(1)
	global_store_dwordx2 v[24:25], v[14:15], off offset:2048
.LBB49_280:
	;; [unrolled: 11-line block ×3, first 2 shown]
	s_or_b64 exec, exec, s[0:1]
	v_or_b32_e32 v24, 0x400, v0
	v_cmp_gt_u32_e32 vcc, s33, v24
	s_and_saveexec_b64 s[0:1], vcc
	s_cbranch_execz .LBB49_284
; %bb.283:
	v_add_co_u32_e32 v24, vcc, 0x2000, v22
	v_addc_co_u32_e32 v25, vcc, 0, v23, vcc
	s_waitcnt lgkmcnt(0)
	global_store_dwordx2 v[24:25], v[18:19], off
.LBB49_284:
	s_or_b64 exec, exec, s[0:1]
	v_or_b32_e32 v24, 0x480, v0
	v_cmp_gt_u32_e32 vcc, s33, v24
	s_and_saveexec_b64 s[0:1], vcc
	s_cbranch_execz .LBB49_286
; %bb.285:
	v_add_co_u32_e32 v22, vcc, 0x2000, v22
	v_addc_co_u32_e32 v23, vcc, 0, v23, vcc
	s_waitcnt lgkmcnt(0)
	global_store_dwordx2 v[22:23], v[20:21], off offset:1024
.LBB49_286:
	s_or_b64 exec, exec, s[0:1]
	v_cmp_lt_u64_e64 s[0:1], s[42:43], 2
	s_and_b64 vcc, exec, s[0:1]
	s_cbranch_vccnz .LBB49_321
; %bb.287:
	s_add_u32 s0, s33, -1
	s_addc_u32 s1, s68, -1
	s_add_u32 s2, 0, 0x99986000
	s_addc_u32 s3, 0, 0x59
	s_add_i32 s3, s3, 0x19999940
	s_mul_hi_u32 s7, s2, -10
	s_sub_i32 s7, s7, s2
	s_mul_i32 s8, s3, -10
	s_mul_i32 s4, s2, -10
	s_add_i32 s7, s7, s8
	s_mul_hi_u32 s5, s3, s4
	s_mul_i32 s6, s3, s4
	s_mul_i32 s9, s2, s7
	s_mul_hi_u32 s4, s2, s4
	s_mul_hi_u32 s8, s2, s7
	s_add_u32 s4, s4, s9
	s_addc_u32 s8, 0, s8
	s_add_u32 s4, s4, s6
	s_mul_hi_u32 s9, s3, s7
	s_addc_u32 s4, s8, s5
	s_addc_u32 s5, s9, 0
	s_mul_i32 s6, s3, s7
	s_add_u32 s4, s4, s6
	v_mov_b32_e32 v22, s4
	s_addc_u32 s5, 0, s5
	v_add_co_u32_e32 v22, vcc, s2, v22
	s_cmp_lg_u64 vcc, 0
	s_addc_u32 s2, s3, s5
	v_readfirstlane_b32 s5, v22
	s_mul_i32 s4, s0, s2
	s_mul_hi_u32 s6, s0, s5
	s_mul_hi_u32 s3, s0, s2
	s_add_u32 s4, s6, s4
	s_addc_u32 s3, 0, s3
	s_mul_hi_u32 s7, s1, s5
	s_mul_i32 s5, s1, s5
	s_add_u32 s4, s4, s5
	s_mul_hi_u32 s6, s1, s2
	s_addc_u32 s3, s3, s7
	s_addc_u32 s4, s6, 0
	s_mul_i32 s2, s1, s2
	s_add_u32 s2, s3, s2
	s_addc_u32 s3, 0, s4
	s_add_u32 s4, s2, 1
	s_addc_u32 s5, s3, 0
	s_add_u32 s6, s2, 2
	s_mul_i32 s8, s3, 10
	s_mul_hi_u32 s9, s2, 10
	s_addc_u32 s7, s3, 0
	s_add_i32 s9, s9, s8
	s_mul_i32 s8, s2, 10
	v_mov_b32_e32 v22, s8
	v_sub_co_u32_e32 v22, vcc, s0, v22
	s_cmp_lg_u64 vcc, 0
	s_subb_u32 s8, s1, s9
	v_subrev_co_u32_e32 v23, vcc, 10, v22
	s_cmp_lg_u64 vcc, 0
	s_subb_u32 s9, s8, 0
	v_readfirstlane_b32 s10, v23
	s_cmp_gt_u32 s10, 9
	s_cselect_b32 s10, -1, 0
	s_cmp_eq_u32 s9, 0
	s_cselect_b32 s9, s10, -1
	s_cmp_lg_u32 s9, 0
	s_cselect_b32 s4, s6, s4
	v_readfirstlane_b32 s6, v22
	s_cselect_b32 s5, s7, s5
	s_cmp_gt_u32 s6, 9
	s_cselect_b32 s6, -1, 0
	s_cmp_eq_u32 s8, 0
	s_cselect_b32 s6, s6, -1
	s_cmp_lg_u32 s6, 0
	s_cselect_b32 s3, s5, s3
	s_cselect_b32 s2, s4, s2
	v_cmp_eq_u64_e32 vcc, s[2:3], v[0:1]
	s_and_saveexec_b64 s[2:3], vcc
	s_cbranch_execz .LBB49_321
; %bb.288:
	v_mul_hi_u32_u24_e32 v1, 10, v0
	v_mov_b32_e32 v22, s1
	v_sub_co_u32_e32 v0, vcc, s0, v93
	v_subb_co_u32_e32 v1, vcc, v22, v1, vcc
	v_cmp_lt_i64_e32 vcc, 4, v[0:1]
	s_and_saveexec_b64 s[0:1], vcc
	s_xor_b64 s[0:1], exec, s[0:1]
	s_cbranch_execz .LBB49_306
; %bb.289:
	v_cmp_lt_i64_e32 vcc, 6, v[0:1]
	s_and_saveexec_b64 s[2:3], vcc
	s_xor_b64 s[2:3], exec, s[2:3]
	s_cbranch_execz .LBB49_299
; %bb.290:
	;; [unrolled: 5-line block ×4, first 2 shown]
	v_mov_b32_e32 v0, 0
	s_waitcnt lgkmcnt(0)
	global_store_dwordx2 v0, v[20:21], s[38:39]
                                        ; implicit-def: $vgpr18_vgpr19_vgpr20_vgpr21
.LBB49_293:
	s_andn2_saveexec_b64 s[6:7], s[6:7]
	s_cbranch_execz .LBB49_295
; %bb.294:
	v_mov_b32_e32 v0, 0
	s_waitcnt lgkmcnt(0)
	global_store_dwordx2 v0, v[18:19], s[38:39]
.LBB49_295:
	s_or_b64 exec, exec, s[6:7]
                                        ; implicit-def: $vgpr14_vgpr15_vgpr16_vgpr17
.LBB49_296:
	s_andn2_saveexec_b64 s[4:5], s[4:5]
	s_cbranch_execz .LBB49_298
; %bb.297:
	v_mov_b32_e32 v0, 0
	s_waitcnt lgkmcnt(1)
	global_store_dwordx2 v0, v[16:17], s[38:39]
.LBB49_298:
	s_or_b64 exec, exec, s[4:5]
                                        ; implicit-def: $vgpr6_vgpr7_vgpr8_vgpr9
                                        ; implicit-def: $vgpr0_vgpr1
                                        ; implicit-def: $vgpr14_vgpr15_vgpr16_vgpr17
.LBB49_299:
	s_andn2_saveexec_b64 s[2:3], s[2:3]
	s_cbranch_execz .LBB49_305
; %bb.300:
	v_cmp_lt_i64_e32 vcc, 5, v[0:1]
	s_and_saveexec_b64 s[4:5], vcc
	s_xor_b64 s[4:5], exec, s[4:5]
	s_cbranch_execz .LBB49_302
; %bb.301:
	v_mov_b32_e32 v0, 0
	s_waitcnt lgkmcnt(1)
	global_store_dwordx2 v0, v[14:15], s[38:39]
                                        ; implicit-def: $vgpr6_vgpr7_vgpr8_vgpr9
.LBB49_302:
	s_andn2_saveexec_b64 s[4:5], s[4:5]
	s_cbranch_execz .LBB49_304
; %bb.303:
	v_mov_b32_e32 v0, 0
	s_waitcnt lgkmcnt(2)
	global_store_dwordx2 v0, v[8:9], s[38:39]
.LBB49_304:
	s_or_b64 exec, exec, s[4:5]
.LBB49_305:
	s_or_b64 exec, exec, s[2:3]
                                        ; implicit-def: $vgpr0_vgpr1
                                        ; implicit-def: $vgpr10_vgpr11_vgpr12_vgpr13
                                        ; implicit-def: $vgpr2_vgpr3_vgpr4_vgpr5
                                        ; implicit-def: $vgpr6_vgpr7_vgpr8_vgpr9
.LBB49_306:
	s_andn2_saveexec_b64 s[0:1], s[0:1]
	s_cbranch_execz .LBB49_321
; %bb.307:
	v_cmp_lt_i64_e32 vcc, 2, v[0:1]
	s_and_saveexec_b64 s[0:1], vcc
	s_xor_b64 s[0:1], exec, s[0:1]
	s_cbranch_execz .LBB49_313
; %bb.308:
	v_cmp_lt_i64_e32 vcc, 3, v[0:1]
	s_and_saveexec_b64 s[2:3], vcc
	s_xor_b64 s[2:3], exec, s[2:3]
	s_cbranch_execz .LBB49_310
; %bb.309:
	v_mov_b32_e32 v0, 0
	s_waitcnt lgkmcnt(2)
	global_store_dwordx2 v0, v[6:7], s[38:39]
                                        ; implicit-def: $vgpr10_vgpr11_vgpr12_vgpr13
.LBB49_310:
	s_andn2_saveexec_b64 s[2:3], s[2:3]
	s_cbranch_execz .LBB49_312
; %bb.311:
	v_mov_b32_e32 v0, 0
	s_waitcnt lgkmcnt(3)
	global_store_dwordx2 v0, v[12:13], s[38:39]
.LBB49_312:
	s_or_b64 exec, exec, s[2:3]
                                        ; implicit-def: $vgpr0_vgpr1
                                        ; implicit-def: $vgpr10_vgpr11_vgpr12_vgpr13
                                        ; implicit-def: $vgpr2_vgpr3_vgpr4_vgpr5
.LBB49_313:
	s_andn2_saveexec_b64 s[0:1], s[0:1]
	s_cbranch_execz .LBB49_321
; %bb.314:
	v_cmp_lt_i64_e32 vcc, 1, v[0:1]
	s_and_saveexec_b64 s[0:1], vcc
	s_xor_b64 s[0:1], exec, s[0:1]
	s_cbranch_execz .LBB49_316
; %bb.315:
	v_mov_b32_e32 v0, 0
	s_waitcnt lgkmcnt(3)
	global_store_dwordx2 v0, v[10:11], s[38:39]
                                        ; implicit-def: $vgpr2_vgpr3_vgpr4_vgpr5
                                        ; implicit-def: $vgpr0_vgpr1
.LBB49_316:
	s_andn2_saveexec_b64 s[0:1], s[0:1]
	s_cbranch_execz .LBB49_321
; %bb.317:
	v_cmp_ne_u64_e32 vcc, 1, v[0:1]
	s_and_saveexec_b64 s[0:1], vcc
	s_xor_b64 s[0:1], exec, s[0:1]
	s_cbranch_execz .LBB49_319
; %bb.318:
	v_mov_b32_e32 v0, 0
	s_waitcnt lgkmcnt(4)
	global_store_dwordx2 v0, v[2:3], s[38:39]
                                        ; implicit-def: $vgpr2_vgpr3_vgpr4_vgpr5
.LBB49_319:
	s_andn2_saveexec_b64 s[0:1], s[0:1]
	s_cbranch_execz .LBB49_321
; %bb.320:
	v_mov_b32_e32 v0, 0
	s_waitcnt lgkmcnt(4)
	global_store_dwordx2 v0, v[4:5], s[38:39]
.LBB49_321:
	s_endpgm
	.section	.rodata,"a",@progbits
	.p2align	6, 0x0
	.amdhsa_kernel _ZN7rocprim17ROCPRIM_400000_NS6detail17trampoline_kernelINS0_14default_configENS1_20scan_config_selectorIdEEZZNS1_9scan_implILNS1_25lookback_scan_determinismE0ELb0ELb0ES3_PKdPddZZZN2at6native31launch_logcumsumexp_cuda_kernelERKNSB_10TensorBaseESF_lENKUlvE_clEvENKUlvE_clEvEUlddE_dEEDaPvRmT3_T4_T5_mT6_P12ihipStream_tbENKUlT_T0_E_clISt17integral_constantIbLb1EESV_IbLb0EEEEDaSR_SS_EUlSR_E_NS1_11comp_targetILNS1_3genE4ELNS1_11target_archE910ELNS1_3gpuE8ELNS1_3repE0EEENS1_30default_config_static_selectorELNS0_4arch9wavefront6targetE1EEEvT1_
		.amdhsa_group_segment_fixed_size 10240
		.amdhsa_private_segment_fixed_size 0
		.amdhsa_kernarg_size 104
		.amdhsa_user_sgpr_count 6
		.amdhsa_user_sgpr_private_segment_buffer 1
		.amdhsa_user_sgpr_dispatch_ptr 0
		.amdhsa_user_sgpr_queue_ptr 0
		.amdhsa_user_sgpr_kernarg_segment_ptr 1
		.amdhsa_user_sgpr_dispatch_id 0
		.amdhsa_user_sgpr_flat_scratch_init 0
		.amdhsa_user_sgpr_kernarg_preload_length 0
		.amdhsa_user_sgpr_kernarg_preload_offset 0
		.amdhsa_user_sgpr_private_segment_size 0
		.amdhsa_uses_dynamic_stack 0
		.amdhsa_system_sgpr_private_segment_wavefront_offset 0
		.amdhsa_system_sgpr_workgroup_id_x 1
		.amdhsa_system_sgpr_workgroup_id_y 0
		.amdhsa_system_sgpr_workgroup_id_z 0
		.amdhsa_system_sgpr_workgroup_info 0
		.amdhsa_system_vgpr_workitem_id 0
		.amdhsa_next_free_vgpr 129
		.amdhsa_next_free_sgpr 69
		.amdhsa_accum_offset 132
		.amdhsa_reserve_vcc 1
		.amdhsa_reserve_flat_scratch 0
		.amdhsa_float_round_mode_32 0
		.amdhsa_float_round_mode_16_64 0
		.amdhsa_float_denorm_mode_32 3
		.amdhsa_float_denorm_mode_16_64 3
		.amdhsa_dx10_clamp 1
		.amdhsa_ieee_mode 1
		.amdhsa_fp16_overflow 0
		.amdhsa_tg_split 0
		.amdhsa_exception_fp_ieee_invalid_op 0
		.amdhsa_exception_fp_denorm_src 0
		.amdhsa_exception_fp_ieee_div_zero 0
		.amdhsa_exception_fp_ieee_overflow 0
		.amdhsa_exception_fp_ieee_underflow 0
		.amdhsa_exception_fp_ieee_inexact 0
		.amdhsa_exception_int_div_zero 0
	.end_amdhsa_kernel
	.section	.text._ZN7rocprim17ROCPRIM_400000_NS6detail17trampoline_kernelINS0_14default_configENS1_20scan_config_selectorIdEEZZNS1_9scan_implILNS1_25lookback_scan_determinismE0ELb0ELb0ES3_PKdPddZZZN2at6native31launch_logcumsumexp_cuda_kernelERKNSB_10TensorBaseESF_lENKUlvE_clEvENKUlvE_clEvEUlddE_dEEDaPvRmT3_T4_T5_mT6_P12ihipStream_tbENKUlT_T0_E_clISt17integral_constantIbLb1EESV_IbLb0EEEEDaSR_SS_EUlSR_E_NS1_11comp_targetILNS1_3genE4ELNS1_11target_archE910ELNS1_3gpuE8ELNS1_3repE0EEENS1_30default_config_static_selectorELNS0_4arch9wavefront6targetE1EEEvT1_,"axG",@progbits,_ZN7rocprim17ROCPRIM_400000_NS6detail17trampoline_kernelINS0_14default_configENS1_20scan_config_selectorIdEEZZNS1_9scan_implILNS1_25lookback_scan_determinismE0ELb0ELb0ES3_PKdPddZZZN2at6native31launch_logcumsumexp_cuda_kernelERKNSB_10TensorBaseESF_lENKUlvE_clEvENKUlvE_clEvEUlddE_dEEDaPvRmT3_T4_T5_mT6_P12ihipStream_tbENKUlT_T0_E_clISt17integral_constantIbLb1EESV_IbLb0EEEEDaSR_SS_EUlSR_E_NS1_11comp_targetILNS1_3genE4ELNS1_11target_archE910ELNS1_3gpuE8ELNS1_3repE0EEENS1_30default_config_static_selectorELNS0_4arch9wavefront6targetE1EEEvT1_,comdat
.Lfunc_end49:
	.size	_ZN7rocprim17ROCPRIM_400000_NS6detail17trampoline_kernelINS0_14default_configENS1_20scan_config_selectorIdEEZZNS1_9scan_implILNS1_25lookback_scan_determinismE0ELb0ELb0ES3_PKdPddZZZN2at6native31launch_logcumsumexp_cuda_kernelERKNSB_10TensorBaseESF_lENKUlvE_clEvENKUlvE_clEvEUlddE_dEEDaPvRmT3_T4_T5_mT6_P12ihipStream_tbENKUlT_T0_E_clISt17integral_constantIbLb1EESV_IbLb0EEEEDaSR_SS_EUlSR_E_NS1_11comp_targetILNS1_3genE4ELNS1_11target_archE910ELNS1_3gpuE8ELNS1_3repE0EEENS1_30default_config_static_selectorELNS0_4arch9wavefront6targetE1EEEvT1_, .Lfunc_end49-_ZN7rocprim17ROCPRIM_400000_NS6detail17trampoline_kernelINS0_14default_configENS1_20scan_config_selectorIdEEZZNS1_9scan_implILNS1_25lookback_scan_determinismE0ELb0ELb0ES3_PKdPddZZZN2at6native31launch_logcumsumexp_cuda_kernelERKNSB_10TensorBaseESF_lENKUlvE_clEvENKUlvE_clEvEUlddE_dEEDaPvRmT3_T4_T5_mT6_P12ihipStream_tbENKUlT_T0_E_clISt17integral_constantIbLb1EESV_IbLb0EEEEDaSR_SS_EUlSR_E_NS1_11comp_targetILNS1_3genE4ELNS1_11target_archE910ELNS1_3gpuE8ELNS1_3repE0EEENS1_30default_config_static_selectorELNS0_4arch9wavefront6targetE1EEEvT1_
                                        ; -- End function
	.section	.AMDGPU.csdata,"",@progbits
; Kernel info:
; codeLenInByte = 111764
; NumSgprs: 73
; NumVgprs: 129
; NumAgprs: 0
; TotalNumVgprs: 129
; ScratchSize: 0
; MemoryBound: 0
; FloatMode: 240
; IeeeMode: 1
; LDSByteSize: 10240 bytes/workgroup (compile time only)
; SGPRBlocks: 9
; VGPRBlocks: 16
; NumSGPRsForWavesPerEU: 73
; NumVGPRsForWavesPerEU: 129
; AccumOffset: 132
; Occupancy: 3
; WaveLimiterHint : 1
; COMPUTE_PGM_RSRC2:SCRATCH_EN: 0
; COMPUTE_PGM_RSRC2:USER_SGPR: 6
; COMPUTE_PGM_RSRC2:TRAP_HANDLER: 0
; COMPUTE_PGM_RSRC2:TGID_X_EN: 1
; COMPUTE_PGM_RSRC2:TGID_Y_EN: 0
; COMPUTE_PGM_RSRC2:TGID_Z_EN: 0
; COMPUTE_PGM_RSRC2:TIDIG_COMP_CNT: 0
; COMPUTE_PGM_RSRC3_GFX90A:ACCUM_OFFSET: 32
; COMPUTE_PGM_RSRC3_GFX90A:TG_SPLIT: 0
	.section	.text._ZN7rocprim17ROCPRIM_400000_NS6detail17trampoline_kernelINS0_14default_configENS1_20scan_config_selectorIdEEZZNS1_9scan_implILNS1_25lookback_scan_determinismE0ELb0ELb0ES3_PKdPddZZZN2at6native31launch_logcumsumexp_cuda_kernelERKNSB_10TensorBaseESF_lENKUlvE_clEvENKUlvE_clEvEUlddE_dEEDaPvRmT3_T4_T5_mT6_P12ihipStream_tbENKUlT_T0_E_clISt17integral_constantIbLb1EESV_IbLb0EEEEDaSR_SS_EUlSR_E_NS1_11comp_targetILNS1_3genE3ELNS1_11target_archE908ELNS1_3gpuE7ELNS1_3repE0EEENS1_30default_config_static_selectorELNS0_4arch9wavefront6targetE1EEEvT1_,"axG",@progbits,_ZN7rocprim17ROCPRIM_400000_NS6detail17trampoline_kernelINS0_14default_configENS1_20scan_config_selectorIdEEZZNS1_9scan_implILNS1_25lookback_scan_determinismE0ELb0ELb0ES3_PKdPddZZZN2at6native31launch_logcumsumexp_cuda_kernelERKNSB_10TensorBaseESF_lENKUlvE_clEvENKUlvE_clEvEUlddE_dEEDaPvRmT3_T4_T5_mT6_P12ihipStream_tbENKUlT_T0_E_clISt17integral_constantIbLb1EESV_IbLb0EEEEDaSR_SS_EUlSR_E_NS1_11comp_targetILNS1_3genE3ELNS1_11target_archE908ELNS1_3gpuE7ELNS1_3repE0EEENS1_30default_config_static_selectorELNS0_4arch9wavefront6targetE1EEEvT1_,comdat
	.globl	_ZN7rocprim17ROCPRIM_400000_NS6detail17trampoline_kernelINS0_14default_configENS1_20scan_config_selectorIdEEZZNS1_9scan_implILNS1_25lookback_scan_determinismE0ELb0ELb0ES3_PKdPddZZZN2at6native31launch_logcumsumexp_cuda_kernelERKNSB_10TensorBaseESF_lENKUlvE_clEvENKUlvE_clEvEUlddE_dEEDaPvRmT3_T4_T5_mT6_P12ihipStream_tbENKUlT_T0_E_clISt17integral_constantIbLb1EESV_IbLb0EEEEDaSR_SS_EUlSR_E_NS1_11comp_targetILNS1_3genE3ELNS1_11target_archE908ELNS1_3gpuE7ELNS1_3repE0EEENS1_30default_config_static_selectorELNS0_4arch9wavefront6targetE1EEEvT1_ ; -- Begin function _ZN7rocprim17ROCPRIM_400000_NS6detail17trampoline_kernelINS0_14default_configENS1_20scan_config_selectorIdEEZZNS1_9scan_implILNS1_25lookback_scan_determinismE0ELb0ELb0ES3_PKdPddZZZN2at6native31launch_logcumsumexp_cuda_kernelERKNSB_10TensorBaseESF_lENKUlvE_clEvENKUlvE_clEvEUlddE_dEEDaPvRmT3_T4_T5_mT6_P12ihipStream_tbENKUlT_T0_E_clISt17integral_constantIbLb1EESV_IbLb0EEEEDaSR_SS_EUlSR_E_NS1_11comp_targetILNS1_3genE3ELNS1_11target_archE908ELNS1_3gpuE7ELNS1_3repE0EEENS1_30default_config_static_selectorELNS0_4arch9wavefront6targetE1EEEvT1_
	.p2align	8
	.type	_ZN7rocprim17ROCPRIM_400000_NS6detail17trampoline_kernelINS0_14default_configENS1_20scan_config_selectorIdEEZZNS1_9scan_implILNS1_25lookback_scan_determinismE0ELb0ELb0ES3_PKdPddZZZN2at6native31launch_logcumsumexp_cuda_kernelERKNSB_10TensorBaseESF_lENKUlvE_clEvENKUlvE_clEvEUlddE_dEEDaPvRmT3_T4_T5_mT6_P12ihipStream_tbENKUlT_T0_E_clISt17integral_constantIbLb1EESV_IbLb0EEEEDaSR_SS_EUlSR_E_NS1_11comp_targetILNS1_3genE3ELNS1_11target_archE908ELNS1_3gpuE7ELNS1_3repE0EEENS1_30default_config_static_selectorELNS0_4arch9wavefront6targetE1EEEvT1_,@function
_ZN7rocprim17ROCPRIM_400000_NS6detail17trampoline_kernelINS0_14default_configENS1_20scan_config_selectorIdEEZZNS1_9scan_implILNS1_25lookback_scan_determinismE0ELb0ELb0ES3_PKdPddZZZN2at6native31launch_logcumsumexp_cuda_kernelERKNSB_10TensorBaseESF_lENKUlvE_clEvENKUlvE_clEvEUlddE_dEEDaPvRmT3_T4_T5_mT6_P12ihipStream_tbENKUlT_T0_E_clISt17integral_constantIbLb1EESV_IbLb0EEEEDaSR_SS_EUlSR_E_NS1_11comp_targetILNS1_3genE3ELNS1_11target_archE908ELNS1_3gpuE7ELNS1_3repE0EEENS1_30default_config_static_selectorELNS0_4arch9wavefront6targetE1EEEvT1_: ; @_ZN7rocprim17ROCPRIM_400000_NS6detail17trampoline_kernelINS0_14default_configENS1_20scan_config_selectorIdEEZZNS1_9scan_implILNS1_25lookback_scan_determinismE0ELb0ELb0ES3_PKdPddZZZN2at6native31launch_logcumsumexp_cuda_kernelERKNSB_10TensorBaseESF_lENKUlvE_clEvENKUlvE_clEvEUlddE_dEEDaPvRmT3_T4_T5_mT6_P12ihipStream_tbENKUlT_T0_E_clISt17integral_constantIbLb1EESV_IbLb0EEEEDaSR_SS_EUlSR_E_NS1_11comp_targetILNS1_3genE3ELNS1_11target_archE908ELNS1_3gpuE7ELNS1_3repE0EEENS1_30default_config_static_selectorELNS0_4arch9wavefront6targetE1EEEvT1_
; %bb.0:
	.section	.rodata,"a",@progbits
	.p2align	6, 0x0
	.amdhsa_kernel _ZN7rocprim17ROCPRIM_400000_NS6detail17trampoline_kernelINS0_14default_configENS1_20scan_config_selectorIdEEZZNS1_9scan_implILNS1_25lookback_scan_determinismE0ELb0ELb0ES3_PKdPddZZZN2at6native31launch_logcumsumexp_cuda_kernelERKNSB_10TensorBaseESF_lENKUlvE_clEvENKUlvE_clEvEUlddE_dEEDaPvRmT3_T4_T5_mT6_P12ihipStream_tbENKUlT_T0_E_clISt17integral_constantIbLb1EESV_IbLb0EEEEDaSR_SS_EUlSR_E_NS1_11comp_targetILNS1_3genE3ELNS1_11target_archE908ELNS1_3gpuE7ELNS1_3repE0EEENS1_30default_config_static_selectorELNS0_4arch9wavefront6targetE1EEEvT1_
		.amdhsa_group_segment_fixed_size 0
		.amdhsa_private_segment_fixed_size 0
		.amdhsa_kernarg_size 104
		.amdhsa_user_sgpr_count 6
		.amdhsa_user_sgpr_private_segment_buffer 1
		.amdhsa_user_sgpr_dispatch_ptr 0
		.amdhsa_user_sgpr_queue_ptr 0
		.amdhsa_user_sgpr_kernarg_segment_ptr 1
		.amdhsa_user_sgpr_dispatch_id 0
		.amdhsa_user_sgpr_flat_scratch_init 0
		.amdhsa_user_sgpr_kernarg_preload_length 0
		.amdhsa_user_sgpr_kernarg_preload_offset 0
		.amdhsa_user_sgpr_private_segment_size 0
		.amdhsa_uses_dynamic_stack 0
		.amdhsa_system_sgpr_private_segment_wavefront_offset 0
		.amdhsa_system_sgpr_workgroup_id_x 1
		.amdhsa_system_sgpr_workgroup_id_y 0
		.amdhsa_system_sgpr_workgroup_id_z 0
		.amdhsa_system_sgpr_workgroup_info 0
		.amdhsa_system_vgpr_workitem_id 0
		.amdhsa_next_free_vgpr 1
		.amdhsa_next_free_sgpr 0
		.amdhsa_accum_offset 4
		.amdhsa_reserve_vcc 0
		.amdhsa_reserve_flat_scratch 0
		.amdhsa_float_round_mode_32 0
		.amdhsa_float_round_mode_16_64 0
		.amdhsa_float_denorm_mode_32 3
		.amdhsa_float_denorm_mode_16_64 3
		.amdhsa_dx10_clamp 1
		.amdhsa_ieee_mode 1
		.amdhsa_fp16_overflow 0
		.amdhsa_tg_split 0
		.amdhsa_exception_fp_ieee_invalid_op 0
		.amdhsa_exception_fp_denorm_src 0
		.amdhsa_exception_fp_ieee_div_zero 0
		.amdhsa_exception_fp_ieee_overflow 0
		.amdhsa_exception_fp_ieee_underflow 0
		.amdhsa_exception_fp_ieee_inexact 0
		.amdhsa_exception_int_div_zero 0
	.end_amdhsa_kernel
	.section	.text._ZN7rocprim17ROCPRIM_400000_NS6detail17trampoline_kernelINS0_14default_configENS1_20scan_config_selectorIdEEZZNS1_9scan_implILNS1_25lookback_scan_determinismE0ELb0ELb0ES3_PKdPddZZZN2at6native31launch_logcumsumexp_cuda_kernelERKNSB_10TensorBaseESF_lENKUlvE_clEvENKUlvE_clEvEUlddE_dEEDaPvRmT3_T4_T5_mT6_P12ihipStream_tbENKUlT_T0_E_clISt17integral_constantIbLb1EESV_IbLb0EEEEDaSR_SS_EUlSR_E_NS1_11comp_targetILNS1_3genE3ELNS1_11target_archE908ELNS1_3gpuE7ELNS1_3repE0EEENS1_30default_config_static_selectorELNS0_4arch9wavefront6targetE1EEEvT1_,"axG",@progbits,_ZN7rocprim17ROCPRIM_400000_NS6detail17trampoline_kernelINS0_14default_configENS1_20scan_config_selectorIdEEZZNS1_9scan_implILNS1_25lookback_scan_determinismE0ELb0ELb0ES3_PKdPddZZZN2at6native31launch_logcumsumexp_cuda_kernelERKNSB_10TensorBaseESF_lENKUlvE_clEvENKUlvE_clEvEUlddE_dEEDaPvRmT3_T4_T5_mT6_P12ihipStream_tbENKUlT_T0_E_clISt17integral_constantIbLb1EESV_IbLb0EEEEDaSR_SS_EUlSR_E_NS1_11comp_targetILNS1_3genE3ELNS1_11target_archE908ELNS1_3gpuE7ELNS1_3repE0EEENS1_30default_config_static_selectorELNS0_4arch9wavefront6targetE1EEEvT1_,comdat
.Lfunc_end50:
	.size	_ZN7rocprim17ROCPRIM_400000_NS6detail17trampoline_kernelINS0_14default_configENS1_20scan_config_selectorIdEEZZNS1_9scan_implILNS1_25lookback_scan_determinismE0ELb0ELb0ES3_PKdPddZZZN2at6native31launch_logcumsumexp_cuda_kernelERKNSB_10TensorBaseESF_lENKUlvE_clEvENKUlvE_clEvEUlddE_dEEDaPvRmT3_T4_T5_mT6_P12ihipStream_tbENKUlT_T0_E_clISt17integral_constantIbLb1EESV_IbLb0EEEEDaSR_SS_EUlSR_E_NS1_11comp_targetILNS1_3genE3ELNS1_11target_archE908ELNS1_3gpuE7ELNS1_3repE0EEENS1_30default_config_static_selectorELNS0_4arch9wavefront6targetE1EEEvT1_, .Lfunc_end50-_ZN7rocprim17ROCPRIM_400000_NS6detail17trampoline_kernelINS0_14default_configENS1_20scan_config_selectorIdEEZZNS1_9scan_implILNS1_25lookback_scan_determinismE0ELb0ELb0ES3_PKdPddZZZN2at6native31launch_logcumsumexp_cuda_kernelERKNSB_10TensorBaseESF_lENKUlvE_clEvENKUlvE_clEvEUlddE_dEEDaPvRmT3_T4_T5_mT6_P12ihipStream_tbENKUlT_T0_E_clISt17integral_constantIbLb1EESV_IbLb0EEEEDaSR_SS_EUlSR_E_NS1_11comp_targetILNS1_3genE3ELNS1_11target_archE908ELNS1_3gpuE7ELNS1_3repE0EEENS1_30default_config_static_selectorELNS0_4arch9wavefront6targetE1EEEvT1_
                                        ; -- End function
	.section	.AMDGPU.csdata,"",@progbits
; Kernel info:
; codeLenInByte = 0
; NumSgprs: 4
; NumVgprs: 0
; NumAgprs: 0
; TotalNumVgprs: 0
; ScratchSize: 0
; MemoryBound: 0
; FloatMode: 240
; IeeeMode: 1
; LDSByteSize: 0 bytes/workgroup (compile time only)
; SGPRBlocks: 0
; VGPRBlocks: 0
; NumSGPRsForWavesPerEU: 4
; NumVGPRsForWavesPerEU: 1
; AccumOffset: 4
; Occupancy: 8
; WaveLimiterHint : 0
; COMPUTE_PGM_RSRC2:SCRATCH_EN: 0
; COMPUTE_PGM_RSRC2:USER_SGPR: 6
; COMPUTE_PGM_RSRC2:TRAP_HANDLER: 0
; COMPUTE_PGM_RSRC2:TGID_X_EN: 1
; COMPUTE_PGM_RSRC2:TGID_Y_EN: 0
; COMPUTE_PGM_RSRC2:TGID_Z_EN: 0
; COMPUTE_PGM_RSRC2:TIDIG_COMP_CNT: 0
; COMPUTE_PGM_RSRC3_GFX90A:ACCUM_OFFSET: 0
; COMPUTE_PGM_RSRC3_GFX90A:TG_SPLIT: 0
	.section	.text._ZN7rocprim17ROCPRIM_400000_NS6detail17trampoline_kernelINS0_14default_configENS1_20scan_config_selectorIdEEZZNS1_9scan_implILNS1_25lookback_scan_determinismE0ELb0ELb0ES3_PKdPddZZZN2at6native31launch_logcumsumexp_cuda_kernelERKNSB_10TensorBaseESF_lENKUlvE_clEvENKUlvE_clEvEUlddE_dEEDaPvRmT3_T4_T5_mT6_P12ihipStream_tbENKUlT_T0_E_clISt17integral_constantIbLb1EESV_IbLb0EEEEDaSR_SS_EUlSR_E_NS1_11comp_targetILNS1_3genE2ELNS1_11target_archE906ELNS1_3gpuE6ELNS1_3repE0EEENS1_30default_config_static_selectorELNS0_4arch9wavefront6targetE1EEEvT1_,"axG",@progbits,_ZN7rocprim17ROCPRIM_400000_NS6detail17trampoline_kernelINS0_14default_configENS1_20scan_config_selectorIdEEZZNS1_9scan_implILNS1_25lookback_scan_determinismE0ELb0ELb0ES3_PKdPddZZZN2at6native31launch_logcumsumexp_cuda_kernelERKNSB_10TensorBaseESF_lENKUlvE_clEvENKUlvE_clEvEUlddE_dEEDaPvRmT3_T4_T5_mT6_P12ihipStream_tbENKUlT_T0_E_clISt17integral_constantIbLb1EESV_IbLb0EEEEDaSR_SS_EUlSR_E_NS1_11comp_targetILNS1_3genE2ELNS1_11target_archE906ELNS1_3gpuE6ELNS1_3repE0EEENS1_30default_config_static_selectorELNS0_4arch9wavefront6targetE1EEEvT1_,comdat
	.globl	_ZN7rocprim17ROCPRIM_400000_NS6detail17trampoline_kernelINS0_14default_configENS1_20scan_config_selectorIdEEZZNS1_9scan_implILNS1_25lookback_scan_determinismE0ELb0ELb0ES3_PKdPddZZZN2at6native31launch_logcumsumexp_cuda_kernelERKNSB_10TensorBaseESF_lENKUlvE_clEvENKUlvE_clEvEUlddE_dEEDaPvRmT3_T4_T5_mT6_P12ihipStream_tbENKUlT_T0_E_clISt17integral_constantIbLb1EESV_IbLb0EEEEDaSR_SS_EUlSR_E_NS1_11comp_targetILNS1_3genE2ELNS1_11target_archE906ELNS1_3gpuE6ELNS1_3repE0EEENS1_30default_config_static_selectorELNS0_4arch9wavefront6targetE1EEEvT1_ ; -- Begin function _ZN7rocprim17ROCPRIM_400000_NS6detail17trampoline_kernelINS0_14default_configENS1_20scan_config_selectorIdEEZZNS1_9scan_implILNS1_25lookback_scan_determinismE0ELb0ELb0ES3_PKdPddZZZN2at6native31launch_logcumsumexp_cuda_kernelERKNSB_10TensorBaseESF_lENKUlvE_clEvENKUlvE_clEvEUlddE_dEEDaPvRmT3_T4_T5_mT6_P12ihipStream_tbENKUlT_T0_E_clISt17integral_constantIbLb1EESV_IbLb0EEEEDaSR_SS_EUlSR_E_NS1_11comp_targetILNS1_3genE2ELNS1_11target_archE906ELNS1_3gpuE6ELNS1_3repE0EEENS1_30default_config_static_selectorELNS0_4arch9wavefront6targetE1EEEvT1_
	.p2align	8
	.type	_ZN7rocprim17ROCPRIM_400000_NS6detail17trampoline_kernelINS0_14default_configENS1_20scan_config_selectorIdEEZZNS1_9scan_implILNS1_25lookback_scan_determinismE0ELb0ELb0ES3_PKdPddZZZN2at6native31launch_logcumsumexp_cuda_kernelERKNSB_10TensorBaseESF_lENKUlvE_clEvENKUlvE_clEvEUlddE_dEEDaPvRmT3_T4_T5_mT6_P12ihipStream_tbENKUlT_T0_E_clISt17integral_constantIbLb1EESV_IbLb0EEEEDaSR_SS_EUlSR_E_NS1_11comp_targetILNS1_3genE2ELNS1_11target_archE906ELNS1_3gpuE6ELNS1_3repE0EEENS1_30default_config_static_selectorELNS0_4arch9wavefront6targetE1EEEvT1_,@function
_ZN7rocprim17ROCPRIM_400000_NS6detail17trampoline_kernelINS0_14default_configENS1_20scan_config_selectorIdEEZZNS1_9scan_implILNS1_25lookback_scan_determinismE0ELb0ELb0ES3_PKdPddZZZN2at6native31launch_logcumsumexp_cuda_kernelERKNSB_10TensorBaseESF_lENKUlvE_clEvENKUlvE_clEvEUlddE_dEEDaPvRmT3_T4_T5_mT6_P12ihipStream_tbENKUlT_T0_E_clISt17integral_constantIbLb1EESV_IbLb0EEEEDaSR_SS_EUlSR_E_NS1_11comp_targetILNS1_3genE2ELNS1_11target_archE906ELNS1_3gpuE6ELNS1_3repE0EEENS1_30default_config_static_selectorELNS0_4arch9wavefront6targetE1EEEvT1_: ; @_ZN7rocprim17ROCPRIM_400000_NS6detail17trampoline_kernelINS0_14default_configENS1_20scan_config_selectorIdEEZZNS1_9scan_implILNS1_25lookback_scan_determinismE0ELb0ELb0ES3_PKdPddZZZN2at6native31launch_logcumsumexp_cuda_kernelERKNSB_10TensorBaseESF_lENKUlvE_clEvENKUlvE_clEvEUlddE_dEEDaPvRmT3_T4_T5_mT6_P12ihipStream_tbENKUlT_T0_E_clISt17integral_constantIbLb1EESV_IbLb0EEEEDaSR_SS_EUlSR_E_NS1_11comp_targetILNS1_3genE2ELNS1_11target_archE906ELNS1_3gpuE6ELNS1_3repE0EEENS1_30default_config_static_selectorELNS0_4arch9wavefront6targetE1EEEvT1_
; %bb.0:
	.section	.rodata,"a",@progbits
	.p2align	6, 0x0
	.amdhsa_kernel _ZN7rocprim17ROCPRIM_400000_NS6detail17trampoline_kernelINS0_14default_configENS1_20scan_config_selectorIdEEZZNS1_9scan_implILNS1_25lookback_scan_determinismE0ELb0ELb0ES3_PKdPddZZZN2at6native31launch_logcumsumexp_cuda_kernelERKNSB_10TensorBaseESF_lENKUlvE_clEvENKUlvE_clEvEUlddE_dEEDaPvRmT3_T4_T5_mT6_P12ihipStream_tbENKUlT_T0_E_clISt17integral_constantIbLb1EESV_IbLb0EEEEDaSR_SS_EUlSR_E_NS1_11comp_targetILNS1_3genE2ELNS1_11target_archE906ELNS1_3gpuE6ELNS1_3repE0EEENS1_30default_config_static_selectorELNS0_4arch9wavefront6targetE1EEEvT1_
		.amdhsa_group_segment_fixed_size 0
		.amdhsa_private_segment_fixed_size 0
		.amdhsa_kernarg_size 104
		.amdhsa_user_sgpr_count 6
		.amdhsa_user_sgpr_private_segment_buffer 1
		.amdhsa_user_sgpr_dispatch_ptr 0
		.amdhsa_user_sgpr_queue_ptr 0
		.amdhsa_user_sgpr_kernarg_segment_ptr 1
		.amdhsa_user_sgpr_dispatch_id 0
		.amdhsa_user_sgpr_flat_scratch_init 0
		.amdhsa_user_sgpr_kernarg_preload_length 0
		.amdhsa_user_sgpr_kernarg_preload_offset 0
		.amdhsa_user_sgpr_private_segment_size 0
		.amdhsa_uses_dynamic_stack 0
		.amdhsa_system_sgpr_private_segment_wavefront_offset 0
		.amdhsa_system_sgpr_workgroup_id_x 1
		.amdhsa_system_sgpr_workgroup_id_y 0
		.amdhsa_system_sgpr_workgroup_id_z 0
		.amdhsa_system_sgpr_workgroup_info 0
		.amdhsa_system_vgpr_workitem_id 0
		.amdhsa_next_free_vgpr 1
		.amdhsa_next_free_sgpr 0
		.amdhsa_accum_offset 4
		.amdhsa_reserve_vcc 0
		.amdhsa_reserve_flat_scratch 0
		.amdhsa_float_round_mode_32 0
		.amdhsa_float_round_mode_16_64 0
		.amdhsa_float_denorm_mode_32 3
		.amdhsa_float_denorm_mode_16_64 3
		.amdhsa_dx10_clamp 1
		.amdhsa_ieee_mode 1
		.amdhsa_fp16_overflow 0
		.amdhsa_tg_split 0
		.amdhsa_exception_fp_ieee_invalid_op 0
		.amdhsa_exception_fp_denorm_src 0
		.amdhsa_exception_fp_ieee_div_zero 0
		.amdhsa_exception_fp_ieee_overflow 0
		.amdhsa_exception_fp_ieee_underflow 0
		.amdhsa_exception_fp_ieee_inexact 0
		.amdhsa_exception_int_div_zero 0
	.end_amdhsa_kernel
	.section	.text._ZN7rocprim17ROCPRIM_400000_NS6detail17trampoline_kernelINS0_14default_configENS1_20scan_config_selectorIdEEZZNS1_9scan_implILNS1_25lookback_scan_determinismE0ELb0ELb0ES3_PKdPddZZZN2at6native31launch_logcumsumexp_cuda_kernelERKNSB_10TensorBaseESF_lENKUlvE_clEvENKUlvE_clEvEUlddE_dEEDaPvRmT3_T4_T5_mT6_P12ihipStream_tbENKUlT_T0_E_clISt17integral_constantIbLb1EESV_IbLb0EEEEDaSR_SS_EUlSR_E_NS1_11comp_targetILNS1_3genE2ELNS1_11target_archE906ELNS1_3gpuE6ELNS1_3repE0EEENS1_30default_config_static_selectorELNS0_4arch9wavefront6targetE1EEEvT1_,"axG",@progbits,_ZN7rocprim17ROCPRIM_400000_NS6detail17trampoline_kernelINS0_14default_configENS1_20scan_config_selectorIdEEZZNS1_9scan_implILNS1_25lookback_scan_determinismE0ELb0ELb0ES3_PKdPddZZZN2at6native31launch_logcumsumexp_cuda_kernelERKNSB_10TensorBaseESF_lENKUlvE_clEvENKUlvE_clEvEUlddE_dEEDaPvRmT3_T4_T5_mT6_P12ihipStream_tbENKUlT_T0_E_clISt17integral_constantIbLb1EESV_IbLb0EEEEDaSR_SS_EUlSR_E_NS1_11comp_targetILNS1_3genE2ELNS1_11target_archE906ELNS1_3gpuE6ELNS1_3repE0EEENS1_30default_config_static_selectorELNS0_4arch9wavefront6targetE1EEEvT1_,comdat
.Lfunc_end51:
	.size	_ZN7rocprim17ROCPRIM_400000_NS6detail17trampoline_kernelINS0_14default_configENS1_20scan_config_selectorIdEEZZNS1_9scan_implILNS1_25lookback_scan_determinismE0ELb0ELb0ES3_PKdPddZZZN2at6native31launch_logcumsumexp_cuda_kernelERKNSB_10TensorBaseESF_lENKUlvE_clEvENKUlvE_clEvEUlddE_dEEDaPvRmT3_T4_T5_mT6_P12ihipStream_tbENKUlT_T0_E_clISt17integral_constantIbLb1EESV_IbLb0EEEEDaSR_SS_EUlSR_E_NS1_11comp_targetILNS1_3genE2ELNS1_11target_archE906ELNS1_3gpuE6ELNS1_3repE0EEENS1_30default_config_static_selectorELNS0_4arch9wavefront6targetE1EEEvT1_, .Lfunc_end51-_ZN7rocprim17ROCPRIM_400000_NS6detail17trampoline_kernelINS0_14default_configENS1_20scan_config_selectorIdEEZZNS1_9scan_implILNS1_25lookback_scan_determinismE0ELb0ELb0ES3_PKdPddZZZN2at6native31launch_logcumsumexp_cuda_kernelERKNSB_10TensorBaseESF_lENKUlvE_clEvENKUlvE_clEvEUlddE_dEEDaPvRmT3_T4_T5_mT6_P12ihipStream_tbENKUlT_T0_E_clISt17integral_constantIbLb1EESV_IbLb0EEEEDaSR_SS_EUlSR_E_NS1_11comp_targetILNS1_3genE2ELNS1_11target_archE906ELNS1_3gpuE6ELNS1_3repE0EEENS1_30default_config_static_selectorELNS0_4arch9wavefront6targetE1EEEvT1_
                                        ; -- End function
	.section	.AMDGPU.csdata,"",@progbits
; Kernel info:
; codeLenInByte = 0
; NumSgprs: 4
; NumVgprs: 0
; NumAgprs: 0
; TotalNumVgprs: 0
; ScratchSize: 0
; MemoryBound: 0
; FloatMode: 240
; IeeeMode: 1
; LDSByteSize: 0 bytes/workgroup (compile time only)
; SGPRBlocks: 0
; VGPRBlocks: 0
; NumSGPRsForWavesPerEU: 4
; NumVGPRsForWavesPerEU: 1
; AccumOffset: 4
; Occupancy: 8
; WaveLimiterHint : 0
; COMPUTE_PGM_RSRC2:SCRATCH_EN: 0
; COMPUTE_PGM_RSRC2:USER_SGPR: 6
; COMPUTE_PGM_RSRC2:TRAP_HANDLER: 0
; COMPUTE_PGM_RSRC2:TGID_X_EN: 1
; COMPUTE_PGM_RSRC2:TGID_Y_EN: 0
; COMPUTE_PGM_RSRC2:TGID_Z_EN: 0
; COMPUTE_PGM_RSRC2:TIDIG_COMP_CNT: 0
; COMPUTE_PGM_RSRC3_GFX90A:ACCUM_OFFSET: 0
; COMPUTE_PGM_RSRC3_GFX90A:TG_SPLIT: 0
	.section	.text._ZN7rocprim17ROCPRIM_400000_NS6detail17trampoline_kernelINS0_14default_configENS1_20scan_config_selectorIdEEZZNS1_9scan_implILNS1_25lookback_scan_determinismE0ELb0ELb0ES3_PKdPddZZZN2at6native31launch_logcumsumexp_cuda_kernelERKNSB_10TensorBaseESF_lENKUlvE_clEvENKUlvE_clEvEUlddE_dEEDaPvRmT3_T4_T5_mT6_P12ihipStream_tbENKUlT_T0_E_clISt17integral_constantIbLb1EESV_IbLb0EEEEDaSR_SS_EUlSR_E_NS1_11comp_targetILNS1_3genE10ELNS1_11target_archE1201ELNS1_3gpuE5ELNS1_3repE0EEENS1_30default_config_static_selectorELNS0_4arch9wavefront6targetE1EEEvT1_,"axG",@progbits,_ZN7rocprim17ROCPRIM_400000_NS6detail17trampoline_kernelINS0_14default_configENS1_20scan_config_selectorIdEEZZNS1_9scan_implILNS1_25lookback_scan_determinismE0ELb0ELb0ES3_PKdPddZZZN2at6native31launch_logcumsumexp_cuda_kernelERKNSB_10TensorBaseESF_lENKUlvE_clEvENKUlvE_clEvEUlddE_dEEDaPvRmT3_T4_T5_mT6_P12ihipStream_tbENKUlT_T0_E_clISt17integral_constantIbLb1EESV_IbLb0EEEEDaSR_SS_EUlSR_E_NS1_11comp_targetILNS1_3genE10ELNS1_11target_archE1201ELNS1_3gpuE5ELNS1_3repE0EEENS1_30default_config_static_selectorELNS0_4arch9wavefront6targetE1EEEvT1_,comdat
	.globl	_ZN7rocprim17ROCPRIM_400000_NS6detail17trampoline_kernelINS0_14default_configENS1_20scan_config_selectorIdEEZZNS1_9scan_implILNS1_25lookback_scan_determinismE0ELb0ELb0ES3_PKdPddZZZN2at6native31launch_logcumsumexp_cuda_kernelERKNSB_10TensorBaseESF_lENKUlvE_clEvENKUlvE_clEvEUlddE_dEEDaPvRmT3_T4_T5_mT6_P12ihipStream_tbENKUlT_T0_E_clISt17integral_constantIbLb1EESV_IbLb0EEEEDaSR_SS_EUlSR_E_NS1_11comp_targetILNS1_3genE10ELNS1_11target_archE1201ELNS1_3gpuE5ELNS1_3repE0EEENS1_30default_config_static_selectorELNS0_4arch9wavefront6targetE1EEEvT1_ ; -- Begin function _ZN7rocprim17ROCPRIM_400000_NS6detail17trampoline_kernelINS0_14default_configENS1_20scan_config_selectorIdEEZZNS1_9scan_implILNS1_25lookback_scan_determinismE0ELb0ELb0ES3_PKdPddZZZN2at6native31launch_logcumsumexp_cuda_kernelERKNSB_10TensorBaseESF_lENKUlvE_clEvENKUlvE_clEvEUlddE_dEEDaPvRmT3_T4_T5_mT6_P12ihipStream_tbENKUlT_T0_E_clISt17integral_constantIbLb1EESV_IbLb0EEEEDaSR_SS_EUlSR_E_NS1_11comp_targetILNS1_3genE10ELNS1_11target_archE1201ELNS1_3gpuE5ELNS1_3repE0EEENS1_30default_config_static_selectorELNS0_4arch9wavefront6targetE1EEEvT1_
	.p2align	8
	.type	_ZN7rocprim17ROCPRIM_400000_NS6detail17trampoline_kernelINS0_14default_configENS1_20scan_config_selectorIdEEZZNS1_9scan_implILNS1_25lookback_scan_determinismE0ELb0ELb0ES3_PKdPddZZZN2at6native31launch_logcumsumexp_cuda_kernelERKNSB_10TensorBaseESF_lENKUlvE_clEvENKUlvE_clEvEUlddE_dEEDaPvRmT3_T4_T5_mT6_P12ihipStream_tbENKUlT_T0_E_clISt17integral_constantIbLb1EESV_IbLb0EEEEDaSR_SS_EUlSR_E_NS1_11comp_targetILNS1_3genE10ELNS1_11target_archE1201ELNS1_3gpuE5ELNS1_3repE0EEENS1_30default_config_static_selectorELNS0_4arch9wavefront6targetE1EEEvT1_,@function
_ZN7rocprim17ROCPRIM_400000_NS6detail17trampoline_kernelINS0_14default_configENS1_20scan_config_selectorIdEEZZNS1_9scan_implILNS1_25lookback_scan_determinismE0ELb0ELb0ES3_PKdPddZZZN2at6native31launch_logcumsumexp_cuda_kernelERKNSB_10TensorBaseESF_lENKUlvE_clEvENKUlvE_clEvEUlddE_dEEDaPvRmT3_T4_T5_mT6_P12ihipStream_tbENKUlT_T0_E_clISt17integral_constantIbLb1EESV_IbLb0EEEEDaSR_SS_EUlSR_E_NS1_11comp_targetILNS1_3genE10ELNS1_11target_archE1201ELNS1_3gpuE5ELNS1_3repE0EEENS1_30default_config_static_selectorELNS0_4arch9wavefront6targetE1EEEvT1_: ; @_ZN7rocprim17ROCPRIM_400000_NS6detail17trampoline_kernelINS0_14default_configENS1_20scan_config_selectorIdEEZZNS1_9scan_implILNS1_25lookback_scan_determinismE0ELb0ELb0ES3_PKdPddZZZN2at6native31launch_logcumsumexp_cuda_kernelERKNSB_10TensorBaseESF_lENKUlvE_clEvENKUlvE_clEvEUlddE_dEEDaPvRmT3_T4_T5_mT6_P12ihipStream_tbENKUlT_T0_E_clISt17integral_constantIbLb1EESV_IbLb0EEEEDaSR_SS_EUlSR_E_NS1_11comp_targetILNS1_3genE10ELNS1_11target_archE1201ELNS1_3gpuE5ELNS1_3repE0EEENS1_30default_config_static_selectorELNS0_4arch9wavefront6targetE1EEEvT1_
; %bb.0:
	.section	.rodata,"a",@progbits
	.p2align	6, 0x0
	.amdhsa_kernel _ZN7rocprim17ROCPRIM_400000_NS6detail17trampoline_kernelINS0_14default_configENS1_20scan_config_selectorIdEEZZNS1_9scan_implILNS1_25lookback_scan_determinismE0ELb0ELb0ES3_PKdPddZZZN2at6native31launch_logcumsumexp_cuda_kernelERKNSB_10TensorBaseESF_lENKUlvE_clEvENKUlvE_clEvEUlddE_dEEDaPvRmT3_T4_T5_mT6_P12ihipStream_tbENKUlT_T0_E_clISt17integral_constantIbLb1EESV_IbLb0EEEEDaSR_SS_EUlSR_E_NS1_11comp_targetILNS1_3genE10ELNS1_11target_archE1201ELNS1_3gpuE5ELNS1_3repE0EEENS1_30default_config_static_selectorELNS0_4arch9wavefront6targetE1EEEvT1_
		.amdhsa_group_segment_fixed_size 0
		.amdhsa_private_segment_fixed_size 0
		.amdhsa_kernarg_size 104
		.amdhsa_user_sgpr_count 6
		.amdhsa_user_sgpr_private_segment_buffer 1
		.amdhsa_user_sgpr_dispatch_ptr 0
		.amdhsa_user_sgpr_queue_ptr 0
		.amdhsa_user_sgpr_kernarg_segment_ptr 1
		.amdhsa_user_sgpr_dispatch_id 0
		.amdhsa_user_sgpr_flat_scratch_init 0
		.amdhsa_user_sgpr_kernarg_preload_length 0
		.amdhsa_user_sgpr_kernarg_preload_offset 0
		.amdhsa_user_sgpr_private_segment_size 0
		.amdhsa_uses_dynamic_stack 0
		.amdhsa_system_sgpr_private_segment_wavefront_offset 0
		.amdhsa_system_sgpr_workgroup_id_x 1
		.amdhsa_system_sgpr_workgroup_id_y 0
		.amdhsa_system_sgpr_workgroup_id_z 0
		.amdhsa_system_sgpr_workgroup_info 0
		.amdhsa_system_vgpr_workitem_id 0
		.amdhsa_next_free_vgpr 1
		.amdhsa_next_free_sgpr 0
		.amdhsa_accum_offset 4
		.amdhsa_reserve_vcc 0
		.amdhsa_reserve_flat_scratch 0
		.amdhsa_float_round_mode_32 0
		.amdhsa_float_round_mode_16_64 0
		.amdhsa_float_denorm_mode_32 3
		.amdhsa_float_denorm_mode_16_64 3
		.amdhsa_dx10_clamp 1
		.amdhsa_ieee_mode 1
		.amdhsa_fp16_overflow 0
		.amdhsa_tg_split 0
		.amdhsa_exception_fp_ieee_invalid_op 0
		.amdhsa_exception_fp_denorm_src 0
		.amdhsa_exception_fp_ieee_div_zero 0
		.amdhsa_exception_fp_ieee_overflow 0
		.amdhsa_exception_fp_ieee_underflow 0
		.amdhsa_exception_fp_ieee_inexact 0
		.amdhsa_exception_int_div_zero 0
	.end_amdhsa_kernel
	.section	.text._ZN7rocprim17ROCPRIM_400000_NS6detail17trampoline_kernelINS0_14default_configENS1_20scan_config_selectorIdEEZZNS1_9scan_implILNS1_25lookback_scan_determinismE0ELb0ELb0ES3_PKdPddZZZN2at6native31launch_logcumsumexp_cuda_kernelERKNSB_10TensorBaseESF_lENKUlvE_clEvENKUlvE_clEvEUlddE_dEEDaPvRmT3_T4_T5_mT6_P12ihipStream_tbENKUlT_T0_E_clISt17integral_constantIbLb1EESV_IbLb0EEEEDaSR_SS_EUlSR_E_NS1_11comp_targetILNS1_3genE10ELNS1_11target_archE1201ELNS1_3gpuE5ELNS1_3repE0EEENS1_30default_config_static_selectorELNS0_4arch9wavefront6targetE1EEEvT1_,"axG",@progbits,_ZN7rocprim17ROCPRIM_400000_NS6detail17trampoline_kernelINS0_14default_configENS1_20scan_config_selectorIdEEZZNS1_9scan_implILNS1_25lookback_scan_determinismE0ELb0ELb0ES3_PKdPddZZZN2at6native31launch_logcumsumexp_cuda_kernelERKNSB_10TensorBaseESF_lENKUlvE_clEvENKUlvE_clEvEUlddE_dEEDaPvRmT3_T4_T5_mT6_P12ihipStream_tbENKUlT_T0_E_clISt17integral_constantIbLb1EESV_IbLb0EEEEDaSR_SS_EUlSR_E_NS1_11comp_targetILNS1_3genE10ELNS1_11target_archE1201ELNS1_3gpuE5ELNS1_3repE0EEENS1_30default_config_static_selectorELNS0_4arch9wavefront6targetE1EEEvT1_,comdat
.Lfunc_end52:
	.size	_ZN7rocprim17ROCPRIM_400000_NS6detail17trampoline_kernelINS0_14default_configENS1_20scan_config_selectorIdEEZZNS1_9scan_implILNS1_25lookback_scan_determinismE0ELb0ELb0ES3_PKdPddZZZN2at6native31launch_logcumsumexp_cuda_kernelERKNSB_10TensorBaseESF_lENKUlvE_clEvENKUlvE_clEvEUlddE_dEEDaPvRmT3_T4_T5_mT6_P12ihipStream_tbENKUlT_T0_E_clISt17integral_constantIbLb1EESV_IbLb0EEEEDaSR_SS_EUlSR_E_NS1_11comp_targetILNS1_3genE10ELNS1_11target_archE1201ELNS1_3gpuE5ELNS1_3repE0EEENS1_30default_config_static_selectorELNS0_4arch9wavefront6targetE1EEEvT1_, .Lfunc_end52-_ZN7rocprim17ROCPRIM_400000_NS6detail17trampoline_kernelINS0_14default_configENS1_20scan_config_selectorIdEEZZNS1_9scan_implILNS1_25lookback_scan_determinismE0ELb0ELb0ES3_PKdPddZZZN2at6native31launch_logcumsumexp_cuda_kernelERKNSB_10TensorBaseESF_lENKUlvE_clEvENKUlvE_clEvEUlddE_dEEDaPvRmT3_T4_T5_mT6_P12ihipStream_tbENKUlT_T0_E_clISt17integral_constantIbLb1EESV_IbLb0EEEEDaSR_SS_EUlSR_E_NS1_11comp_targetILNS1_3genE10ELNS1_11target_archE1201ELNS1_3gpuE5ELNS1_3repE0EEENS1_30default_config_static_selectorELNS0_4arch9wavefront6targetE1EEEvT1_
                                        ; -- End function
	.section	.AMDGPU.csdata,"",@progbits
; Kernel info:
; codeLenInByte = 0
; NumSgprs: 4
; NumVgprs: 0
; NumAgprs: 0
; TotalNumVgprs: 0
; ScratchSize: 0
; MemoryBound: 0
; FloatMode: 240
; IeeeMode: 1
; LDSByteSize: 0 bytes/workgroup (compile time only)
; SGPRBlocks: 0
; VGPRBlocks: 0
; NumSGPRsForWavesPerEU: 4
; NumVGPRsForWavesPerEU: 1
; AccumOffset: 4
; Occupancy: 8
; WaveLimiterHint : 0
; COMPUTE_PGM_RSRC2:SCRATCH_EN: 0
; COMPUTE_PGM_RSRC2:USER_SGPR: 6
; COMPUTE_PGM_RSRC2:TRAP_HANDLER: 0
; COMPUTE_PGM_RSRC2:TGID_X_EN: 1
; COMPUTE_PGM_RSRC2:TGID_Y_EN: 0
; COMPUTE_PGM_RSRC2:TGID_Z_EN: 0
; COMPUTE_PGM_RSRC2:TIDIG_COMP_CNT: 0
; COMPUTE_PGM_RSRC3_GFX90A:ACCUM_OFFSET: 0
; COMPUTE_PGM_RSRC3_GFX90A:TG_SPLIT: 0
	.section	.text._ZN7rocprim17ROCPRIM_400000_NS6detail17trampoline_kernelINS0_14default_configENS1_20scan_config_selectorIdEEZZNS1_9scan_implILNS1_25lookback_scan_determinismE0ELb0ELb0ES3_PKdPddZZZN2at6native31launch_logcumsumexp_cuda_kernelERKNSB_10TensorBaseESF_lENKUlvE_clEvENKUlvE_clEvEUlddE_dEEDaPvRmT3_T4_T5_mT6_P12ihipStream_tbENKUlT_T0_E_clISt17integral_constantIbLb1EESV_IbLb0EEEEDaSR_SS_EUlSR_E_NS1_11comp_targetILNS1_3genE10ELNS1_11target_archE1200ELNS1_3gpuE4ELNS1_3repE0EEENS1_30default_config_static_selectorELNS0_4arch9wavefront6targetE1EEEvT1_,"axG",@progbits,_ZN7rocprim17ROCPRIM_400000_NS6detail17trampoline_kernelINS0_14default_configENS1_20scan_config_selectorIdEEZZNS1_9scan_implILNS1_25lookback_scan_determinismE0ELb0ELb0ES3_PKdPddZZZN2at6native31launch_logcumsumexp_cuda_kernelERKNSB_10TensorBaseESF_lENKUlvE_clEvENKUlvE_clEvEUlddE_dEEDaPvRmT3_T4_T5_mT6_P12ihipStream_tbENKUlT_T0_E_clISt17integral_constantIbLb1EESV_IbLb0EEEEDaSR_SS_EUlSR_E_NS1_11comp_targetILNS1_3genE10ELNS1_11target_archE1200ELNS1_3gpuE4ELNS1_3repE0EEENS1_30default_config_static_selectorELNS0_4arch9wavefront6targetE1EEEvT1_,comdat
	.globl	_ZN7rocprim17ROCPRIM_400000_NS6detail17trampoline_kernelINS0_14default_configENS1_20scan_config_selectorIdEEZZNS1_9scan_implILNS1_25lookback_scan_determinismE0ELb0ELb0ES3_PKdPddZZZN2at6native31launch_logcumsumexp_cuda_kernelERKNSB_10TensorBaseESF_lENKUlvE_clEvENKUlvE_clEvEUlddE_dEEDaPvRmT3_T4_T5_mT6_P12ihipStream_tbENKUlT_T0_E_clISt17integral_constantIbLb1EESV_IbLb0EEEEDaSR_SS_EUlSR_E_NS1_11comp_targetILNS1_3genE10ELNS1_11target_archE1200ELNS1_3gpuE4ELNS1_3repE0EEENS1_30default_config_static_selectorELNS0_4arch9wavefront6targetE1EEEvT1_ ; -- Begin function _ZN7rocprim17ROCPRIM_400000_NS6detail17trampoline_kernelINS0_14default_configENS1_20scan_config_selectorIdEEZZNS1_9scan_implILNS1_25lookback_scan_determinismE0ELb0ELb0ES3_PKdPddZZZN2at6native31launch_logcumsumexp_cuda_kernelERKNSB_10TensorBaseESF_lENKUlvE_clEvENKUlvE_clEvEUlddE_dEEDaPvRmT3_T4_T5_mT6_P12ihipStream_tbENKUlT_T0_E_clISt17integral_constantIbLb1EESV_IbLb0EEEEDaSR_SS_EUlSR_E_NS1_11comp_targetILNS1_3genE10ELNS1_11target_archE1200ELNS1_3gpuE4ELNS1_3repE0EEENS1_30default_config_static_selectorELNS0_4arch9wavefront6targetE1EEEvT1_
	.p2align	8
	.type	_ZN7rocprim17ROCPRIM_400000_NS6detail17trampoline_kernelINS0_14default_configENS1_20scan_config_selectorIdEEZZNS1_9scan_implILNS1_25lookback_scan_determinismE0ELb0ELb0ES3_PKdPddZZZN2at6native31launch_logcumsumexp_cuda_kernelERKNSB_10TensorBaseESF_lENKUlvE_clEvENKUlvE_clEvEUlddE_dEEDaPvRmT3_T4_T5_mT6_P12ihipStream_tbENKUlT_T0_E_clISt17integral_constantIbLb1EESV_IbLb0EEEEDaSR_SS_EUlSR_E_NS1_11comp_targetILNS1_3genE10ELNS1_11target_archE1200ELNS1_3gpuE4ELNS1_3repE0EEENS1_30default_config_static_selectorELNS0_4arch9wavefront6targetE1EEEvT1_,@function
_ZN7rocprim17ROCPRIM_400000_NS6detail17trampoline_kernelINS0_14default_configENS1_20scan_config_selectorIdEEZZNS1_9scan_implILNS1_25lookback_scan_determinismE0ELb0ELb0ES3_PKdPddZZZN2at6native31launch_logcumsumexp_cuda_kernelERKNSB_10TensorBaseESF_lENKUlvE_clEvENKUlvE_clEvEUlddE_dEEDaPvRmT3_T4_T5_mT6_P12ihipStream_tbENKUlT_T0_E_clISt17integral_constantIbLb1EESV_IbLb0EEEEDaSR_SS_EUlSR_E_NS1_11comp_targetILNS1_3genE10ELNS1_11target_archE1200ELNS1_3gpuE4ELNS1_3repE0EEENS1_30default_config_static_selectorELNS0_4arch9wavefront6targetE1EEEvT1_: ; @_ZN7rocprim17ROCPRIM_400000_NS6detail17trampoline_kernelINS0_14default_configENS1_20scan_config_selectorIdEEZZNS1_9scan_implILNS1_25lookback_scan_determinismE0ELb0ELb0ES3_PKdPddZZZN2at6native31launch_logcumsumexp_cuda_kernelERKNSB_10TensorBaseESF_lENKUlvE_clEvENKUlvE_clEvEUlddE_dEEDaPvRmT3_T4_T5_mT6_P12ihipStream_tbENKUlT_T0_E_clISt17integral_constantIbLb1EESV_IbLb0EEEEDaSR_SS_EUlSR_E_NS1_11comp_targetILNS1_3genE10ELNS1_11target_archE1200ELNS1_3gpuE4ELNS1_3repE0EEENS1_30default_config_static_selectorELNS0_4arch9wavefront6targetE1EEEvT1_
; %bb.0:
	.section	.rodata,"a",@progbits
	.p2align	6, 0x0
	.amdhsa_kernel _ZN7rocprim17ROCPRIM_400000_NS6detail17trampoline_kernelINS0_14default_configENS1_20scan_config_selectorIdEEZZNS1_9scan_implILNS1_25lookback_scan_determinismE0ELb0ELb0ES3_PKdPddZZZN2at6native31launch_logcumsumexp_cuda_kernelERKNSB_10TensorBaseESF_lENKUlvE_clEvENKUlvE_clEvEUlddE_dEEDaPvRmT3_T4_T5_mT6_P12ihipStream_tbENKUlT_T0_E_clISt17integral_constantIbLb1EESV_IbLb0EEEEDaSR_SS_EUlSR_E_NS1_11comp_targetILNS1_3genE10ELNS1_11target_archE1200ELNS1_3gpuE4ELNS1_3repE0EEENS1_30default_config_static_selectorELNS0_4arch9wavefront6targetE1EEEvT1_
		.amdhsa_group_segment_fixed_size 0
		.amdhsa_private_segment_fixed_size 0
		.amdhsa_kernarg_size 104
		.amdhsa_user_sgpr_count 6
		.amdhsa_user_sgpr_private_segment_buffer 1
		.amdhsa_user_sgpr_dispatch_ptr 0
		.amdhsa_user_sgpr_queue_ptr 0
		.amdhsa_user_sgpr_kernarg_segment_ptr 1
		.amdhsa_user_sgpr_dispatch_id 0
		.amdhsa_user_sgpr_flat_scratch_init 0
		.amdhsa_user_sgpr_kernarg_preload_length 0
		.amdhsa_user_sgpr_kernarg_preload_offset 0
		.amdhsa_user_sgpr_private_segment_size 0
		.amdhsa_uses_dynamic_stack 0
		.amdhsa_system_sgpr_private_segment_wavefront_offset 0
		.amdhsa_system_sgpr_workgroup_id_x 1
		.amdhsa_system_sgpr_workgroup_id_y 0
		.amdhsa_system_sgpr_workgroup_id_z 0
		.amdhsa_system_sgpr_workgroup_info 0
		.amdhsa_system_vgpr_workitem_id 0
		.amdhsa_next_free_vgpr 1
		.amdhsa_next_free_sgpr 0
		.amdhsa_accum_offset 4
		.amdhsa_reserve_vcc 0
		.amdhsa_reserve_flat_scratch 0
		.amdhsa_float_round_mode_32 0
		.amdhsa_float_round_mode_16_64 0
		.amdhsa_float_denorm_mode_32 3
		.amdhsa_float_denorm_mode_16_64 3
		.amdhsa_dx10_clamp 1
		.amdhsa_ieee_mode 1
		.amdhsa_fp16_overflow 0
		.amdhsa_tg_split 0
		.amdhsa_exception_fp_ieee_invalid_op 0
		.amdhsa_exception_fp_denorm_src 0
		.amdhsa_exception_fp_ieee_div_zero 0
		.amdhsa_exception_fp_ieee_overflow 0
		.amdhsa_exception_fp_ieee_underflow 0
		.amdhsa_exception_fp_ieee_inexact 0
		.amdhsa_exception_int_div_zero 0
	.end_amdhsa_kernel
	.section	.text._ZN7rocprim17ROCPRIM_400000_NS6detail17trampoline_kernelINS0_14default_configENS1_20scan_config_selectorIdEEZZNS1_9scan_implILNS1_25lookback_scan_determinismE0ELb0ELb0ES3_PKdPddZZZN2at6native31launch_logcumsumexp_cuda_kernelERKNSB_10TensorBaseESF_lENKUlvE_clEvENKUlvE_clEvEUlddE_dEEDaPvRmT3_T4_T5_mT6_P12ihipStream_tbENKUlT_T0_E_clISt17integral_constantIbLb1EESV_IbLb0EEEEDaSR_SS_EUlSR_E_NS1_11comp_targetILNS1_3genE10ELNS1_11target_archE1200ELNS1_3gpuE4ELNS1_3repE0EEENS1_30default_config_static_selectorELNS0_4arch9wavefront6targetE1EEEvT1_,"axG",@progbits,_ZN7rocprim17ROCPRIM_400000_NS6detail17trampoline_kernelINS0_14default_configENS1_20scan_config_selectorIdEEZZNS1_9scan_implILNS1_25lookback_scan_determinismE0ELb0ELb0ES3_PKdPddZZZN2at6native31launch_logcumsumexp_cuda_kernelERKNSB_10TensorBaseESF_lENKUlvE_clEvENKUlvE_clEvEUlddE_dEEDaPvRmT3_T4_T5_mT6_P12ihipStream_tbENKUlT_T0_E_clISt17integral_constantIbLb1EESV_IbLb0EEEEDaSR_SS_EUlSR_E_NS1_11comp_targetILNS1_3genE10ELNS1_11target_archE1200ELNS1_3gpuE4ELNS1_3repE0EEENS1_30default_config_static_selectorELNS0_4arch9wavefront6targetE1EEEvT1_,comdat
.Lfunc_end53:
	.size	_ZN7rocprim17ROCPRIM_400000_NS6detail17trampoline_kernelINS0_14default_configENS1_20scan_config_selectorIdEEZZNS1_9scan_implILNS1_25lookback_scan_determinismE0ELb0ELb0ES3_PKdPddZZZN2at6native31launch_logcumsumexp_cuda_kernelERKNSB_10TensorBaseESF_lENKUlvE_clEvENKUlvE_clEvEUlddE_dEEDaPvRmT3_T4_T5_mT6_P12ihipStream_tbENKUlT_T0_E_clISt17integral_constantIbLb1EESV_IbLb0EEEEDaSR_SS_EUlSR_E_NS1_11comp_targetILNS1_3genE10ELNS1_11target_archE1200ELNS1_3gpuE4ELNS1_3repE0EEENS1_30default_config_static_selectorELNS0_4arch9wavefront6targetE1EEEvT1_, .Lfunc_end53-_ZN7rocprim17ROCPRIM_400000_NS6detail17trampoline_kernelINS0_14default_configENS1_20scan_config_selectorIdEEZZNS1_9scan_implILNS1_25lookback_scan_determinismE0ELb0ELb0ES3_PKdPddZZZN2at6native31launch_logcumsumexp_cuda_kernelERKNSB_10TensorBaseESF_lENKUlvE_clEvENKUlvE_clEvEUlddE_dEEDaPvRmT3_T4_T5_mT6_P12ihipStream_tbENKUlT_T0_E_clISt17integral_constantIbLb1EESV_IbLb0EEEEDaSR_SS_EUlSR_E_NS1_11comp_targetILNS1_3genE10ELNS1_11target_archE1200ELNS1_3gpuE4ELNS1_3repE0EEENS1_30default_config_static_selectorELNS0_4arch9wavefront6targetE1EEEvT1_
                                        ; -- End function
	.section	.AMDGPU.csdata,"",@progbits
; Kernel info:
; codeLenInByte = 0
; NumSgprs: 4
; NumVgprs: 0
; NumAgprs: 0
; TotalNumVgprs: 0
; ScratchSize: 0
; MemoryBound: 0
; FloatMode: 240
; IeeeMode: 1
; LDSByteSize: 0 bytes/workgroup (compile time only)
; SGPRBlocks: 0
; VGPRBlocks: 0
; NumSGPRsForWavesPerEU: 4
; NumVGPRsForWavesPerEU: 1
; AccumOffset: 4
; Occupancy: 8
; WaveLimiterHint : 0
; COMPUTE_PGM_RSRC2:SCRATCH_EN: 0
; COMPUTE_PGM_RSRC2:USER_SGPR: 6
; COMPUTE_PGM_RSRC2:TRAP_HANDLER: 0
; COMPUTE_PGM_RSRC2:TGID_X_EN: 1
; COMPUTE_PGM_RSRC2:TGID_Y_EN: 0
; COMPUTE_PGM_RSRC2:TGID_Z_EN: 0
; COMPUTE_PGM_RSRC2:TIDIG_COMP_CNT: 0
; COMPUTE_PGM_RSRC3_GFX90A:ACCUM_OFFSET: 0
; COMPUTE_PGM_RSRC3_GFX90A:TG_SPLIT: 0
	.section	.text._ZN7rocprim17ROCPRIM_400000_NS6detail17trampoline_kernelINS0_14default_configENS1_20scan_config_selectorIdEEZZNS1_9scan_implILNS1_25lookback_scan_determinismE0ELb0ELb0ES3_PKdPddZZZN2at6native31launch_logcumsumexp_cuda_kernelERKNSB_10TensorBaseESF_lENKUlvE_clEvENKUlvE_clEvEUlddE_dEEDaPvRmT3_T4_T5_mT6_P12ihipStream_tbENKUlT_T0_E_clISt17integral_constantIbLb1EESV_IbLb0EEEEDaSR_SS_EUlSR_E_NS1_11comp_targetILNS1_3genE9ELNS1_11target_archE1100ELNS1_3gpuE3ELNS1_3repE0EEENS1_30default_config_static_selectorELNS0_4arch9wavefront6targetE1EEEvT1_,"axG",@progbits,_ZN7rocprim17ROCPRIM_400000_NS6detail17trampoline_kernelINS0_14default_configENS1_20scan_config_selectorIdEEZZNS1_9scan_implILNS1_25lookback_scan_determinismE0ELb0ELb0ES3_PKdPddZZZN2at6native31launch_logcumsumexp_cuda_kernelERKNSB_10TensorBaseESF_lENKUlvE_clEvENKUlvE_clEvEUlddE_dEEDaPvRmT3_T4_T5_mT6_P12ihipStream_tbENKUlT_T0_E_clISt17integral_constantIbLb1EESV_IbLb0EEEEDaSR_SS_EUlSR_E_NS1_11comp_targetILNS1_3genE9ELNS1_11target_archE1100ELNS1_3gpuE3ELNS1_3repE0EEENS1_30default_config_static_selectorELNS0_4arch9wavefront6targetE1EEEvT1_,comdat
	.globl	_ZN7rocprim17ROCPRIM_400000_NS6detail17trampoline_kernelINS0_14default_configENS1_20scan_config_selectorIdEEZZNS1_9scan_implILNS1_25lookback_scan_determinismE0ELb0ELb0ES3_PKdPddZZZN2at6native31launch_logcumsumexp_cuda_kernelERKNSB_10TensorBaseESF_lENKUlvE_clEvENKUlvE_clEvEUlddE_dEEDaPvRmT3_T4_T5_mT6_P12ihipStream_tbENKUlT_T0_E_clISt17integral_constantIbLb1EESV_IbLb0EEEEDaSR_SS_EUlSR_E_NS1_11comp_targetILNS1_3genE9ELNS1_11target_archE1100ELNS1_3gpuE3ELNS1_3repE0EEENS1_30default_config_static_selectorELNS0_4arch9wavefront6targetE1EEEvT1_ ; -- Begin function _ZN7rocprim17ROCPRIM_400000_NS6detail17trampoline_kernelINS0_14default_configENS1_20scan_config_selectorIdEEZZNS1_9scan_implILNS1_25lookback_scan_determinismE0ELb0ELb0ES3_PKdPddZZZN2at6native31launch_logcumsumexp_cuda_kernelERKNSB_10TensorBaseESF_lENKUlvE_clEvENKUlvE_clEvEUlddE_dEEDaPvRmT3_T4_T5_mT6_P12ihipStream_tbENKUlT_T0_E_clISt17integral_constantIbLb1EESV_IbLb0EEEEDaSR_SS_EUlSR_E_NS1_11comp_targetILNS1_3genE9ELNS1_11target_archE1100ELNS1_3gpuE3ELNS1_3repE0EEENS1_30default_config_static_selectorELNS0_4arch9wavefront6targetE1EEEvT1_
	.p2align	8
	.type	_ZN7rocprim17ROCPRIM_400000_NS6detail17trampoline_kernelINS0_14default_configENS1_20scan_config_selectorIdEEZZNS1_9scan_implILNS1_25lookback_scan_determinismE0ELb0ELb0ES3_PKdPddZZZN2at6native31launch_logcumsumexp_cuda_kernelERKNSB_10TensorBaseESF_lENKUlvE_clEvENKUlvE_clEvEUlddE_dEEDaPvRmT3_T4_T5_mT6_P12ihipStream_tbENKUlT_T0_E_clISt17integral_constantIbLb1EESV_IbLb0EEEEDaSR_SS_EUlSR_E_NS1_11comp_targetILNS1_3genE9ELNS1_11target_archE1100ELNS1_3gpuE3ELNS1_3repE0EEENS1_30default_config_static_selectorELNS0_4arch9wavefront6targetE1EEEvT1_,@function
_ZN7rocprim17ROCPRIM_400000_NS6detail17trampoline_kernelINS0_14default_configENS1_20scan_config_selectorIdEEZZNS1_9scan_implILNS1_25lookback_scan_determinismE0ELb0ELb0ES3_PKdPddZZZN2at6native31launch_logcumsumexp_cuda_kernelERKNSB_10TensorBaseESF_lENKUlvE_clEvENKUlvE_clEvEUlddE_dEEDaPvRmT3_T4_T5_mT6_P12ihipStream_tbENKUlT_T0_E_clISt17integral_constantIbLb1EESV_IbLb0EEEEDaSR_SS_EUlSR_E_NS1_11comp_targetILNS1_3genE9ELNS1_11target_archE1100ELNS1_3gpuE3ELNS1_3repE0EEENS1_30default_config_static_selectorELNS0_4arch9wavefront6targetE1EEEvT1_: ; @_ZN7rocprim17ROCPRIM_400000_NS6detail17trampoline_kernelINS0_14default_configENS1_20scan_config_selectorIdEEZZNS1_9scan_implILNS1_25lookback_scan_determinismE0ELb0ELb0ES3_PKdPddZZZN2at6native31launch_logcumsumexp_cuda_kernelERKNSB_10TensorBaseESF_lENKUlvE_clEvENKUlvE_clEvEUlddE_dEEDaPvRmT3_T4_T5_mT6_P12ihipStream_tbENKUlT_T0_E_clISt17integral_constantIbLb1EESV_IbLb0EEEEDaSR_SS_EUlSR_E_NS1_11comp_targetILNS1_3genE9ELNS1_11target_archE1100ELNS1_3gpuE3ELNS1_3repE0EEENS1_30default_config_static_selectorELNS0_4arch9wavefront6targetE1EEEvT1_
; %bb.0:
	.section	.rodata,"a",@progbits
	.p2align	6, 0x0
	.amdhsa_kernel _ZN7rocprim17ROCPRIM_400000_NS6detail17trampoline_kernelINS0_14default_configENS1_20scan_config_selectorIdEEZZNS1_9scan_implILNS1_25lookback_scan_determinismE0ELb0ELb0ES3_PKdPddZZZN2at6native31launch_logcumsumexp_cuda_kernelERKNSB_10TensorBaseESF_lENKUlvE_clEvENKUlvE_clEvEUlddE_dEEDaPvRmT3_T4_T5_mT6_P12ihipStream_tbENKUlT_T0_E_clISt17integral_constantIbLb1EESV_IbLb0EEEEDaSR_SS_EUlSR_E_NS1_11comp_targetILNS1_3genE9ELNS1_11target_archE1100ELNS1_3gpuE3ELNS1_3repE0EEENS1_30default_config_static_selectorELNS0_4arch9wavefront6targetE1EEEvT1_
		.amdhsa_group_segment_fixed_size 0
		.amdhsa_private_segment_fixed_size 0
		.amdhsa_kernarg_size 104
		.amdhsa_user_sgpr_count 6
		.amdhsa_user_sgpr_private_segment_buffer 1
		.amdhsa_user_sgpr_dispatch_ptr 0
		.amdhsa_user_sgpr_queue_ptr 0
		.amdhsa_user_sgpr_kernarg_segment_ptr 1
		.amdhsa_user_sgpr_dispatch_id 0
		.amdhsa_user_sgpr_flat_scratch_init 0
		.amdhsa_user_sgpr_kernarg_preload_length 0
		.amdhsa_user_sgpr_kernarg_preload_offset 0
		.amdhsa_user_sgpr_private_segment_size 0
		.amdhsa_uses_dynamic_stack 0
		.amdhsa_system_sgpr_private_segment_wavefront_offset 0
		.amdhsa_system_sgpr_workgroup_id_x 1
		.amdhsa_system_sgpr_workgroup_id_y 0
		.amdhsa_system_sgpr_workgroup_id_z 0
		.amdhsa_system_sgpr_workgroup_info 0
		.amdhsa_system_vgpr_workitem_id 0
		.amdhsa_next_free_vgpr 1
		.amdhsa_next_free_sgpr 0
		.amdhsa_accum_offset 4
		.amdhsa_reserve_vcc 0
		.amdhsa_reserve_flat_scratch 0
		.amdhsa_float_round_mode_32 0
		.amdhsa_float_round_mode_16_64 0
		.amdhsa_float_denorm_mode_32 3
		.amdhsa_float_denorm_mode_16_64 3
		.amdhsa_dx10_clamp 1
		.amdhsa_ieee_mode 1
		.amdhsa_fp16_overflow 0
		.amdhsa_tg_split 0
		.amdhsa_exception_fp_ieee_invalid_op 0
		.amdhsa_exception_fp_denorm_src 0
		.amdhsa_exception_fp_ieee_div_zero 0
		.amdhsa_exception_fp_ieee_overflow 0
		.amdhsa_exception_fp_ieee_underflow 0
		.amdhsa_exception_fp_ieee_inexact 0
		.amdhsa_exception_int_div_zero 0
	.end_amdhsa_kernel
	.section	.text._ZN7rocprim17ROCPRIM_400000_NS6detail17trampoline_kernelINS0_14default_configENS1_20scan_config_selectorIdEEZZNS1_9scan_implILNS1_25lookback_scan_determinismE0ELb0ELb0ES3_PKdPddZZZN2at6native31launch_logcumsumexp_cuda_kernelERKNSB_10TensorBaseESF_lENKUlvE_clEvENKUlvE_clEvEUlddE_dEEDaPvRmT3_T4_T5_mT6_P12ihipStream_tbENKUlT_T0_E_clISt17integral_constantIbLb1EESV_IbLb0EEEEDaSR_SS_EUlSR_E_NS1_11comp_targetILNS1_3genE9ELNS1_11target_archE1100ELNS1_3gpuE3ELNS1_3repE0EEENS1_30default_config_static_selectorELNS0_4arch9wavefront6targetE1EEEvT1_,"axG",@progbits,_ZN7rocprim17ROCPRIM_400000_NS6detail17trampoline_kernelINS0_14default_configENS1_20scan_config_selectorIdEEZZNS1_9scan_implILNS1_25lookback_scan_determinismE0ELb0ELb0ES3_PKdPddZZZN2at6native31launch_logcumsumexp_cuda_kernelERKNSB_10TensorBaseESF_lENKUlvE_clEvENKUlvE_clEvEUlddE_dEEDaPvRmT3_T4_T5_mT6_P12ihipStream_tbENKUlT_T0_E_clISt17integral_constantIbLb1EESV_IbLb0EEEEDaSR_SS_EUlSR_E_NS1_11comp_targetILNS1_3genE9ELNS1_11target_archE1100ELNS1_3gpuE3ELNS1_3repE0EEENS1_30default_config_static_selectorELNS0_4arch9wavefront6targetE1EEEvT1_,comdat
.Lfunc_end54:
	.size	_ZN7rocprim17ROCPRIM_400000_NS6detail17trampoline_kernelINS0_14default_configENS1_20scan_config_selectorIdEEZZNS1_9scan_implILNS1_25lookback_scan_determinismE0ELb0ELb0ES3_PKdPddZZZN2at6native31launch_logcumsumexp_cuda_kernelERKNSB_10TensorBaseESF_lENKUlvE_clEvENKUlvE_clEvEUlddE_dEEDaPvRmT3_T4_T5_mT6_P12ihipStream_tbENKUlT_T0_E_clISt17integral_constantIbLb1EESV_IbLb0EEEEDaSR_SS_EUlSR_E_NS1_11comp_targetILNS1_3genE9ELNS1_11target_archE1100ELNS1_3gpuE3ELNS1_3repE0EEENS1_30default_config_static_selectorELNS0_4arch9wavefront6targetE1EEEvT1_, .Lfunc_end54-_ZN7rocprim17ROCPRIM_400000_NS6detail17trampoline_kernelINS0_14default_configENS1_20scan_config_selectorIdEEZZNS1_9scan_implILNS1_25lookback_scan_determinismE0ELb0ELb0ES3_PKdPddZZZN2at6native31launch_logcumsumexp_cuda_kernelERKNSB_10TensorBaseESF_lENKUlvE_clEvENKUlvE_clEvEUlddE_dEEDaPvRmT3_T4_T5_mT6_P12ihipStream_tbENKUlT_T0_E_clISt17integral_constantIbLb1EESV_IbLb0EEEEDaSR_SS_EUlSR_E_NS1_11comp_targetILNS1_3genE9ELNS1_11target_archE1100ELNS1_3gpuE3ELNS1_3repE0EEENS1_30default_config_static_selectorELNS0_4arch9wavefront6targetE1EEEvT1_
                                        ; -- End function
	.section	.AMDGPU.csdata,"",@progbits
; Kernel info:
; codeLenInByte = 0
; NumSgprs: 4
; NumVgprs: 0
; NumAgprs: 0
; TotalNumVgprs: 0
; ScratchSize: 0
; MemoryBound: 0
; FloatMode: 240
; IeeeMode: 1
; LDSByteSize: 0 bytes/workgroup (compile time only)
; SGPRBlocks: 0
; VGPRBlocks: 0
; NumSGPRsForWavesPerEU: 4
; NumVGPRsForWavesPerEU: 1
; AccumOffset: 4
; Occupancy: 8
; WaveLimiterHint : 0
; COMPUTE_PGM_RSRC2:SCRATCH_EN: 0
; COMPUTE_PGM_RSRC2:USER_SGPR: 6
; COMPUTE_PGM_RSRC2:TRAP_HANDLER: 0
; COMPUTE_PGM_RSRC2:TGID_X_EN: 1
; COMPUTE_PGM_RSRC2:TGID_Y_EN: 0
; COMPUTE_PGM_RSRC2:TGID_Z_EN: 0
; COMPUTE_PGM_RSRC2:TIDIG_COMP_CNT: 0
; COMPUTE_PGM_RSRC3_GFX90A:ACCUM_OFFSET: 0
; COMPUTE_PGM_RSRC3_GFX90A:TG_SPLIT: 0
	.section	.text._ZN7rocprim17ROCPRIM_400000_NS6detail17trampoline_kernelINS0_14default_configENS1_20scan_config_selectorIdEEZZNS1_9scan_implILNS1_25lookback_scan_determinismE0ELb0ELb0ES3_PKdPddZZZN2at6native31launch_logcumsumexp_cuda_kernelERKNSB_10TensorBaseESF_lENKUlvE_clEvENKUlvE_clEvEUlddE_dEEDaPvRmT3_T4_T5_mT6_P12ihipStream_tbENKUlT_T0_E_clISt17integral_constantIbLb1EESV_IbLb0EEEEDaSR_SS_EUlSR_E_NS1_11comp_targetILNS1_3genE8ELNS1_11target_archE1030ELNS1_3gpuE2ELNS1_3repE0EEENS1_30default_config_static_selectorELNS0_4arch9wavefront6targetE1EEEvT1_,"axG",@progbits,_ZN7rocprim17ROCPRIM_400000_NS6detail17trampoline_kernelINS0_14default_configENS1_20scan_config_selectorIdEEZZNS1_9scan_implILNS1_25lookback_scan_determinismE0ELb0ELb0ES3_PKdPddZZZN2at6native31launch_logcumsumexp_cuda_kernelERKNSB_10TensorBaseESF_lENKUlvE_clEvENKUlvE_clEvEUlddE_dEEDaPvRmT3_T4_T5_mT6_P12ihipStream_tbENKUlT_T0_E_clISt17integral_constantIbLb1EESV_IbLb0EEEEDaSR_SS_EUlSR_E_NS1_11comp_targetILNS1_3genE8ELNS1_11target_archE1030ELNS1_3gpuE2ELNS1_3repE0EEENS1_30default_config_static_selectorELNS0_4arch9wavefront6targetE1EEEvT1_,comdat
	.globl	_ZN7rocprim17ROCPRIM_400000_NS6detail17trampoline_kernelINS0_14default_configENS1_20scan_config_selectorIdEEZZNS1_9scan_implILNS1_25lookback_scan_determinismE0ELb0ELb0ES3_PKdPddZZZN2at6native31launch_logcumsumexp_cuda_kernelERKNSB_10TensorBaseESF_lENKUlvE_clEvENKUlvE_clEvEUlddE_dEEDaPvRmT3_T4_T5_mT6_P12ihipStream_tbENKUlT_T0_E_clISt17integral_constantIbLb1EESV_IbLb0EEEEDaSR_SS_EUlSR_E_NS1_11comp_targetILNS1_3genE8ELNS1_11target_archE1030ELNS1_3gpuE2ELNS1_3repE0EEENS1_30default_config_static_selectorELNS0_4arch9wavefront6targetE1EEEvT1_ ; -- Begin function _ZN7rocprim17ROCPRIM_400000_NS6detail17trampoline_kernelINS0_14default_configENS1_20scan_config_selectorIdEEZZNS1_9scan_implILNS1_25lookback_scan_determinismE0ELb0ELb0ES3_PKdPddZZZN2at6native31launch_logcumsumexp_cuda_kernelERKNSB_10TensorBaseESF_lENKUlvE_clEvENKUlvE_clEvEUlddE_dEEDaPvRmT3_T4_T5_mT6_P12ihipStream_tbENKUlT_T0_E_clISt17integral_constantIbLb1EESV_IbLb0EEEEDaSR_SS_EUlSR_E_NS1_11comp_targetILNS1_3genE8ELNS1_11target_archE1030ELNS1_3gpuE2ELNS1_3repE0EEENS1_30default_config_static_selectorELNS0_4arch9wavefront6targetE1EEEvT1_
	.p2align	8
	.type	_ZN7rocprim17ROCPRIM_400000_NS6detail17trampoline_kernelINS0_14default_configENS1_20scan_config_selectorIdEEZZNS1_9scan_implILNS1_25lookback_scan_determinismE0ELb0ELb0ES3_PKdPddZZZN2at6native31launch_logcumsumexp_cuda_kernelERKNSB_10TensorBaseESF_lENKUlvE_clEvENKUlvE_clEvEUlddE_dEEDaPvRmT3_T4_T5_mT6_P12ihipStream_tbENKUlT_T0_E_clISt17integral_constantIbLb1EESV_IbLb0EEEEDaSR_SS_EUlSR_E_NS1_11comp_targetILNS1_3genE8ELNS1_11target_archE1030ELNS1_3gpuE2ELNS1_3repE0EEENS1_30default_config_static_selectorELNS0_4arch9wavefront6targetE1EEEvT1_,@function
_ZN7rocprim17ROCPRIM_400000_NS6detail17trampoline_kernelINS0_14default_configENS1_20scan_config_selectorIdEEZZNS1_9scan_implILNS1_25lookback_scan_determinismE0ELb0ELb0ES3_PKdPddZZZN2at6native31launch_logcumsumexp_cuda_kernelERKNSB_10TensorBaseESF_lENKUlvE_clEvENKUlvE_clEvEUlddE_dEEDaPvRmT3_T4_T5_mT6_P12ihipStream_tbENKUlT_T0_E_clISt17integral_constantIbLb1EESV_IbLb0EEEEDaSR_SS_EUlSR_E_NS1_11comp_targetILNS1_3genE8ELNS1_11target_archE1030ELNS1_3gpuE2ELNS1_3repE0EEENS1_30default_config_static_selectorELNS0_4arch9wavefront6targetE1EEEvT1_: ; @_ZN7rocprim17ROCPRIM_400000_NS6detail17trampoline_kernelINS0_14default_configENS1_20scan_config_selectorIdEEZZNS1_9scan_implILNS1_25lookback_scan_determinismE0ELb0ELb0ES3_PKdPddZZZN2at6native31launch_logcumsumexp_cuda_kernelERKNSB_10TensorBaseESF_lENKUlvE_clEvENKUlvE_clEvEUlddE_dEEDaPvRmT3_T4_T5_mT6_P12ihipStream_tbENKUlT_T0_E_clISt17integral_constantIbLb1EESV_IbLb0EEEEDaSR_SS_EUlSR_E_NS1_11comp_targetILNS1_3genE8ELNS1_11target_archE1030ELNS1_3gpuE2ELNS1_3repE0EEENS1_30default_config_static_selectorELNS0_4arch9wavefront6targetE1EEEvT1_
; %bb.0:
	.section	.rodata,"a",@progbits
	.p2align	6, 0x0
	.amdhsa_kernel _ZN7rocprim17ROCPRIM_400000_NS6detail17trampoline_kernelINS0_14default_configENS1_20scan_config_selectorIdEEZZNS1_9scan_implILNS1_25lookback_scan_determinismE0ELb0ELb0ES3_PKdPddZZZN2at6native31launch_logcumsumexp_cuda_kernelERKNSB_10TensorBaseESF_lENKUlvE_clEvENKUlvE_clEvEUlddE_dEEDaPvRmT3_T4_T5_mT6_P12ihipStream_tbENKUlT_T0_E_clISt17integral_constantIbLb1EESV_IbLb0EEEEDaSR_SS_EUlSR_E_NS1_11comp_targetILNS1_3genE8ELNS1_11target_archE1030ELNS1_3gpuE2ELNS1_3repE0EEENS1_30default_config_static_selectorELNS0_4arch9wavefront6targetE1EEEvT1_
		.amdhsa_group_segment_fixed_size 0
		.amdhsa_private_segment_fixed_size 0
		.amdhsa_kernarg_size 104
		.amdhsa_user_sgpr_count 6
		.amdhsa_user_sgpr_private_segment_buffer 1
		.amdhsa_user_sgpr_dispatch_ptr 0
		.amdhsa_user_sgpr_queue_ptr 0
		.amdhsa_user_sgpr_kernarg_segment_ptr 1
		.amdhsa_user_sgpr_dispatch_id 0
		.amdhsa_user_sgpr_flat_scratch_init 0
		.amdhsa_user_sgpr_kernarg_preload_length 0
		.amdhsa_user_sgpr_kernarg_preload_offset 0
		.amdhsa_user_sgpr_private_segment_size 0
		.amdhsa_uses_dynamic_stack 0
		.amdhsa_system_sgpr_private_segment_wavefront_offset 0
		.amdhsa_system_sgpr_workgroup_id_x 1
		.amdhsa_system_sgpr_workgroup_id_y 0
		.amdhsa_system_sgpr_workgroup_id_z 0
		.amdhsa_system_sgpr_workgroup_info 0
		.amdhsa_system_vgpr_workitem_id 0
		.amdhsa_next_free_vgpr 1
		.amdhsa_next_free_sgpr 0
		.amdhsa_accum_offset 4
		.amdhsa_reserve_vcc 0
		.amdhsa_reserve_flat_scratch 0
		.amdhsa_float_round_mode_32 0
		.amdhsa_float_round_mode_16_64 0
		.amdhsa_float_denorm_mode_32 3
		.amdhsa_float_denorm_mode_16_64 3
		.amdhsa_dx10_clamp 1
		.amdhsa_ieee_mode 1
		.amdhsa_fp16_overflow 0
		.amdhsa_tg_split 0
		.amdhsa_exception_fp_ieee_invalid_op 0
		.amdhsa_exception_fp_denorm_src 0
		.amdhsa_exception_fp_ieee_div_zero 0
		.amdhsa_exception_fp_ieee_overflow 0
		.amdhsa_exception_fp_ieee_underflow 0
		.amdhsa_exception_fp_ieee_inexact 0
		.amdhsa_exception_int_div_zero 0
	.end_amdhsa_kernel
	.section	.text._ZN7rocprim17ROCPRIM_400000_NS6detail17trampoline_kernelINS0_14default_configENS1_20scan_config_selectorIdEEZZNS1_9scan_implILNS1_25lookback_scan_determinismE0ELb0ELb0ES3_PKdPddZZZN2at6native31launch_logcumsumexp_cuda_kernelERKNSB_10TensorBaseESF_lENKUlvE_clEvENKUlvE_clEvEUlddE_dEEDaPvRmT3_T4_T5_mT6_P12ihipStream_tbENKUlT_T0_E_clISt17integral_constantIbLb1EESV_IbLb0EEEEDaSR_SS_EUlSR_E_NS1_11comp_targetILNS1_3genE8ELNS1_11target_archE1030ELNS1_3gpuE2ELNS1_3repE0EEENS1_30default_config_static_selectorELNS0_4arch9wavefront6targetE1EEEvT1_,"axG",@progbits,_ZN7rocprim17ROCPRIM_400000_NS6detail17trampoline_kernelINS0_14default_configENS1_20scan_config_selectorIdEEZZNS1_9scan_implILNS1_25lookback_scan_determinismE0ELb0ELb0ES3_PKdPddZZZN2at6native31launch_logcumsumexp_cuda_kernelERKNSB_10TensorBaseESF_lENKUlvE_clEvENKUlvE_clEvEUlddE_dEEDaPvRmT3_T4_T5_mT6_P12ihipStream_tbENKUlT_T0_E_clISt17integral_constantIbLb1EESV_IbLb0EEEEDaSR_SS_EUlSR_E_NS1_11comp_targetILNS1_3genE8ELNS1_11target_archE1030ELNS1_3gpuE2ELNS1_3repE0EEENS1_30default_config_static_selectorELNS0_4arch9wavefront6targetE1EEEvT1_,comdat
.Lfunc_end55:
	.size	_ZN7rocprim17ROCPRIM_400000_NS6detail17trampoline_kernelINS0_14default_configENS1_20scan_config_selectorIdEEZZNS1_9scan_implILNS1_25lookback_scan_determinismE0ELb0ELb0ES3_PKdPddZZZN2at6native31launch_logcumsumexp_cuda_kernelERKNSB_10TensorBaseESF_lENKUlvE_clEvENKUlvE_clEvEUlddE_dEEDaPvRmT3_T4_T5_mT6_P12ihipStream_tbENKUlT_T0_E_clISt17integral_constantIbLb1EESV_IbLb0EEEEDaSR_SS_EUlSR_E_NS1_11comp_targetILNS1_3genE8ELNS1_11target_archE1030ELNS1_3gpuE2ELNS1_3repE0EEENS1_30default_config_static_selectorELNS0_4arch9wavefront6targetE1EEEvT1_, .Lfunc_end55-_ZN7rocprim17ROCPRIM_400000_NS6detail17trampoline_kernelINS0_14default_configENS1_20scan_config_selectorIdEEZZNS1_9scan_implILNS1_25lookback_scan_determinismE0ELb0ELb0ES3_PKdPddZZZN2at6native31launch_logcumsumexp_cuda_kernelERKNSB_10TensorBaseESF_lENKUlvE_clEvENKUlvE_clEvEUlddE_dEEDaPvRmT3_T4_T5_mT6_P12ihipStream_tbENKUlT_T0_E_clISt17integral_constantIbLb1EESV_IbLb0EEEEDaSR_SS_EUlSR_E_NS1_11comp_targetILNS1_3genE8ELNS1_11target_archE1030ELNS1_3gpuE2ELNS1_3repE0EEENS1_30default_config_static_selectorELNS0_4arch9wavefront6targetE1EEEvT1_
                                        ; -- End function
	.section	.AMDGPU.csdata,"",@progbits
; Kernel info:
; codeLenInByte = 0
; NumSgprs: 4
; NumVgprs: 0
; NumAgprs: 0
; TotalNumVgprs: 0
; ScratchSize: 0
; MemoryBound: 0
; FloatMode: 240
; IeeeMode: 1
; LDSByteSize: 0 bytes/workgroup (compile time only)
; SGPRBlocks: 0
; VGPRBlocks: 0
; NumSGPRsForWavesPerEU: 4
; NumVGPRsForWavesPerEU: 1
; AccumOffset: 4
; Occupancy: 8
; WaveLimiterHint : 0
; COMPUTE_PGM_RSRC2:SCRATCH_EN: 0
; COMPUTE_PGM_RSRC2:USER_SGPR: 6
; COMPUTE_PGM_RSRC2:TRAP_HANDLER: 0
; COMPUTE_PGM_RSRC2:TGID_X_EN: 1
; COMPUTE_PGM_RSRC2:TGID_Y_EN: 0
; COMPUTE_PGM_RSRC2:TGID_Z_EN: 0
; COMPUTE_PGM_RSRC2:TIDIG_COMP_CNT: 0
; COMPUTE_PGM_RSRC3_GFX90A:ACCUM_OFFSET: 0
; COMPUTE_PGM_RSRC3_GFX90A:TG_SPLIT: 0
	.section	.text._ZN7rocprim17ROCPRIM_400000_NS6detail17trampoline_kernelINS0_14default_configENS1_20scan_config_selectorIdEEZZNS1_9scan_implILNS1_25lookback_scan_determinismE0ELb0ELb0ES3_PKdPddZZZN2at6native31launch_logcumsumexp_cuda_kernelERKNSB_10TensorBaseESF_lENKUlvE_clEvENKUlvE_clEvEUlddE_dEEDaPvRmT3_T4_T5_mT6_P12ihipStream_tbENKUlT_T0_E_clISt17integral_constantIbLb1EESV_IbLb0EEEEDaSR_SS_EUlSR_E0_NS1_11comp_targetILNS1_3genE0ELNS1_11target_archE4294967295ELNS1_3gpuE0ELNS1_3repE0EEENS1_30default_config_static_selectorELNS0_4arch9wavefront6targetE1EEEvT1_,"axG",@progbits,_ZN7rocprim17ROCPRIM_400000_NS6detail17trampoline_kernelINS0_14default_configENS1_20scan_config_selectorIdEEZZNS1_9scan_implILNS1_25lookback_scan_determinismE0ELb0ELb0ES3_PKdPddZZZN2at6native31launch_logcumsumexp_cuda_kernelERKNSB_10TensorBaseESF_lENKUlvE_clEvENKUlvE_clEvEUlddE_dEEDaPvRmT3_T4_T5_mT6_P12ihipStream_tbENKUlT_T0_E_clISt17integral_constantIbLb1EESV_IbLb0EEEEDaSR_SS_EUlSR_E0_NS1_11comp_targetILNS1_3genE0ELNS1_11target_archE4294967295ELNS1_3gpuE0ELNS1_3repE0EEENS1_30default_config_static_selectorELNS0_4arch9wavefront6targetE1EEEvT1_,comdat
	.globl	_ZN7rocprim17ROCPRIM_400000_NS6detail17trampoline_kernelINS0_14default_configENS1_20scan_config_selectorIdEEZZNS1_9scan_implILNS1_25lookback_scan_determinismE0ELb0ELb0ES3_PKdPddZZZN2at6native31launch_logcumsumexp_cuda_kernelERKNSB_10TensorBaseESF_lENKUlvE_clEvENKUlvE_clEvEUlddE_dEEDaPvRmT3_T4_T5_mT6_P12ihipStream_tbENKUlT_T0_E_clISt17integral_constantIbLb1EESV_IbLb0EEEEDaSR_SS_EUlSR_E0_NS1_11comp_targetILNS1_3genE0ELNS1_11target_archE4294967295ELNS1_3gpuE0ELNS1_3repE0EEENS1_30default_config_static_selectorELNS0_4arch9wavefront6targetE1EEEvT1_ ; -- Begin function _ZN7rocprim17ROCPRIM_400000_NS6detail17trampoline_kernelINS0_14default_configENS1_20scan_config_selectorIdEEZZNS1_9scan_implILNS1_25lookback_scan_determinismE0ELb0ELb0ES3_PKdPddZZZN2at6native31launch_logcumsumexp_cuda_kernelERKNSB_10TensorBaseESF_lENKUlvE_clEvENKUlvE_clEvEUlddE_dEEDaPvRmT3_T4_T5_mT6_P12ihipStream_tbENKUlT_T0_E_clISt17integral_constantIbLb1EESV_IbLb0EEEEDaSR_SS_EUlSR_E0_NS1_11comp_targetILNS1_3genE0ELNS1_11target_archE4294967295ELNS1_3gpuE0ELNS1_3repE0EEENS1_30default_config_static_selectorELNS0_4arch9wavefront6targetE1EEEvT1_
	.p2align	8
	.type	_ZN7rocprim17ROCPRIM_400000_NS6detail17trampoline_kernelINS0_14default_configENS1_20scan_config_selectorIdEEZZNS1_9scan_implILNS1_25lookback_scan_determinismE0ELb0ELb0ES3_PKdPddZZZN2at6native31launch_logcumsumexp_cuda_kernelERKNSB_10TensorBaseESF_lENKUlvE_clEvENKUlvE_clEvEUlddE_dEEDaPvRmT3_T4_T5_mT6_P12ihipStream_tbENKUlT_T0_E_clISt17integral_constantIbLb1EESV_IbLb0EEEEDaSR_SS_EUlSR_E0_NS1_11comp_targetILNS1_3genE0ELNS1_11target_archE4294967295ELNS1_3gpuE0ELNS1_3repE0EEENS1_30default_config_static_selectorELNS0_4arch9wavefront6targetE1EEEvT1_,@function
_ZN7rocprim17ROCPRIM_400000_NS6detail17trampoline_kernelINS0_14default_configENS1_20scan_config_selectorIdEEZZNS1_9scan_implILNS1_25lookback_scan_determinismE0ELb0ELb0ES3_PKdPddZZZN2at6native31launch_logcumsumexp_cuda_kernelERKNSB_10TensorBaseESF_lENKUlvE_clEvENKUlvE_clEvEUlddE_dEEDaPvRmT3_T4_T5_mT6_P12ihipStream_tbENKUlT_T0_E_clISt17integral_constantIbLb1EESV_IbLb0EEEEDaSR_SS_EUlSR_E0_NS1_11comp_targetILNS1_3genE0ELNS1_11target_archE4294967295ELNS1_3gpuE0ELNS1_3repE0EEENS1_30default_config_static_selectorELNS0_4arch9wavefront6targetE1EEEvT1_: ; @_ZN7rocprim17ROCPRIM_400000_NS6detail17trampoline_kernelINS0_14default_configENS1_20scan_config_selectorIdEEZZNS1_9scan_implILNS1_25lookback_scan_determinismE0ELb0ELb0ES3_PKdPddZZZN2at6native31launch_logcumsumexp_cuda_kernelERKNSB_10TensorBaseESF_lENKUlvE_clEvENKUlvE_clEvEUlddE_dEEDaPvRmT3_T4_T5_mT6_P12ihipStream_tbENKUlT_T0_E_clISt17integral_constantIbLb1EESV_IbLb0EEEEDaSR_SS_EUlSR_E0_NS1_11comp_targetILNS1_3genE0ELNS1_11target_archE4294967295ELNS1_3gpuE0ELNS1_3repE0EEENS1_30default_config_static_selectorELNS0_4arch9wavefront6targetE1EEEvT1_
; %bb.0:
	.section	.rodata,"a",@progbits
	.p2align	6, 0x0
	.amdhsa_kernel _ZN7rocprim17ROCPRIM_400000_NS6detail17trampoline_kernelINS0_14default_configENS1_20scan_config_selectorIdEEZZNS1_9scan_implILNS1_25lookback_scan_determinismE0ELb0ELb0ES3_PKdPddZZZN2at6native31launch_logcumsumexp_cuda_kernelERKNSB_10TensorBaseESF_lENKUlvE_clEvENKUlvE_clEvEUlddE_dEEDaPvRmT3_T4_T5_mT6_P12ihipStream_tbENKUlT_T0_E_clISt17integral_constantIbLb1EESV_IbLb0EEEEDaSR_SS_EUlSR_E0_NS1_11comp_targetILNS1_3genE0ELNS1_11target_archE4294967295ELNS1_3gpuE0ELNS1_3repE0EEENS1_30default_config_static_selectorELNS0_4arch9wavefront6targetE1EEEvT1_
		.amdhsa_group_segment_fixed_size 0
		.amdhsa_private_segment_fixed_size 0
		.amdhsa_kernarg_size 40
		.amdhsa_user_sgpr_count 6
		.amdhsa_user_sgpr_private_segment_buffer 1
		.amdhsa_user_sgpr_dispatch_ptr 0
		.amdhsa_user_sgpr_queue_ptr 0
		.amdhsa_user_sgpr_kernarg_segment_ptr 1
		.amdhsa_user_sgpr_dispatch_id 0
		.amdhsa_user_sgpr_flat_scratch_init 0
		.amdhsa_user_sgpr_kernarg_preload_length 0
		.amdhsa_user_sgpr_kernarg_preload_offset 0
		.amdhsa_user_sgpr_private_segment_size 0
		.amdhsa_uses_dynamic_stack 0
		.amdhsa_system_sgpr_private_segment_wavefront_offset 0
		.amdhsa_system_sgpr_workgroup_id_x 1
		.amdhsa_system_sgpr_workgroup_id_y 0
		.amdhsa_system_sgpr_workgroup_id_z 0
		.amdhsa_system_sgpr_workgroup_info 0
		.amdhsa_system_vgpr_workitem_id 0
		.amdhsa_next_free_vgpr 1
		.amdhsa_next_free_sgpr 0
		.amdhsa_accum_offset 4
		.amdhsa_reserve_vcc 0
		.amdhsa_reserve_flat_scratch 0
		.amdhsa_float_round_mode_32 0
		.amdhsa_float_round_mode_16_64 0
		.amdhsa_float_denorm_mode_32 3
		.amdhsa_float_denorm_mode_16_64 3
		.amdhsa_dx10_clamp 1
		.amdhsa_ieee_mode 1
		.amdhsa_fp16_overflow 0
		.amdhsa_tg_split 0
		.amdhsa_exception_fp_ieee_invalid_op 0
		.amdhsa_exception_fp_denorm_src 0
		.amdhsa_exception_fp_ieee_div_zero 0
		.amdhsa_exception_fp_ieee_overflow 0
		.amdhsa_exception_fp_ieee_underflow 0
		.amdhsa_exception_fp_ieee_inexact 0
		.amdhsa_exception_int_div_zero 0
	.end_amdhsa_kernel
	.section	.text._ZN7rocprim17ROCPRIM_400000_NS6detail17trampoline_kernelINS0_14default_configENS1_20scan_config_selectorIdEEZZNS1_9scan_implILNS1_25lookback_scan_determinismE0ELb0ELb0ES3_PKdPddZZZN2at6native31launch_logcumsumexp_cuda_kernelERKNSB_10TensorBaseESF_lENKUlvE_clEvENKUlvE_clEvEUlddE_dEEDaPvRmT3_T4_T5_mT6_P12ihipStream_tbENKUlT_T0_E_clISt17integral_constantIbLb1EESV_IbLb0EEEEDaSR_SS_EUlSR_E0_NS1_11comp_targetILNS1_3genE0ELNS1_11target_archE4294967295ELNS1_3gpuE0ELNS1_3repE0EEENS1_30default_config_static_selectorELNS0_4arch9wavefront6targetE1EEEvT1_,"axG",@progbits,_ZN7rocprim17ROCPRIM_400000_NS6detail17trampoline_kernelINS0_14default_configENS1_20scan_config_selectorIdEEZZNS1_9scan_implILNS1_25lookback_scan_determinismE0ELb0ELb0ES3_PKdPddZZZN2at6native31launch_logcumsumexp_cuda_kernelERKNSB_10TensorBaseESF_lENKUlvE_clEvENKUlvE_clEvEUlddE_dEEDaPvRmT3_T4_T5_mT6_P12ihipStream_tbENKUlT_T0_E_clISt17integral_constantIbLb1EESV_IbLb0EEEEDaSR_SS_EUlSR_E0_NS1_11comp_targetILNS1_3genE0ELNS1_11target_archE4294967295ELNS1_3gpuE0ELNS1_3repE0EEENS1_30default_config_static_selectorELNS0_4arch9wavefront6targetE1EEEvT1_,comdat
.Lfunc_end56:
	.size	_ZN7rocprim17ROCPRIM_400000_NS6detail17trampoline_kernelINS0_14default_configENS1_20scan_config_selectorIdEEZZNS1_9scan_implILNS1_25lookback_scan_determinismE0ELb0ELb0ES3_PKdPddZZZN2at6native31launch_logcumsumexp_cuda_kernelERKNSB_10TensorBaseESF_lENKUlvE_clEvENKUlvE_clEvEUlddE_dEEDaPvRmT3_T4_T5_mT6_P12ihipStream_tbENKUlT_T0_E_clISt17integral_constantIbLb1EESV_IbLb0EEEEDaSR_SS_EUlSR_E0_NS1_11comp_targetILNS1_3genE0ELNS1_11target_archE4294967295ELNS1_3gpuE0ELNS1_3repE0EEENS1_30default_config_static_selectorELNS0_4arch9wavefront6targetE1EEEvT1_, .Lfunc_end56-_ZN7rocprim17ROCPRIM_400000_NS6detail17trampoline_kernelINS0_14default_configENS1_20scan_config_selectorIdEEZZNS1_9scan_implILNS1_25lookback_scan_determinismE0ELb0ELb0ES3_PKdPddZZZN2at6native31launch_logcumsumexp_cuda_kernelERKNSB_10TensorBaseESF_lENKUlvE_clEvENKUlvE_clEvEUlddE_dEEDaPvRmT3_T4_T5_mT6_P12ihipStream_tbENKUlT_T0_E_clISt17integral_constantIbLb1EESV_IbLb0EEEEDaSR_SS_EUlSR_E0_NS1_11comp_targetILNS1_3genE0ELNS1_11target_archE4294967295ELNS1_3gpuE0ELNS1_3repE0EEENS1_30default_config_static_selectorELNS0_4arch9wavefront6targetE1EEEvT1_
                                        ; -- End function
	.section	.AMDGPU.csdata,"",@progbits
; Kernel info:
; codeLenInByte = 0
; NumSgprs: 4
; NumVgprs: 0
; NumAgprs: 0
; TotalNumVgprs: 0
; ScratchSize: 0
; MemoryBound: 0
; FloatMode: 240
; IeeeMode: 1
; LDSByteSize: 0 bytes/workgroup (compile time only)
; SGPRBlocks: 0
; VGPRBlocks: 0
; NumSGPRsForWavesPerEU: 4
; NumVGPRsForWavesPerEU: 1
; AccumOffset: 4
; Occupancy: 8
; WaveLimiterHint : 0
; COMPUTE_PGM_RSRC2:SCRATCH_EN: 0
; COMPUTE_PGM_RSRC2:USER_SGPR: 6
; COMPUTE_PGM_RSRC2:TRAP_HANDLER: 0
; COMPUTE_PGM_RSRC2:TGID_X_EN: 1
; COMPUTE_PGM_RSRC2:TGID_Y_EN: 0
; COMPUTE_PGM_RSRC2:TGID_Z_EN: 0
; COMPUTE_PGM_RSRC2:TIDIG_COMP_CNT: 0
; COMPUTE_PGM_RSRC3_GFX90A:ACCUM_OFFSET: 0
; COMPUTE_PGM_RSRC3_GFX90A:TG_SPLIT: 0
	.section	.text._ZN7rocprim17ROCPRIM_400000_NS6detail17trampoline_kernelINS0_14default_configENS1_20scan_config_selectorIdEEZZNS1_9scan_implILNS1_25lookback_scan_determinismE0ELb0ELb0ES3_PKdPddZZZN2at6native31launch_logcumsumexp_cuda_kernelERKNSB_10TensorBaseESF_lENKUlvE_clEvENKUlvE_clEvEUlddE_dEEDaPvRmT3_T4_T5_mT6_P12ihipStream_tbENKUlT_T0_E_clISt17integral_constantIbLb1EESV_IbLb0EEEEDaSR_SS_EUlSR_E0_NS1_11comp_targetILNS1_3genE5ELNS1_11target_archE942ELNS1_3gpuE9ELNS1_3repE0EEENS1_30default_config_static_selectorELNS0_4arch9wavefront6targetE1EEEvT1_,"axG",@progbits,_ZN7rocprim17ROCPRIM_400000_NS6detail17trampoline_kernelINS0_14default_configENS1_20scan_config_selectorIdEEZZNS1_9scan_implILNS1_25lookback_scan_determinismE0ELb0ELb0ES3_PKdPddZZZN2at6native31launch_logcumsumexp_cuda_kernelERKNSB_10TensorBaseESF_lENKUlvE_clEvENKUlvE_clEvEUlddE_dEEDaPvRmT3_T4_T5_mT6_P12ihipStream_tbENKUlT_T0_E_clISt17integral_constantIbLb1EESV_IbLb0EEEEDaSR_SS_EUlSR_E0_NS1_11comp_targetILNS1_3genE5ELNS1_11target_archE942ELNS1_3gpuE9ELNS1_3repE0EEENS1_30default_config_static_selectorELNS0_4arch9wavefront6targetE1EEEvT1_,comdat
	.globl	_ZN7rocprim17ROCPRIM_400000_NS6detail17trampoline_kernelINS0_14default_configENS1_20scan_config_selectorIdEEZZNS1_9scan_implILNS1_25lookback_scan_determinismE0ELb0ELb0ES3_PKdPddZZZN2at6native31launch_logcumsumexp_cuda_kernelERKNSB_10TensorBaseESF_lENKUlvE_clEvENKUlvE_clEvEUlddE_dEEDaPvRmT3_T4_T5_mT6_P12ihipStream_tbENKUlT_T0_E_clISt17integral_constantIbLb1EESV_IbLb0EEEEDaSR_SS_EUlSR_E0_NS1_11comp_targetILNS1_3genE5ELNS1_11target_archE942ELNS1_3gpuE9ELNS1_3repE0EEENS1_30default_config_static_selectorELNS0_4arch9wavefront6targetE1EEEvT1_ ; -- Begin function _ZN7rocprim17ROCPRIM_400000_NS6detail17trampoline_kernelINS0_14default_configENS1_20scan_config_selectorIdEEZZNS1_9scan_implILNS1_25lookback_scan_determinismE0ELb0ELb0ES3_PKdPddZZZN2at6native31launch_logcumsumexp_cuda_kernelERKNSB_10TensorBaseESF_lENKUlvE_clEvENKUlvE_clEvEUlddE_dEEDaPvRmT3_T4_T5_mT6_P12ihipStream_tbENKUlT_T0_E_clISt17integral_constantIbLb1EESV_IbLb0EEEEDaSR_SS_EUlSR_E0_NS1_11comp_targetILNS1_3genE5ELNS1_11target_archE942ELNS1_3gpuE9ELNS1_3repE0EEENS1_30default_config_static_selectorELNS0_4arch9wavefront6targetE1EEEvT1_
	.p2align	8
	.type	_ZN7rocprim17ROCPRIM_400000_NS6detail17trampoline_kernelINS0_14default_configENS1_20scan_config_selectorIdEEZZNS1_9scan_implILNS1_25lookback_scan_determinismE0ELb0ELb0ES3_PKdPddZZZN2at6native31launch_logcumsumexp_cuda_kernelERKNSB_10TensorBaseESF_lENKUlvE_clEvENKUlvE_clEvEUlddE_dEEDaPvRmT3_T4_T5_mT6_P12ihipStream_tbENKUlT_T0_E_clISt17integral_constantIbLb1EESV_IbLb0EEEEDaSR_SS_EUlSR_E0_NS1_11comp_targetILNS1_3genE5ELNS1_11target_archE942ELNS1_3gpuE9ELNS1_3repE0EEENS1_30default_config_static_selectorELNS0_4arch9wavefront6targetE1EEEvT1_,@function
_ZN7rocprim17ROCPRIM_400000_NS6detail17trampoline_kernelINS0_14default_configENS1_20scan_config_selectorIdEEZZNS1_9scan_implILNS1_25lookback_scan_determinismE0ELb0ELb0ES3_PKdPddZZZN2at6native31launch_logcumsumexp_cuda_kernelERKNSB_10TensorBaseESF_lENKUlvE_clEvENKUlvE_clEvEUlddE_dEEDaPvRmT3_T4_T5_mT6_P12ihipStream_tbENKUlT_T0_E_clISt17integral_constantIbLb1EESV_IbLb0EEEEDaSR_SS_EUlSR_E0_NS1_11comp_targetILNS1_3genE5ELNS1_11target_archE942ELNS1_3gpuE9ELNS1_3repE0EEENS1_30default_config_static_selectorELNS0_4arch9wavefront6targetE1EEEvT1_: ; @_ZN7rocprim17ROCPRIM_400000_NS6detail17trampoline_kernelINS0_14default_configENS1_20scan_config_selectorIdEEZZNS1_9scan_implILNS1_25lookback_scan_determinismE0ELb0ELb0ES3_PKdPddZZZN2at6native31launch_logcumsumexp_cuda_kernelERKNSB_10TensorBaseESF_lENKUlvE_clEvENKUlvE_clEvEUlddE_dEEDaPvRmT3_T4_T5_mT6_P12ihipStream_tbENKUlT_T0_E_clISt17integral_constantIbLb1EESV_IbLb0EEEEDaSR_SS_EUlSR_E0_NS1_11comp_targetILNS1_3genE5ELNS1_11target_archE942ELNS1_3gpuE9ELNS1_3repE0EEENS1_30default_config_static_selectorELNS0_4arch9wavefront6targetE1EEEvT1_
; %bb.0:
	.section	.rodata,"a",@progbits
	.p2align	6, 0x0
	.amdhsa_kernel _ZN7rocprim17ROCPRIM_400000_NS6detail17trampoline_kernelINS0_14default_configENS1_20scan_config_selectorIdEEZZNS1_9scan_implILNS1_25lookback_scan_determinismE0ELb0ELb0ES3_PKdPddZZZN2at6native31launch_logcumsumexp_cuda_kernelERKNSB_10TensorBaseESF_lENKUlvE_clEvENKUlvE_clEvEUlddE_dEEDaPvRmT3_T4_T5_mT6_P12ihipStream_tbENKUlT_T0_E_clISt17integral_constantIbLb1EESV_IbLb0EEEEDaSR_SS_EUlSR_E0_NS1_11comp_targetILNS1_3genE5ELNS1_11target_archE942ELNS1_3gpuE9ELNS1_3repE0EEENS1_30default_config_static_selectorELNS0_4arch9wavefront6targetE1EEEvT1_
		.amdhsa_group_segment_fixed_size 0
		.amdhsa_private_segment_fixed_size 0
		.amdhsa_kernarg_size 40
		.amdhsa_user_sgpr_count 6
		.amdhsa_user_sgpr_private_segment_buffer 1
		.amdhsa_user_sgpr_dispatch_ptr 0
		.amdhsa_user_sgpr_queue_ptr 0
		.amdhsa_user_sgpr_kernarg_segment_ptr 1
		.amdhsa_user_sgpr_dispatch_id 0
		.amdhsa_user_sgpr_flat_scratch_init 0
		.amdhsa_user_sgpr_kernarg_preload_length 0
		.amdhsa_user_sgpr_kernarg_preload_offset 0
		.amdhsa_user_sgpr_private_segment_size 0
		.amdhsa_uses_dynamic_stack 0
		.amdhsa_system_sgpr_private_segment_wavefront_offset 0
		.amdhsa_system_sgpr_workgroup_id_x 1
		.amdhsa_system_sgpr_workgroup_id_y 0
		.amdhsa_system_sgpr_workgroup_id_z 0
		.amdhsa_system_sgpr_workgroup_info 0
		.amdhsa_system_vgpr_workitem_id 0
		.amdhsa_next_free_vgpr 1
		.amdhsa_next_free_sgpr 0
		.amdhsa_accum_offset 4
		.amdhsa_reserve_vcc 0
		.amdhsa_reserve_flat_scratch 0
		.amdhsa_float_round_mode_32 0
		.amdhsa_float_round_mode_16_64 0
		.amdhsa_float_denorm_mode_32 3
		.amdhsa_float_denorm_mode_16_64 3
		.amdhsa_dx10_clamp 1
		.amdhsa_ieee_mode 1
		.amdhsa_fp16_overflow 0
		.amdhsa_tg_split 0
		.amdhsa_exception_fp_ieee_invalid_op 0
		.amdhsa_exception_fp_denorm_src 0
		.amdhsa_exception_fp_ieee_div_zero 0
		.amdhsa_exception_fp_ieee_overflow 0
		.amdhsa_exception_fp_ieee_underflow 0
		.amdhsa_exception_fp_ieee_inexact 0
		.amdhsa_exception_int_div_zero 0
	.end_amdhsa_kernel
	.section	.text._ZN7rocprim17ROCPRIM_400000_NS6detail17trampoline_kernelINS0_14default_configENS1_20scan_config_selectorIdEEZZNS1_9scan_implILNS1_25lookback_scan_determinismE0ELb0ELb0ES3_PKdPddZZZN2at6native31launch_logcumsumexp_cuda_kernelERKNSB_10TensorBaseESF_lENKUlvE_clEvENKUlvE_clEvEUlddE_dEEDaPvRmT3_T4_T5_mT6_P12ihipStream_tbENKUlT_T0_E_clISt17integral_constantIbLb1EESV_IbLb0EEEEDaSR_SS_EUlSR_E0_NS1_11comp_targetILNS1_3genE5ELNS1_11target_archE942ELNS1_3gpuE9ELNS1_3repE0EEENS1_30default_config_static_selectorELNS0_4arch9wavefront6targetE1EEEvT1_,"axG",@progbits,_ZN7rocprim17ROCPRIM_400000_NS6detail17trampoline_kernelINS0_14default_configENS1_20scan_config_selectorIdEEZZNS1_9scan_implILNS1_25lookback_scan_determinismE0ELb0ELb0ES3_PKdPddZZZN2at6native31launch_logcumsumexp_cuda_kernelERKNSB_10TensorBaseESF_lENKUlvE_clEvENKUlvE_clEvEUlddE_dEEDaPvRmT3_T4_T5_mT6_P12ihipStream_tbENKUlT_T0_E_clISt17integral_constantIbLb1EESV_IbLb0EEEEDaSR_SS_EUlSR_E0_NS1_11comp_targetILNS1_3genE5ELNS1_11target_archE942ELNS1_3gpuE9ELNS1_3repE0EEENS1_30default_config_static_selectorELNS0_4arch9wavefront6targetE1EEEvT1_,comdat
.Lfunc_end57:
	.size	_ZN7rocprim17ROCPRIM_400000_NS6detail17trampoline_kernelINS0_14default_configENS1_20scan_config_selectorIdEEZZNS1_9scan_implILNS1_25lookback_scan_determinismE0ELb0ELb0ES3_PKdPddZZZN2at6native31launch_logcumsumexp_cuda_kernelERKNSB_10TensorBaseESF_lENKUlvE_clEvENKUlvE_clEvEUlddE_dEEDaPvRmT3_T4_T5_mT6_P12ihipStream_tbENKUlT_T0_E_clISt17integral_constantIbLb1EESV_IbLb0EEEEDaSR_SS_EUlSR_E0_NS1_11comp_targetILNS1_3genE5ELNS1_11target_archE942ELNS1_3gpuE9ELNS1_3repE0EEENS1_30default_config_static_selectorELNS0_4arch9wavefront6targetE1EEEvT1_, .Lfunc_end57-_ZN7rocprim17ROCPRIM_400000_NS6detail17trampoline_kernelINS0_14default_configENS1_20scan_config_selectorIdEEZZNS1_9scan_implILNS1_25lookback_scan_determinismE0ELb0ELb0ES3_PKdPddZZZN2at6native31launch_logcumsumexp_cuda_kernelERKNSB_10TensorBaseESF_lENKUlvE_clEvENKUlvE_clEvEUlddE_dEEDaPvRmT3_T4_T5_mT6_P12ihipStream_tbENKUlT_T0_E_clISt17integral_constantIbLb1EESV_IbLb0EEEEDaSR_SS_EUlSR_E0_NS1_11comp_targetILNS1_3genE5ELNS1_11target_archE942ELNS1_3gpuE9ELNS1_3repE0EEENS1_30default_config_static_selectorELNS0_4arch9wavefront6targetE1EEEvT1_
                                        ; -- End function
	.section	.AMDGPU.csdata,"",@progbits
; Kernel info:
; codeLenInByte = 0
; NumSgprs: 4
; NumVgprs: 0
; NumAgprs: 0
; TotalNumVgprs: 0
; ScratchSize: 0
; MemoryBound: 0
; FloatMode: 240
; IeeeMode: 1
; LDSByteSize: 0 bytes/workgroup (compile time only)
; SGPRBlocks: 0
; VGPRBlocks: 0
; NumSGPRsForWavesPerEU: 4
; NumVGPRsForWavesPerEU: 1
; AccumOffset: 4
; Occupancy: 8
; WaveLimiterHint : 0
; COMPUTE_PGM_RSRC2:SCRATCH_EN: 0
; COMPUTE_PGM_RSRC2:USER_SGPR: 6
; COMPUTE_PGM_RSRC2:TRAP_HANDLER: 0
; COMPUTE_PGM_RSRC2:TGID_X_EN: 1
; COMPUTE_PGM_RSRC2:TGID_Y_EN: 0
; COMPUTE_PGM_RSRC2:TGID_Z_EN: 0
; COMPUTE_PGM_RSRC2:TIDIG_COMP_CNT: 0
; COMPUTE_PGM_RSRC3_GFX90A:ACCUM_OFFSET: 0
; COMPUTE_PGM_RSRC3_GFX90A:TG_SPLIT: 0
	.section	.text._ZN7rocprim17ROCPRIM_400000_NS6detail17trampoline_kernelINS0_14default_configENS1_20scan_config_selectorIdEEZZNS1_9scan_implILNS1_25lookback_scan_determinismE0ELb0ELb0ES3_PKdPddZZZN2at6native31launch_logcumsumexp_cuda_kernelERKNSB_10TensorBaseESF_lENKUlvE_clEvENKUlvE_clEvEUlddE_dEEDaPvRmT3_T4_T5_mT6_P12ihipStream_tbENKUlT_T0_E_clISt17integral_constantIbLb1EESV_IbLb0EEEEDaSR_SS_EUlSR_E0_NS1_11comp_targetILNS1_3genE4ELNS1_11target_archE910ELNS1_3gpuE8ELNS1_3repE0EEENS1_30default_config_static_selectorELNS0_4arch9wavefront6targetE1EEEvT1_,"axG",@progbits,_ZN7rocprim17ROCPRIM_400000_NS6detail17trampoline_kernelINS0_14default_configENS1_20scan_config_selectorIdEEZZNS1_9scan_implILNS1_25lookback_scan_determinismE0ELb0ELb0ES3_PKdPddZZZN2at6native31launch_logcumsumexp_cuda_kernelERKNSB_10TensorBaseESF_lENKUlvE_clEvENKUlvE_clEvEUlddE_dEEDaPvRmT3_T4_T5_mT6_P12ihipStream_tbENKUlT_T0_E_clISt17integral_constantIbLb1EESV_IbLb0EEEEDaSR_SS_EUlSR_E0_NS1_11comp_targetILNS1_3genE4ELNS1_11target_archE910ELNS1_3gpuE8ELNS1_3repE0EEENS1_30default_config_static_selectorELNS0_4arch9wavefront6targetE1EEEvT1_,comdat
	.globl	_ZN7rocprim17ROCPRIM_400000_NS6detail17trampoline_kernelINS0_14default_configENS1_20scan_config_selectorIdEEZZNS1_9scan_implILNS1_25lookback_scan_determinismE0ELb0ELb0ES3_PKdPddZZZN2at6native31launch_logcumsumexp_cuda_kernelERKNSB_10TensorBaseESF_lENKUlvE_clEvENKUlvE_clEvEUlddE_dEEDaPvRmT3_T4_T5_mT6_P12ihipStream_tbENKUlT_T0_E_clISt17integral_constantIbLb1EESV_IbLb0EEEEDaSR_SS_EUlSR_E0_NS1_11comp_targetILNS1_3genE4ELNS1_11target_archE910ELNS1_3gpuE8ELNS1_3repE0EEENS1_30default_config_static_selectorELNS0_4arch9wavefront6targetE1EEEvT1_ ; -- Begin function _ZN7rocprim17ROCPRIM_400000_NS6detail17trampoline_kernelINS0_14default_configENS1_20scan_config_selectorIdEEZZNS1_9scan_implILNS1_25lookback_scan_determinismE0ELb0ELb0ES3_PKdPddZZZN2at6native31launch_logcumsumexp_cuda_kernelERKNSB_10TensorBaseESF_lENKUlvE_clEvENKUlvE_clEvEUlddE_dEEDaPvRmT3_T4_T5_mT6_P12ihipStream_tbENKUlT_T0_E_clISt17integral_constantIbLb1EESV_IbLb0EEEEDaSR_SS_EUlSR_E0_NS1_11comp_targetILNS1_3genE4ELNS1_11target_archE910ELNS1_3gpuE8ELNS1_3repE0EEENS1_30default_config_static_selectorELNS0_4arch9wavefront6targetE1EEEvT1_
	.p2align	8
	.type	_ZN7rocprim17ROCPRIM_400000_NS6detail17trampoline_kernelINS0_14default_configENS1_20scan_config_selectorIdEEZZNS1_9scan_implILNS1_25lookback_scan_determinismE0ELb0ELb0ES3_PKdPddZZZN2at6native31launch_logcumsumexp_cuda_kernelERKNSB_10TensorBaseESF_lENKUlvE_clEvENKUlvE_clEvEUlddE_dEEDaPvRmT3_T4_T5_mT6_P12ihipStream_tbENKUlT_T0_E_clISt17integral_constantIbLb1EESV_IbLb0EEEEDaSR_SS_EUlSR_E0_NS1_11comp_targetILNS1_3genE4ELNS1_11target_archE910ELNS1_3gpuE8ELNS1_3repE0EEENS1_30default_config_static_selectorELNS0_4arch9wavefront6targetE1EEEvT1_,@function
_ZN7rocprim17ROCPRIM_400000_NS6detail17trampoline_kernelINS0_14default_configENS1_20scan_config_selectorIdEEZZNS1_9scan_implILNS1_25lookback_scan_determinismE0ELb0ELb0ES3_PKdPddZZZN2at6native31launch_logcumsumexp_cuda_kernelERKNSB_10TensorBaseESF_lENKUlvE_clEvENKUlvE_clEvEUlddE_dEEDaPvRmT3_T4_T5_mT6_P12ihipStream_tbENKUlT_T0_E_clISt17integral_constantIbLb1EESV_IbLb0EEEEDaSR_SS_EUlSR_E0_NS1_11comp_targetILNS1_3genE4ELNS1_11target_archE910ELNS1_3gpuE8ELNS1_3repE0EEENS1_30default_config_static_selectorELNS0_4arch9wavefront6targetE1EEEvT1_: ; @_ZN7rocprim17ROCPRIM_400000_NS6detail17trampoline_kernelINS0_14default_configENS1_20scan_config_selectorIdEEZZNS1_9scan_implILNS1_25lookback_scan_determinismE0ELb0ELb0ES3_PKdPddZZZN2at6native31launch_logcumsumexp_cuda_kernelERKNSB_10TensorBaseESF_lENKUlvE_clEvENKUlvE_clEvEUlddE_dEEDaPvRmT3_T4_T5_mT6_P12ihipStream_tbENKUlT_T0_E_clISt17integral_constantIbLb1EESV_IbLb0EEEEDaSR_SS_EUlSR_E0_NS1_11comp_targetILNS1_3genE4ELNS1_11target_archE910ELNS1_3gpuE8ELNS1_3repE0EEENS1_30default_config_static_selectorELNS0_4arch9wavefront6targetE1EEEvT1_
; %bb.0:
	s_load_dwordx4 s[20:23], s[4:5], 0x0
	v_lshlrev_b32_e32 v54, 3, v0
	s_waitcnt lgkmcnt(0)
	s_load_dwordx2 s[18:19], s[20:21], 0x0
	v_cmp_gt_u32_e32 vcc, s22, v0
	s_waitcnt lgkmcnt(0)
	v_pk_mov_b32 v[2:3], s[18:19], s[18:19] op_sel:[0,1]
	s_and_saveexec_b64 s[0:1], vcc
	s_cbranch_execz .LBB58_2
; %bb.1:
	global_load_dwordx2 v[2:3], v54, s[20:21]
.LBB58_2:
	s_or_b64 exec, exec, s[0:1]
	v_or_b32_e32 v1, 0x80, v0
	v_cmp_gt_u32_e64 s[0:1], s22, v1
	v_pk_mov_b32 v[4:5], s[18:19], s[18:19] op_sel:[0,1]
	s_and_saveexec_b64 s[2:3], s[0:1]
	s_cbranch_execz .LBB58_4
; %bb.3:
	global_load_dwordx2 v[4:5], v54, s[20:21] offset:1024
.LBB58_4:
	s_or_b64 exec, exec, s[2:3]
	v_or_b32_e32 v1, 0x100, v0
	v_cmp_gt_u32_e64 s[2:3], s22, v1
	v_pk_mov_b32 v[6:7], s[18:19], s[18:19] op_sel:[0,1]
	s_and_saveexec_b64 s[6:7], s[2:3]
	s_cbranch_execz .LBB58_6
; %bb.5:
	global_load_dwordx2 v[6:7], v54, s[20:21] offset:2048
.LBB58_6:
	;; [unrolled: 9-line block ×3, first 2 shown]
	s_or_b64 exec, exec, s[6:7]
	v_or_b32_e32 v1, 0x200, v0
	v_cmp_gt_u32_e64 s[6:7], s22, v1
	v_pk_mov_b32 v[10:11], s[18:19], s[18:19] op_sel:[0,1]
	s_and_saveexec_b64 s[8:9], s[6:7]
	s_cbranch_execz .LBB58_10
; %bb.9:
	v_lshlrev_b32_e32 v1, 3, v1
	global_load_dwordx2 v[10:11], v1, s[20:21]
.LBB58_10:
	s_or_b64 exec, exec, s[8:9]
	v_or_b32_e32 v1, 0x280, v0
	v_cmp_gt_u32_e64 s[8:9], s22, v1
	v_pk_mov_b32 v[12:13], s[18:19], s[18:19] op_sel:[0,1]
	s_and_saveexec_b64 s[10:11], s[8:9]
	s_cbranch_execz .LBB58_12
; %bb.11:
	v_lshlrev_b32_e32 v1, 3, v1
	global_load_dwordx2 v[12:13], v1, s[20:21]
.LBB58_12:
	;; [unrolled: 10-line block ×6, first 2 shown]
	s_or_b64 exec, exec, s[18:19]
	s_movk_i32 s18, 0x48
	v_mad_u32_u24 v1, v0, s18, v54
	s_waitcnt vmcnt(0)
	ds_write2st64_b64 v54, v[2:3], v[4:5] offset1:2
	ds_write2st64_b64 v54, v[6:7], v[8:9] offset0:4 offset1:6
	ds_write2st64_b64 v54, v[10:11], v[12:13] offset0:8 offset1:10
	;; [unrolled: 1-line block ×4, first 2 shown]
	s_waitcnt lgkmcnt(0)
	s_barrier
	ds_read_b128 v[2:5], v1
	ds_read_b128 v[18:21], v1 offset:16
	ds_read_b128 v[14:17], v1 offset:32
	;; [unrolled: 1-line block ×4, first 2 shown]
	s_waitcnt lgkmcnt(4)
	v_max_f64 v[26:27], v[4:5], v[4:5]
	v_max_f64 v[40:41], v[2:3], v[2:3]
	v_min_f64 v[42:43], v[40:41], v[26:27]
	v_cmp_u_f64_e64 s[38:39], v[2:3], v[2:3]
	v_cndmask_b32_e64 v1, v42, v2, s[38:39]
	v_cndmask_b32_e64 v22, v43, v3, s[38:39]
	v_cmp_u_f64_e64 s[18:19], v[4:5], v[4:5]
	v_max_f64 v[44:45], v[40:41], v[26:27]
	v_cndmask_b32_e64 v25, v22, v5, s[18:19]
	v_cndmask_b32_e64 v24, v1, v4, s[18:19]
	;; [unrolled: 1-line block ×6, first 2 shown]
	s_movk_i32 s30, 0x1f8
	v_cmp_neq_f64_e64 s[20:21], v[24:25], v[22:23]
	v_cmp_class_f64_e64 s[22:23], v[24:25], s30
	s_or_b64 s[20:21], s[20:21], s[22:23]
	v_pk_mov_b32 v[46:47], v[2:3], v[2:3] op_sel:[0,1]
	s_waitcnt lgkmcnt(0)
	s_barrier
	s_and_saveexec_b64 s[24:25], s[20:21]
	s_cbranch_execz .LBB58_22
; %bb.21:
	s_mov_b32 s20, 0x652b82fe
	v_add_f64 v[24:25], v[24:25], -v[22:23]
	s_mov_b32 s21, 0x3ff71547
	v_mul_f64 v[28:29], v[24:25], s[20:21]
	v_rndne_f64_e32 v[28:29], v[28:29]
	s_mov_b32 s27, 0xbfe62e42
	s_mov_b32 s26, 0xfefa39ef
	v_fma_f64 v[30:31], s[26:27], v[28:29], v[24:25]
	s_mov_b32 s29, 0xbc7abc9e
	s_mov_b32 s28, 0x3b39803f
	;; [unrolled: 1-line block ×3, first 2 shown]
	v_fmac_f64_e32 v[30:31], s[28:29], v[28:29]
	v_mov_b32_e32 v32, 0xfca7ab0c
	v_mov_b32_e32 v33, 0x3e928af3
	s_mov_b32 s21, 0x3e5ade15
	v_fmac_f64_e32 v[32:33], s[20:21], v[30:31]
	v_mov_b32_e32 v34, 0x623fde64
	v_mov_b32_e32 v35, 0x3ec71dee
	v_fmac_f64_e32 v[34:35], v[30:31], v[32:33]
	v_mov_b32_e32 v32, 0x7c89e6b0
	v_mov_b32_e32 v33, 0x3efa0199
	;; [unrolled: 3-line block ×8, first 2 shown]
	v_fmac_f64_e32 v[32:33], v[30:31], v[34:35]
	v_fma_f64 v[32:33], v[30:31], v[32:33], 1.0
	s_mov_b32 s20, 0
	s_mov_b32 s22, 0
	v_fma_f64 v[30:31], v[30:31], v[32:33], 1.0
	v_cvt_i32_f64_e32 v1, v[28:29]
	s_mov_b32 s21, 0x40900000
	s_mov_b32 s23, 0xc090cc00
	v_ldexp_f64 v[28:29], v[30:31], v1
	v_mov_b32_e32 v1, 0x7ff00000
	v_cmp_nlt_f64_e64 s[20:21], s[20:21], v[24:25]
	v_cmp_ngt_f64_e64 s[22:23], s[22:23], v[24:25]
	v_cndmask_b32_e64 v1, v1, v29, s[20:21]
	s_and_b64 s[20:21], s[22:23], s[20:21]
	v_cndmask_b32_e64 v25, 0, v1, s[22:23]
	v_cndmask_b32_e64 v24, 0, v28, s[20:21]
	v_add_f64 v[28:29], v[24:25], 1.0
	v_add_f64 v[30:31], v[28:29], -1.0
	v_add_f64 v[32:33], v[30:31], -v[28:29]
	v_add_f64 v[32:33], v[32:33], 1.0
	v_add_f64 v[30:31], v[24:25], -v[30:31]
	s_mov_b32 s20, 0x55555555
	v_add_f64 v[30:31], v[30:31], v[32:33]
	v_frexp_mant_f64_e32 v[32:33], v[28:29]
	s_mov_b32 s21, 0x3fe55555
	v_frexp_exp_i32_f64_e32 v1, v[28:29]
	v_cmp_gt_f64_e64 s[20:21], s[20:21], v[32:33]
	v_subbrev_co_u32_e64 v1, s[20:21], 0, v1, s[20:21]
	v_sub_u32_e32 v32, 0, v1
	v_ldexp_f64 v[28:29], v[28:29], v32
	v_ldexp_f64 v[30:31], v[30:31], v32
	v_add_f64 v[32:33], v[28:29], -1.0
	v_add_f64 v[38:39], v[28:29], 1.0
	v_add_f64 v[34:35], v[32:33], 1.0
	v_add_f64 v[46:47], v[38:39], -1.0
	v_add_f64 v[34:35], v[28:29], -v[34:35]
	v_add_f64 v[28:29], v[28:29], -v[46:47]
	v_add_f64 v[28:29], v[30:31], v[28:29]
	v_add_f64 v[34:35], v[30:31], v[34:35]
	;; [unrolled: 1-line block ×3, first 2 shown]
	v_rcp_f64_e32 v[46:47], v[30:31]
	v_add_f64 v[36:37], v[32:33], v[34:35]
	v_add_f64 v[32:33], v[36:37], -v[32:33]
	v_add_f64 v[32:33], v[34:35], -v[32:33]
	v_add_f64 v[34:35], v[30:31], -v[38:39]
	v_add_f64 v[28:29], v[28:29], -v[34:35]
	v_fma_f64 v[34:35], -v[30:31], v[46:47], 1.0
	v_fmac_f64_e32 v[46:47], v[34:35], v[46:47]
	v_fma_f64 v[34:35], -v[30:31], v[46:47], 1.0
	v_fmac_f64_e32 v[46:47], v[34:35], v[46:47]
	v_mul_f64 v[34:35], v[36:37], v[46:47]
	v_mul_f64 v[38:39], v[30:31], v[34:35]
	v_fma_f64 v[48:49], v[34:35], v[30:31], -v[38:39]
	v_fmac_f64_e32 v[48:49], v[34:35], v[28:29]
	v_add_f64 v[50:51], v[38:39], v[48:49]
	v_add_f64 v[52:53], v[36:37], -v[50:51]
	v_add_f64 v[36:37], v[36:37], -v[52:53]
	;; [unrolled: 1-line block ×4, first 2 shown]
	v_add_f64 v[32:33], v[32:33], v[36:37]
	v_add_f64 v[36:37], v[38:39], -v[48:49]
	v_add_f64 v[32:33], v[36:37], v[32:33]
	v_add_f64 v[36:37], v[52:53], v[32:33]
	v_add_f64 v[38:39], v[52:53], -v[36:37]
	v_add_f64 v[32:33], v[32:33], v[38:39]
	v_mul_f64 v[38:39], v[46:47], v[36:37]
	v_mul_f64 v[48:49], v[30:31], v[38:39]
	v_fma_f64 v[30:31], v[38:39], v[30:31], -v[48:49]
	v_fmac_f64_e32 v[30:31], v[38:39], v[28:29]
	v_add_f64 v[28:29], v[48:49], v[30:31]
	v_add_f64 v[50:51], v[36:37], -v[28:29]
	v_add_f64 v[36:37], v[36:37], -v[50:51]
	;; [unrolled: 1-line block ×4, first 2 shown]
	v_add_f64 v[28:29], v[32:33], v[28:29]
	v_add_f64 v[30:31], v[48:49], -v[30:31]
	v_add_f64 v[28:29], v[30:31], v[28:29]
	v_add_f64 v[30:31], v[34:35], v[38:39]
	v_add_f64 v[28:29], v[50:51], v[28:29]
	v_add_f64 v[32:33], v[30:31], -v[34:35]
	v_mul_f64 v[28:29], v[46:47], v[28:29]
	v_add_f64 v[32:33], v[38:39], -v[32:33]
	v_add_f64 v[28:29], v[32:33], v[28:29]
	v_add_f64 v[32:33], v[30:31], v[28:29]
	v_add_f64 v[30:31], v[32:33], -v[30:31]
	s_mov_b32 s20, 0xbf559e2b
	v_add_f64 v[28:29], v[28:29], -v[30:31]
	v_mul_f64 v[30:31], v[32:33], v[32:33]
	v_mov_b32_e32 v34, 0x6b47b09a
	v_mov_b32_e32 v35, 0x3fc38538
	s_mov_b32 s21, 0x3fc3ab76
	v_fmac_f64_e32 v[34:35], s[20:21], v[30:31]
	v_mov_b32_e32 v36, 0xd7f4df2e
	v_mov_b32_e32 v37, 0x3fc7474d
	v_fmac_f64_e32 v[36:37], v[30:31], v[34:35]
	v_mov_b32_e32 v34, 0x16291751
	v_mov_b32_e32 v35, 0x3fcc71c0
	;; [unrolled: 3-line block ×5, first 2 shown]
	v_fmac_f64_e32 v[36:37], v[30:31], v[34:35]
	v_cvt_f64_i32_e32 v[34:35], v1
	s_mov_b32 s27, 0x3fe62e42
	v_mul_f64 v[38:39], v[34:35], s[26:27]
	v_fma_f64 v[46:47], v[34:35], s[26:27], -v[38:39]
	s_mov_b32 s29, 0x3c7abc9e
	v_fmac_f64_e32 v[46:47], s[28:29], v[34:35]
	v_add_f64 v[34:35], v[38:39], v[46:47]
	v_add_f64 v[38:39], v[34:35], -v[38:39]
	v_mul_f64 v[30:31], v[32:33], v[30:31]
	v_add_f64 v[38:39], v[46:47], -v[38:39]
	v_ldexp_f64 v[46:47], v[32:33], 1
	v_mul_f64 v[30:31], v[30:31], v[36:37]
	v_add_f64 v[32:33], v[46:47], v[30:31]
	v_add_f64 v[36:37], v[32:33], -v[46:47]
	v_ldexp_f64 v[28:29], v[28:29], 1
	v_add_f64 v[30:31], v[30:31], -v[36:37]
	v_add_f64 v[28:29], v[28:29], v[30:31]
	v_add_f64 v[30:31], v[32:33], v[28:29]
	v_add_f64 v[32:33], v[30:31], -v[32:33]
	v_add_f64 v[28:29], v[28:29], -v[32:33]
	v_add_f64 v[32:33], v[34:35], v[30:31]
	v_add_f64 v[36:37], v[32:33], -v[34:35]
	v_add_f64 v[46:47], v[32:33], -v[36:37]
	;; [unrolled: 1-line block ×4, first 2 shown]
	v_add_f64 v[30:31], v[30:31], v[34:35]
	v_add_f64 v[34:35], v[38:39], v[28:29]
	v_add_f64 v[36:37], v[34:35], -v[38:39]
	v_add_f64 v[30:31], v[34:35], v[30:31]
	v_add_f64 v[46:47], v[34:35], -v[36:37]
	;; [unrolled: 2-line block ×3, first 2 shown]
	v_add_f64 v[28:29], v[28:29], -v[36:37]
	v_add_f64 v[32:33], v[34:35], -v[32:33]
	v_add_f64 v[28:29], v[28:29], v[38:39]
	v_add_f64 v[30:31], v[30:31], -v[32:33]
	s_mov_b32 s20, 0
	v_add_f64 v[28:29], v[28:29], v[30:31]
	s_mov_b32 s21, 0x7ff00000
	v_add_f64 v[28:29], v[34:35], v[28:29]
	v_cmp_eq_f64_e64 s[20:21], s[20:21], v[24:25]
	v_cndmask_b32_e64 v1, v28, v24, s[20:21]
	v_cndmask_b32_e64 v28, v29, v25, s[20:21]
	v_mov_b32_e32 v29, 0x7ff80000
	v_cmp_ngt_f64_e64 s[20:21], -1.0, v[24:25]
	v_cndmask_b32_e64 v29, v29, v28, s[20:21]
	v_cmp_nge_f64_e64 s[20:21], -1.0, v[24:25]
	v_cndmask_b32_e64 v28, 0, v1, s[20:21]
	v_mov_b32_e32 v1, 0xfff00000
	v_cmp_neq_f64_e64 s[20:21], -1.0, v[24:25]
	v_cndmask_b32_e64 v29, v1, v29, s[20:21]
	v_add_f64 v[46:47], v[22:23], v[28:29]
.LBB58_22:
	s_or_b64 exec, exec, s[24:25]
	v_max_f64 v[22:23], v[18:19], v[18:19]
	v_max_f64 v[24:25], v[46:47], v[46:47]
	v_min_f64 v[28:29], v[24:25], v[22:23]
	v_cmp_u_f64_e64 s[22:23], v[46:47], v[46:47]
	v_cndmask_b32_e64 v1, v28, v46, s[22:23]
	v_cndmask_b32_e64 v28, v29, v47, s[22:23]
	v_cmp_u_f64_e64 s[20:21], v[18:19], v[18:19]
	v_max_f64 v[24:25], v[24:25], v[22:23]
	v_cndmask_b32_e64 v29, v28, v19, s[20:21]
	v_cndmask_b32_e64 v28, v1, v18, s[20:21]
	;; [unrolled: 1-line block ×6, first 2 shown]
	v_cmp_neq_f64_e64 s[22:23], v[28:29], v[24:25]
	v_cmp_class_f64_e64 s[24:25], v[28:29], s30
	s_or_b64 s[22:23], s[22:23], s[24:25]
	s_and_saveexec_b64 s[26:27], s[22:23]
	s_cbranch_execz .LBB58_24
; %bb.23:
	s_mov_b32 s22, 0x652b82fe
	v_add_f64 v[28:29], v[28:29], -v[24:25]
	s_mov_b32 s23, 0x3ff71547
	v_mul_f64 v[30:31], v[28:29], s[22:23]
	v_rndne_f64_e32 v[30:31], v[30:31]
	s_mov_b32 s29, 0xbfe62e42
	s_mov_b32 s28, 0xfefa39ef
	v_fma_f64 v[32:33], s[28:29], v[30:31], v[28:29]
	s_mov_b32 s31, 0xbc7abc9e
	s_mov_b32 s30, 0x3b39803f
	;; [unrolled: 1-line block ×3, first 2 shown]
	v_fmac_f64_e32 v[32:33], s[30:31], v[30:31]
	v_mov_b32_e32 v34, 0xfca7ab0c
	v_mov_b32_e32 v35, 0x3e928af3
	s_mov_b32 s23, 0x3e5ade15
	v_fmac_f64_e32 v[34:35], s[22:23], v[32:33]
	v_mov_b32_e32 v36, 0x623fde64
	v_mov_b32_e32 v37, 0x3ec71dee
	v_fmac_f64_e32 v[36:37], v[32:33], v[34:35]
	v_mov_b32_e32 v34, 0x7c89e6b0
	v_mov_b32_e32 v35, 0x3efa0199
	v_fmac_f64_e32 v[34:35], v[32:33], v[36:37]
	v_mov_b32_e32 v36, 0x14761f6e
	v_mov_b32_e32 v37, 0x3f2a01a0
	v_fmac_f64_e32 v[36:37], v[32:33], v[34:35]
	v_mov_b32_e32 v34, 0x1852b7b0
	v_mov_b32_e32 v35, 0x3f56c16c
	v_fmac_f64_e32 v[34:35], v[32:33], v[36:37]
	v_mov_b32_e32 v36, 0x11122322
	v_mov_b32_e32 v37, 0x3f811111
	v_fmac_f64_e32 v[36:37], v[32:33], v[34:35]
	v_mov_b32_e32 v34, 0x555502a1
	v_mov_b32_e32 v35, 0x3fa55555
	v_fmac_f64_e32 v[34:35], v[32:33], v[36:37]
	v_mov_b32_e32 v36, 0x55555511
	v_mov_b32_e32 v37, 0x3fc55555
	v_fmac_f64_e32 v[36:37], v[32:33], v[34:35]
	v_mov_b32_e32 v34, 11
	v_mov_b32_e32 v35, 0x3fe00000
	v_fmac_f64_e32 v[34:35], v[32:33], v[36:37]
	v_fma_f64 v[34:35], v[32:33], v[34:35], 1.0
	s_mov_b32 s22, 0
	s_mov_b32 s24, 0
	v_fma_f64 v[32:33], v[32:33], v[34:35], 1.0
	v_cvt_i32_f64_e32 v1, v[30:31]
	s_mov_b32 s23, 0x40900000
	s_mov_b32 s25, 0xc090cc00
	v_ldexp_f64 v[30:31], v[32:33], v1
	v_mov_b32_e32 v1, 0x7ff00000
	v_cmp_nlt_f64_e64 s[22:23], s[22:23], v[28:29]
	v_cmp_ngt_f64_e64 s[24:25], s[24:25], v[28:29]
	v_cndmask_b32_e64 v1, v1, v31, s[22:23]
	s_and_b64 s[22:23], s[24:25], s[22:23]
	v_cndmask_b32_e64 v29, 0, v1, s[24:25]
	v_cndmask_b32_e64 v28, 0, v30, s[22:23]
	v_add_f64 v[30:31], v[28:29], 1.0
	v_add_f64 v[32:33], v[30:31], -1.0
	v_add_f64 v[34:35], v[32:33], -v[30:31]
	v_add_f64 v[34:35], v[34:35], 1.0
	v_add_f64 v[32:33], v[28:29], -v[32:33]
	s_mov_b32 s22, 0x55555555
	v_add_f64 v[32:33], v[32:33], v[34:35]
	v_frexp_mant_f64_e32 v[34:35], v[30:31]
	s_mov_b32 s23, 0x3fe55555
	v_frexp_exp_i32_f64_e32 v1, v[30:31]
	v_cmp_gt_f64_e64 s[22:23], s[22:23], v[34:35]
	v_subbrev_co_u32_e64 v1, s[22:23], 0, v1, s[22:23]
	v_sub_u32_e32 v34, 0, v1
	v_ldexp_f64 v[30:31], v[30:31], v34
	v_ldexp_f64 v[32:33], v[32:33], v34
	v_add_f64 v[34:35], v[30:31], -1.0
	v_add_f64 v[46:47], v[30:31], 1.0
	v_add_f64 v[36:37], v[34:35], 1.0
	v_add_f64 v[48:49], v[46:47], -1.0
	v_add_f64 v[36:37], v[30:31], -v[36:37]
	v_add_f64 v[30:31], v[30:31], -v[48:49]
	v_add_f64 v[30:31], v[32:33], v[30:31]
	v_add_f64 v[36:37], v[32:33], v[36:37]
	;; [unrolled: 1-line block ×3, first 2 shown]
	v_rcp_f64_e32 v[48:49], v[32:33]
	v_add_f64 v[38:39], v[34:35], v[36:37]
	v_add_f64 v[34:35], v[38:39], -v[34:35]
	v_add_f64 v[34:35], v[36:37], -v[34:35]
	;; [unrolled: 1-line block ×4, first 2 shown]
	v_fma_f64 v[36:37], -v[32:33], v[48:49], 1.0
	v_fmac_f64_e32 v[48:49], v[36:37], v[48:49]
	v_fma_f64 v[36:37], -v[32:33], v[48:49], 1.0
	v_fmac_f64_e32 v[48:49], v[36:37], v[48:49]
	v_mul_f64 v[36:37], v[38:39], v[48:49]
	v_mul_f64 v[46:47], v[32:33], v[36:37]
	v_fma_f64 v[50:51], v[36:37], v[32:33], -v[46:47]
	v_fmac_f64_e32 v[50:51], v[36:37], v[30:31]
	v_add_f64 v[52:53], v[46:47], v[50:51]
	v_add_f64 v[56:57], v[38:39], -v[52:53]
	v_add_f64 v[38:39], v[38:39], -v[56:57]
	;; [unrolled: 1-line block ×4, first 2 shown]
	v_add_f64 v[34:35], v[34:35], v[38:39]
	v_add_f64 v[38:39], v[46:47], -v[50:51]
	v_add_f64 v[34:35], v[38:39], v[34:35]
	v_add_f64 v[38:39], v[56:57], v[34:35]
	v_add_f64 v[46:47], v[56:57], -v[38:39]
	v_add_f64 v[34:35], v[34:35], v[46:47]
	v_mul_f64 v[46:47], v[48:49], v[38:39]
	v_mul_f64 v[50:51], v[32:33], v[46:47]
	v_fma_f64 v[32:33], v[46:47], v[32:33], -v[50:51]
	v_fmac_f64_e32 v[32:33], v[46:47], v[30:31]
	v_add_f64 v[30:31], v[50:51], v[32:33]
	v_add_f64 v[52:53], v[38:39], -v[30:31]
	v_add_f64 v[38:39], v[38:39], -v[52:53]
	;; [unrolled: 1-line block ×4, first 2 shown]
	v_add_f64 v[30:31], v[34:35], v[30:31]
	v_add_f64 v[32:33], v[50:51], -v[32:33]
	v_add_f64 v[30:31], v[32:33], v[30:31]
	v_add_f64 v[32:33], v[36:37], v[46:47]
	;; [unrolled: 1-line block ×3, first 2 shown]
	v_add_f64 v[34:35], v[32:33], -v[36:37]
	v_mul_f64 v[30:31], v[48:49], v[30:31]
	v_add_f64 v[34:35], v[46:47], -v[34:35]
	v_add_f64 v[30:31], v[34:35], v[30:31]
	v_add_f64 v[34:35], v[32:33], v[30:31]
	v_add_f64 v[32:33], v[34:35], -v[32:33]
	s_mov_b32 s22, 0xbf559e2b
	v_add_f64 v[30:31], v[30:31], -v[32:33]
	v_mul_f64 v[32:33], v[34:35], v[34:35]
	v_mov_b32_e32 v36, 0x6b47b09a
	v_mov_b32_e32 v37, 0x3fc38538
	s_mov_b32 s23, 0x3fc3ab76
	v_fmac_f64_e32 v[36:37], s[22:23], v[32:33]
	v_mov_b32_e32 v38, 0xd7f4df2e
	v_mov_b32_e32 v39, 0x3fc7474d
	v_fmac_f64_e32 v[38:39], v[32:33], v[36:37]
	v_mov_b32_e32 v36, 0x16291751
	v_mov_b32_e32 v37, 0x3fcc71c0
	;; [unrolled: 3-line block ×5, first 2 shown]
	v_fmac_f64_e32 v[38:39], v[32:33], v[36:37]
	v_cvt_f64_i32_e32 v[36:37], v1
	s_mov_b32 s29, 0x3fe62e42
	v_mul_f64 v[46:47], v[36:37], s[28:29]
	v_fma_f64 v[48:49], v[36:37], s[28:29], -v[46:47]
	s_mov_b32 s31, 0x3c7abc9e
	v_fmac_f64_e32 v[48:49], s[30:31], v[36:37]
	v_add_f64 v[36:37], v[46:47], v[48:49]
	v_add_f64 v[46:47], v[36:37], -v[46:47]
	v_mul_f64 v[32:33], v[34:35], v[32:33]
	v_add_f64 v[46:47], v[48:49], -v[46:47]
	v_ldexp_f64 v[48:49], v[34:35], 1
	v_mul_f64 v[32:33], v[32:33], v[38:39]
	v_add_f64 v[34:35], v[48:49], v[32:33]
	v_add_f64 v[38:39], v[34:35], -v[48:49]
	v_ldexp_f64 v[30:31], v[30:31], 1
	v_add_f64 v[32:33], v[32:33], -v[38:39]
	v_add_f64 v[30:31], v[30:31], v[32:33]
	v_add_f64 v[32:33], v[34:35], v[30:31]
	v_add_f64 v[34:35], v[32:33], -v[34:35]
	v_add_f64 v[30:31], v[30:31], -v[34:35]
	v_add_f64 v[34:35], v[36:37], v[32:33]
	v_add_f64 v[38:39], v[34:35], -v[36:37]
	v_add_f64 v[48:49], v[34:35], -v[38:39]
	;; [unrolled: 1-line block ×4, first 2 shown]
	v_add_f64 v[32:33], v[32:33], v[36:37]
	v_add_f64 v[36:37], v[46:47], v[30:31]
	v_add_f64 v[38:39], v[36:37], -v[46:47]
	v_add_f64 v[32:33], v[36:37], v[32:33]
	v_add_f64 v[48:49], v[36:37], -v[38:39]
	;; [unrolled: 2-line block ×3, first 2 shown]
	v_add_f64 v[30:31], v[30:31], -v[38:39]
	v_add_f64 v[34:35], v[36:37], -v[34:35]
	v_add_f64 v[30:31], v[30:31], v[46:47]
	v_add_f64 v[32:33], v[32:33], -v[34:35]
	s_mov_b32 s22, 0
	v_add_f64 v[30:31], v[30:31], v[32:33]
	s_mov_b32 s23, 0x7ff00000
	v_add_f64 v[30:31], v[36:37], v[30:31]
	v_cmp_eq_f64_e64 s[22:23], s[22:23], v[28:29]
	v_cndmask_b32_e64 v1, v30, v28, s[22:23]
	v_cndmask_b32_e64 v30, v31, v29, s[22:23]
	v_mov_b32_e32 v31, 0x7ff80000
	v_cmp_ngt_f64_e64 s[22:23], -1.0, v[28:29]
	v_cndmask_b32_e64 v31, v31, v30, s[22:23]
	v_cmp_nge_f64_e64 s[22:23], -1.0, v[28:29]
	v_cndmask_b32_e64 v30, 0, v1, s[22:23]
	v_mov_b32_e32 v1, 0xfff00000
	v_cmp_neq_f64_e64 s[22:23], -1.0, v[28:29]
	v_cndmask_b32_e64 v31, v1, v31, s[22:23]
	v_add_f64 v[46:47], v[24:25], v[30:31]
.LBB58_24:
	s_or_b64 exec, exec, s[26:27]
	v_max_f64 v[24:25], v[20:21], v[20:21]
	v_max_f64 v[28:29], v[46:47], v[46:47]
	v_min_f64 v[30:31], v[28:29], v[24:25]
	v_cmp_u_f64_e64 s[24:25], v[46:47], v[46:47]
	v_cndmask_b32_e64 v1, v30, v46, s[24:25]
	v_cndmask_b32_e64 v30, v31, v47, s[24:25]
	v_cmp_u_f64_e64 s[22:23], v[20:21], v[20:21]
	v_max_f64 v[28:29], v[28:29], v[24:25]
	v_cndmask_b32_e64 v31, v30, v21, s[22:23]
	v_cndmask_b32_e64 v30, v1, v20, s[22:23]
	;; [unrolled: 1-line block ×6, first 2 shown]
	s_movk_i32 s33, 0x1f8
	v_cmp_neq_f64_e64 s[24:25], v[30:31], v[28:29]
	v_cmp_class_f64_e64 s[26:27], v[30:31], s33
	s_or_b64 s[24:25], s[24:25], s[26:27]
	s_and_saveexec_b64 s[28:29], s[24:25]
	s_cbranch_execz .LBB58_26
; %bb.25:
	s_mov_b32 s24, 0x652b82fe
	v_add_f64 v[30:31], v[30:31], -v[28:29]
	s_mov_b32 s25, 0x3ff71547
	v_mul_f64 v[32:33], v[30:31], s[24:25]
	v_rndne_f64_e32 v[32:33], v[32:33]
	s_mov_b32 s31, 0xbfe62e42
	s_mov_b32 s30, 0xfefa39ef
	v_fma_f64 v[34:35], s[30:31], v[32:33], v[30:31]
	s_mov_b32 s35, 0xbc7abc9e
	s_mov_b32 s34, 0x3b39803f
	;; [unrolled: 1-line block ×3, first 2 shown]
	v_fmac_f64_e32 v[34:35], s[34:35], v[32:33]
	v_mov_b32_e32 v36, 0xfca7ab0c
	v_mov_b32_e32 v37, 0x3e928af3
	s_mov_b32 s25, 0x3e5ade15
	v_fmac_f64_e32 v[36:37], s[24:25], v[34:35]
	v_mov_b32_e32 v38, 0x623fde64
	v_mov_b32_e32 v39, 0x3ec71dee
	v_fmac_f64_e32 v[38:39], v[34:35], v[36:37]
	v_mov_b32_e32 v36, 0x7c89e6b0
	v_mov_b32_e32 v37, 0x3efa0199
	;; [unrolled: 3-line block ×8, first 2 shown]
	v_fmac_f64_e32 v[36:37], v[34:35], v[38:39]
	v_fma_f64 v[36:37], v[34:35], v[36:37], 1.0
	s_mov_b32 s24, 0
	s_mov_b32 s26, 0
	v_fma_f64 v[34:35], v[34:35], v[36:37], 1.0
	v_cvt_i32_f64_e32 v1, v[32:33]
	s_mov_b32 s25, 0x40900000
	s_mov_b32 s27, 0xc090cc00
	v_ldexp_f64 v[32:33], v[34:35], v1
	v_mov_b32_e32 v1, 0x7ff00000
	v_cmp_nlt_f64_e64 s[24:25], s[24:25], v[30:31]
	v_cmp_ngt_f64_e64 s[26:27], s[26:27], v[30:31]
	v_cndmask_b32_e64 v1, v1, v33, s[24:25]
	s_and_b64 s[24:25], s[26:27], s[24:25]
	v_cndmask_b32_e64 v31, 0, v1, s[26:27]
	v_cndmask_b32_e64 v30, 0, v32, s[24:25]
	v_add_f64 v[32:33], v[30:31], 1.0
	v_add_f64 v[34:35], v[32:33], -1.0
	v_add_f64 v[36:37], v[34:35], -v[32:33]
	v_add_f64 v[36:37], v[36:37], 1.0
	v_add_f64 v[34:35], v[30:31], -v[34:35]
	s_mov_b32 s24, 0x55555555
	v_add_f64 v[34:35], v[34:35], v[36:37]
	v_frexp_mant_f64_e32 v[36:37], v[32:33]
	s_mov_b32 s25, 0x3fe55555
	v_frexp_exp_i32_f64_e32 v1, v[32:33]
	v_cmp_gt_f64_e64 s[24:25], s[24:25], v[36:37]
	v_subbrev_co_u32_e64 v1, s[24:25], 0, v1, s[24:25]
	v_sub_u32_e32 v36, 0, v1
	v_ldexp_f64 v[32:33], v[32:33], v36
	v_ldexp_f64 v[34:35], v[34:35], v36
	v_add_f64 v[36:37], v[32:33], -1.0
	v_add_f64 v[48:49], v[32:33], 1.0
	v_add_f64 v[38:39], v[36:37], 1.0
	v_add_f64 v[50:51], v[48:49], -1.0
	v_add_f64 v[38:39], v[32:33], -v[38:39]
	v_add_f64 v[32:33], v[32:33], -v[50:51]
	v_add_f64 v[32:33], v[34:35], v[32:33]
	v_add_f64 v[38:39], v[34:35], v[38:39]
	;; [unrolled: 1-line block ×3, first 2 shown]
	v_rcp_f64_e32 v[50:51], v[34:35]
	v_add_f64 v[46:47], v[36:37], v[38:39]
	v_add_f64 v[36:37], v[46:47], -v[36:37]
	v_add_f64 v[36:37], v[38:39], -v[36:37]
	;; [unrolled: 1-line block ×4, first 2 shown]
	v_fma_f64 v[38:39], -v[34:35], v[50:51], 1.0
	v_fmac_f64_e32 v[50:51], v[38:39], v[50:51]
	v_fma_f64 v[38:39], -v[34:35], v[50:51], 1.0
	v_fmac_f64_e32 v[50:51], v[38:39], v[50:51]
	v_mul_f64 v[38:39], v[46:47], v[50:51]
	v_mul_f64 v[48:49], v[34:35], v[38:39]
	v_fma_f64 v[52:53], v[38:39], v[34:35], -v[48:49]
	v_fmac_f64_e32 v[52:53], v[38:39], v[32:33]
	v_add_f64 v[56:57], v[48:49], v[52:53]
	v_add_f64 v[58:59], v[46:47], -v[56:57]
	v_add_f64 v[46:47], v[46:47], -v[58:59]
	;; [unrolled: 1-line block ×4, first 2 shown]
	v_add_f64 v[36:37], v[36:37], v[46:47]
	v_add_f64 v[46:47], v[48:49], -v[52:53]
	v_add_f64 v[36:37], v[46:47], v[36:37]
	v_add_f64 v[46:47], v[58:59], v[36:37]
	v_add_f64 v[48:49], v[58:59], -v[46:47]
	v_add_f64 v[36:37], v[36:37], v[48:49]
	v_mul_f64 v[48:49], v[50:51], v[46:47]
	v_mul_f64 v[52:53], v[34:35], v[48:49]
	v_fma_f64 v[34:35], v[48:49], v[34:35], -v[52:53]
	v_fmac_f64_e32 v[34:35], v[48:49], v[32:33]
	v_add_f64 v[32:33], v[52:53], v[34:35]
	v_add_f64 v[56:57], v[46:47], -v[32:33]
	v_add_f64 v[46:47], v[46:47], -v[56:57]
	;; [unrolled: 1-line block ×4, first 2 shown]
	v_add_f64 v[32:33], v[36:37], v[32:33]
	v_add_f64 v[34:35], v[52:53], -v[34:35]
	v_add_f64 v[32:33], v[34:35], v[32:33]
	v_add_f64 v[34:35], v[38:39], v[48:49]
	;; [unrolled: 1-line block ×3, first 2 shown]
	v_add_f64 v[36:37], v[34:35], -v[38:39]
	v_mul_f64 v[32:33], v[50:51], v[32:33]
	v_add_f64 v[36:37], v[48:49], -v[36:37]
	v_add_f64 v[32:33], v[36:37], v[32:33]
	v_add_f64 v[36:37], v[34:35], v[32:33]
	v_add_f64 v[34:35], v[36:37], -v[34:35]
	s_mov_b32 s24, 0xbf559e2b
	v_add_f64 v[32:33], v[32:33], -v[34:35]
	v_mul_f64 v[34:35], v[36:37], v[36:37]
	v_mov_b32_e32 v38, 0x6b47b09a
	v_mov_b32_e32 v39, 0x3fc38538
	s_mov_b32 s25, 0x3fc3ab76
	v_fmac_f64_e32 v[38:39], s[24:25], v[34:35]
	v_mov_b32_e32 v46, 0xd7f4df2e
	v_mov_b32_e32 v47, 0x3fc7474d
	v_fmac_f64_e32 v[46:47], v[34:35], v[38:39]
	v_mov_b32_e32 v38, 0x16291751
	v_mov_b32_e32 v39, 0x3fcc71c0
	;; [unrolled: 3-line block ×5, first 2 shown]
	v_fmac_f64_e32 v[46:47], v[34:35], v[38:39]
	v_cvt_f64_i32_e32 v[38:39], v1
	s_mov_b32 s31, 0x3fe62e42
	v_mul_f64 v[48:49], v[38:39], s[30:31]
	v_fma_f64 v[50:51], v[38:39], s[30:31], -v[48:49]
	s_mov_b32 s35, 0x3c7abc9e
	v_fmac_f64_e32 v[50:51], s[34:35], v[38:39]
	v_add_f64 v[38:39], v[48:49], v[50:51]
	v_add_f64 v[48:49], v[38:39], -v[48:49]
	v_mul_f64 v[34:35], v[36:37], v[34:35]
	v_add_f64 v[48:49], v[50:51], -v[48:49]
	v_ldexp_f64 v[50:51], v[36:37], 1
	v_mul_f64 v[34:35], v[34:35], v[46:47]
	v_add_f64 v[36:37], v[50:51], v[34:35]
	v_add_f64 v[46:47], v[36:37], -v[50:51]
	v_ldexp_f64 v[32:33], v[32:33], 1
	v_add_f64 v[34:35], v[34:35], -v[46:47]
	v_add_f64 v[32:33], v[32:33], v[34:35]
	v_add_f64 v[34:35], v[36:37], v[32:33]
	v_add_f64 v[36:37], v[34:35], -v[36:37]
	v_add_f64 v[32:33], v[32:33], -v[36:37]
	v_add_f64 v[36:37], v[38:39], v[34:35]
	v_add_f64 v[46:47], v[36:37], -v[38:39]
	v_add_f64 v[50:51], v[36:37], -v[46:47]
	;; [unrolled: 1-line block ×4, first 2 shown]
	v_add_f64 v[34:35], v[34:35], v[38:39]
	v_add_f64 v[38:39], v[48:49], v[32:33]
	v_add_f64 v[46:47], v[38:39], -v[48:49]
	v_add_f64 v[34:35], v[38:39], v[34:35]
	v_add_f64 v[50:51], v[38:39], -v[46:47]
	;; [unrolled: 2-line block ×3, first 2 shown]
	v_add_f64 v[32:33], v[32:33], -v[46:47]
	v_add_f64 v[36:37], v[38:39], -v[36:37]
	v_add_f64 v[32:33], v[32:33], v[48:49]
	v_add_f64 v[34:35], v[34:35], -v[36:37]
	s_mov_b32 s24, 0
	v_add_f64 v[32:33], v[32:33], v[34:35]
	s_mov_b32 s25, 0x7ff00000
	v_add_f64 v[32:33], v[38:39], v[32:33]
	v_cmp_eq_f64_e64 s[24:25], s[24:25], v[30:31]
	v_cndmask_b32_e64 v1, v32, v30, s[24:25]
	v_cndmask_b32_e64 v32, v33, v31, s[24:25]
	v_mov_b32_e32 v33, 0x7ff80000
	v_cmp_ngt_f64_e64 s[24:25], -1.0, v[30:31]
	v_cndmask_b32_e64 v33, v33, v32, s[24:25]
	v_cmp_nge_f64_e64 s[24:25], -1.0, v[30:31]
	v_cndmask_b32_e64 v32, 0, v1, s[24:25]
	v_mov_b32_e32 v1, 0xfff00000
	v_cmp_neq_f64_e64 s[24:25], -1.0, v[30:31]
	v_cndmask_b32_e64 v33, v1, v33, s[24:25]
	v_add_f64 v[46:47], v[28:29], v[32:33]
.LBB58_26:
	s_or_b64 exec, exec, s[28:29]
	v_max_f64 v[28:29], v[14:15], v[14:15]
	v_max_f64 v[30:31], v[46:47], v[46:47]
	v_min_f64 v[32:33], v[30:31], v[28:29]
	v_cmp_u_f64_e64 s[26:27], v[46:47], v[46:47]
	v_cndmask_b32_e64 v1, v32, v46, s[26:27]
	v_cndmask_b32_e64 v32, v33, v47, s[26:27]
	v_cmp_u_f64_e64 s[24:25], v[14:15], v[14:15]
	v_max_f64 v[30:31], v[30:31], v[28:29]
	v_cndmask_b32_e64 v33, v32, v15, s[24:25]
	v_cndmask_b32_e64 v32, v1, v14, s[24:25]
	;; [unrolled: 1-line block ×6, first 2 shown]
	v_cmp_neq_f64_e64 s[26:27], v[32:33], v[30:31]
	v_cmp_class_f64_e64 s[28:29], v[32:33], s33
	s_or_b64 s[26:27], s[26:27], s[28:29]
	s_and_saveexec_b64 s[30:31], s[26:27]
	s_cbranch_execz .LBB58_28
; %bb.27:
	s_mov_b32 s26, 0x652b82fe
	v_add_f64 v[32:33], v[32:33], -v[30:31]
	s_mov_b32 s27, 0x3ff71547
	v_mul_f64 v[34:35], v[32:33], s[26:27]
	v_rndne_f64_e32 v[34:35], v[34:35]
	s_mov_b32 s35, 0xbfe62e42
	s_mov_b32 s34, 0xfefa39ef
	v_fma_f64 v[36:37], s[34:35], v[34:35], v[32:33]
	s_mov_b32 s37, 0xbc7abc9e
	s_mov_b32 s36, 0x3b39803f
	;; [unrolled: 1-line block ×3, first 2 shown]
	v_fmac_f64_e32 v[36:37], s[36:37], v[34:35]
	v_mov_b32_e32 v38, 0xfca7ab0c
	v_mov_b32_e32 v39, 0x3e928af3
	s_mov_b32 s27, 0x3e5ade15
	v_fmac_f64_e32 v[38:39], s[26:27], v[36:37]
	v_mov_b32_e32 v46, 0x623fde64
	v_mov_b32_e32 v47, 0x3ec71dee
	v_fmac_f64_e32 v[46:47], v[36:37], v[38:39]
	v_mov_b32_e32 v38, 0x7c89e6b0
	v_mov_b32_e32 v39, 0x3efa0199
	;; [unrolled: 3-line block ×8, first 2 shown]
	v_fmac_f64_e32 v[38:39], v[36:37], v[46:47]
	v_fma_f64 v[38:39], v[36:37], v[38:39], 1.0
	s_mov_b32 s26, 0
	s_mov_b32 s28, 0
	v_fma_f64 v[36:37], v[36:37], v[38:39], 1.0
	v_cvt_i32_f64_e32 v1, v[34:35]
	s_mov_b32 s27, 0x40900000
	s_mov_b32 s29, 0xc090cc00
	v_ldexp_f64 v[34:35], v[36:37], v1
	v_mov_b32_e32 v1, 0x7ff00000
	v_cmp_nlt_f64_e64 s[26:27], s[26:27], v[32:33]
	v_cmp_ngt_f64_e64 s[28:29], s[28:29], v[32:33]
	v_cndmask_b32_e64 v1, v1, v35, s[26:27]
	s_and_b64 s[26:27], s[28:29], s[26:27]
	v_cndmask_b32_e64 v33, 0, v1, s[28:29]
	v_cndmask_b32_e64 v32, 0, v34, s[26:27]
	v_add_f64 v[34:35], v[32:33], 1.0
	v_add_f64 v[36:37], v[34:35], -1.0
	v_add_f64 v[38:39], v[36:37], -v[34:35]
	v_add_f64 v[38:39], v[38:39], 1.0
	v_add_f64 v[36:37], v[32:33], -v[36:37]
	s_mov_b32 s26, 0x55555555
	v_add_f64 v[36:37], v[36:37], v[38:39]
	v_frexp_mant_f64_e32 v[38:39], v[34:35]
	s_mov_b32 s27, 0x3fe55555
	v_frexp_exp_i32_f64_e32 v1, v[34:35]
	v_cmp_gt_f64_e64 s[26:27], s[26:27], v[38:39]
	v_subbrev_co_u32_e64 v1, s[26:27], 0, v1, s[26:27]
	v_sub_u32_e32 v38, 0, v1
	v_ldexp_f64 v[34:35], v[34:35], v38
	v_ldexp_f64 v[36:37], v[36:37], v38
	v_add_f64 v[38:39], v[34:35], -1.0
	v_add_f64 v[50:51], v[34:35], 1.0
	v_add_f64 v[46:47], v[38:39], 1.0
	v_add_f64 v[52:53], v[50:51], -1.0
	v_add_f64 v[46:47], v[34:35], -v[46:47]
	v_add_f64 v[34:35], v[34:35], -v[52:53]
	v_add_f64 v[34:35], v[36:37], v[34:35]
	v_add_f64 v[46:47], v[36:37], v[46:47]
	;; [unrolled: 1-line block ×3, first 2 shown]
	v_rcp_f64_e32 v[52:53], v[36:37]
	v_add_f64 v[48:49], v[38:39], v[46:47]
	v_add_f64 v[38:39], v[48:49], -v[38:39]
	v_add_f64 v[38:39], v[46:47], -v[38:39]
	;; [unrolled: 1-line block ×4, first 2 shown]
	v_fma_f64 v[46:47], -v[36:37], v[52:53], 1.0
	v_fmac_f64_e32 v[52:53], v[46:47], v[52:53]
	v_fma_f64 v[46:47], -v[36:37], v[52:53], 1.0
	v_fmac_f64_e32 v[52:53], v[46:47], v[52:53]
	v_mul_f64 v[46:47], v[48:49], v[52:53]
	v_mul_f64 v[50:51], v[36:37], v[46:47]
	v_fma_f64 v[56:57], v[46:47], v[36:37], -v[50:51]
	v_fmac_f64_e32 v[56:57], v[46:47], v[34:35]
	v_add_f64 v[58:59], v[50:51], v[56:57]
	v_add_f64 v[60:61], v[48:49], -v[58:59]
	v_add_f64 v[48:49], v[48:49], -v[60:61]
	v_add_f64 v[50:51], v[58:59], -v[50:51]
	v_add_f64 v[48:49], v[48:49], -v[58:59]
	v_add_f64 v[38:39], v[38:39], v[48:49]
	v_add_f64 v[48:49], v[50:51], -v[56:57]
	v_add_f64 v[38:39], v[48:49], v[38:39]
	v_add_f64 v[48:49], v[60:61], v[38:39]
	v_add_f64 v[50:51], v[60:61], -v[48:49]
	v_add_f64 v[38:39], v[38:39], v[50:51]
	v_mul_f64 v[50:51], v[52:53], v[48:49]
	v_mul_f64 v[56:57], v[36:37], v[50:51]
	v_fma_f64 v[36:37], v[50:51], v[36:37], -v[56:57]
	v_fmac_f64_e32 v[36:37], v[50:51], v[34:35]
	v_add_f64 v[34:35], v[56:57], v[36:37]
	v_add_f64 v[58:59], v[48:49], -v[34:35]
	v_add_f64 v[48:49], v[48:49], -v[58:59]
	v_add_f64 v[56:57], v[34:35], -v[56:57]
	v_add_f64 v[34:35], v[48:49], -v[34:35]
	v_add_f64 v[34:35], v[38:39], v[34:35]
	v_add_f64 v[36:37], v[56:57], -v[36:37]
	v_add_f64 v[34:35], v[36:37], v[34:35]
	v_add_f64 v[36:37], v[46:47], v[50:51]
	;; [unrolled: 1-line block ×3, first 2 shown]
	v_add_f64 v[38:39], v[36:37], -v[46:47]
	v_mul_f64 v[34:35], v[52:53], v[34:35]
	v_add_f64 v[38:39], v[50:51], -v[38:39]
	v_add_f64 v[34:35], v[38:39], v[34:35]
	v_add_f64 v[38:39], v[36:37], v[34:35]
	v_add_f64 v[36:37], v[38:39], -v[36:37]
	s_mov_b32 s26, 0xbf559e2b
	v_add_f64 v[34:35], v[34:35], -v[36:37]
	v_mul_f64 v[36:37], v[38:39], v[38:39]
	v_mov_b32_e32 v46, 0x6b47b09a
	v_mov_b32_e32 v47, 0x3fc38538
	s_mov_b32 s27, 0x3fc3ab76
	v_fmac_f64_e32 v[46:47], s[26:27], v[36:37]
	v_mov_b32_e32 v48, 0xd7f4df2e
	v_mov_b32_e32 v49, 0x3fc7474d
	v_fmac_f64_e32 v[48:49], v[36:37], v[46:47]
	v_mov_b32_e32 v46, 0x16291751
	v_mov_b32_e32 v47, 0x3fcc71c0
	;; [unrolled: 3-line block ×5, first 2 shown]
	v_fmac_f64_e32 v[48:49], v[36:37], v[46:47]
	v_cvt_f64_i32_e32 v[46:47], v1
	s_mov_b32 s35, 0x3fe62e42
	v_mul_f64 v[50:51], v[46:47], s[34:35]
	v_fma_f64 v[52:53], v[46:47], s[34:35], -v[50:51]
	s_mov_b32 s37, 0x3c7abc9e
	v_fmac_f64_e32 v[52:53], s[36:37], v[46:47]
	v_add_f64 v[46:47], v[50:51], v[52:53]
	v_add_f64 v[50:51], v[46:47], -v[50:51]
	v_mul_f64 v[36:37], v[38:39], v[36:37]
	v_add_f64 v[50:51], v[52:53], -v[50:51]
	v_ldexp_f64 v[52:53], v[38:39], 1
	v_mul_f64 v[36:37], v[36:37], v[48:49]
	v_add_f64 v[38:39], v[52:53], v[36:37]
	v_add_f64 v[48:49], v[38:39], -v[52:53]
	v_ldexp_f64 v[34:35], v[34:35], 1
	v_add_f64 v[36:37], v[36:37], -v[48:49]
	v_add_f64 v[34:35], v[34:35], v[36:37]
	v_add_f64 v[36:37], v[38:39], v[34:35]
	v_add_f64 v[38:39], v[36:37], -v[38:39]
	v_add_f64 v[34:35], v[34:35], -v[38:39]
	v_add_f64 v[38:39], v[46:47], v[36:37]
	v_add_f64 v[48:49], v[38:39], -v[46:47]
	v_add_f64 v[52:53], v[38:39], -v[48:49]
	;; [unrolled: 1-line block ×4, first 2 shown]
	v_add_f64 v[36:37], v[36:37], v[46:47]
	v_add_f64 v[46:47], v[50:51], v[34:35]
	v_add_f64 v[48:49], v[46:47], -v[50:51]
	v_add_f64 v[36:37], v[46:47], v[36:37]
	v_add_f64 v[52:53], v[46:47], -v[48:49]
	;; [unrolled: 2-line block ×3, first 2 shown]
	v_add_f64 v[34:35], v[34:35], -v[48:49]
	v_add_f64 v[38:39], v[46:47], -v[38:39]
	v_add_f64 v[34:35], v[34:35], v[50:51]
	v_add_f64 v[36:37], v[36:37], -v[38:39]
	s_mov_b32 s26, 0
	v_add_f64 v[34:35], v[34:35], v[36:37]
	s_mov_b32 s27, 0x7ff00000
	v_add_f64 v[34:35], v[46:47], v[34:35]
	v_cmp_eq_f64_e64 s[26:27], s[26:27], v[32:33]
	v_cndmask_b32_e64 v1, v34, v32, s[26:27]
	v_cndmask_b32_e64 v34, v35, v33, s[26:27]
	v_mov_b32_e32 v35, 0x7ff80000
	v_cmp_ngt_f64_e64 s[26:27], -1.0, v[32:33]
	v_cndmask_b32_e64 v35, v35, v34, s[26:27]
	v_cmp_nge_f64_e64 s[26:27], -1.0, v[32:33]
	v_cndmask_b32_e64 v34, 0, v1, s[26:27]
	v_mov_b32_e32 v1, 0xfff00000
	v_cmp_neq_f64_e64 s[26:27], -1.0, v[32:33]
	v_cndmask_b32_e64 v35, v1, v35, s[26:27]
	v_add_f64 v[46:47], v[30:31], v[34:35]
.LBB58_28:
	s_or_b64 exec, exec, s[30:31]
	v_max_f64 v[30:31], v[16:17], v[16:17]
	v_max_f64 v[32:33], v[46:47], v[46:47]
	v_min_f64 v[34:35], v[32:33], v[30:31]
	v_cmp_u_f64_e64 s[28:29], v[46:47], v[46:47]
	v_cndmask_b32_e64 v1, v34, v46, s[28:29]
	v_cndmask_b32_e64 v34, v35, v47, s[28:29]
	v_cmp_u_f64_e64 s[26:27], v[16:17], v[16:17]
	v_max_f64 v[32:33], v[32:33], v[30:31]
	v_cndmask_b32_e64 v35, v34, v17, s[26:27]
	v_cndmask_b32_e64 v34, v1, v16, s[26:27]
	;; [unrolled: 1-line block ×6, first 2 shown]
	v_cmp_neq_f64_e64 s[28:29], v[34:35], v[32:33]
	v_cmp_class_f64_e64 s[30:31], v[34:35], s33
	s_or_b64 s[28:29], s[28:29], s[30:31]
	s_and_saveexec_b64 s[34:35], s[28:29]
	s_cbranch_execz .LBB58_30
; %bb.29:
	s_mov_b32 s28, 0x652b82fe
	v_add_f64 v[34:35], v[34:35], -v[32:33]
	s_mov_b32 s29, 0x3ff71547
	v_mul_f64 v[36:37], v[34:35], s[28:29]
	v_rndne_f64_e32 v[36:37], v[36:37]
	s_mov_b32 s37, 0xbfe62e42
	s_mov_b32 s36, 0xfefa39ef
	v_fma_f64 v[38:39], s[36:37], v[36:37], v[34:35]
	s_mov_b32 s43, 0xbc7abc9e
	s_mov_b32 s42, 0x3b39803f
	;; [unrolled: 1-line block ×3, first 2 shown]
	v_fmac_f64_e32 v[38:39], s[42:43], v[36:37]
	v_mov_b32_e32 v46, 0xfca7ab0c
	v_mov_b32_e32 v47, 0x3e928af3
	s_mov_b32 s29, 0x3e5ade15
	v_fmac_f64_e32 v[46:47], s[28:29], v[38:39]
	v_mov_b32_e32 v48, 0x623fde64
	v_mov_b32_e32 v49, 0x3ec71dee
	v_fmac_f64_e32 v[48:49], v[38:39], v[46:47]
	v_mov_b32_e32 v46, 0x7c89e6b0
	v_mov_b32_e32 v47, 0x3efa0199
	;; [unrolled: 3-line block ×8, first 2 shown]
	v_fmac_f64_e32 v[46:47], v[38:39], v[48:49]
	v_fma_f64 v[46:47], v[38:39], v[46:47], 1.0
	s_mov_b32 s28, 0
	s_mov_b32 s30, 0
	v_fma_f64 v[38:39], v[38:39], v[46:47], 1.0
	v_cvt_i32_f64_e32 v1, v[36:37]
	s_mov_b32 s29, 0x40900000
	s_mov_b32 s31, 0xc090cc00
	v_ldexp_f64 v[36:37], v[38:39], v1
	v_mov_b32_e32 v1, 0x7ff00000
	v_cmp_nlt_f64_e64 s[28:29], s[28:29], v[34:35]
	v_cmp_ngt_f64_e64 s[30:31], s[30:31], v[34:35]
	v_cndmask_b32_e64 v1, v1, v37, s[28:29]
	s_and_b64 s[28:29], s[30:31], s[28:29]
	v_cndmask_b32_e64 v35, 0, v1, s[30:31]
	v_cndmask_b32_e64 v34, 0, v36, s[28:29]
	v_add_f64 v[36:37], v[34:35], 1.0
	v_add_f64 v[38:39], v[36:37], -1.0
	v_add_f64 v[46:47], v[38:39], -v[36:37]
	v_add_f64 v[46:47], v[46:47], 1.0
	v_add_f64 v[38:39], v[34:35], -v[38:39]
	s_mov_b32 s28, 0x55555555
	v_add_f64 v[38:39], v[38:39], v[46:47]
	v_frexp_mant_f64_e32 v[46:47], v[36:37]
	s_mov_b32 s29, 0x3fe55555
	v_frexp_exp_i32_f64_e32 v1, v[36:37]
	v_cmp_gt_f64_e64 s[28:29], s[28:29], v[46:47]
	v_subbrev_co_u32_e64 v1, s[28:29], 0, v1, s[28:29]
	v_sub_u32_e32 v46, 0, v1
	v_ldexp_f64 v[36:37], v[36:37], v46
	v_ldexp_f64 v[38:39], v[38:39], v46
	v_add_f64 v[46:47], v[36:37], -1.0
	v_add_f64 v[52:53], v[36:37], 1.0
	v_add_f64 v[48:49], v[46:47], 1.0
	v_add_f64 v[56:57], v[52:53], -1.0
	v_add_f64 v[48:49], v[36:37], -v[48:49]
	v_add_f64 v[36:37], v[36:37], -v[56:57]
	v_add_f64 v[36:37], v[38:39], v[36:37]
	v_add_f64 v[48:49], v[38:39], v[48:49]
	;; [unrolled: 1-line block ×3, first 2 shown]
	v_rcp_f64_e32 v[56:57], v[38:39]
	v_add_f64 v[50:51], v[46:47], v[48:49]
	v_add_f64 v[46:47], v[50:51], -v[46:47]
	v_add_f64 v[46:47], v[48:49], -v[46:47]
	;; [unrolled: 1-line block ×4, first 2 shown]
	v_fma_f64 v[48:49], -v[38:39], v[56:57], 1.0
	v_fmac_f64_e32 v[56:57], v[48:49], v[56:57]
	v_fma_f64 v[48:49], -v[38:39], v[56:57], 1.0
	v_fmac_f64_e32 v[56:57], v[48:49], v[56:57]
	v_mul_f64 v[48:49], v[50:51], v[56:57]
	v_mul_f64 v[52:53], v[38:39], v[48:49]
	v_fma_f64 v[58:59], v[48:49], v[38:39], -v[52:53]
	v_fmac_f64_e32 v[58:59], v[48:49], v[36:37]
	v_add_f64 v[60:61], v[52:53], v[58:59]
	v_add_f64 v[62:63], v[50:51], -v[60:61]
	v_add_f64 v[50:51], v[50:51], -v[62:63]
	;; [unrolled: 1-line block ×4, first 2 shown]
	v_add_f64 v[46:47], v[46:47], v[50:51]
	v_add_f64 v[50:51], v[52:53], -v[58:59]
	v_add_f64 v[46:47], v[50:51], v[46:47]
	v_add_f64 v[50:51], v[62:63], v[46:47]
	v_add_f64 v[52:53], v[62:63], -v[50:51]
	v_add_f64 v[46:47], v[46:47], v[52:53]
	v_mul_f64 v[52:53], v[56:57], v[50:51]
	v_mul_f64 v[58:59], v[38:39], v[52:53]
	v_fma_f64 v[38:39], v[52:53], v[38:39], -v[58:59]
	v_fmac_f64_e32 v[38:39], v[52:53], v[36:37]
	v_add_f64 v[36:37], v[58:59], v[38:39]
	v_add_f64 v[60:61], v[50:51], -v[36:37]
	v_add_f64 v[50:51], v[50:51], -v[60:61]
	;; [unrolled: 1-line block ×4, first 2 shown]
	v_add_f64 v[36:37], v[46:47], v[36:37]
	v_add_f64 v[38:39], v[58:59], -v[38:39]
	v_add_f64 v[36:37], v[38:39], v[36:37]
	v_add_f64 v[38:39], v[48:49], v[52:53]
	;; [unrolled: 1-line block ×3, first 2 shown]
	v_add_f64 v[46:47], v[38:39], -v[48:49]
	v_mul_f64 v[36:37], v[56:57], v[36:37]
	v_add_f64 v[46:47], v[52:53], -v[46:47]
	v_add_f64 v[36:37], v[46:47], v[36:37]
	v_add_f64 v[46:47], v[38:39], v[36:37]
	v_add_f64 v[38:39], v[46:47], -v[38:39]
	s_mov_b32 s28, 0xbf559e2b
	v_add_f64 v[36:37], v[36:37], -v[38:39]
	v_mul_f64 v[38:39], v[46:47], v[46:47]
	v_mov_b32_e32 v48, 0x6b47b09a
	v_mov_b32_e32 v49, 0x3fc38538
	s_mov_b32 s29, 0x3fc3ab76
	v_fmac_f64_e32 v[48:49], s[28:29], v[38:39]
	v_mov_b32_e32 v50, 0xd7f4df2e
	v_mov_b32_e32 v51, 0x3fc7474d
	v_fmac_f64_e32 v[50:51], v[38:39], v[48:49]
	v_mov_b32_e32 v48, 0x16291751
	v_mov_b32_e32 v49, 0x3fcc71c0
	;; [unrolled: 3-line block ×5, first 2 shown]
	v_fmac_f64_e32 v[50:51], v[38:39], v[48:49]
	v_cvt_f64_i32_e32 v[48:49], v1
	s_mov_b32 s37, 0x3fe62e42
	v_mul_f64 v[52:53], v[48:49], s[36:37]
	v_fma_f64 v[56:57], v[48:49], s[36:37], -v[52:53]
	s_mov_b32 s43, 0x3c7abc9e
	v_fmac_f64_e32 v[56:57], s[42:43], v[48:49]
	v_add_f64 v[48:49], v[52:53], v[56:57]
	v_add_f64 v[52:53], v[48:49], -v[52:53]
	v_mul_f64 v[38:39], v[46:47], v[38:39]
	v_add_f64 v[52:53], v[56:57], -v[52:53]
	v_ldexp_f64 v[56:57], v[46:47], 1
	v_mul_f64 v[38:39], v[38:39], v[50:51]
	v_add_f64 v[46:47], v[56:57], v[38:39]
	v_add_f64 v[50:51], v[46:47], -v[56:57]
	v_ldexp_f64 v[36:37], v[36:37], 1
	v_add_f64 v[38:39], v[38:39], -v[50:51]
	v_add_f64 v[36:37], v[36:37], v[38:39]
	v_add_f64 v[38:39], v[46:47], v[36:37]
	v_add_f64 v[46:47], v[38:39], -v[46:47]
	v_add_f64 v[36:37], v[36:37], -v[46:47]
	v_add_f64 v[46:47], v[48:49], v[38:39]
	v_add_f64 v[50:51], v[46:47], -v[48:49]
	v_add_f64 v[56:57], v[46:47], -v[50:51]
	;; [unrolled: 1-line block ×4, first 2 shown]
	v_add_f64 v[38:39], v[38:39], v[48:49]
	v_add_f64 v[48:49], v[52:53], v[36:37]
	v_add_f64 v[50:51], v[48:49], -v[52:53]
	v_add_f64 v[38:39], v[48:49], v[38:39]
	v_add_f64 v[56:57], v[48:49], -v[50:51]
	;; [unrolled: 2-line block ×3, first 2 shown]
	v_add_f64 v[36:37], v[36:37], -v[50:51]
	v_add_f64 v[46:47], v[48:49], -v[46:47]
	v_add_f64 v[36:37], v[36:37], v[52:53]
	v_add_f64 v[38:39], v[38:39], -v[46:47]
	s_mov_b32 s28, 0
	v_add_f64 v[36:37], v[36:37], v[38:39]
	s_mov_b32 s29, 0x7ff00000
	v_add_f64 v[36:37], v[48:49], v[36:37]
	v_cmp_eq_f64_e64 s[28:29], s[28:29], v[34:35]
	v_cndmask_b32_e64 v1, v36, v34, s[28:29]
	v_cndmask_b32_e64 v36, v37, v35, s[28:29]
	v_mov_b32_e32 v37, 0x7ff80000
	v_cmp_ngt_f64_e64 s[28:29], -1.0, v[34:35]
	v_cndmask_b32_e64 v37, v37, v36, s[28:29]
	v_cmp_nge_f64_e64 s[28:29], -1.0, v[34:35]
	v_cndmask_b32_e64 v36, 0, v1, s[28:29]
	v_mov_b32_e32 v1, 0xfff00000
	v_cmp_neq_f64_e64 s[28:29], -1.0, v[34:35]
	v_cndmask_b32_e64 v37, v1, v37, s[28:29]
	v_add_f64 v[46:47], v[32:33], v[36:37]
.LBB58_30:
	s_or_b64 exec, exec, s[34:35]
	v_max_f64 v[32:33], v[10:11], v[10:11]
	v_max_f64 v[34:35], v[46:47], v[46:47]
	v_min_f64 v[36:37], v[34:35], v[32:33]
	v_cmp_u_f64_e64 s[30:31], v[46:47], v[46:47]
	v_cndmask_b32_e64 v1, v36, v46, s[30:31]
	v_cndmask_b32_e64 v36, v37, v47, s[30:31]
	v_cmp_u_f64_e64 s[28:29], v[10:11], v[10:11]
	v_max_f64 v[34:35], v[34:35], v[32:33]
	v_cndmask_b32_e64 v37, v36, v11, s[28:29]
	v_cndmask_b32_e64 v36, v1, v10, s[28:29]
	;; [unrolled: 1-line block ×6, first 2 shown]
	v_cmp_neq_f64_e64 s[30:31], v[36:37], v[34:35]
	v_cmp_class_f64_e64 s[34:35], v[36:37], s33
	s_or_b64 s[30:31], s[30:31], s[34:35]
	s_and_saveexec_b64 s[36:37], s[30:31]
	s_cbranch_execz .LBB58_32
; %bb.31:
	s_mov_b32 s30, 0x652b82fe
	v_add_f64 v[36:37], v[36:37], -v[34:35]
	s_mov_b32 s31, 0x3ff71547
	v_mul_f64 v[38:39], v[36:37], s[30:31]
	v_rndne_f64_e32 v[38:39], v[38:39]
	s_mov_b32 s43, 0xbfe62e42
	s_mov_b32 s42, 0xfefa39ef
	v_fma_f64 v[46:47], s[42:43], v[38:39], v[36:37]
	s_mov_b32 s45, 0xbc7abc9e
	s_mov_b32 s44, 0x3b39803f
	;; [unrolled: 1-line block ×3, first 2 shown]
	v_fmac_f64_e32 v[46:47], s[44:45], v[38:39]
	v_mov_b32_e32 v48, 0xfca7ab0c
	v_mov_b32_e32 v49, 0x3e928af3
	s_mov_b32 s31, 0x3e5ade15
	v_fmac_f64_e32 v[48:49], s[30:31], v[46:47]
	v_mov_b32_e32 v50, 0x623fde64
	v_mov_b32_e32 v51, 0x3ec71dee
	v_fmac_f64_e32 v[50:51], v[46:47], v[48:49]
	v_mov_b32_e32 v48, 0x7c89e6b0
	v_mov_b32_e32 v49, 0x3efa0199
	;; [unrolled: 3-line block ×8, first 2 shown]
	v_fmac_f64_e32 v[48:49], v[46:47], v[50:51]
	v_fma_f64 v[48:49], v[46:47], v[48:49], 1.0
	s_mov_b32 s30, 0
	s_mov_b32 s34, 0
	v_fma_f64 v[46:47], v[46:47], v[48:49], 1.0
	v_cvt_i32_f64_e32 v1, v[38:39]
	s_mov_b32 s31, 0x40900000
	s_mov_b32 s35, 0xc090cc00
	v_ldexp_f64 v[38:39], v[46:47], v1
	v_mov_b32_e32 v1, 0x7ff00000
	v_cmp_nlt_f64_e64 s[30:31], s[30:31], v[36:37]
	v_cmp_ngt_f64_e64 s[34:35], s[34:35], v[36:37]
	v_cndmask_b32_e64 v1, v1, v39, s[30:31]
	s_and_b64 s[30:31], s[34:35], s[30:31]
	v_cndmask_b32_e64 v37, 0, v1, s[34:35]
	v_cndmask_b32_e64 v36, 0, v38, s[30:31]
	v_add_f64 v[38:39], v[36:37], 1.0
	v_add_f64 v[46:47], v[38:39], -1.0
	v_add_f64 v[48:49], v[46:47], -v[38:39]
	v_add_f64 v[48:49], v[48:49], 1.0
	v_add_f64 v[46:47], v[36:37], -v[46:47]
	s_mov_b32 s30, 0x55555555
	v_add_f64 v[46:47], v[46:47], v[48:49]
	v_frexp_mant_f64_e32 v[48:49], v[38:39]
	s_mov_b32 s31, 0x3fe55555
	v_frexp_exp_i32_f64_e32 v1, v[38:39]
	v_cmp_gt_f64_e64 s[30:31], s[30:31], v[48:49]
	v_subbrev_co_u32_e64 v1, s[30:31], 0, v1, s[30:31]
	v_sub_u32_e32 v48, 0, v1
	v_ldexp_f64 v[38:39], v[38:39], v48
	v_ldexp_f64 v[46:47], v[46:47], v48
	v_add_f64 v[48:49], v[38:39], -1.0
	v_add_f64 v[56:57], v[38:39], 1.0
	v_add_f64 v[50:51], v[48:49], 1.0
	v_add_f64 v[58:59], v[56:57], -1.0
	v_add_f64 v[50:51], v[38:39], -v[50:51]
	v_add_f64 v[38:39], v[38:39], -v[58:59]
	v_add_f64 v[38:39], v[46:47], v[38:39]
	v_add_f64 v[50:51], v[46:47], v[50:51]
	;; [unrolled: 1-line block ×3, first 2 shown]
	v_rcp_f64_e32 v[58:59], v[46:47]
	v_add_f64 v[52:53], v[48:49], v[50:51]
	v_add_f64 v[48:49], v[52:53], -v[48:49]
	v_add_f64 v[48:49], v[50:51], -v[48:49]
	;; [unrolled: 1-line block ×4, first 2 shown]
	v_fma_f64 v[50:51], -v[46:47], v[58:59], 1.0
	v_fmac_f64_e32 v[58:59], v[50:51], v[58:59]
	v_fma_f64 v[50:51], -v[46:47], v[58:59], 1.0
	v_fmac_f64_e32 v[58:59], v[50:51], v[58:59]
	v_mul_f64 v[50:51], v[52:53], v[58:59]
	v_mul_f64 v[56:57], v[46:47], v[50:51]
	v_fma_f64 v[60:61], v[50:51], v[46:47], -v[56:57]
	v_fmac_f64_e32 v[60:61], v[50:51], v[38:39]
	v_add_f64 v[62:63], v[56:57], v[60:61]
	v_add_f64 v[64:65], v[52:53], -v[62:63]
	v_add_f64 v[52:53], v[52:53], -v[64:65]
	;; [unrolled: 1-line block ×4, first 2 shown]
	v_add_f64 v[48:49], v[48:49], v[52:53]
	v_add_f64 v[52:53], v[56:57], -v[60:61]
	v_add_f64 v[48:49], v[52:53], v[48:49]
	v_add_f64 v[52:53], v[64:65], v[48:49]
	v_add_f64 v[56:57], v[64:65], -v[52:53]
	v_add_f64 v[48:49], v[48:49], v[56:57]
	v_mul_f64 v[56:57], v[58:59], v[52:53]
	v_mul_f64 v[60:61], v[46:47], v[56:57]
	v_fma_f64 v[46:47], v[56:57], v[46:47], -v[60:61]
	v_fmac_f64_e32 v[46:47], v[56:57], v[38:39]
	v_add_f64 v[38:39], v[60:61], v[46:47]
	v_add_f64 v[62:63], v[52:53], -v[38:39]
	v_add_f64 v[52:53], v[52:53], -v[62:63]
	;; [unrolled: 1-line block ×4, first 2 shown]
	v_add_f64 v[38:39], v[48:49], v[38:39]
	v_add_f64 v[46:47], v[60:61], -v[46:47]
	v_add_f64 v[38:39], v[46:47], v[38:39]
	v_add_f64 v[46:47], v[50:51], v[56:57]
	;; [unrolled: 1-line block ×3, first 2 shown]
	v_add_f64 v[48:49], v[46:47], -v[50:51]
	v_mul_f64 v[38:39], v[58:59], v[38:39]
	v_add_f64 v[48:49], v[56:57], -v[48:49]
	v_add_f64 v[38:39], v[48:49], v[38:39]
	v_add_f64 v[48:49], v[46:47], v[38:39]
	v_add_f64 v[46:47], v[48:49], -v[46:47]
	s_mov_b32 s30, 0xbf559e2b
	v_add_f64 v[38:39], v[38:39], -v[46:47]
	v_mul_f64 v[46:47], v[48:49], v[48:49]
	v_mov_b32_e32 v50, 0x6b47b09a
	v_mov_b32_e32 v51, 0x3fc38538
	s_mov_b32 s31, 0x3fc3ab76
	v_fmac_f64_e32 v[50:51], s[30:31], v[46:47]
	v_mov_b32_e32 v52, 0xd7f4df2e
	v_mov_b32_e32 v53, 0x3fc7474d
	v_fmac_f64_e32 v[52:53], v[46:47], v[50:51]
	v_mov_b32_e32 v50, 0x16291751
	v_mov_b32_e32 v51, 0x3fcc71c0
	;; [unrolled: 3-line block ×5, first 2 shown]
	v_fmac_f64_e32 v[52:53], v[46:47], v[50:51]
	v_cvt_f64_i32_e32 v[50:51], v1
	s_mov_b32 s43, 0x3fe62e42
	v_mul_f64 v[56:57], v[50:51], s[42:43]
	v_fma_f64 v[58:59], v[50:51], s[42:43], -v[56:57]
	s_mov_b32 s45, 0x3c7abc9e
	v_fmac_f64_e32 v[58:59], s[44:45], v[50:51]
	v_add_f64 v[50:51], v[56:57], v[58:59]
	v_add_f64 v[56:57], v[50:51], -v[56:57]
	v_mul_f64 v[46:47], v[48:49], v[46:47]
	v_add_f64 v[56:57], v[58:59], -v[56:57]
	v_ldexp_f64 v[58:59], v[48:49], 1
	v_mul_f64 v[46:47], v[46:47], v[52:53]
	v_add_f64 v[48:49], v[58:59], v[46:47]
	v_add_f64 v[52:53], v[48:49], -v[58:59]
	v_ldexp_f64 v[38:39], v[38:39], 1
	v_add_f64 v[46:47], v[46:47], -v[52:53]
	v_add_f64 v[38:39], v[38:39], v[46:47]
	v_add_f64 v[46:47], v[48:49], v[38:39]
	v_add_f64 v[48:49], v[46:47], -v[48:49]
	v_add_f64 v[38:39], v[38:39], -v[48:49]
	v_add_f64 v[48:49], v[50:51], v[46:47]
	v_add_f64 v[52:53], v[48:49], -v[50:51]
	v_add_f64 v[58:59], v[48:49], -v[52:53]
	v_add_f64 v[50:51], v[50:51], -v[58:59]
	v_add_f64 v[46:47], v[46:47], -v[52:53]
	v_add_f64 v[46:47], v[46:47], v[50:51]
	v_add_f64 v[50:51], v[56:57], v[38:39]
	v_add_f64 v[52:53], v[50:51], -v[56:57]
	v_add_f64 v[46:47], v[50:51], v[46:47]
	v_add_f64 v[58:59], v[50:51], -v[52:53]
	;; [unrolled: 2-line block ×3, first 2 shown]
	v_add_f64 v[38:39], v[38:39], -v[52:53]
	v_add_f64 v[48:49], v[50:51], -v[48:49]
	v_add_f64 v[38:39], v[38:39], v[56:57]
	v_add_f64 v[46:47], v[46:47], -v[48:49]
	s_mov_b32 s30, 0
	v_add_f64 v[38:39], v[38:39], v[46:47]
	s_mov_b32 s31, 0x7ff00000
	v_add_f64 v[38:39], v[50:51], v[38:39]
	v_cmp_eq_f64_e64 s[30:31], s[30:31], v[36:37]
	v_cndmask_b32_e64 v1, v38, v36, s[30:31]
	v_cndmask_b32_e64 v38, v39, v37, s[30:31]
	v_mov_b32_e32 v39, 0x7ff80000
	v_cmp_ngt_f64_e64 s[30:31], -1.0, v[36:37]
	v_cndmask_b32_e64 v39, v39, v38, s[30:31]
	v_cmp_nge_f64_e64 s[30:31], -1.0, v[36:37]
	v_cndmask_b32_e64 v38, 0, v1, s[30:31]
	v_mov_b32_e32 v1, 0xfff00000
	v_cmp_neq_f64_e64 s[30:31], -1.0, v[36:37]
	v_cndmask_b32_e64 v39, v1, v39, s[30:31]
	v_add_f64 v[46:47], v[34:35], v[38:39]
.LBB58_32:
	s_or_b64 exec, exec, s[36:37]
	v_max_f64 v[34:35], v[12:13], v[12:13]
	v_max_f64 v[36:37], v[46:47], v[46:47]
	v_min_f64 v[38:39], v[36:37], v[34:35]
	v_cmp_u_f64_e64 s[34:35], v[46:47], v[46:47]
	v_cndmask_b32_e64 v1, v38, v46, s[34:35]
	v_cndmask_b32_e64 v38, v39, v47, s[34:35]
	v_cmp_u_f64_e64 s[30:31], v[12:13], v[12:13]
	v_max_f64 v[36:37], v[36:37], v[34:35]
	v_cndmask_b32_e64 v39, v38, v13, s[30:31]
	v_cndmask_b32_e64 v38, v1, v12, s[30:31]
	;; [unrolled: 1-line block ×6, first 2 shown]
	v_cmp_neq_f64_e64 s[34:35], v[38:39], v[36:37]
	v_cmp_class_f64_e64 s[36:37], v[38:39], s33
	s_or_b64 s[34:35], s[34:35], s[36:37]
	s_and_saveexec_b64 s[42:43], s[34:35]
	s_cbranch_execz .LBB58_34
; %bb.33:
	s_mov_b32 s34, 0x652b82fe
	v_add_f64 v[38:39], v[38:39], -v[36:37]
	s_mov_b32 s35, 0x3ff71547
	v_mul_f64 v[46:47], v[38:39], s[34:35]
	v_rndne_f64_e32 v[46:47], v[46:47]
	s_mov_b32 s45, 0xbfe62e42
	s_mov_b32 s44, 0xfefa39ef
	v_fma_f64 v[48:49], s[44:45], v[46:47], v[38:39]
	s_mov_b32 s47, 0xbc7abc9e
	s_mov_b32 s46, 0x3b39803f
	;; [unrolled: 1-line block ×3, first 2 shown]
	v_fmac_f64_e32 v[48:49], s[46:47], v[46:47]
	v_mov_b32_e32 v50, 0xfca7ab0c
	v_mov_b32_e32 v51, 0x3e928af3
	s_mov_b32 s35, 0x3e5ade15
	v_fmac_f64_e32 v[50:51], s[34:35], v[48:49]
	v_mov_b32_e32 v52, 0x623fde64
	v_mov_b32_e32 v53, 0x3ec71dee
	v_fmac_f64_e32 v[52:53], v[48:49], v[50:51]
	v_mov_b32_e32 v50, 0x7c89e6b0
	v_mov_b32_e32 v51, 0x3efa0199
	;; [unrolled: 3-line block ×8, first 2 shown]
	v_fmac_f64_e32 v[50:51], v[48:49], v[52:53]
	v_fma_f64 v[50:51], v[48:49], v[50:51], 1.0
	s_mov_b32 s34, 0
	s_mov_b32 s36, 0
	v_fma_f64 v[48:49], v[48:49], v[50:51], 1.0
	v_cvt_i32_f64_e32 v1, v[46:47]
	s_mov_b32 s35, 0x40900000
	s_mov_b32 s37, 0xc090cc00
	v_ldexp_f64 v[46:47], v[48:49], v1
	v_mov_b32_e32 v1, 0x7ff00000
	v_cmp_nlt_f64_e64 s[34:35], s[34:35], v[38:39]
	v_cmp_ngt_f64_e64 s[36:37], s[36:37], v[38:39]
	v_cndmask_b32_e64 v1, v1, v47, s[34:35]
	s_and_b64 s[34:35], s[36:37], s[34:35]
	v_cndmask_b32_e64 v39, 0, v1, s[36:37]
	v_cndmask_b32_e64 v38, 0, v46, s[34:35]
	v_add_f64 v[46:47], v[38:39], 1.0
	v_add_f64 v[48:49], v[46:47], -1.0
	v_add_f64 v[50:51], v[48:49], -v[46:47]
	v_add_f64 v[50:51], v[50:51], 1.0
	v_add_f64 v[48:49], v[38:39], -v[48:49]
	s_mov_b32 s34, 0x55555555
	v_add_f64 v[48:49], v[48:49], v[50:51]
	v_frexp_mant_f64_e32 v[50:51], v[46:47]
	s_mov_b32 s35, 0x3fe55555
	v_frexp_exp_i32_f64_e32 v1, v[46:47]
	v_cmp_gt_f64_e64 s[34:35], s[34:35], v[50:51]
	v_subbrev_co_u32_e64 v1, s[34:35], 0, v1, s[34:35]
	v_sub_u32_e32 v50, 0, v1
	v_ldexp_f64 v[46:47], v[46:47], v50
	v_ldexp_f64 v[48:49], v[48:49], v50
	v_add_f64 v[50:51], v[46:47], -1.0
	v_add_f64 v[58:59], v[46:47], 1.0
	v_add_f64 v[52:53], v[50:51], 1.0
	v_add_f64 v[60:61], v[58:59], -1.0
	v_add_f64 v[52:53], v[46:47], -v[52:53]
	v_add_f64 v[46:47], v[46:47], -v[60:61]
	v_add_f64 v[46:47], v[48:49], v[46:47]
	v_add_f64 v[52:53], v[48:49], v[52:53]
	;; [unrolled: 1-line block ×3, first 2 shown]
	v_rcp_f64_e32 v[60:61], v[48:49]
	v_add_f64 v[56:57], v[50:51], v[52:53]
	v_add_f64 v[50:51], v[56:57], -v[50:51]
	v_add_f64 v[50:51], v[52:53], -v[50:51]
	;; [unrolled: 1-line block ×4, first 2 shown]
	v_fma_f64 v[52:53], -v[48:49], v[60:61], 1.0
	v_fmac_f64_e32 v[60:61], v[52:53], v[60:61]
	v_fma_f64 v[52:53], -v[48:49], v[60:61], 1.0
	v_fmac_f64_e32 v[60:61], v[52:53], v[60:61]
	v_mul_f64 v[52:53], v[56:57], v[60:61]
	v_mul_f64 v[58:59], v[48:49], v[52:53]
	v_fma_f64 v[62:63], v[52:53], v[48:49], -v[58:59]
	v_fmac_f64_e32 v[62:63], v[52:53], v[46:47]
	v_add_f64 v[64:65], v[58:59], v[62:63]
	v_add_f64 v[66:67], v[56:57], -v[64:65]
	v_add_f64 v[56:57], v[56:57], -v[66:67]
	;; [unrolled: 1-line block ×4, first 2 shown]
	v_add_f64 v[50:51], v[50:51], v[56:57]
	v_add_f64 v[56:57], v[58:59], -v[62:63]
	v_add_f64 v[50:51], v[56:57], v[50:51]
	v_add_f64 v[56:57], v[66:67], v[50:51]
	v_add_f64 v[58:59], v[66:67], -v[56:57]
	v_add_f64 v[50:51], v[50:51], v[58:59]
	v_mul_f64 v[58:59], v[60:61], v[56:57]
	v_mul_f64 v[62:63], v[48:49], v[58:59]
	v_fma_f64 v[48:49], v[58:59], v[48:49], -v[62:63]
	v_fmac_f64_e32 v[48:49], v[58:59], v[46:47]
	v_add_f64 v[46:47], v[62:63], v[48:49]
	v_add_f64 v[64:65], v[56:57], -v[46:47]
	v_add_f64 v[56:57], v[56:57], -v[64:65]
	;; [unrolled: 1-line block ×4, first 2 shown]
	v_add_f64 v[46:47], v[50:51], v[46:47]
	v_add_f64 v[48:49], v[62:63], -v[48:49]
	v_add_f64 v[46:47], v[48:49], v[46:47]
	v_add_f64 v[48:49], v[52:53], v[58:59]
	;; [unrolled: 1-line block ×3, first 2 shown]
	v_add_f64 v[50:51], v[48:49], -v[52:53]
	v_mul_f64 v[46:47], v[60:61], v[46:47]
	v_add_f64 v[50:51], v[58:59], -v[50:51]
	v_add_f64 v[46:47], v[50:51], v[46:47]
	v_add_f64 v[50:51], v[48:49], v[46:47]
	v_add_f64 v[48:49], v[50:51], -v[48:49]
	s_mov_b32 s34, 0xbf559e2b
	v_add_f64 v[46:47], v[46:47], -v[48:49]
	v_mul_f64 v[48:49], v[50:51], v[50:51]
	v_mov_b32_e32 v52, 0x6b47b09a
	v_mov_b32_e32 v53, 0x3fc38538
	s_mov_b32 s35, 0x3fc3ab76
	v_fmac_f64_e32 v[52:53], s[34:35], v[48:49]
	v_mov_b32_e32 v56, 0xd7f4df2e
	v_mov_b32_e32 v57, 0x3fc7474d
	v_fmac_f64_e32 v[56:57], v[48:49], v[52:53]
	v_mov_b32_e32 v52, 0x16291751
	v_mov_b32_e32 v53, 0x3fcc71c0
	;; [unrolled: 3-line block ×5, first 2 shown]
	v_fmac_f64_e32 v[56:57], v[48:49], v[52:53]
	v_cvt_f64_i32_e32 v[52:53], v1
	s_mov_b32 s45, 0x3fe62e42
	v_mul_f64 v[58:59], v[52:53], s[44:45]
	v_fma_f64 v[60:61], v[52:53], s[44:45], -v[58:59]
	s_mov_b32 s47, 0x3c7abc9e
	v_fmac_f64_e32 v[60:61], s[46:47], v[52:53]
	v_add_f64 v[52:53], v[58:59], v[60:61]
	v_add_f64 v[58:59], v[52:53], -v[58:59]
	v_mul_f64 v[48:49], v[50:51], v[48:49]
	v_add_f64 v[58:59], v[60:61], -v[58:59]
	v_ldexp_f64 v[60:61], v[50:51], 1
	v_mul_f64 v[48:49], v[48:49], v[56:57]
	v_add_f64 v[50:51], v[60:61], v[48:49]
	v_add_f64 v[56:57], v[50:51], -v[60:61]
	v_ldexp_f64 v[46:47], v[46:47], 1
	v_add_f64 v[48:49], v[48:49], -v[56:57]
	v_add_f64 v[46:47], v[46:47], v[48:49]
	v_add_f64 v[48:49], v[50:51], v[46:47]
	v_add_f64 v[50:51], v[48:49], -v[50:51]
	v_add_f64 v[46:47], v[46:47], -v[50:51]
	v_add_f64 v[50:51], v[52:53], v[48:49]
	v_add_f64 v[56:57], v[50:51], -v[52:53]
	v_add_f64 v[60:61], v[50:51], -v[56:57]
	v_add_f64 v[52:53], v[52:53], -v[60:61]
	v_add_f64 v[48:49], v[48:49], -v[56:57]
	v_add_f64 v[48:49], v[48:49], v[52:53]
	v_add_f64 v[52:53], v[58:59], v[46:47]
	v_add_f64 v[56:57], v[52:53], -v[58:59]
	v_add_f64 v[48:49], v[52:53], v[48:49]
	v_add_f64 v[60:61], v[52:53], -v[56:57]
	;; [unrolled: 2-line block ×3, first 2 shown]
	v_add_f64 v[46:47], v[46:47], -v[56:57]
	v_add_f64 v[50:51], v[52:53], -v[50:51]
	v_add_f64 v[46:47], v[46:47], v[58:59]
	v_add_f64 v[48:49], v[48:49], -v[50:51]
	s_mov_b32 s34, 0
	v_add_f64 v[46:47], v[46:47], v[48:49]
	s_mov_b32 s35, 0x7ff00000
	v_add_f64 v[46:47], v[52:53], v[46:47]
	v_cmp_eq_f64_e64 s[34:35], s[34:35], v[38:39]
	v_cndmask_b32_e64 v1, v46, v38, s[34:35]
	v_cndmask_b32_e64 v46, v47, v39, s[34:35]
	v_mov_b32_e32 v47, 0x7ff80000
	v_cmp_ngt_f64_e64 s[34:35], -1.0, v[38:39]
	v_cndmask_b32_e64 v47, v47, v46, s[34:35]
	v_cmp_nge_f64_e64 s[34:35], -1.0, v[38:39]
	v_cndmask_b32_e64 v46, 0, v1, s[34:35]
	v_mov_b32_e32 v1, 0xfff00000
	v_cmp_neq_f64_e64 s[34:35], -1.0, v[38:39]
	v_cndmask_b32_e64 v47, v1, v47, s[34:35]
	v_add_f64 v[46:47], v[36:37], v[46:47]
.LBB58_34:
	s_or_b64 exec, exec, s[42:43]
	v_max_f64 v[36:37], v[6:7], v[6:7]
	v_max_f64 v[38:39], v[46:47], v[46:47]
	v_min_f64 v[48:49], v[38:39], v[36:37]
	v_cmp_u_f64_e64 s[36:37], v[46:47], v[46:47]
	v_cndmask_b32_e64 v1, v48, v46, s[36:37]
	v_cndmask_b32_e64 v48, v49, v47, s[36:37]
	v_cmp_u_f64_e64 s[34:35], v[6:7], v[6:7]
	v_max_f64 v[38:39], v[38:39], v[36:37]
	v_cndmask_b32_e64 v49, v48, v7, s[34:35]
	v_cndmask_b32_e64 v48, v1, v6, s[34:35]
	;; [unrolled: 1-line block ×6, first 2 shown]
	v_cmp_neq_f64_e64 s[36:37], v[48:49], v[38:39]
	v_cmp_class_f64_e64 s[42:43], v[48:49], s33
	s_or_b64 s[36:37], s[36:37], s[42:43]
	s_and_saveexec_b64 s[44:45], s[36:37]
	s_cbranch_execz .LBB58_36
; %bb.35:
	s_mov_b32 s36, 0x652b82fe
	v_add_f64 v[46:47], v[48:49], -v[38:39]
	s_mov_b32 s37, 0x3ff71547
	v_mul_f64 v[48:49], v[46:47], s[36:37]
	v_rndne_f64_e32 v[48:49], v[48:49]
	s_mov_b32 s47, 0xbfe62e42
	s_mov_b32 s46, 0xfefa39ef
	v_fma_f64 v[50:51], s[46:47], v[48:49], v[46:47]
	s_mov_b32 s49, 0xbc7abc9e
	s_mov_b32 s48, 0x3b39803f
	;; [unrolled: 1-line block ×3, first 2 shown]
	v_fmac_f64_e32 v[50:51], s[48:49], v[48:49]
	v_mov_b32_e32 v52, 0xfca7ab0c
	v_mov_b32_e32 v53, 0x3e928af3
	s_mov_b32 s37, 0x3e5ade15
	v_fmac_f64_e32 v[52:53], s[36:37], v[50:51]
	v_mov_b32_e32 v56, 0x623fde64
	v_mov_b32_e32 v57, 0x3ec71dee
	v_fmac_f64_e32 v[56:57], v[50:51], v[52:53]
	v_mov_b32_e32 v52, 0x7c89e6b0
	v_mov_b32_e32 v53, 0x3efa0199
	;; [unrolled: 3-line block ×8, first 2 shown]
	v_fmac_f64_e32 v[52:53], v[50:51], v[56:57]
	v_fma_f64 v[52:53], v[50:51], v[52:53], 1.0
	s_mov_b32 s36, 0
	s_mov_b32 s42, 0
	v_fma_f64 v[50:51], v[50:51], v[52:53], 1.0
	v_cvt_i32_f64_e32 v1, v[48:49]
	s_mov_b32 s37, 0x40900000
	s_mov_b32 s43, 0xc090cc00
	v_ldexp_f64 v[48:49], v[50:51], v1
	v_mov_b32_e32 v1, 0x7ff00000
	v_cmp_nlt_f64_e64 s[36:37], s[36:37], v[46:47]
	v_cmp_ngt_f64_e64 s[42:43], s[42:43], v[46:47]
	v_cndmask_b32_e64 v1, v1, v49, s[36:37]
	s_and_b64 s[36:37], s[42:43], s[36:37]
	v_cndmask_b32_e64 v47, 0, v1, s[42:43]
	v_cndmask_b32_e64 v46, 0, v48, s[36:37]
	v_add_f64 v[48:49], v[46:47], 1.0
	v_add_f64 v[50:51], v[48:49], -1.0
	v_add_f64 v[52:53], v[50:51], -v[48:49]
	v_add_f64 v[52:53], v[52:53], 1.0
	v_add_f64 v[50:51], v[46:47], -v[50:51]
	s_mov_b32 s36, 0x55555555
	v_add_f64 v[50:51], v[50:51], v[52:53]
	v_frexp_mant_f64_e32 v[52:53], v[48:49]
	s_mov_b32 s37, 0x3fe55555
	v_frexp_exp_i32_f64_e32 v1, v[48:49]
	v_cmp_gt_f64_e64 s[36:37], s[36:37], v[52:53]
	v_subbrev_co_u32_e64 v1, s[36:37], 0, v1, s[36:37]
	v_sub_u32_e32 v52, 0, v1
	v_ldexp_f64 v[48:49], v[48:49], v52
	v_ldexp_f64 v[50:51], v[50:51], v52
	v_add_f64 v[52:53], v[48:49], -1.0
	v_add_f64 v[60:61], v[48:49], 1.0
	v_add_f64 v[56:57], v[52:53], 1.0
	v_add_f64 v[62:63], v[60:61], -1.0
	v_add_f64 v[56:57], v[48:49], -v[56:57]
	v_add_f64 v[48:49], v[48:49], -v[62:63]
	v_add_f64 v[48:49], v[50:51], v[48:49]
	v_add_f64 v[56:57], v[50:51], v[56:57]
	;; [unrolled: 1-line block ×3, first 2 shown]
	v_rcp_f64_e32 v[62:63], v[50:51]
	v_add_f64 v[58:59], v[52:53], v[56:57]
	v_add_f64 v[52:53], v[58:59], -v[52:53]
	v_add_f64 v[52:53], v[56:57], -v[52:53]
	;; [unrolled: 1-line block ×4, first 2 shown]
	v_fma_f64 v[56:57], -v[50:51], v[62:63], 1.0
	v_fmac_f64_e32 v[62:63], v[56:57], v[62:63]
	v_fma_f64 v[56:57], -v[50:51], v[62:63], 1.0
	v_fmac_f64_e32 v[62:63], v[56:57], v[62:63]
	v_mul_f64 v[56:57], v[58:59], v[62:63]
	v_mul_f64 v[60:61], v[50:51], v[56:57]
	v_fma_f64 v[64:65], v[56:57], v[50:51], -v[60:61]
	v_fmac_f64_e32 v[64:65], v[56:57], v[48:49]
	v_add_f64 v[66:67], v[60:61], v[64:65]
	v_add_f64 v[68:69], v[58:59], -v[66:67]
	v_add_f64 v[58:59], v[58:59], -v[68:69]
	;; [unrolled: 1-line block ×4, first 2 shown]
	v_add_f64 v[52:53], v[52:53], v[58:59]
	v_add_f64 v[58:59], v[60:61], -v[64:65]
	v_add_f64 v[52:53], v[58:59], v[52:53]
	v_add_f64 v[58:59], v[68:69], v[52:53]
	v_add_f64 v[60:61], v[68:69], -v[58:59]
	v_add_f64 v[52:53], v[52:53], v[60:61]
	v_mul_f64 v[60:61], v[62:63], v[58:59]
	v_mul_f64 v[64:65], v[50:51], v[60:61]
	v_fma_f64 v[50:51], v[60:61], v[50:51], -v[64:65]
	v_fmac_f64_e32 v[50:51], v[60:61], v[48:49]
	v_add_f64 v[48:49], v[64:65], v[50:51]
	v_add_f64 v[66:67], v[58:59], -v[48:49]
	v_add_f64 v[58:59], v[58:59], -v[66:67]
	;; [unrolled: 1-line block ×4, first 2 shown]
	v_add_f64 v[48:49], v[52:53], v[48:49]
	v_add_f64 v[50:51], v[64:65], -v[50:51]
	v_add_f64 v[48:49], v[50:51], v[48:49]
	v_add_f64 v[50:51], v[56:57], v[60:61]
	;; [unrolled: 1-line block ×3, first 2 shown]
	v_add_f64 v[52:53], v[50:51], -v[56:57]
	v_mul_f64 v[48:49], v[62:63], v[48:49]
	v_add_f64 v[52:53], v[60:61], -v[52:53]
	v_add_f64 v[48:49], v[52:53], v[48:49]
	v_add_f64 v[52:53], v[50:51], v[48:49]
	v_add_f64 v[50:51], v[52:53], -v[50:51]
	s_mov_b32 s36, 0xbf559e2b
	v_add_f64 v[48:49], v[48:49], -v[50:51]
	v_mul_f64 v[50:51], v[52:53], v[52:53]
	v_mov_b32_e32 v56, 0x6b47b09a
	v_mov_b32_e32 v57, 0x3fc38538
	s_mov_b32 s37, 0x3fc3ab76
	v_fmac_f64_e32 v[56:57], s[36:37], v[50:51]
	v_mov_b32_e32 v58, 0xd7f4df2e
	v_mov_b32_e32 v59, 0x3fc7474d
	v_fmac_f64_e32 v[58:59], v[50:51], v[56:57]
	v_mov_b32_e32 v56, 0x16291751
	v_mov_b32_e32 v57, 0x3fcc71c0
	;; [unrolled: 3-line block ×5, first 2 shown]
	v_fmac_f64_e32 v[58:59], v[50:51], v[56:57]
	v_cvt_f64_i32_e32 v[56:57], v1
	s_mov_b32 s47, 0x3fe62e42
	v_mul_f64 v[60:61], v[56:57], s[46:47]
	v_fma_f64 v[62:63], v[56:57], s[46:47], -v[60:61]
	s_mov_b32 s49, 0x3c7abc9e
	v_fmac_f64_e32 v[62:63], s[48:49], v[56:57]
	v_add_f64 v[56:57], v[60:61], v[62:63]
	v_add_f64 v[60:61], v[56:57], -v[60:61]
	v_mul_f64 v[50:51], v[52:53], v[50:51]
	v_add_f64 v[60:61], v[62:63], -v[60:61]
	v_ldexp_f64 v[62:63], v[52:53], 1
	v_mul_f64 v[50:51], v[50:51], v[58:59]
	v_add_f64 v[52:53], v[62:63], v[50:51]
	v_add_f64 v[58:59], v[52:53], -v[62:63]
	v_ldexp_f64 v[48:49], v[48:49], 1
	v_add_f64 v[50:51], v[50:51], -v[58:59]
	v_add_f64 v[48:49], v[48:49], v[50:51]
	v_add_f64 v[50:51], v[52:53], v[48:49]
	v_add_f64 v[52:53], v[50:51], -v[52:53]
	v_add_f64 v[48:49], v[48:49], -v[52:53]
	v_add_f64 v[52:53], v[56:57], v[50:51]
	v_add_f64 v[58:59], v[52:53], -v[56:57]
	v_add_f64 v[62:63], v[52:53], -v[58:59]
	v_add_f64 v[56:57], v[56:57], -v[62:63]
	v_add_f64 v[50:51], v[50:51], -v[58:59]
	v_add_f64 v[50:51], v[50:51], v[56:57]
	v_add_f64 v[56:57], v[60:61], v[48:49]
	v_add_f64 v[58:59], v[56:57], -v[60:61]
	v_add_f64 v[50:51], v[56:57], v[50:51]
	v_add_f64 v[62:63], v[56:57], -v[58:59]
	;; [unrolled: 2-line block ×3, first 2 shown]
	v_add_f64 v[48:49], v[48:49], -v[58:59]
	v_add_f64 v[52:53], v[56:57], -v[52:53]
	v_add_f64 v[48:49], v[48:49], v[60:61]
	v_add_f64 v[50:51], v[50:51], -v[52:53]
	s_mov_b32 s36, 0
	v_add_f64 v[48:49], v[48:49], v[50:51]
	s_mov_b32 s37, 0x7ff00000
	v_add_f64 v[48:49], v[56:57], v[48:49]
	v_cmp_eq_f64_e64 s[36:37], s[36:37], v[46:47]
	v_cndmask_b32_e64 v1, v48, v46, s[36:37]
	v_cndmask_b32_e64 v48, v49, v47, s[36:37]
	v_mov_b32_e32 v49, 0x7ff80000
	v_cmp_ngt_f64_e64 s[36:37], -1.0, v[46:47]
	v_cndmask_b32_e64 v49, v49, v48, s[36:37]
	v_cmp_nge_f64_e64 s[36:37], -1.0, v[46:47]
	v_cndmask_b32_e64 v48, 0, v1, s[36:37]
	v_mov_b32_e32 v1, 0xfff00000
	v_cmp_neq_f64_e64 s[36:37], -1.0, v[46:47]
	v_cndmask_b32_e64 v49, v1, v49, s[36:37]
	v_add_f64 v[46:47], v[38:39], v[48:49]
.LBB58_36:
	s_or_b64 exec, exec, s[44:45]
	v_max_f64 v[38:39], v[8:9], v[8:9]
	v_max_f64 v[48:49], v[46:47], v[46:47]
	v_min_f64 v[50:51], v[48:49], v[38:39]
	v_cmp_u_f64_e64 s[42:43], v[46:47], v[46:47]
	v_cndmask_b32_e64 v1, v50, v46, s[42:43]
	v_cndmask_b32_e64 v50, v51, v47, s[42:43]
	v_cmp_u_f64_e64 s[36:37], v[8:9], v[8:9]
	v_max_f64 v[48:49], v[48:49], v[38:39]
	v_cndmask_b32_e64 v51, v50, v9, s[36:37]
	v_cndmask_b32_e64 v50, v1, v8, s[36:37]
	;; [unrolled: 1-line block ×6, first 2 shown]
	v_cmp_neq_f64_e64 s[42:43], v[50:51], v[48:49]
	v_cmp_class_f64_e64 s[44:45], v[50:51], s33
	s_or_b64 s[42:43], s[42:43], s[44:45]
	s_and_saveexec_b64 s[46:47], s[42:43]
	s_cbranch_execz .LBB58_38
; %bb.37:
	s_mov_b32 s42, 0x652b82fe
	v_add_f64 v[46:47], v[50:51], -v[48:49]
	s_mov_b32 s43, 0x3ff71547
	v_mul_f64 v[50:51], v[46:47], s[42:43]
	v_rndne_f64_e32 v[50:51], v[50:51]
	s_mov_b32 s49, 0xbfe62e42
	s_mov_b32 s48, 0xfefa39ef
	v_fma_f64 v[52:53], s[48:49], v[50:51], v[46:47]
	s_mov_b32 s51, 0xbc7abc9e
	s_mov_b32 s50, 0x3b39803f
	;; [unrolled: 1-line block ×3, first 2 shown]
	v_fmac_f64_e32 v[52:53], s[50:51], v[50:51]
	v_mov_b32_e32 v56, 0xfca7ab0c
	v_mov_b32_e32 v57, 0x3e928af3
	s_mov_b32 s43, 0x3e5ade15
	v_fmac_f64_e32 v[56:57], s[42:43], v[52:53]
	v_mov_b32_e32 v58, 0x623fde64
	v_mov_b32_e32 v59, 0x3ec71dee
	v_fmac_f64_e32 v[58:59], v[52:53], v[56:57]
	v_mov_b32_e32 v56, 0x7c89e6b0
	v_mov_b32_e32 v57, 0x3efa0199
	v_fmac_f64_e32 v[56:57], v[52:53], v[58:59]
	v_mov_b32_e32 v58, 0x14761f6e
	v_mov_b32_e32 v59, 0x3f2a01a0
	v_fmac_f64_e32 v[58:59], v[52:53], v[56:57]
	v_mov_b32_e32 v56, 0x1852b7b0
	v_mov_b32_e32 v57, 0x3f56c16c
	v_fmac_f64_e32 v[56:57], v[52:53], v[58:59]
	v_mov_b32_e32 v58, 0x11122322
	v_mov_b32_e32 v59, 0x3f811111
	v_fmac_f64_e32 v[58:59], v[52:53], v[56:57]
	v_mov_b32_e32 v56, 0x555502a1
	v_mov_b32_e32 v57, 0x3fa55555
	v_fmac_f64_e32 v[56:57], v[52:53], v[58:59]
	v_mov_b32_e32 v58, 0x55555511
	v_mov_b32_e32 v59, 0x3fc55555
	v_fmac_f64_e32 v[58:59], v[52:53], v[56:57]
	v_mov_b32_e32 v56, 11
	v_mov_b32_e32 v57, 0x3fe00000
	v_fmac_f64_e32 v[56:57], v[52:53], v[58:59]
	v_fma_f64 v[56:57], v[52:53], v[56:57], 1.0
	s_mov_b32 s42, 0
	s_mov_b32 s44, 0
	v_fma_f64 v[52:53], v[52:53], v[56:57], 1.0
	v_cvt_i32_f64_e32 v1, v[50:51]
	s_mov_b32 s43, 0x40900000
	s_mov_b32 s45, 0xc090cc00
	v_ldexp_f64 v[50:51], v[52:53], v1
	v_mov_b32_e32 v1, 0x7ff00000
	v_cmp_nlt_f64_e64 s[42:43], s[42:43], v[46:47]
	v_cmp_ngt_f64_e64 s[44:45], s[44:45], v[46:47]
	v_cndmask_b32_e64 v1, v1, v51, s[42:43]
	s_and_b64 s[42:43], s[44:45], s[42:43]
	v_cndmask_b32_e64 v47, 0, v1, s[44:45]
	v_cndmask_b32_e64 v46, 0, v50, s[42:43]
	v_add_f64 v[50:51], v[46:47], 1.0
	v_add_f64 v[52:53], v[50:51], -1.0
	v_add_f64 v[56:57], v[52:53], -v[50:51]
	v_add_f64 v[56:57], v[56:57], 1.0
	v_add_f64 v[52:53], v[46:47], -v[52:53]
	s_mov_b32 s42, 0x55555555
	v_add_f64 v[52:53], v[52:53], v[56:57]
	v_frexp_mant_f64_e32 v[56:57], v[50:51]
	s_mov_b32 s43, 0x3fe55555
	v_frexp_exp_i32_f64_e32 v1, v[50:51]
	v_cmp_gt_f64_e64 s[42:43], s[42:43], v[56:57]
	v_subbrev_co_u32_e64 v1, s[42:43], 0, v1, s[42:43]
	v_sub_u32_e32 v55, 0, v1
	v_ldexp_f64 v[50:51], v[50:51], v55
	v_add_f64 v[56:57], v[50:51], -1.0
	v_add_f64 v[62:63], v[50:51], 1.0
	v_add_f64 v[58:59], v[56:57], 1.0
	v_add_f64 v[64:65], v[62:63], -1.0
	v_ldexp_f64 v[52:53], v[52:53], v55
	v_add_f64 v[58:59], v[50:51], -v[58:59]
	v_add_f64 v[50:51], v[50:51], -v[64:65]
	v_add_f64 v[50:51], v[52:53], v[50:51]
	v_add_f64 v[58:59], v[52:53], v[58:59]
	;; [unrolled: 1-line block ×3, first 2 shown]
	v_rcp_f64_e32 v[64:65], v[52:53]
	v_add_f64 v[60:61], v[56:57], v[58:59]
	v_add_f64 v[56:57], v[60:61], -v[56:57]
	v_add_f64 v[56:57], v[58:59], -v[56:57]
	;; [unrolled: 1-line block ×4, first 2 shown]
	v_fma_f64 v[58:59], -v[52:53], v[64:65], 1.0
	v_fmac_f64_e32 v[64:65], v[58:59], v[64:65]
	v_fma_f64 v[58:59], -v[52:53], v[64:65], 1.0
	v_fmac_f64_e32 v[64:65], v[58:59], v[64:65]
	v_mul_f64 v[58:59], v[60:61], v[64:65]
	v_mul_f64 v[62:63], v[52:53], v[58:59]
	v_fma_f64 v[66:67], v[58:59], v[52:53], -v[62:63]
	v_fmac_f64_e32 v[66:67], v[58:59], v[50:51]
	v_add_f64 v[68:69], v[62:63], v[66:67]
	v_add_f64 v[70:71], v[60:61], -v[68:69]
	v_add_f64 v[60:61], v[60:61], -v[70:71]
	;; [unrolled: 1-line block ×4, first 2 shown]
	v_add_f64 v[56:57], v[56:57], v[60:61]
	v_add_f64 v[60:61], v[62:63], -v[66:67]
	v_add_f64 v[56:57], v[60:61], v[56:57]
	v_add_f64 v[60:61], v[70:71], v[56:57]
	v_add_f64 v[62:63], v[70:71], -v[60:61]
	v_add_f64 v[56:57], v[56:57], v[62:63]
	v_mul_f64 v[62:63], v[64:65], v[60:61]
	v_mul_f64 v[66:67], v[52:53], v[62:63]
	v_fma_f64 v[52:53], v[62:63], v[52:53], -v[66:67]
	v_fmac_f64_e32 v[52:53], v[62:63], v[50:51]
	v_add_f64 v[50:51], v[66:67], v[52:53]
	v_add_f64 v[68:69], v[60:61], -v[50:51]
	v_add_f64 v[60:61], v[60:61], -v[68:69]
	;; [unrolled: 1-line block ×4, first 2 shown]
	v_add_f64 v[50:51], v[56:57], v[50:51]
	v_add_f64 v[52:53], v[66:67], -v[52:53]
	v_add_f64 v[50:51], v[52:53], v[50:51]
	v_add_f64 v[52:53], v[58:59], v[62:63]
	;; [unrolled: 1-line block ×3, first 2 shown]
	v_add_f64 v[56:57], v[52:53], -v[58:59]
	v_mul_f64 v[50:51], v[64:65], v[50:51]
	v_add_f64 v[56:57], v[62:63], -v[56:57]
	v_add_f64 v[50:51], v[56:57], v[50:51]
	v_add_f64 v[56:57], v[52:53], v[50:51]
	v_add_f64 v[52:53], v[56:57], -v[52:53]
	s_mov_b32 s42, 0xbf559e2b
	v_add_f64 v[50:51], v[50:51], -v[52:53]
	v_mul_f64 v[52:53], v[56:57], v[56:57]
	v_mov_b32_e32 v58, 0x6b47b09a
	v_mov_b32_e32 v59, 0x3fc38538
	s_mov_b32 s43, 0x3fc3ab76
	v_fmac_f64_e32 v[58:59], s[42:43], v[52:53]
	v_mov_b32_e32 v60, 0xd7f4df2e
	v_mov_b32_e32 v61, 0x3fc7474d
	v_fmac_f64_e32 v[60:61], v[52:53], v[58:59]
	v_mov_b32_e32 v58, 0x16291751
	v_mov_b32_e32 v59, 0x3fcc71c0
	;; [unrolled: 3-line block ×5, first 2 shown]
	v_fmac_f64_e32 v[60:61], v[52:53], v[58:59]
	v_cvt_f64_i32_e32 v[58:59], v1
	s_mov_b32 s49, 0x3fe62e42
	v_mul_f64 v[62:63], v[58:59], s[48:49]
	v_fma_f64 v[64:65], v[58:59], s[48:49], -v[62:63]
	s_mov_b32 s51, 0x3c7abc9e
	v_fmac_f64_e32 v[64:65], s[50:51], v[58:59]
	v_add_f64 v[58:59], v[62:63], v[64:65]
	v_add_f64 v[62:63], v[58:59], -v[62:63]
	v_mul_f64 v[52:53], v[56:57], v[52:53]
	v_add_f64 v[62:63], v[64:65], -v[62:63]
	v_ldexp_f64 v[64:65], v[56:57], 1
	v_mul_f64 v[52:53], v[52:53], v[60:61]
	v_add_f64 v[56:57], v[64:65], v[52:53]
	v_add_f64 v[60:61], v[56:57], -v[64:65]
	v_ldexp_f64 v[50:51], v[50:51], 1
	v_add_f64 v[52:53], v[52:53], -v[60:61]
	v_add_f64 v[50:51], v[50:51], v[52:53]
	v_add_f64 v[52:53], v[56:57], v[50:51]
	v_add_f64 v[56:57], v[52:53], -v[56:57]
	v_add_f64 v[50:51], v[50:51], -v[56:57]
	v_add_f64 v[56:57], v[58:59], v[52:53]
	v_add_f64 v[60:61], v[56:57], -v[58:59]
	v_add_f64 v[64:65], v[56:57], -v[60:61]
	;; [unrolled: 1-line block ×4, first 2 shown]
	v_add_f64 v[52:53], v[52:53], v[58:59]
	v_add_f64 v[58:59], v[62:63], v[50:51]
	v_add_f64 v[60:61], v[58:59], -v[62:63]
	v_add_f64 v[52:53], v[58:59], v[52:53]
	v_add_f64 v[64:65], v[58:59], -v[60:61]
	;; [unrolled: 2-line block ×3, first 2 shown]
	v_add_f64 v[50:51], v[50:51], -v[60:61]
	v_add_f64 v[56:57], v[58:59], -v[56:57]
	v_add_f64 v[50:51], v[50:51], v[62:63]
	v_add_f64 v[52:53], v[52:53], -v[56:57]
	s_mov_b32 s42, 0
	v_add_f64 v[50:51], v[50:51], v[52:53]
	s_mov_b32 s43, 0x7ff00000
	v_add_f64 v[50:51], v[58:59], v[50:51]
	v_cmp_eq_f64_e64 s[42:43], s[42:43], v[46:47]
	v_cndmask_b32_e64 v1, v50, v46, s[42:43]
	v_cndmask_b32_e64 v50, v51, v47, s[42:43]
	v_mov_b32_e32 v51, 0x7ff80000
	v_cmp_ngt_f64_e64 s[42:43], -1.0, v[46:47]
	v_cndmask_b32_e64 v51, v51, v50, s[42:43]
	v_cmp_nge_f64_e64 s[42:43], -1.0, v[46:47]
	v_cndmask_b32_e64 v50, 0, v1, s[42:43]
	v_mov_b32_e32 v1, 0xfff00000
	v_cmp_neq_f64_e64 s[42:43], -1.0, v[46:47]
	v_cndmask_b32_e64 v51, v1, v51, s[42:43]
	v_add_f64 v[46:47], v[48:49], v[50:51]
.LBB58_38:
	s_or_b64 exec, exec, s[46:47]
	s_load_dwordx2 s[44:45], s[4:5], 0x20
	v_mbcnt_lo_u32_b32 v1, -1, 0
	v_mbcnt_hi_u32_b32 v1, -1, v1
	v_and_b32_e32 v52, 15, v1
	v_mov_b32_dpp v48, v46 row_shr:1 row_mask:0xf bank_mask:0xf
	v_mov_b32_dpp v49, v47 row_shr:1 row_mask:0xf bank_mask:0xf
	v_cmp_ne_u32_e64 s[4:5], 0, v52
	v_mov_b32_e32 v50, v46
	v_mov_b32_e32 v51, v47
	s_and_saveexec_b64 s[46:47], s[4:5]
	s_cbranch_execz .LBB58_42
; %bb.39:
	v_max_f64 v[56:57], v[48:49], v[48:49]
	v_max_f64 v[58:59], v[46:47], v[46:47]
	v_min_f64 v[50:51], v[56:57], v[58:59]
	v_cmp_u_f64_e64 s[4:5], v[48:49], v[48:49]
	v_max_f64 v[56:57], v[56:57], v[58:59]
	v_cndmask_b32_e64 v50, v50, v48, s[4:5]
	v_cndmask_b32_e64 v51, v51, v49, s[4:5]
	v_cmp_u_f64_e64 s[42:43], v[46:47], v[46:47]
	v_cndmask_b32_e64 v53, v56, v48, s[4:5]
	v_cndmask_b32_e64 v55, v57, v49, s[4:5]
	;; [unrolled: 1-line block ×6, first 2 shown]
	v_cmp_neq_f64_e64 s[4:5], v[50:51], v[46:47]
	v_cmp_class_f64_e64 s[42:43], v[50:51], s33
	s_or_b64 s[4:5], s[4:5], s[42:43]
	s_and_saveexec_b64 s[48:49], s[4:5]
	s_cbranch_execz .LBB58_41
; %bb.40:
	s_mov_b32 s4, 0x652b82fe
	v_add_f64 v[48:49], v[50:51], -v[46:47]
	s_mov_b32 s5, 0x3ff71547
	v_mul_f64 v[50:51], v[48:49], s[4:5]
	v_rndne_f64_e32 v[50:51], v[50:51]
	s_mov_b32 s51, 0xbfe62e42
	s_mov_b32 s50, 0xfefa39ef
	v_fma_f64 v[56:57], s[50:51], v[50:51], v[48:49]
	s_mov_b32 s53, 0xbc7abc9e
	s_mov_b32 s52, 0x3b39803f
	;; [unrolled: 1-line block ×3, first 2 shown]
	v_fmac_f64_e32 v[56:57], s[52:53], v[50:51]
	v_mov_b32_e32 v58, 0xfca7ab0c
	v_mov_b32_e32 v59, 0x3e928af3
	s_mov_b32 s5, 0x3e5ade15
	v_fmac_f64_e32 v[58:59], s[4:5], v[56:57]
	v_mov_b32_e32 v60, 0x623fde64
	v_mov_b32_e32 v61, 0x3ec71dee
	v_fmac_f64_e32 v[60:61], v[56:57], v[58:59]
	v_mov_b32_e32 v58, 0x7c89e6b0
	v_mov_b32_e32 v59, 0x3efa0199
	;; [unrolled: 3-line block ×8, first 2 shown]
	v_fmac_f64_e32 v[58:59], v[56:57], v[60:61]
	v_fma_f64 v[58:59], v[56:57], v[58:59], 1.0
	s_mov_b32 s4, 0
	s_mov_b32 s42, 0
	v_fma_f64 v[56:57], v[56:57], v[58:59], 1.0
	v_cvt_i32_f64_e32 v50, v[50:51]
	s_mov_b32 s5, 0x40900000
	s_mov_b32 s43, 0xc090cc00
	v_ldexp_f64 v[50:51], v[56:57], v50
	v_mov_b32_e32 v53, 0x7ff00000
	v_cmp_nlt_f64_e64 s[4:5], s[4:5], v[48:49]
	v_cmp_ngt_f64_e64 s[42:43], s[42:43], v[48:49]
	v_cndmask_b32_e64 v51, v53, v51, s[4:5]
	s_and_b64 s[4:5], s[42:43], s[4:5]
	v_cndmask_b32_e64 v49, 0, v51, s[42:43]
	v_cndmask_b32_e64 v48, 0, v50, s[4:5]
	v_add_f64 v[50:51], v[48:49], 1.0
	v_add_f64 v[56:57], v[50:51], -1.0
	v_add_f64 v[58:59], v[56:57], -v[50:51]
	v_add_f64 v[58:59], v[58:59], 1.0
	v_add_f64 v[56:57], v[48:49], -v[56:57]
	s_mov_b32 s4, 0x55555555
	v_add_f64 v[56:57], v[56:57], v[58:59]
	v_frexp_mant_f64_e32 v[58:59], v[50:51]
	s_mov_b32 s5, 0x3fe55555
	v_frexp_exp_i32_f64_e32 v53, v[50:51]
	v_cmp_gt_f64_e64 s[4:5], s[4:5], v[58:59]
	v_subbrev_co_u32_e64 v53, s[4:5], 0, v53, s[4:5]
	v_sub_u32_e32 v55, 0, v53
	v_ldexp_f64 v[50:51], v[50:51], v55
	v_add_f64 v[58:59], v[50:51], -1.0
	v_add_f64 v[64:65], v[50:51], 1.0
	v_add_f64 v[60:61], v[58:59], 1.0
	v_add_f64 v[66:67], v[64:65], -1.0
	v_ldexp_f64 v[56:57], v[56:57], v55
	v_add_f64 v[60:61], v[50:51], -v[60:61]
	v_add_f64 v[50:51], v[50:51], -v[66:67]
	v_add_f64 v[50:51], v[56:57], v[50:51]
	v_add_f64 v[60:61], v[56:57], v[60:61]
	;; [unrolled: 1-line block ×3, first 2 shown]
	v_rcp_f64_e32 v[66:67], v[56:57]
	v_add_f64 v[62:63], v[58:59], v[60:61]
	v_add_f64 v[58:59], v[62:63], -v[58:59]
	v_add_f64 v[58:59], v[60:61], -v[58:59]
	;; [unrolled: 1-line block ×4, first 2 shown]
	v_fma_f64 v[60:61], -v[56:57], v[66:67], 1.0
	v_fmac_f64_e32 v[66:67], v[60:61], v[66:67]
	v_fma_f64 v[60:61], -v[56:57], v[66:67], 1.0
	v_fmac_f64_e32 v[66:67], v[60:61], v[66:67]
	v_mul_f64 v[60:61], v[62:63], v[66:67]
	v_mul_f64 v[64:65], v[56:57], v[60:61]
	v_fma_f64 v[68:69], v[60:61], v[56:57], -v[64:65]
	v_fmac_f64_e32 v[68:69], v[60:61], v[50:51]
	v_add_f64 v[70:71], v[64:65], v[68:69]
	v_add_f64 v[72:73], v[62:63], -v[70:71]
	v_add_f64 v[62:63], v[62:63], -v[72:73]
	;; [unrolled: 1-line block ×4, first 2 shown]
	v_add_f64 v[58:59], v[58:59], v[62:63]
	v_add_f64 v[62:63], v[64:65], -v[68:69]
	v_add_f64 v[58:59], v[62:63], v[58:59]
	v_add_f64 v[62:63], v[72:73], v[58:59]
	v_add_f64 v[64:65], v[72:73], -v[62:63]
	v_add_f64 v[58:59], v[58:59], v[64:65]
	v_mul_f64 v[64:65], v[66:67], v[62:63]
	v_mul_f64 v[68:69], v[56:57], v[64:65]
	v_fma_f64 v[56:57], v[64:65], v[56:57], -v[68:69]
	v_fmac_f64_e32 v[56:57], v[64:65], v[50:51]
	v_add_f64 v[50:51], v[68:69], v[56:57]
	v_add_f64 v[70:71], v[62:63], -v[50:51]
	v_add_f64 v[62:63], v[62:63], -v[70:71]
	;; [unrolled: 1-line block ×4, first 2 shown]
	v_add_f64 v[50:51], v[58:59], v[50:51]
	v_add_f64 v[56:57], v[68:69], -v[56:57]
	v_add_f64 v[50:51], v[56:57], v[50:51]
	v_add_f64 v[56:57], v[60:61], v[64:65]
	;; [unrolled: 1-line block ×3, first 2 shown]
	v_add_f64 v[58:59], v[56:57], -v[60:61]
	v_mul_f64 v[50:51], v[66:67], v[50:51]
	v_add_f64 v[58:59], v[64:65], -v[58:59]
	v_add_f64 v[50:51], v[58:59], v[50:51]
	v_add_f64 v[58:59], v[56:57], v[50:51]
	v_add_f64 v[56:57], v[58:59], -v[56:57]
	s_mov_b32 s4, 0xbf559e2b
	v_add_f64 v[50:51], v[50:51], -v[56:57]
	v_mul_f64 v[56:57], v[58:59], v[58:59]
	v_mov_b32_e32 v60, 0x6b47b09a
	v_mov_b32_e32 v61, 0x3fc38538
	s_mov_b32 s5, 0x3fc3ab76
	v_fmac_f64_e32 v[60:61], s[4:5], v[56:57]
	v_mov_b32_e32 v62, 0xd7f4df2e
	v_mov_b32_e32 v63, 0x3fc7474d
	v_fmac_f64_e32 v[62:63], v[56:57], v[60:61]
	v_mov_b32_e32 v60, 0x16291751
	v_mov_b32_e32 v61, 0x3fcc71c0
	;; [unrolled: 3-line block ×5, first 2 shown]
	v_fmac_f64_e32 v[62:63], v[56:57], v[60:61]
	v_cvt_f64_i32_e32 v[60:61], v53
	s_mov_b32 s51, 0x3fe62e42
	v_mul_f64 v[64:65], v[60:61], s[50:51]
	v_fma_f64 v[66:67], v[60:61], s[50:51], -v[64:65]
	s_mov_b32 s53, 0x3c7abc9e
	v_fmac_f64_e32 v[66:67], s[52:53], v[60:61]
	v_add_f64 v[60:61], v[64:65], v[66:67]
	v_add_f64 v[64:65], v[60:61], -v[64:65]
	v_mul_f64 v[56:57], v[58:59], v[56:57]
	v_add_f64 v[64:65], v[66:67], -v[64:65]
	v_ldexp_f64 v[66:67], v[58:59], 1
	v_mul_f64 v[56:57], v[56:57], v[62:63]
	v_add_f64 v[58:59], v[66:67], v[56:57]
	v_add_f64 v[62:63], v[58:59], -v[66:67]
	v_ldexp_f64 v[50:51], v[50:51], 1
	v_add_f64 v[56:57], v[56:57], -v[62:63]
	v_add_f64 v[50:51], v[50:51], v[56:57]
	v_add_f64 v[56:57], v[58:59], v[50:51]
	v_add_f64 v[58:59], v[56:57], -v[58:59]
	v_add_f64 v[50:51], v[50:51], -v[58:59]
	v_add_f64 v[58:59], v[60:61], v[56:57]
	v_add_f64 v[62:63], v[58:59], -v[60:61]
	v_add_f64 v[66:67], v[58:59], -v[62:63]
	;; [unrolled: 1-line block ×4, first 2 shown]
	v_add_f64 v[56:57], v[56:57], v[60:61]
	v_add_f64 v[60:61], v[64:65], v[50:51]
	v_add_f64 v[62:63], v[60:61], -v[64:65]
	v_add_f64 v[56:57], v[60:61], v[56:57]
	v_add_f64 v[66:67], v[60:61], -v[62:63]
	;; [unrolled: 2-line block ×3, first 2 shown]
	v_add_f64 v[50:51], v[50:51], -v[62:63]
	v_add_f64 v[58:59], v[60:61], -v[58:59]
	v_add_f64 v[50:51], v[50:51], v[64:65]
	v_add_f64 v[56:57], v[56:57], -v[58:59]
	s_mov_b32 s4, 0
	v_add_f64 v[50:51], v[50:51], v[56:57]
	s_mov_b32 s5, 0x7ff00000
	v_add_f64 v[50:51], v[60:61], v[50:51]
	v_cmp_eq_f64_e64 s[4:5], s[4:5], v[48:49]
	v_cndmask_b32_e64 v50, v50, v48, s[4:5]
	v_cndmask_b32_e64 v51, v51, v49, s[4:5]
	v_mov_b32_e32 v53, 0x7ff80000
	v_cmp_ngt_f64_e64 s[4:5], -1.0, v[48:49]
	v_cndmask_b32_e64 v51, v53, v51, s[4:5]
	v_cmp_nge_f64_e64 s[4:5], -1.0, v[48:49]
	v_cndmask_b32_e64 v50, 0, v50, s[4:5]
	v_mov_b32_e32 v53, 0xfff00000
	v_cmp_neq_f64_e64 s[4:5], -1.0, v[48:49]
	v_cndmask_b32_e64 v51, v53, v51, s[4:5]
	v_add_f64 v[48:49], v[46:47], v[50:51]
.LBB58_41:
	s_or_b64 exec, exec, s[48:49]
	v_mov_b32_e32 v50, v48
	v_mov_b32_e32 v51, v49
	v_pk_mov_b32 v[46:47], v[48:49], v[48:49] op_sel:[0,1]
.LBB58_42:
	s_or_b64 exec, exec, s[46:47]
	v_mul_u32_u24_e32 v55, 0x48, v0
	v_mov_b32_dpp v48, v50 row_shr:2 row_mask:0xf bank_mask:0xf
	v_mov_b32_dpp v49, v51 row_shr:2 row_mask:0xf bank_mask:0xf
	v_cmp_lt_u32_e64 s[4:5], 1, v52
	s_and_saveexec_b64 s[46:47], s[4:5]
	s_cbranch_execz .LBB58_46
; %bb.43:
	v_max_f64 v[56:57], v[48:49], v[48:49]
	v_max_f64 v[58:59], v[46:47], v[46:47]
	v_min_f64 v[50:51], v[56:57], v[58:59]
	v_cmp_u_f64_e64 s[4:5], v[48:49], v[48:49]
	v_max_f64 v[56:57], v[56:57], v[58:59]
	v_cndmask_b32_e64 v50, v50, v48, s[4:5]
	v_cndmask_b32_e64 v51, v51, v49, s[4:5]
	v_cmp_u_f64_e64 s[42:43], v[46:47], v[46:47]
	v_cndmask_b32_e64 v53, v56, v48, s[4:5]
	v_cndmask_b32_e64 v56, v57, v49, s[4:5]
	;; [unrolled: 1-line block ×6, first 2 shown]
	v_cmp_neq_f64_e64 s[4:5], v[50:51], v[46:47]
	v_cmp_class_f64_e64 s[42:43], v[50:51], s33
	s_or_b64 s[4:5], s[4:5], s[42:43]
	s_and_saveexec_b64 s[48:49], s[4:5]
	s_cbranch_execz .LBB58_45
; %bb.44:
	s_mov_b32 s4, 0x652b82fe
	v_add_f64 v[48:49], v[50:51], -v[46:47]
	s_mov_b32 s5, 0x3ff71547
	v_mul_f64 v[50:51], v[48:49], s[4:5]
	v_rndne_f64_e32 v[50:51], v[50:51]
	s_mov_b32 s51, 0xbfe62e42
	s_mov_b32 s50, 0xfefa39ef
	v_fma_f64 v[56:57], s[50:51], v[50:51], v[48:49]
	s_mov_b32 s53, 0xbc7abc9e
	s_mov_b32 s52, 0x3b39803f
	;; [unrolled: 1-line block ×3, first 2 shown]
	v_fmac_f64_e32 v[56:57], s[52:53], v[50:51]
	v_mov_b32_e32 v58, 0xfca7ab0c
	v_mov_b32_e32 v59, 0x3e928af3
	s_mov_b32 s5, 0x3e5ade15
	v_fmac_f64_e32 v[58:59], s[4:5], v[56:57]
	v_mov_b32_e32 v60, 0x623fde64
	v_mov_b32_e32 v61, 0x3ec71dee
	v_fmac_f64_e32 v[60:61], v[56:57], v[58:59]
	v_mov_b32_e32 v58, 0x7c89e6b0
	v_mov_b32_e32 v59, 0x3efa0199
	;; [unrolled: 3-line block ×8, first 2 shown]
	v_fmac_f64_e32 v[58:59], v[56:57], v[60:61]
	v_fma_f64 v[58:59], v[56:57], v[58:59], 1.0
	s_mov_b32 s4, 0
	s_mov_b32 s42, 0
	v_fma_f64 v[56:57], v[56:57], v[58:59], 1.0
	v_cvt_i32_f64_e32 v50, v[50:51]
	s_mov_b32 s5, 0x40900000
	s_mov_b32 s43, 0xc090cc00
	v_ldexp_f64 v[50:51], v[56:57], v50
	v_mov_b32_e32 v53, 0x7ff00000
	v_cmp_nlt_f64_e64 s[4:5], s[4:5], v[48:49]
	v_cmp_ngt_f64_e64 s[42:43], s[42:43], v[48:49]
	v_cndmask_b32_e64 v51, v53, v51, s[4:5]
	s_and_b64 s[4:5], s[42:43], s[4:5]
	v_cndmask_b32_e64 v49, 0, v51, s[42:43]
	v_cndmask_b32_e64 v48, 0, v50, s[4:5]
	v_add_f64 v[50:51], v[48:49], 1.0
	v_add_f64 v[56:57], v[50:51], -1.0
	v_add_f64 v[58:59], v[56:57], -v[50:51]
	v_add_f64 v[58:59], v[58:59], 1.0
	v_add_f64 v[56:57], v[48:49], -v[56:57]
	s_mov_b32 s4, 0x55555555
	v_add_f64 v[56:57], v[56:57], v[58:59]
	v_frexp_mant_f64_e32 v[58:59], v[50:51]
	s_mov_b32 s5, 0x3fe55555
	v_frexp_exp_i32_f64_e32 v53, v[50:51]
	v_cmp_gt_f64_e64 s[4:5], s[4:5], v[58:59]
	v_subbrev_co_u32_e64 v53, s[4:5], 0, v53, s[4:5]
	v_sub_u32_e32 v58, 0, v53
	v_ldexp_f64 v[50:51], v[50:51], v58
	v_ldexp_f64 v[56:57], v[56:57], v58
	v_add_f64 v[58:59], v[50:51], -1.0
	v_add_f64 v[64:65], v[50:51], 1.0
	v_add_f64 v[60:61], v[58:59], 1.0
	v_add_f64 v[66:67], v[64:65], -1.0
	v_add_f64 v[60:61], v[50:51], -v[60:61]
	v_add_f64 v[50:51], v[50:51], -v[66:67]
	v_add_f64 v[50:51], v[56:57], v[50:51]
	v_add_f64 v[60:61], v[56:57], v[60:61]
	;; [unrolled: 1-line block ×3, first 2 shown]
	v_rcp_f64_e32 v[66:67], v[56:57]
	v_add_f64 v[62:63], v[58:59], v[60:61]
	v_add_f64 v[58:59], v[62:63], -v[58:59]
	v_add_f64 v[58:59], v[60:61], -v[58:59]
	;; [unrolled: 1-line block ×4, first 2 shown]
	v_fma_f64 v[60:61], -v[56:57], v[66:67], 1.0
	v_fmac_f64_e32 v[66:67], v[60:61], v[66:67]
	v_fma_f64 v[60:61], -v[56:57], v[66:67], 1.0
	v_fmac_f64_e32 v[66:67], v[60:61], v[66:67]
	v_mul_f64 v[60:61], v[62:63], v[66:67]
	v_mul_f64 v[64:65], v[56:57], v[60:61]
	v_fma_f64 v[68:69], v[60:61], v[56:57], -v[64:65]
	v_fmac_f64_e32 v[68:69], v[60:61], v[50:51]
	v_add_f64 v[70:71], v[64:65], v[68:69]
	v_add_f64 v[72:73], v[62:63], -v[70:71]
	v_add_f64 v[62:63], v[62:63], -v[72:73]
	;; [unrolled: 1-line block ×4, first 2 shown]
	v_add_f64 v[58:59], v[58:59], v[62:63]
	v_add_f64 v[62:63], v[64:65], -v[68:69]
	v_add_f64 v[58:59], v[62:63], v[58:59]
	v_add_f64 v[62:63], v[72:73], v[58:59]
	v_add_f64 v[64:65], v[72:73], -v[62:63]
	v_add_f64 v[58:59], v[58:59], v[64:65]
	v_mul_f64 v[64:65], v[66:67], v[62:63]
	v_mul_f64 v[68:69], v[56:57], v[64:65]
	v_fma_f64 v[56:57], v[64:65], v[56:57], -v[68:69]
	v_fmac_f64_e32 v[56:57], v[64:65], v[50:51]
	v_add_f64 v[50:51], v[68:69], v[56:57]
	v_add_f64 v[70:71], v[62:63], -v[50:51]
	v_add_f64 v[62:63], v[62:63], -v[70:71]
	;; [unrolled: 1-line block ×4, first 2 shown]
	v_add_f64 v[50:51], v[58:59], v[50:51]
	v_add_f64 v[56:57], v[68:69], -v[56:57]
	v_add_f64 v[50:51], v[56:57], v[50:51]
	v_add_f64 v[56:57], v[60:61], v[64:65]
	;; [unrolled: 1-line block ×3, first 2 shown]
	v_add_f64 v[58:59], v[56:57], -v[60:61]
	v_mul_f64 v[50:51], v[66:67], v[50:51]
	v_add_f64 v[58:59], v[64:65], -v[58:59]
	v_add_f64 v[50:51], v[58:59], v[50:51]
	v_add_f64 v[58:59], v[56:57], v[50:51]
	v_add_f64 v[56:57], v[58:59], -v[56:57]
	s_mov_b32 s4, 0xbf559e2b
	v_add_f64 v[50:51], v[50:51], -v[56:57]
	v_mul_f64 v[56:57], v[58:59], v[58:59]
	v_mov_b32_e32 v60, 0x6b47b09a
	v_mov_b32_e32 v61, 0x3fc38538
	s_mov_b32 s5, 0x3fc3ab76
	v_fmac_f64_e32 v[60:61], s[4:5], v[56:57]
	v_mov_b32_e32 v62, 0xd7f4df2e
	v_mov_b32_e32 v63, 0x3fc7474d
	v_fmac_f64_e32 v[62:63], v[56:57], v[60:61]
	v_mov_b32_e32 v60, 0x16291751
	v_mov_b32_e32 v61, 0x3fcc71c0
	;; [unrolled: 3-line block ×5, first 2 shown]
	v_fmac_f64_e32 v[62:63], v[56:57], v[60:61]
	v_cvt_f64_i32_e32 v[60:61], v53
	s_mov_b32 s51, 0x3fe62e42
	v_mul_f64 v[64:65], v[60:61], s[50:51]
	v_fma_f64 v[66:67], v[60:61], s[50:51], -v[64:65]
	s_mov_b32 s53, 0x3c7abc9e
	v_fmac_f64_e32 v[66:67], s[52:53], v[60:61]
	v_add_f64 v[60:61], v[64:65], v[66:67]
	v_add_f64 v[64:65], v[60:61], -v[64:65]
	v_mul_f64 v[56:57], v[58:59], v[56:57]
	v_add_f64 v[64:65], v[66:67], -v[64:65]
	v_ldexp_f64 v[66:67], v[58:59], 1
	v_mul_f64 v[56:57], v[56:57], v[62:63]
	v_add_f64 v[58:59], v[66:67], v[56:57]
	v_add_f64 v[62:63], v[58:59], -v[66:67]
	v_ldexp_f64 v[50:51], v[50:51], 1
	v_add_f64 v[56:57], v[56:57], -v[62:63]
	v_add_f64 v[50:51], v[50:51], v[56:57]
	v_add_f64 v[56:57], v[58:59], v[50:51]
	v_add_f64 v[58:59], v[56:57], -v[58:59]
	v_add_f64 v[50:51], v[50:51], -v[58:59]
	v_add_f64 v[58:59], v[60:61], v[56:57]
	v_add_f64 v[62:63], v[58:59], -v[60:61]
	v_add_f64 v[66:67], v[58:59], -v[62:63]
	;; [unrolled: 1-line block ×4, first 2 shown]
	v_add_f64 v[56:57], v[56:57], v[60:61]
	v_add_f64 v[60:61], v[64:65], v[50:51]
	v_add_f64 v[62:63], v[60:61], -v[64:65]
	v_add_f64 v[56:57], v[60:61], v[56:57]
	v_add_f64 v[66:67], v[60:61], -v[62:63]
	;; [unrolled: 2-line block ×3, first 2 shown]
	v_add_f64 v[50:51], v[50:51], -v[62:63]
	v_add_f64 v[58:59], v[60:61], -v[58:59]
	v_add_f64 v[50:51], v[50:51], v[64:65]
	v_add_f64 v[56:57], v[56:57], -v[58:59]
	s_mov_b32 s4, 0
	v_add_f64 v[50:51], v[50:51], v[56:57]
	s_mov_b32 s5, 0x7ff00000
	v_add_f64 v[50:51], v[60:61], v[50:51]
	v_cmp_eq_f64_e64 s[4:5], s[4:5], v[48:49]
	v_cndmask_b32_e64 v50, v50, v48, s[4:5]
	v_cndmask_b32_e64 v51, v51, v49, s[4:5]
	v_mov_b32_e32 v53, 0x7ff80000
	v_cmp_ngt_f64_e64 s[4:5], -1.0, v[48:49]
	v_cndmask_b32_e64 v51, v53, v51, s[4:5]
	v_cmp_nge_f64_e64 s[4:5], -1.0, v[48:49]
	v_cndmask_b32_e64 v50, 0, v50, s[4:5]
	v_mov_b32_e32 v53, 0xfff00000
	v_cmp_neq_f64_e64 s[4:5], -1.0, v[48:49]
	v_cndmask_b32_e64 v51, v53, v51, s[4:5]
	v_add_f64 v[48:49], v[46:47], v[50:51]
.LBB58_45:
	s_or_b64 exec, exec, s[48:49]
	v_pk_mov_b32 v[46:47], v[48:49], v[48:49] op_sel:[0,1]
	v_mov_b32_e32 v50, v48
	v_mov_b32_e32 v51, v49
.LBB58_46:
	s_or_b64 exec, exec, s[46:47]
	v_mov_b32_dpp v48, v50 row_shr:4 row_mask:0xf bank_mask:0xf
	v_mov_b32_dpp v49, v51 row_shr:4 row_mask:0xf bank_mask:0xf
	v_cmp_lt_u32_e64 s[4:5], 3, v52
	s_and_saveexec_b64 s[46:47], s[4:5]
	s_cbranch_execz .LBB58_50
; %bb.47:
	v_max_f64 v[56:57], v[48:49], v[48:49]
	v_max_f64 v[58:59], v[46:47], v[46:47]
	v_min_f64 v[50:51], v[56:57], v[58:59]
	v_cmp_u_f64_e64 s[4:5], v[48:49], v[48:49]
	v_max_f64 v[56:57], v[56:57], v[58:59]
	v_cndmask_b32_e64 v50, v50, v48, s[4:5]
	v_cndmask_b32_e64 v51, v51, v49, s[4:5]
	v_cmp_u_f64_e64 s[42:43], v[46:47], v[46:47]
	v_cndmask_b32_e64 v53, v56, v48, s[4:5]
	v_cndmask_b32_e64 v56, v57, v49, s[4:5]
	;; [unrolled: 1-line block ×6, first 2 shown]
	v_cmp_neq_f64_e64 s[4:5], v[50:51], v[46:47]
	v_cmp_class_f64_e64 s[42:43], v[50:51], s33
	s_or_b64 s[4:5], s[4:5], s[42:43]
	s_and_saveexec_b64 s[48:49], s[4:5]
	s_cbranch_execz .LBB58_49
; %bb.48:
	s_mov_b32 s4, 0x652b82fe
	v_add_f64 v[48:49], v[50:51], -v[46:47]
	s_mov_b32 s5, 0x3ff71547
	v_mul_f64 v[50:51], v[48:49], s[4:5]
	v_rndne_f64_e32 v[50:51], v[50:51]
	s_mov_b32 s51, 0xbfe62e42
	s_mov_b32 s50, 0xfefa39ef
	v_fma_f64 v[56:57], s[50:51], v[50:51], v[48:49]
	s_mov_b32 s53, 0xbc7abc9e
	s_mov_b32 s52, 0x3b39803f
	;; [unrolled: 1-line block ×3, first 2 shown]
	v_fmac_f64_e32 v[56:57], s[52:53], v[50:51]
	v_mov_b32_e32 v58, 0xfca7ab0c
	v_mov_b32_e32 v59, 0x3e928af3
	s_mov_b32 s5, 0x3e5ade15
	v_fmac_f64_e32 v[58:59], s[4:5], v[56:57]
	v_mov_b32_e32 v60, 0x623fde64
	v_mov_b32_e32 v61, 0x3ec71dee
	v_fmac_f64_e32 v[60:61], v[56:57], v[58:59]
	v_mov_b32_e32 v58, 0x7c89e6b0
	v_mov_b32_e32 v59, 0x3efa0199
	;; [unrolled: 3-line block ×8, first 2 shown]
	v_fmac_f64_e32 v[58:59], v[56:57], v[60:61]
	v_fma_f64 v[58:59], v[56:57], v[58:59], 1.0
	s_mov_b32 s4, 0
	s_mov_b32 s42, 0
	v_fma_f64 v[56:57], v[56:57], v[58:59], 1.0
	v_cvt_i32_f64_e32 v50, v[50:51]
	s_mov_b32 s5, 0x40900000
	s_mov_b32 s43, 0xc090cc00
	v_ldexp_f64 v[50:51], v[56:57], v50
	v_mov_b32_e32 v53, 0x7ff00000
	v_cmp_nlt_f64_e64 s[4:5], s[4:5], v[48:49]
	v_cmp_ngt_f64_e64 s[42:43], s[42:43], v[48:49]
	v_cndmask_b32_e64 v51, v53, v51, s[4:5]
	s_and_b64 s[4:5], s[42:43], s[4:5]
	v_cndmask_b32_e64 v49, 0, v51, s[42:43]
	v_cndmask_b32_e64 v48, 0, v50, s[4:5]
	v_add_f64 v[50:51], v[48:49], 1.0
	v_add_f64 v[56:57], v[50:51], -1.0
	v_add_f64 v[58:59], v[56:57], -v[50:51]
	v_add_f64 v[58:59], v[58:59], 1.0
	v_add_f64 v[56:57], v[48:49], -v[56:57]
	s_mov_b32 s4, 0x55555555
	v_add_f64 v[56:57], v[56:57], v[58:59]
	v_frexp_mant_f64_e32 v[58:59], v[50:51]
	s_mov_b32 s5, 0x3fe55555
	v_frexp_exp_i32_f64_e32 v53, v[50:51]
	v_cmp_gt_f64_e64 s[4:5], s[4:5], v[58:59]
	v_subbrev_co_u32_e64 v53, s[4:5], 0, v53, s[4:5]
	v_sub_u32_e32 v58, 0, v53
	v_ldexp_f64 v[50:51], v[50:51], v58
	v_ldexp_f64 v[56:57], v[56:57], v58
	v_add_f64 v[58:59], v[50:51], -1.0
	v_add_f64 v[64:65], v[50:51], 1.0
	v_add_f64 v[60:61], v[58:59], 1.0
	v_add_f64 v[66:67], v[64:65], -1.0
	v_add_f64 v[60:61], v[50:51], -v[60:61]
	v_add_f64 v[50:51], v[50:51], -v[66:67]
	v_add_f64 v[50:51], v[56:57], v[50:51]
	v_add_f64 v[60:61], v[56:57], v[60:61]
	;; [unrolled: 1-line block ×3, first 2 shown]
	v_rcp_f64_e32 v[66:67], v[56:57]
	v_add_f64 v[62:63], v[58:59], v[60:61]
	v_add_f64 v[58:59], v[62:63], -v[58:59]
	v_add_f64 v[58:59], v[60:61], -v[58:59]
	;; [unrolled: 1-line block ×4, first 2 shown]
	v_fma_f64 v[60:61], -v[56:57], v[66:67], 1.0
	v_fmac_f64_e32 v[66:67], v[60:61], v[66:67]
	v_fma_f64 v[60:61], -v[56:57], v[66:67], 1.0
	v_fmac_f64_e32 v[66:67], v[60:61], v[66:67]
	v_mul_f64 v[60:61], v[62:63], v[66:67]
	v_mul_f64 v[64:65], v[56:57], v[60:61]
	v_fma_f64 v[68:69], v[60:61], v[56:57], -v[64:65]
	v_fmac_f64_e32 v[68:69], v[60:61], v[50:51]
	v_add_f64 v[70:71], v[64:65], v[68:69]
	v_add_f64 v[72:73], v[62:63], -v[70:71]
	v_add_f64 v[62:63], v[62:63], -v[72:73]
	;; [unrolled: 1-line block ×4, first 2 shown]
	v_add_f64 v[58:59], v[58:59], v[62:63]
	v_add_f64 v[62:63], v[64:65], -v[68:69]
	v_add_f64 v[58:59], v[62:63], v[58:59]
	v_add_f64 v[62:63], v[72:73], v[58:59]
	v_add_f64 v[64:65], v[72:73], -v[62:63]
	v_add_f64 v[58:59], v[58:59], v[64:65]
	v_mul_f64 v[64:65], v[66:67], v[62:63]
	v_mul_f64 v[68:69], v[56:57], v[64:65]
	v_fma_f64 v[56:57], v[64:65], v[56:57], -v[68:69]
	v_fmac_f64_e32 v[56:57], v[64:65], v[50:51]
	v_add_f64 v[50:51], v[68:69], v[56:57]
	v_add_f64 v[70:71], v[62:63], -v[50:51]
	v_add_f64 v[62:63], v[62:63], -v[70:71]
	;; [unrolled: 1-line block ×4, first 2 shown]
	v_add_f64 v[50:51], v[58:59], v[50:51]
	v_add_f64 v[56:57], v[68:69], -v[56:57]
	v_add_f64 v[50:51], v[56:57], v[50:51]
	v_add_f64 v[56:57], v[60:61], v[64:65]
	;; [unrolled: 1-line block ×3, first 2 shown]
	v_add_f64 v[58:59], v[56:57], -v[60:61]
	v_mul_f64 v[50:51], v[66:67], v[50:51]
	v_add_f64 v[58:59], v[64:65], -v[58:59]
	v_add_f64 v[50:51], v[58:59], v[50:51]
	v_add_f64 v[58:59], v[56:57], v[50:51]
	v_add_f64 v[56:57], v[58:59], -v[56:57]
	s_mov_b32 s4, 0xbf559e2b
	v_add_f64 v[50:51], v[50:51], -v[56:57]
	v_mul_f64 v[56:57], v[58:59], v[58:59]
	v_mov_b32_e32 v60, 0x6b47b09a
	v_mov_b32_e32 v61, 0x3fc38538
	s_mov_b32 s5, 0x3fc3ab76
	v_fmac_f64_e32 v[60:61], s[4:5], v[56:57]
	v_mov_b32_e32 v62, 0xd7f4df2e
	v_mov_b32_e32 v63, 0x3fc7474d
	v_fmac_f64_e32 v[62:63], v[56:57], v[60:61]
	v_mov_b32_e32 v60, 0x16291751
	v_mov_b32_e32 v61, 0x3fcc71c0
	v_fmac_f64_e32 v[60:61], v[56:57], v[62:63]
	v_mov_b32_e32 v62, 0x9b27acf1
	v_mov_b32_e32 v63, 0x3fd24924
	v_fmac_f64_e32 v[62:63], v[56:57], v[60:61]
	v_mov_b32_e32 v60, 0x998ef7b6
	v_mov_b32_e32 v61, 0x3fd99999
	v_fmac_f64_e32 v[60:61], v[56:57], v[62:63]
	v_mov_b32_e32 v62, 0x55555780
	v_mov_b32_e32 v63, 0x3fe55555
	v_fmac_f64_e32 v[62:63], v[56:57], v[60:61]
	v_cvt_f64_i32_e32 v[60:61], v53
	s_mov_b32 s51, 0x3fe62e42
	v_mul_f64 v[64:65], v[60:61], s[50:51]
	v_fma_f64 v[66:67], v[60:61], s[50:51], -v[64:65]
	s_mov_b32 s53, 0x3c7abc9e
	v_fmac_f64_e32 v[66:67], s[52:53], v[60:61]
	v_add_f64 v[60:61], v[64:65], v[66:67]
	v_add_f64 v[64:65], v[60:61], -v[64:65]
	v_mul_f64 v[56:57], v[58:59], v[56:57]
	v_add_f64 v[64:65], v[66:67], -v[64:65]
	v_ldexp_f64 v[66:67], v[58:59], 1
	v_mul_f64 v[56:57], v[56:57], v[62:63]
	v_add_f64 v[58:59], v[66:67], v[56:57]
	v_add_f64 v[62:63], v[58:59], -v[66:67]
	v_ldexp_f64 v[50:51], v[50:51], 1
	v_add_f64 v[56:57], v[56:57], -v[62:63]
	v_add_f64 v[50:51], v[50:51], v[56:57]
	v_add_f64 v[56:57], v[58:59], v[50:51]
	v_add_f64 v[58:59], v[56:57], -v[58:59]
	v_add_f64 v[50:51], v[50:51], -v[58:59]
	v_add_f64 v[58:59], v[60:61], v[56:57]
	v_add_f64 v[62:63], v[58:59], -v[60:61]
	v_add_f64 v[66:67], v[58:59], -v[62:63]
	;; [unrolled: 1-line block ×4, first 2 shown]
	v_add_f64 v[56:57], v[56:57], v[60:61]
	v_add_f64 v[60:61], v[64:65], v[50:51]
	v_add_f64 v[62:63], v[60:61], -v[64:65]
	v_add_f64 v[56:57], v[60:61], v[56:57]
	v_add_f64 v[66:67], v[60:61], -v[62:63]
	;; [unrolled: 2-line block ×3, first 2 shown]
	v_add_f64 v[50:51], v[50:51], -v[62:63]
	v_add_f64 v[58:59], v[60:61], -v[58:59]
	v_add_f64 v[50:51], v[50:51], v[64:65]
	v_add_f64 v[56:57], v[56:57], -v[58:59]
	s_mov_b32 s4, 0
	v_add_f64 v[50:51], v[50:51], v[56:57]
	s_mov_b32 s5, 0x7ff00000
	v_add_f64 v[50:51], v[60:61], v[50:51]
	v_cmp_eq_f64_e64 s[4:5], s[4:5], v[48:49]
	v_cndmask_b32_e64 v50, v50, v48, s[4:5]
	v_cndmask_b32_e64 v51, v51, v49, s[4:5]
	v_mov_b32_e32 v53, 0x7ff80000
	v_cmp_ngt_f64_e64 s[4:5], -1.0, v[48:49]
	v_cndmask_b32_e64 v51, v53, v51, s[4:5]
	v_cmp_nge_f64_e64 s[4:5], -1.0, v[48:49]
	v_cndmask_b32_e64 v50, 0, v50, s[4:5]
	v_mov_b32_e32 v53, 0xfff00000
	v_cmp_neq_f64_e64 s[4:5], -1.0, v[48:49]
	v_cndmask_b32_e64 v51, v53, v51, s[4:5]
	v_add_f64 v[48:49], v[46:47], v[50:51]
.LBB58_49:
	s_or_b64 exec, exec, s[48:49]
	v_pk_mov_b32 v[46:47], v[48:49], v[48:49] op_sel:[0,1]
	v_mov_b32_e32 v50, v48
	v_mov_b32_e32 v51, v49
.LBB58_50:
	s_or_b64 exec, exec, s[46:47]
	v_mov_b32_dpp v48, v50 row_shr:8 row_mask:0xf bank_mask:0xf
	v_mov_b32_dpp v49, v51 row_shr:8 row_mask:0xf bank_mask:0xf
	v_cmp_lt_u32_e64 s[4:5], 7, v52
	s_and_saveexec_b64 s[46:47], s[4:5]
	s_cbranch_execz .LBB58_54
; %bb.51:
	v_max_f64 v[52:53], v[48:49], v[48:49]
	v_max_f64 v[56:57], v[46:47], v[46:47]
	v_min_f64 v[50:51], v[52:53], v[56:57]
	v_cmp_u_f64_e64 s[4:5], v[48:49], v[48:49]
	v_max_f64 v[52:53], v[52:53], v[56:57]
	v_cndmask_b32_e64 v50, v50, v48, s[4:5]
	v_cndmask_b32_e64 v51, v51, v49, s[4:5]
	v_cmp_u_f64_e64 s[42:43], v[46:47], v[46:47]
	v_cndmask_b32_e64 v52, v52, v48, s[4:5]
	v_cndmask_b32_e64 v53, v53, v49, s[4:5]
	;; [unrolled: 1-line block ×6, first 2 shown]
	v_cmp_neq_f64_e64 s[4:5], v[50:51], v[46:47]
	v_cmp_class_f64_e64 s[42:43], v[50:51], s33
	s_or_b64 s[4:5], s[4:5], s[42:43]
	s_and_saveexec_b64 s[48:49], s[4:5]
	s_cbranch_execz .LBB58_53
; %bb.52:
	s_mov_b32 s4, 0x652b82fe
	v_add_f64 v[48:49], v[50:51], -v[46:47]
	s_mov_b32 s5, 0x3ff71547
	v_mul_f64 v[50:51], v[48:49], s[4:5]
	v_rndne_f64_e32 v[50:51], v[50:51]
	s_mov_b32 s51, 0xbfe62e42
	s_mov_b32 s50, 0xfefa39ef
	v_fma_f64 v[52:53], s[50:51], v[50:51], v[48:49]
	s_mov_b32 s53, 0xbc7abc9e
	s_mov_b32 s52, 0x3b39803f
	;; [unrolled: 1-line block ×3, first 2 shown]
	v_fmac_f64_e32 v[52:53], s[52:53], v[50:51]
	v_mov_b32_e32 v56, 0xfca7ab0c
	v_mov_b32_e32 v57, 0x3e928af3
	s_mov_b32 s5, 0x3e5ade15
	v_fmac_f64_e32 v[56:57], s[4:5], v[52:53]
	v_mov_b32_e32 v58, 0x623fde64
	v_mov_b32_e32 v59, 0x3ec71dee
	v_fmac_f64_e32 v[58:59], v[52:53], v[56:57]
	v_mov_b32_e32 v56, 0x7c89e6b0
	v_mov_b32_e32 v57, 0x3efa0199
	;; [unrolled: 3-line block ×8, first 2 shown]
	v_fmac_f64_e32 v[56:57], v[52:53], v[58:59]
	v_fma_f64 v[56:57], v[52:53], v[56:57], 1.0
	s_mov_b32 s4, 0
	s_mov_b32 s42, 0
	v_fma_f64 v[52:53], v[52:53], v[56:57], 1.0
	v_cvt_i32_f64_e32 v50, v[50:51]
	s_mov_b32 s5, 0x40900000
	s_mov_b32 s43, 0xc090cc00
	v_ldexp_f64 v[50:51], v[52:53], v50
	v_mov_b32_e32 v52, 0x7ff00000
	v_cmp_nlt_f64_e64 s[4:5], s[4:5], v[48:49]
	v_cmp_ngt_f64_e64 s[42:43], s[42:43], v[48:49]
	v_cndmask_b32_e64 v51, v52, v51, s[4:5]
	s_and_b64 s[4:5], s[42:43], s[4:5]
	v_cndmask_b32_e64 v49, 0, v51, s[42:43]
	v_cndmask_b32_e64 v48, 0, v50, s[4:5]
	v_add_f64 v[50:51], v[48:49], 1.0
	v_add_f64 v[52:53], v[50:51], -1.0
	v_add_f64 v[56:57], v[52:53], -v[50:51]
	v_add_f64 v[56:57], v[56:57], 1.0
	v_add_f64 v[52:53], v[48:49], -v[52:53]
	s_mov_b32 s4, 0x55555555
	v_add_f64 v[52:53], v[52:53], v[56:57]
	v_frexp_mant_f64_e32 v[56:57], v[50:51]
	s_mov_b32 s5, 0x3fe55555
	v_frexp_exp_i32_f64_e32 v58, v[50:51]
	v_cmp_gt_f64_e64 s[4:5], s[4:5], v[56:57]
	v_subbrev_co_u32_e64 v72, s[4:5], 0, v58, s[4:5]
	v_sub_u32_e32 v56, 0, v72
	v_ldexp_f64 v[50:51], v[50:51], v56
	v_ldexp_f64 v[52:53], v[52:53], v56
	v_add_f64 v[56:57], v[50:51], -1.0
	v_add_f64 v[62:63], v[50:51], 1.0
	v_add_f64 v[58:59], v[56:57], 1.0
	v_add_f64 v[64:65], v[62:63], -1.0
	v_add_f64 v[58:59], v[50:51], -v[58:59]
	v_add_f64 v[50:51], v[50:51], -v[64:65]
	v_add_f64 v[50:51], v[52:53], v[50:51]
	v_add_f64 v[58:59], v[52:53], v[58:59]
	;; [unrolled: 1-line block ×3, first 2 shown]
	v_rcp_f64_e32 v[64:65], v[52:53]
	v_add_f64 v[60:61], v[56:57], v[58:59]
	v_add_f64 v[56:57], v[60:61], -v[56:57]
	v_add_f64 v[56:57], v[58:59], -v[56:57]
	;; [unrolled: 1-line block ×4, first 2 shown]
	v_fma_f64 v[58:59], -v[52:53], v[64:65], 1.0
	v_fmac_f64_e32 v[64:65], v[58:59], v[64:65]
	v_fma_f64 v[58:59], -v[52:53], v[64:65], 1.0
	v_fmac_f64_e32 v[64:65], v[58:59], v[64:65]
	v_mul_f64 v[58:59], v[60:61], v[64:65]
	v_mul_f64 v[62:63], v[52:53], v[58:59]
	v_fma_f64 v[66:67], v[58:59], v[52:53], -v[62:63]
	v_fmac_f64_e32 v[66:67], v[58:59], v[50:51]
	v_add_f64 v[68:69], v[62:63], v[66:67]
	v_add_f64 v[70:71], v[60:61], -v[68:69]
	v_add_f64 v[60:61], v[60:61], -v[70:71]
	;; [unrolled: 1-line block ×4, first 2 shown]
	v_add_f64 v[56:57], v[56:57], v[60:61]
	v_add_f64 v[60:61], v[62:63], -v[66:67]
	v_add_f64 v[56:57], v[60:61], v[56:57]
	v_add_f64 v[60:61], v[70:71], v[56:57]
	v_add_f64 v[62:63], v[70:71], -v[60:61]
	v_add_f64 v[56:57], v[56:57], v[62:63]
	v_mul_f64 v[62:63], v[64:65], v[60:61]
	v_mul_f64 v[66:67], v[52:53], v[62:63]
	v_fma_f64 v[52:53], v[62:63], v[52:53], -v[66:67]
	v_fmac_f64_e32 v[52:53], v[62:63], v[50:51]
	v_add_f64 v[50:51], v[66:67], v[52:53]
	v_add_f64 v[68:69], v[60:61], -v[50:51]
	v_add_f64 v[60:61], v[60:61], -v[68:69]
	v_add_f64 v[66:67], v[50:51], -v[66:67]
	v_add_f64 v[50:51], v[60:61], -v[50:51]
	v_add_f64 v[50:51], v[56:57], v[50:51]
	v_add_f64 v[52:53], v[66:67], -v[52:53]
	v_add_f64 v[50:51], v[52:53], v[50:51]
	v_add_f64 v[52:53], v[58:59], v[62:63]
	;; [unrolled: 1-line block ×3, first 2 shown]
	v_add_f64 v[56:57], v[52:53], -v[58:59]
	v_mul_f64 v[50:51], v[64:65], v[50:51]
	v_add_f64 v[56:57], v[62:63], -v[56:57]
	v_add_f64 v[50:51], v[56:57], v[50:51]
	v_add_f64 v[56:57], v[52:53], v[50:51]
	v_add_f64 v[52:53], v[56:57], -v[52:53]
	s_mov_b32 s4, 0xbf559e2b
	v_add_f64 v[50:51], v[50:51], -v[52:53]
	v_mul_f64 v[52:53], v[56:57], v[56:57]
	v_mov_b32_e32 v58, 0x6b47b09a
	v_mov_b32_e32 v59, 0x3fc38538
	s_mov_b32 s5, 0x3fc3ab76
	v_fmac_f64_e32 v[58:59], s[4:5], v[52:53]
	v_mov_b32_e32 v60, 0xd7f4df2e
	v_mov_b32_e32 v61, 0x3fc7474d
	v_fmac_f64_e32 v[60:61], v[52:53], v[58:59]
	v_mov_b32_e32 v58, 0x16291751
	v_mov_b32_e32 v59, 0x3fcc71c0
	;; [unrolled: 3-line block ×5, first 2 shown]
	v_fmac_f64_e32 v[60:61], v[52:53], v[58:59]
	v_cvt_f64_i32_e32 v[58:59], v72
	s_mov_b32 s51, 0x3fe62e42
	v_mul_f64 v[62:63], v[58:59], s[50:51]
	v_fma_f64 v[64:65], v[58:59], s[50:51], -v[62:63]
	s_mov_b32 s53, 0x3c7abc9e
	v_fmac_f64_e32 v[64:65], s[52:53], v[58:59]
	v_add_f64 v[58:59], v[62:63], v[64:65]
	v_add_f64 v[62:63], v[58:59], -v[62:63]
	v_mul_f64 v[52:53], v[56:57], v[52:53]
	v_add_f64 v[62:63], v[64:65], -v[62:63]
	v_ldexp_f64 v[64:65], v[56:57], 1
	v_mul_f64 v[52:53], v[52:53], v[60:61]
	v_add_f64 v[56:57], v[64:65], v[52:53]
	v_add_f64 v[60:61], v[56:57], -v[64:65]
	v_ldexp_f64 v[50:51], v[50:51], 1
	v_add_f64 v[52:53], v[52:53], -v[60:61]
	v_add_f64 v[50:51], v[50:51], v[52:53]
	v_add_f64 v[52:53], v[56:57], v[50:51]
	v_add_f64 v[56:57], v[52:53], -v[56:57]
	v_add_f64 v[50:51], v[50:51], -v[56:57]
	v_add_f64 v[56:57], v[58:59], v[52:53]
	v_add_f64 v[60:61], v[56:57], -v[58:59]
	v_add_f64 v[64:65], v[56:57], -v[60:61]
	;; [unrolled: 1-line block ×4, first 2 shown]
	v_add_f64 v[52:53], v[52:53], v[58:59]
	v_add_f64 v[58:59], v[62:63], v[50:51]
	v_add_f64 v[60:61], v[58:59], -v[62:63]
	v_add_f64 v[52:53], v[58:59], v[52:53]
	v_add_f64 v[64:65], v[58:59], -v[60:61]
	;; [unrolled: 2-line block ×3, first 2 shown]
	v_add_f64 v[50:51], v[50:51], -v[60:61]
	v_add_f64 v[56:57], v[58:59], -v[56:57]
	v_add_f64 v[50:51], v[50:51], v[62:63]
	v_add_f64 v[52:53], v[52:53], -v[56:57]
	s_mov_b32 s4, 0
	v_add_f64 v[50:51], v[50:51], v[52:53]
	s_mov_b32 s5, 0x7ff00000
	v_add_f64 v[50:51], v[58:59], v[50:51]
	v_cmp_eq_f64_e64 s[4:5], s[4:5], v[48:49]
	v_cndmask_b32_e64 v50, v50, v48, s[4:5]
	v_cndmask_b32_e64 v51, v51, v49, s[4:5]
	v_mov_b32_e32 v52, 0x7ff80000
	v_cmp_ngt_f64_e64 s[4:5], -1.0, v[48:49]
	v_cndmask_b32_e64 v51, v52, v51, s[4:5]
	v_cmp_nge_f64_e64 s[4:5], -1.0, v[48:49]
	v_cndmask_b32_e64 v50, 0, v50, s[4:5]
	v_mov_b32_e32 v52, 0xfff00000
	v_cmp_neq_f64_e64 s[4:5], -1.0, v[48:49]
	v_cndmask_b32_e64 v51, v52, v51, s[4:5]
	v_add_f64 v[48:49], v[46:47], v[50:51]
.LBB58_53:
	s_or_b64 exec, exec, s[48:49]
	v_pk_mov_b32 v[46:47], v[48:49], v[48:49] op_sel:[0,1]
	v_mov_b32_e32 v50, v48
	v_mov_b32_e32 v51, v49
.LBB58_54:
	s_or_b64 exec, exec, s[46:47]
	v_and_b32_e32 v52, 16, v1
	v_mov_b32_dpp v48, v50 row_bcast:15 row_mask:0xf bank_mask:0xf
	v_mov_b32_dpp v49, v51 row_bcast:15 row_mask:0xf bank_mask:0xf
	v_cmp_ne_u32_e64 s[4:5], 0, v52
	s_and_saveexec_b64 s[46:47], s[4:5]
	s_cbranch_execz .LBB58_58
; %bb.55:
	v_max_f64 v[52:53], v[48:49], v[48:49]
	v_max_f64 v[56:57], v[46:47], v[46:47]
	v_min_f64 v[50:51], v[52:53], v[56:57]
	v_cmp_u_f64_e64 s[4:5], v[48:49], v[48:49]
	v_max_f64 v[52:53], v[52:53], v[56:57]
	v_cndmask_b32_e64 v50, v50, v48, s[4:5]
	v_cndmask_b32_e64 v51, v51, v49, s[4:5]
	v_cmp_u_f64_e64 s[42:43], v[46:47], v[46:47]
	v_cndmask_b32_e64 v52, v52, v48, s[4:5]
	v_cndmask_b32_e64 v53, v53, v49, s[4:5]
	;; [unrolled: 1-line block ×6, first 2 shown]
	v_cmp_neq_f64_e64 s[4:5], v[50:51], v[46:47]
	v_cmp_class_f64_e64 s[42:43], v[50:51], s33
	s_or_b64 s[4:5], s[4:5], s[42:43]
	s_and_saveexec_b64 s[48:49], s[4:5]
	s_cbranch_execz .LBB58_57
; %bb.56:
	s_mov_b32 s4, 0x652b82fe
	v_add_f64 v[48:49], v[50:51], -v[46:47]
	s_mov_b32 s5, 0x3ff71547
	v_mul_f64 v[50:51], v[48:49], s[4:5]
	v_rndne_f64_e32 v[50:51], v[50:51]
	s_mov_b32 s51, 0xbfe62e42
	s_mov_b32 s50, 0xfefa39ef
	v_fma_f64 v[52:53], s[50:51], v[50:51], v[48:49]
	s_mov_b32 s53, 0xbc7abc9e
	s_mov_b32 s52, 0x3b39803f
	;; [unrolled: 1-line block ×3, first 2 shown]
	v_fmac_f64_e32 v[52:53], s[52:53], v[50:51]
	v_mov_b32_e32 v56, 0xfca7ab0c
	v_mov_b32_e32 v57, 0x3e928af3
	s_mov_b32 s5, 0x3e5ade15
	v_fmac_f64_e32 v[56:57], s[4:5], v[52:53]
	v_mov_b32_e32 v58, 0x623fde64
	v_mov_b32_e32 v59, 0x3ec71dee
	v_fmac_f64_e32 v[58:59], v[52:53], v[56:57]
	v_mov_b32_e32 v56, 0x7c89e6b0
	v_mov_b32_e32 v57, 0x3efa0199
	;; [unrolled: 3-line block ×8, first 2 shown]
	v_fmac_f64_e32 v[56:57], v[52:53], v[58:59]
	v_fma_f64 v[56:57], v[52:53], v[56:57], 1.0
	s_mov_b32 s4, 0
	s_mov_b32 s42, 0
	v_fma_f64 v[52:53], v[52:53], v[56:57], 1.0
	v_cvt_i32_f64_e32 v50, v[50:51]
	s_mov_b32 s5, 0x40900000
	s_mov_b32 s43, 0xc090cc00
	v_ldexp_f64 v[50:51], v[52:53], v50
	v_mov_b32_e32 v52, 0x7ff00000
	v_cmp_nlt_f64_e64 s[4:5], s[4:5], v[48:49]
	v_cmp_ngt_f64_e64 s[42:43], s[42:43], v[48:49]
	v_cndmask_b32_e64 v51, v52, v51, s[4:5]
	s_and_b64 s[4:5], s[42:43], s[4:5]
	v_cndmask_b32_e64 v49, 0, v51, s[42:43]
	v_cndmask_b32_e64 v48, 0, v50, s[4:5]
	v_add_f64 v[50:51], v[48:49], 1.0
	v_add_f64 v[52:53], v[50:51], -1.0
	v_add_f64 v[56:57], v[52:53], -v[50:51]
	v_add_f64 v[56:57], v[56:57], 1.0
	v_add_f64 v[52:53], v[48:49], -v[52:53]
	s_mov_b32 s4, 0x55555555
	v_add_f64 v[52:53], v[52:53], v[56:57]
	v_frexp_mant_f64_e32 v[56:57], v[50:51]
	s_mov_b32 s5, 0x3fe55555
	v_frexp_exp_i32_f64_e32 v58, v[50:51]
	v_cmp_gt_f64_e64 s[4:5], s[4:5], v[56:57]
	v_subbrev_co_u32_e64 v72, s[4:5], 0, v58, s[4:5]
	v_sub_u32_e32 v56, 0, v72
	v_ldexp_f64 v[50:51], v[50:51], v56
	v_ldexp_f64 v[52:53], v[52:53], v56
	v_add_f64 v[56:57], v[50:51], -1.0
	v_add_f64 v[62:63], v[50:51], 1.0
	v_add_f64 v[58:59], v[56:57], 1.0
	v_add_f64 v[64:65], v[62:63], -1.0
	v_add_f64 v[58:59], v[50:51], -v[58:59]
	v_add_f64 v[50:51], v[50:51], -v[64:65]
	v_add_f64 v[50:51], v[52:53], v[50:51]
	v_add_f64 v[58:59], v[52:53], v[58:59]
	;; [unrolled: 1-line block ×3, first 2 shown]
	v_rcp_f64_e32 v[64:65], v[52:53]
	v_add_f64 v[60:61], v[56:57], v[58:59]
	v_add_f64 v[56:57], v[60:61], -v[56:57]
	v_add_f64 v[56:57], v[58:59], -v[56:57]
	;; [unrolled: 1-line block ×4, first 2 shown]
	v_fma_f64 v[58:59], -v[52:53], v[64:65], 1.0
	v_fmac_f64_e32 v[64:65], v[58:59], v[64:65]
	v_fma_f64 v[58:59], -v[52:53], v[64:65], 1.0
	v_fmac_f64_e32 v[64:65], v[58:59], v[64:65]
	v_mul_f64 v[58:59], v[60:61], v[64:65]
	v_mul_f64 v[62:63], v[52:53], v[58:59]
	v_fma_f64 v[66:67], v[58:59], v[52:53], -v[62:63]
	v_fmac_f64_e32 v[66:67], v[58:59], v[50:51]
	v_add_f64 v[68:69], v[62:63], v[66:67]
	v_add_f64 v[70:71], v[60:61], -v[68:69]
	v_add_f64 v[60:61], v[60:61], -v[70:71]
	;; [unrolled: 1-line block ×4, first 2 shown]
	v_add_f64 v[56:57], v[56:57], v[60:61]
	v_add_f64 v[60:61], v[62:63], -v[66:67]
	v_add_f64 v[56:57], v[60:61], v[56:57]
	v_add_f64 v[60:61], v[70:71], v[56:57]
	v_add_f64 v[62:63], v[70:71], -v[60:61]
	v_add_f64 v[56:57], v[56:57], v[62:63]
	v_mul_f64 v[62:63], v[64:65], v[60:61]
	v_mul_f64 v[66:67], v[52:53], v[62:63]
	v_fma_f64 v[52:53], v[62:63], v[52:53], -v[66:67]
	v_fmac_f64_e32 v[52:53], v[62:63], v[50:51]
	v_add_f64 v[50:51], v[66:67], v[52:53]
	v_add_f64 v[68:69], v[60:61], -v[50:51]
	v_add_f64 v[60:61], v[60:61], -v[68:69]
	;; [unrolled: 1-line block ×4, first 2 shown]
	v_add_f64 v[50:51], v[56:57], v[50:51]
	v_add_f64 v[52:53], v[66:67], -v[52:53]
	v_add_f64 v[50:51], v[52:53], v[50:51]
	v_add_f64 v[52:53], v[58:59], v[62:63]
	;; [unrolled: 1-line block ×3, first 2 shown]
	v_add_f64 v[56:57], v[52:53], -v[58:59]
	v_mul_f64 v[50:51], v[64:65], v[50:51]
	v_add_f64 v[56:57], v[62:63], -v[56:57]
	v_add_f64 v[50:51], v[56:57], v[50:51]
	v_add_f64 v[56:57], v[52:53], v[50:51]
	v_add_f64 v[52:53], v[56:57], -v[52:53]
	s_mov_b32 s4, 0xbf559e2b
	v_add_f64 v[50:51], v[50:51], -v[52:53]
	v_mul_f64 v[52:53], v[56:57], v[56:57]
	v_mov_b32_e32 v58, 0x6b47b09a
	v_mov_b32_e32 v59, 0x3fc38538
	s_mov_b32 s5, 0x3fc3ab76
	v_fmac_f64_e32 v[58:59], s[4:5], v[52:53]
	v_mov_b32_e32 v60, 0xd7f4df2e
	v_mov_b32_e32 v61, 0x3fc7474d
	v_fmac_f64_e32 v[60:61], v[52:53], v[58:59]
	v_mov_b32_e32 v58, 0x16291751
	v_mov_b32_e32 v59, 0x3fcc71c0
	v_fmac_f64_e32 v[58:59], v[52:53], v[60:61]
	v_mov_b32_e32 v60, 0x9b27acf1
	v_mov_b32_e32 v61, 0x3fd24924
	v_fmac_f64_e32 v[60:61], v[52:53], v[58:59]
	v_mov_b32_e32 v58, 0x998ef7b6
	v_mov_b32_e32 v59, 0x3fd99999
	v_fmac_f64_e32 v[58:59], v[52:53], v[60:61]
	v_mov_b32_e32 v60, 0x55555780
	v_mov_b32_e32 v61, 0x3fe55555
	v_fmac_f64_e32 v[60:61], v[52:53], v[58:59]
	v_cvt_f64_i32_e32 v[58:59], v72
	s_mov_b32 s51, 0x3fe62e42
	v_mul_f64 v[62:63], v[58:59], s[50:51]
	v_fma_f64 v[64:65], v[58:59], s[50:51], -v[62:63]
	s_mov_b32 s53, 0x3c7abc9e
	v_fmac_f64_e32 v[64:65], s[52:53], v[58:59]
	v_add_f64 v[58:59], v[62:63], v[64:65]
	v_add_f64 v[62:63], v[58:59], -v[62:63]
	v_mul_f64 v[52:53], v[56:57], v[52:53]
	v_add_f64 v[62:63], v[64:65], -v[62:63]
	v_ldexp_f64 v[64:65], v[56:57], 1
	v_mul_f64 v[52:53], v[52:53], v[60:61]
	v_add_f64 v[56:57], v[64:65], v[52:53]
	v_add_f64 v[60:61], v[56:57], -v[64:65]
	v_ldexp_f64 v[50:51], v[50:51], 1
	v_add_f64 v[52:53], v[52:53], -v[60:61]
	v_add_f64 v[50:51], v[50:51], v[52:53]
	v_add_f64 v[52:53], v[56:57], v[50:51]
	v_add_f64 v[56:57], v[52:53], -v[56:57]
	v_add_f64 v[50:51], v[50:51], -v[56:57]
	v_add_f64 v[56:57], v[58:59], v[52:53]
	v_add_f64 v[60:61], v[56:57], -v[58:59]
	v_add_f64 v[64:65], v[56:57], -v[60:61]
	;; [unrolled: 1-line block ×4, first 2 shown]
	v_add_f64 v[52:53], v[52:53], v[58:59]
	v_add_f64 v[58:59], v[62:63], v[50:51]
	v_add_f64 v[60:61], v[58:59], -v[62:63]
	v_add_f64 v[52:53], v[58:59], v[52:53]
	v_add_f64 v[64:65], v[58:59], -v[60:61]
	v_add_f64 v[58:59], v[56:57], v[52:53]
	v_add_f64 v[62:63], v[62:63], -v[64:65]
	v_add_f64 v[50:51], v[50:51], -v[60:61]
	v_add_f64 v[56:57], v[58:59], -v[56:57]
	v_add_f64 v[50:51], v[50:51], v[62:63]
	v_add_f64 v[52:53], v[52:53], -v[56:57]
	s_mov_b32 s4, 0
	v_add_f64 v[50:51], v[50:51], v[52:53]
	s_mov_b32 s5, 0x7ff00000
	v_add_f64 v[50:51], v[58:59], v[50:51]
	v_cmp_eq_f64_e64 s[4:5], s[4:5], v[48:49]
	v_cndmask_b32_e64 v50, v50, v48, s[4:5]
	v_cndmask_b32_e64 v51, v51, v49, s[4:5]
	v_mov_b32_e32 v52, 0x7ff80000
	v_cmp_ngt_f64_e64 s[4:5], -1.0, v[48:49]
	v_cndmask_b32_e64 v51, v52, v51, s[4:5]
	v_cmp_nge_f64_e64 s[4:5], -1.0, v[48:49]
	v_cndmask_b32_e64 v50, 0, v50, s[4:5]
	v_mov_b32_e32 v52, 0xfff00000
	v_cmp_neq_f64_e64 s[4:5], -1.0, v[48:49]
	v_cndmask_b32_e64 v51, v52, v51, s[4:5]
	v_add_f64 v[48:49], v[46:47], v[50:51]
.LBB58_57:
	s_or_b64 exec, exec, s[48:49]
	v_mov_b32_e32 v50, v48
	v_mov_b32_e32 v51, v49
	v_pk_mov_b32 v[46:47], v[48:49], v[48:49] op_sel:[0,1]
.LBB58_58:
	s_or_b64 exec, exec, s[46:47]
	v_mov_b32_dpp v48, v50 row_bcast:31 row_mask:0xf bank_mask:0xf
	v_mov_b32_dpp v49, v51 row_bcast:31 row_mask:0xf bank_mask:0xf
	v_cmp_lt_u32_e64 s[4:5], 31, v1
	s_and_saveexec_b64 s[46:47], s[4:5]
	s_cbranch_execz .LBB58_62
; %bb.59:
	v_max_f64 v[52:53], v[48:49], v[48:49]
	v_max_f64 v[56:57], v[46:47], v[46:47]
	v_min_f64 v[50:51], v[52:53], v[56:57]
	v_cmp_u_f64_e64 s[4:5], v[48:49], v[48:49]
	v_max_f64 v[52:53], v[52:53], v[56:57]
	v_cndmask_b32_e64 v50, v50, v48, s[4:5]
	v_cndmask_b32_e64 v51, v51, v49, s[4:5]
	v_cmp_u_f64_e64 s[42:43], v[46:47], v[46:47]
	v_cndmask_b32_e64 v52, v52, v48, s[4:5]
	v_cndmask_b32_e64 v53, v53, v49, s[4:5]
	;; [unrolled: 1-line block ×6, first 2 shown]
	v_cmp_neq_f64_e64 s[4:5], v[50:51], v[46:47]
	v_cmp_class_f64_e64 s[42:43], v[50:51], s33
	s_or_b64 s[4:5], s[4:5], s[42:43]
	s_and_saveexec_b64 s[48:49], s[4:5]
	s_cbranch_execz .LBB58_61
; %bb.60:
	s_mov_b32 s4, 0x652b82fe
	v_add_f64 v[48:49], v[50:51], -v[46:47]
	s_mov_b32 s5, 0x3ff71547
	v_mul_f64 v[50:51], v[48:49], s[4:5]
	v_rndne_f64_e32 v[50:51], v[50:51]
	s_mov_b32 s51, 0xbfe62e42
	s_mov_b32 s50, 0xfefa39ef
	v_fma_f64 v[52:53], s[50:51], v[50:51], v[48:49]
	s_mov_b32 s53, 0xbc7abc9e
	s_mov_b32 s52, 0x3b39803f
	s_mov_b32 s4, 0x6a5dcb37
	v_fmac_f64_e32 v[52:53], s[52:53], v[50:51]
	v_mov_b32_e32 v56, 0xfca7ab0c
	v_mov_b32_e32 v57, 0x3e928af3
	s_mov_b32 s5, 0x3e5ade15
	v_fmac_f64_e32 v[56:57], s[4:5], v[52:53]
	v_mov_b32_e32 v58, 0x623fde64
	v_mov_b32_e32 v59, 0x3ec71dee
	v_fmac_f64_e32 v[58:59], v[52:53], v[56:57]
	v_mov_b32_e32 v56, 0x7c89e6b0
	v_mov_b32_e32 v57, 0x3efa0199
	;; [unrolled: 3-line block ×8, first 2 shown]
	v_fmac_f64_e32 v[56:57], v[52:53], v[58:59]
	v_fma_f64 v[56:57], v[52:53], v[56:57], 1.0
	s_mov_b32 s4, 0
	s_mov_b32 s42, 0
	v_fma_f64 v[52:53], v[52:53], v[56:57], 1.0
	v_cvt_i32_f64_e32 v50, v[50:51]
	s_mov_b32 s5, 0x40900000
	s_mov_b32 s43, 0xc090cc00
	v_ldexp_f64 v[50:51], v[52:53], v50
	v_mov_b32_e32 v52, 0x7ff00000
	v_cmp_nlt_f64_e64 s[4:5], s[4:5], v[48:49]
	v_cmp_ngt_f64_e64 s[42:43], s[42:43], v[48:49]
	v_cndmask_b32_e64 v51, v52, v51, s[4:5]
	s_and_b64 s[4:5], s[42:43], s[4:5]
	v_cndmask_b32_e64 v49, 0, v51, s[42:43]
	v_cndmask_b32_e64 v48, 0, v50, s[4:5]
	v_add_f64 v[50:51], v[48:49], 1.0
	v_add_f64 v[52:53], v[50:51], -1.0
	v_add_f64 v[56:57], v[52:53], -v[50:51]
	v_add_f64 v[56:57], v[56:57], 1.0
	v_add_f64 v[52:53], v[48:49], -v[52:53]
	s_mov_b32 s4, 0x55555555
	v_add_f64 v[52:53], v[52:53], v[56:57]
	v_frexp_mant_f64_e32 v[56:57], v[50:51]
	s_mov_b32 s5, 0x3fe55555
	v_frexp_exp_i32_f64_e32 v58, v[50:51]
	v_cmp_gt_f64_e64 s[4:5], s[4:5], v[56:57]
	v_subbrev_co_u32_e64 v72, s[4:5], 0, v58, s[4:5]
	v_sub_u32_e32 v56, 0, v72
	v_ldexp_f64 v[50:51], v[50:51], v56
	v_ldexp_f64 v[52:53], v[52:53], v56
	v_add_f64 v[56:57], v[50:51], -1.0
	v_add_f64 v[62:63], v[50:51], 1.0
	v_add_f64 v[58:59], v[56:57], 1.0
	v_add_f64 v[64:65], v[62:63], -1.0
	v_add_f64 v[58:59], v[50:51], -v[58:59]
	v_add_f64 v[50:51], v[50:51], -v[64:65]
	v_add_f64 v[50:51], v[52:53], v[50:51]
	v_add_f64 v[58:59], v[52:53], v[58:59]
	;; [unrolled: 1-line block ×3, first 2 shown]
	v_rcp_f64_e32 v[64:65], v[52:53]
	v_add_f64 v[60:61], v[56:57], v[58:59]
	v_add_f64 v[56:57], v[60:61], -v[56:57]
	v_add_f64 v[56:57], v[58:59], -v[56:57]
	;; [unrolled: 1-line block ×4, first 2 shown]
	v_fma_f64 v[58:59], -v[52:53], v[64:65], 1.0
	v_fmac_f64_e32 v[64:65], v[58:59], v[64:65]
	v_fma_f64 v[58:59], -v[52:53], v[64:65], 1.0
	v_fmac_f64_e32 v[64:65], v[58:59], v[64:65]
	v_mul_f64 v[58:59], v[60:61], v[64:65]
	v_mul_f64 v[62:63], v[52:53], v[58:59]
	v_fma_f64 v[66:67], v[58:59], v[52:53], -v[62:63]
	v_fmac_f64_e32 v[66:67], v[58:59], v[50:51]
	v_add_f64 v[68:69], v[62:63], v[66:67]
	v_add_f64 v[70:71], v[60:61], -v[68:69]
	v_add_f64 v[60:61], v[60:61], -v[70:71]
	;; [unrolled: 1-line block ×4, first 2 shown]
	v_add_f64 v[56:57], v[56:57], v[60:61]
	v_add_f64 v[60:61], v[62:63], -v[66:67]
	v_add_f64 v[56:57], v[60:61], v[56:57]
	v_add_f64 v[60:61], v[70:71], v[56:57]
	v_add_f64 v[62:63], v[70:71], -v[60:61]
	v_add_f64 v[56:57], v[56:57], v[62:63]
	v_mul_f64 v[62:63], v[64:65], v[60:61]
	v_mul_f64 v[66:67], v[52:53], v[62:63]
	v_fma_f64 v[52:53], v[62:63], v[52:53], -v[66:67]
	v_fmac_f64_e32 v[52:53], v[62:63], v[50:51]
	v_add_f64 v[50:51], v[66:67], v[52:53]
	v_add_f64 v[68:69], v[60:61], -v[50:51]
	v_add_f64 v[60:61], v[60:61], -v[68:69]
	;; [unrolled: 1-line block ×4, first 2 shown]
	v_add_f64 v[50:51], v[56:57], v[50:51]
	v_add_f64 v[52:53], v[66:67], -v[52:53]
	v_add_f64 v[50:51], v[52:53], v[50:51]
	v_add_f64 v[52:53], v[58:59], v[62:63]
	;; [unrolled: 1-line block ×3, first 2 shown]
	v_add_f64 v[56:57], v[52:53], -v[58:59]
	v_mul_f64 v[50:51], v[64:65], v[50:51]
	v_add_f64 v[56:57], v[62:63], -v[56:57]
	v_add_f64 v[50:51], v[56:57], v[50:51]
	v_add_f64 v[56:57], v[52:53], v[50:51]
	v_add_f64 v[52:53], v[56:57], -v[52:53]
	s_mov_b32 s4, 0xbf559e2b
	v_add_f64 v[50:51], v[50:51], -v[52:53]
	v_mul_f64 v[52:53], v[56:57], v[56:57]
	v_mov_b32_e32 v58, 0x6b47b09a
	v_mov_b32_e32 v59, 0x3fc38538
	s_mov_b32 s5, 0x3fc3ab76
	v_fmac_f64_e32 v[58:59], s[4:5], v[52:53]
	v_mov_b32_e32 v60, 0xd7f4df2e
	v_mov_b32_e32 v61, 0x3fc7474d
	v_fmac_f64_e32 v[60:61], v[52:53], v[58:59]
	v_mov_b32_e32 v58, 0x16291751
	v_mov_b32_e32 v59, 0x3fcc71c0
	;; [unrolled: 3-line block ×5, first 2 shown]
	v_fmac_f64_e32 v[60:61], v[52:53], v[58:59]
	v_cvt_f64_i32_e32 v[58:59], v72
	s_mov_b32 s51, 0x3fe62e42
	v_mul_f64 v[62:63], v[58:59], s[50:51]
	v_fma_f64 v[64:65], v[58:59], s[50:51], -v[62:63]
	s_mov_b32 s53, 0x3c7abc9e
	v_fmac_f64_e32 v[64:65], s[52:53], v[58:59]
	v_add_f64 v[58:59], v[62:63], v[64:65]
	v_add_f64 v[62:63], v[58:59], -v[62:63]
	v_mul_f64 v[52:53], v[56:57], v[52:53]
	v_add_f64 v[62:63], v[64:65], -v[62:63]
	v_ldexp_f64 v[64:65], v[56:57], 1
	v_mul_f64 v[52:53], v[52:53], v[60:61]
	v_add_f64 v[56:57], v[64:65], v[52:53]
	v_add_f64 v[60:61], v[56:57], -v[64:65]
	v_ldexp_f64 v[50:51], v[50:51], 1
	v_add_f64 v[52:53], v[52:53], -v[60:61]
	v_add_f64 v[50:51], v[50:51], v[52:53]
	v_add_f64 v[52:53], v[56:57], v[50:51]
	v_add_f64 v[56:57], v[52:53], -v[56:57]
	v_add_f64 v[50:51], v[50:51], -v[56:57]
	v_add_f64 v[56:57], v[58:59], v[52:53]
	v_add_f64 v[60:61], v[56:57], -v[58:59]
	v_add_f64 v[64:65], v[56:57], -v[60:61]
	;; [unrolled: 1-line block ×4, first 2 shown]
	v_add_f64 v[52:53], v[52:53], v[58:59]
	v_add_f64 v[58:59], v[62:63], v[50:51]
	v_add_f64 v[60:61], v[58:59], -v[62:63]
	v_add_f64 v[52:53], v[58:59], v[52:53]
	v_add_f64 v[64:65], v[58:59], -v[60:61]
	;; [unrolled: 2-line block ×3, first 2 shown]
	v_add_f64 v[50:51], v[50:51], -v[60:61]
	v_add_f64 v[56:57], v[58:59], -v[56:57]
	v_add_f64 v[50:51], v[50:51], v[62:63]
	v_add_f64 v[52:53], v[52:53], -v[56:57]
	s_mov_b32 s4, 0
	v_add_f64 v[50:51], v[50:51], v[52:53]
	s_mov_b32 s5, 0x7ff00000
	v_add_f64 v[50:51], v[58:59], v[50:51]
	v_cmp_eq_f64_e64 s[4:5], s[4:5], v[48:49]
	v_cndmask_b32_e64 v50, v50, v48, s[4:5]
	v_cndmask_b32_e64 v51, v51, v49, s[4:5]
	v_mov_b32_e32 v52, 0x7ff80000
	v_cmp_ngt_f64_e64 s[4:5], -1.0, v[48:49]
	v_cndmask_b32_e64 v51, v52, v51, s[4:5]
	v_cmp_nge_f64_e64 s[4:5], -1.0, v[48:49]
	v_cndmask_b32_e64 v50, 0, v50, s[4:5]
	v_mov_b32_e32 v52, 0xfff00000
	v_cmp_neq_f64_e64 s[4:5], -1.0, v[48:49]
	v_cndmask_b32_e64 v51, v52, v51, s[4:5]
	v_add_f64 v[48:49], v[46:47], v[50:51]
.LBB58_61:
	s_or_b64 exec, exec, s[48:49]
	v_pk_mov_b32 v[46:47], v[48:49], v[48:49] op_sel:[0,1]
.LBB58_62:
	s_or_b64 exec, exec, s[46:47]
	v_or_b32_e32 v48, 63, v0
	v_lshrrev_b32_e32 v56, 6, v0
	v_cmp_eq_u32_e64 s[4:5], v48, v0
	s_and_saveexec_b64 s[42:43], s[4:5]
	s_cbranch_execz .LBB58_64
; %bb.63:
	v_lshlrev_b32_e32 v48, 3, v56
	ds_write_b64 v48, v[46:47]
.LBB58_64:
	s_or_b64 exec, exec, s[42:43]
	v_cmp_gt_u32_e64 s[4:5], 2, v0
	s_waitcnt lgkmcnt(0)
	s_barrier
	s_and_saveexec_b64 s[46:47], s[4:5]
	s_cbranch_execz .LBB58_70
; %bb.65:
	ds_read_b64 v[48:49], v54
	v_and_b32_e32 v52, 1, v1
	v_cmp_eq_u32_e64 s[4:5], 1, v52
	s_waitcnt lgkmcnt(0)
	v_mov_b32_dpp v50, v48 row_shr:1 row_mask:0xf bank_mask:0xf
	v_mov_b32_dpp v51, v49 row_shr:1 row_mask:0xf bank_mask:0xf
	s_and_saveexec_b64 s[48:49], s[4:5]
	s_cbranch_execz .LBB58_69
; %bb.66:
	v_max_f64 v[58:59], v[50:51], v[50:51]
	v_max_f64 v[60:61], v[48:49], v[48:49]
	v_min_f64 v[52:53], v[58:59], v[60:61]
	v_cmp_u_f64_e64 s[4:5], v[50:51], v[50:51]
	v_max_f64 v[58:59], v[58:59], v[60:61]
	v_cndmask_b32_e64 v52, v52, v50, s[4:5]
	v_cndmask_b32_e64 v53, v53, v51, s[4:5]
	v_cmp_u_f64_e64 s[42:43], v[48:49], v[48:49]
	v_cndmask_b32_e64 v57, v58, v50, s[4:5]
	v_cndmask_b32_e64 v58, v59, v51, s[4:5]
	;; [unrolled: 1-line block ×6, first 2 shown]
	v_cmp_neq_f64_e64 s[4:5], v[52:53], v[48:49]
	v_cmp_class_f64_e64 s[42:43], v[52:53], s33
	s_or_b64 s[4:5], s[4:5], s[42:43]
	s_and_saveexec_b64 s[50:51], s[4:5]
	s_cbranch_execz .LBB58_68
; %bb.67:
	s_mov_b32 s4, 0x652b82fe
	v_add_f64 v[50:51], v[52:53], -v[48:49]
	s_mov_b32 s5, 0x3ff71547
	v_mul_f64 v[52:53], v[50:51], s[4:5]
	v_rndne_f64_e32 v[52:53], v[52:53]
	s_mov_b32 s53, 0xbfe62e42
	s_mov_b32 s52, 0xfefa39ef
	v_fma_f64 v[58:59], s[52:53], v[52:53], v[50:51]
	s_mov_b32 s55, 0xbc7abc9e
	s_mov_b32 s54, 0x3b39803f
	;; [unrolled: 1-line block ×3, first 2 shown]
	v_fmac_f64_e32 v[58:59], s[54:55], v[52:53]
	v_mov_b32_e32 v60, 0xfca7ab0c
	v_mov_b32_e32 v61, 0x3e928af3
	s_mov_b32 s5, 0x3e5ade15
	v_fmac_f64_e32 v[60:61], s[4:5], v[58:59]
	v_mov_b32_e32 v62, 0x623fde64
	v_mov_b32_e32 v63, 0x3ec71dee
	v_fmac_f64_e32 v[62:63], v[58:59], v[60:61]
	v_mov_b32_e32 v60, 0x7c89e6b0
	v_mov_b32_e32 v61, 0x3efa0199
	;; [unrolled: 3-line block ×8, first 2 shown]
	v_fmac_f64_e32 v[60:61], v[58:59], v[62:63]
	v_fma_f64 v[60:61], v[58:59], v[60:61], 1.0
	s_mov_b32 s4, 0
	s_mov_b32 s42, 0
	v_fma_f64 v[58:59], v[58:59], v[60:61], 1.0
	v_cvt_i32_f64_e32 v52, v[52:53]
	s_mov_b32 s5, 0x40900000
	s_mov_b32 s43, 0xc090cc00
	v_ldexp_f64 v[52:53], v[58:59], v52
	v_mov_b32_e32 v57, 0x7ff00000
	v_cmp_nlt_f64_e64 s[4:5], s[4:5], v[50:51]
	v_cmp_ngt_f64_e64 s[42:43], s[42:43], v[50:51]
	v_cndmask_b32_e64 v53, v57, v53, s[4:5]
	s_and_b64 s[4:5], s[42:43], s[4:5]
	v_cndmask_b32_e64 v51, 0, v53, s[42:43]
	v_cndmask_b32_e64 v50, 0, v52, s[4:5]
	v_add_f64 v[52:53], v[50:51], 1.0
	v_add_f64 v[58:59], v[52:53], -1.0
	v_add_f64 v[60:61], v[58:59], -v[52:53]
	v_add_f64 v[60:61], v[60:61], 1.0
	v_add_f64 v[58:59], v[50:51], -v[58:59]
	s_mov_b32 s4, 0x55555555
	v_add_f64 v[58:59], v[58:59], v[60:61]
	v_frexp_mant_f64_e32 v[60:61], v[52:53]
	s_mov_b32 s5, 0x3fe55555
	v_frexp_exp_i32_f64_e32 v57, v[52:53]
	v_cmp_gt_f64_e64 s[4:5], s[4:5], v[60:61]
	v_subbrev_co_u32_e64 v57, s[4:5], 0, v57, s[4:5]
	v_sub_u32_e32 v60, 0, v57
	v_ldexp_f64 v[52:53], v[52:53], v60
	v_ldexp_f64 v[58:59], v[58:59], v60
	v_add_f64 v[60:61], v[52:53], -1.0
	v_add_f64 v[66:67], v[52:53], 1.0
	v_add_f64 v[62:63], v[60:61], 1.0
	v_add_f64 v[68:69], v[66:67], -1.0
	v_add_f64 v[62:63], v[52:53], -v[62:63]
	v_add_f64 v[52:53], v[52:53], -v[68:69]
	v_add_f64 v[52:53], v[58:59], v[52:53]
	v_add_f64 v[62:63], v[58:59], v[62:63]
	;; [unrolled: 1-line block ×3, first 2 shown]
	v_rcp_f64_e32 v[68:69], v[58:59]
	v_add_f64 v[64:65], v[60:61], v[62:63]
	v_add_f64 v[60:61], v[64:65], -v[60:61]
	v_add_f64 v[60:61], v[62:63], -v[60:61]
	;; [unrolled: 1-line block ×4, first 2 shown]
	v_fma_f64 v[62:63], -v[58:59], v[68:69], 1.0
	v_fmac_f64_e32 v[68:69], v[62:63], v[68:69]
	v_fma_f64 v[62:63], -v[58:59], v[68:69], 1.0
	v_fmac_f64_e32 v[68:69], v[62:63], v[68:69]
	v_mul_f64 v[62:63], v[64:65], v[68:69]
	v_mul_f64 v[66:67], v[58:59], v[62:63]
	v_fma_f64 v[70:71], v[62:63], v[58:59], -v[66:67]
	v_fmac_f64_e32 v[70:71], v[62:63], v[52:53]
	v_add_f64 v[72:73], v[66:67], v[70:71]
	v_add_f64 v[74:75], v[64:65], -v[72:73]
	v_add_f64 v[64:65], v[64:65], -v[74:75]
	;; [unrolled: 1-line block ×4, first 2 shown]
	v_add_f64 v[60:61], v[60:61], v[64:65]
	v_add_f64 v[64:65], v[66:67], -v[70:71]
	v_add_f64 v[60:61], v[64:65], v[60:61]
	v_add_f64 v[64:65], v[74:75], v[60:61]
	v_add_f64 v[66:67], v[74:75], -v[64:65]
	v_add_f64 v[60:61], v[60:61], v[66:67]
	v_mul_f64 v[66:67], v[68:69], v[64:65]
	v_mul_f64 v[70:71], v[58:59], v[66:67]
	v_fma_f64 v[58:59], v[66:67], v[58:59], -v[70:71]
	v_fmac_f64_e32 v[58:59], v[66:67], v[52:53]
	v_add_f64 v[52:53], v[70:71], v[58:59]
	v_add_f64 v[72:73], v[64:65], -v[52:53]
	v_add_f64 v[64:65], v[64:65], -v[72:73]
	;; [unrolled: 1-line block ×4, first 2 shown]
	v_add_f64 v[52:53], v[60:61], v[52:53]
	v_add_f64 v[58:59], v[70:71], -v[58:59]
	v_add_f64 v[52:53], v[58:59], v[52:53]
	v_add_f64 v[58:59], v[62:63], v[66:67]
	v_add_f64 v[52:53], v[72:73], v[52:53]
	v_add_f64 v[60:61], v[58:59], -v[62:63]
	v_mul_f64 v[52:53], v[68:69], v[52:53]
	v_add_f64 v[60:61], v[66:67], -v[60:61]
	v_add_f64 v[52:53], v[60:61], v[52:53]
	v_add_f64 v[60:61], v[58:59], v[52:53]
	v_add_f64 v[58:59], v[60:61], -v[58:59]
	s_mov_b32 s4, 0xbf559e2b
	v_add_f64 v[52:53], v[52:53], -v[58:59]
	v_mul_f64 v[58:59], v[60:61], v[60:61]
	v_mov_b32_e32 v62, 0x6b47b09a
	v_mov_b32_e32 v63, 0x3fc38538
	s_mov_b32 s5, 0x3fc3ab76
	v_fmac_f64_e32 v[62:63], s[4:5], v[58:59]
	v_mov_b32_e32 v64, 0xd7f4df2e
	v_mov_b32_e32 v65, 0x3fc7474d
	v_fmac_f64_e32 v[64:65], v[58:59], v[62:63]
	v_mov_b32_e32 v62, 0x16291751
	v_mov_b32_e32 v63, 0x3fcc71c0
	;; [unrolled: 3-line block ×5, first 2 shown]
	v_fmac_f64_e32 v[64:65], v[58:59], v[62:63]
	v_cvt_f64_i32_e32 v[62:63], v57
	s_mov_b32 s53, 0x3fe62e42
	v_mul_f64 v[66:67], v[62:63], s[52:53]
	v_fma_f64 v[68:69], v[62:63], s[52:53], -v[66:67]
	s_mov_b32 s55, 0x3c7abc9e
	v_fmac_f64_e32 v[68:69], s[54:55], v[62:63]
	v_add_f64 v[62:63], v[66:67], v[68:69]
	v_add_f64 v[66:67], v[62:63], -v[66:67]
	v_mul_f64 v[58:59], v[60:61], v[58:59]
	v_add_f64 v[66:67], v[68:69], -v[66:67]
	v_ldexp_f64 v[68:69], v[60:61], 1
	v_mul_f64 v[58:59], v[58:59], v[64:65]
	v_add_f64 v[60:61], v[68:69], v[58:59]
	v_add_f64 v[64:65], v[60:61], -v[68:69]
	v_ldexp_f64 v[52:53], v[52:53], 1
	v_add_f64 v[58:59], v[58:59], -v[64:65]
	v_add_f64 v[52:53], v[52:53], v[58:59]
	v_add_f64 v[58:59], v[60:61], v[52:53]
	v_add_f64 v[60:61], v[58:59], -v[60:61]
	v_add_f64 v[52:53], v[52:53], -v[60:61]
	v_add_f64 v[60:61], v[62:63], v[58:59]
	v_add_f64 v[64:65], v[60:61], -v[62:63]
	v_add_f64 v[68:69], v[60:61], -v[64:65]
	;; [unrolled: 1-line block ×4, first 2 shown]
	v_add_f64 v[58:59], v[58:59], v[62:63]
	v_add_f64 v[62:63], v[66:67], v[52:53]
	v_add_f64 v[64:65], v[62:63], -v[66:67]
	v_add_f64 v[58:59], v[62:63], v[58:59]
	v_add_f64 v[68:69], v[62:63], -v[64:65]
	v_add_f64 v[62:63], v[60:61], v[58:59]
	v_add_f64 v[66:67], v[66:67], -v[68:69]
	v_add_f64 v[52:53], v[52:53], -v[64:65]
	v_add_f64 v[60:61], v[62:63], -v[60:61]
	v_add_f64 v[52:53], v[52:53], v[66:67]
	v_add_f64 v[58:59], v[58:59], -v[60:61]
	s_mov_b32 s4, 0
	v_add_f64 v[52:53], v[52:53], v[58:59]
	s_mov_b32 s5, 0x7ff00000
	v_add_f64 v[52:53], v[62:63], v[52:53]
	v_cmp_eq_f64_e64 s[4:5], s[4:5], v[50:51]
	v_cndmask_b32_e64 v52, v52, v50, s[4:5]
	v_cndmask_b32_e64 v53, v53, v51, s[4:5]
	v_mov_b32_e32 v57, 0x7ff80000
	v_cmp_ngt_f64_e64 s[4:5], -1.0, v[50:51]
	v_cndmask_b32_e64 v53, v57, v53, s[4:5]
	v_cmp_nge_f64_e64 s[4:5], -1.0, v[50:51]
	v_cndmask_b32_e64 v52, 0, v52, s[4:5]
	v_mov_b32_e32 v57, 0xfff00000
	v_cmp_neq_f64_e64 s[4:5], -1.0, v[50:51]
	v_cndmask_b32_e64 v53, v57, v53, s[4:5]
	v_add_f64 v[50:51], v[48:49], v[52:53]
.LBB58_68:
	s_or_b64 exec, exec, s[50:51]
	v_pk_mov_b32 v[48:49], v[50:51], v[50:51] op_sel:[0,1]
.LBB58_69:
	s_or_b64 exec, exec, s[48:49]
	ds_write_b64 v54, v[48:49]
.LBB58_70:
	s_or_b64 exec, exec, s[46:47]
	v_cmp_lt_u32_e64 s[4:5], 63, v0
	s_waitcnt lgkmcnt(0)
	s_barrier
	s_waitcnt lgkmcnt(0)
                                        ; implicit-def: $vgpr48_vgpr49
	s_and_saveexec_b64 s[46:47], s[4:5]
	s_cbranch_execz .LBB58_74
; %bb.71:
	v_lshl_add_u32 v48, v56, 3, -8
	ds_read_b64 v[48:49], v48
	v_max_f64 v[50:51], v[46:47], v[46:47]
	v_cmp_u_f64_e64 s[42:43], v[46:47], v[46:47]
	s_waitcnt lgkmcnt(0)
	v_max_f64 v[56:57], v[48:49], v[48:49]
	v_min_f64 v[52:53], v[56:57], v[50:51]
	v_cmp_u_f64_e64 s[4:5], v[48:49], v[48:49]
	v_max_f64 v[50:51], v[56:57], v[50:51]
	v_cndmask_b32_e64 v52, v52, v48, s[4:5]
	v_cndmask_b32_e64 v53, v53, v49, s[4:5]
	;; [unrolled: 1-line block ×8, first 2 shown]
	v_cmp_neq_f64_e64 s[4:5], v[52:53], v[50:51]
	v_cmp_class_f64_e64 s[42:43], v[52:53], s33
	s_or_b64 s[4:5], s[4:5], s[42:43]
	v_pk_mov_b32 v[46:47], v[48:49], v[48:49] op_sel:[0,1]
	s_and_saveexec_b64 s[48:49], s[4:5]
	s_cbranch_execz .LBB58_73
; %bb.72:
	s_mov_b32 s4, 0x652b82fe
	v_add_f64 v[46:47], v[52:53], -v[50:51]
	s_mov_b32 s5, 0x3ff71547
	v_mul_f64 v[52:53], v[46:47], s[4:5]
	v_rndne_f64_e32 v[52:53], v[52:53]
	s_mov_b32 s51, 0xbfe62e42
	s_mov_b32 s50, 0xfefa39ef
	v_fma_f64 v[56:57], s[50:51], v[52:53], v[46:47]
	s_mov_b32 s53, 0xbc7abc9e
	s_mov_b32 s52, 0x3b39803f
	;; [unrolled: 1-line block ×3, first 2 shown]
	v_fmac_f64_e32 v[56:57], s[52:53], v[52:53]
	v_mov_b32_e32 v58, 0xfca7ab0c
	v_mov_b32_e32 v59, 0x3e928af3
	s_mov_b32 s5, 0x3e5ade15
	v_fmac_f64_e32 v[58:59], s[4:5], v[56:57]
	v_mov_b32_e32 v60, 0x623fde64
	v_mov_b32_e32 v61, 0x3ec71dee
	v_fmac_f64_e32 v[60:61], v[56:57], v[58:59]
	v_mov_b32_e32 v58, 0x7c89e6b0
	v_mov_b32_e32 v59, 0x3efa0199
	;; [unrolled: 3-line block ×8, first 2 shown]
	v_fmac_f64_e32 v[58:59], v[56:57], v[60:61]
	v_fma_f64 v[58:59], v[56:57], v[58:59], 1.0
	s_mov_b32 s4, 0
	s_mov_b32 s42, 0
	v_fma_f64 v[56:57], v[56:57], v[58:59], 1.0
	v_cvt_i32_f64_e32 v52, v[52:53]
	s_mov_b32 s5, 0x40900000
	s_mov_b32 s43, 0xc090cc00
	v_ldexp_f64 v[52:53], v[56:57], v52
	v_mov_b32_e32 v56, 0x7ff00000
	v_cmp_nlt_f64_e64 s[4:5], s[4:5], v[46:47]
	v_cmp_ngt_f64_e64 s[42:43], s[42:43], v[46:47]
	v_cndmask_b32_e64 v53, v56, v53, s[4:5]
	s_and_b64 s[4:5], s[42:43], s[4:5]
	v_cndmask_b32_e64 v47, 0, v53, s[42:43]
	v_cndmask_b32_e64 v46, 0, v52, s[4:5]
	v_add_f64 v[52:53], v[46:47], 1.0
	v_add_f64 v[56:57], v[52:53], -1.0
	v_add_f64 v[58:59], v[56:57], -v[52:53]
	v_add_f64 v[58:59], v[58:59], 1.0
	v_add_f64 v[56:57], v[46:47], -v[56:57]
	s_mov_b32 s4, 0x55555555
	v_add_f64 v[56:57], v[56:57], v[58:59]
	v_frexp_mant_f64_e32 v[58:59], v[52:53]
	s_mov_b32 s5, 0x3fe55555
	v_frexp_exp_i32_f64_e32 v60, v[52:53]
	v_cmp_gt_f64_e64 s[4:5], s[4:5], v[58:59]
	v_subbrev_co_u32_e64 v74, s[4:5], 0, v60, s[4:5]
	v_sub_u32_e32 v58, 0, v74
	v_ldexp_f64 v[52:53], v[52:53], v58
	v_ldexp_f64 v[56:57], v[56:57], v58
	v_add_f64 v[58:59], v[52:53], -1.0
	v_add_f64 v[64:65], v[52:53], 1.0
	v_add_f64 v[60:61], v[58:59], 1.0
	v_add_f64 v[66:67], v[64:65], -1.0
	v_add_f64 v[60:61], v[52:53], -v[60:61]
	v_add_f64 v[52:53], v[52:53], -v[66:67]
	v_add_f64 v[52:53], v[56:57], v[52:53]
	v_add_f64 v[60:61], v[56:57], v[60:61]
	;; [unrolled: 1-line block ×3, first 2 shown]
	v_rcp_f64_e32 v[66:67], v[56:57]
	v_add_f64 v[62:63], v[58:59], v[60:61]
	v_add_f64 v[58:59], v[62:63], -v[58:59]
	v_add_f64 v[58:59], v[60:61], -v[58:59]
	v_add_f64 v[60:61], v[56:57], -v[64:65]
	v_add_f64 v[52:53], v[52:53], -v[60:61]
	v_fma_f64 v[60:61], -v[56:57], v[66:67], 1.0
	v_fmac_f64_e32 v[66:67], v[60:61], v[66:67]
	v_fma_f64 v[60:61], -v[56:57], v[66:67], 1.0
	v_fmac_f64_e32 v[66:67], v[60:61], v[66:67]
	v_mul_f64 v[60:61], v[62:63], v[66:67]
	v_mul_f64 v[64:65], v[56:57], v[60:61]
	v_fma_f64 v[68:69], v[60:61], v[56:57], -v[64:65]
	v_fmac_f64_e32 v[68:69], v[60:61], v[52:53]
	v_add_f64 v[70:71], v[64:65], v[68:69]
	v_add_f64 v[72:73], v[62:63], -v[70:71]
	v_add_f64 v[62:63], v[62:63], -v[72:73]
	;; [unrolled: 1-line block ×4, first 2 shown]
	v_add_f64 v[58:59], v[58:59], v[62:63]
	v_add_f64 v[62:63], v[64:65], -v[68:69]
	v_add_f64 v[58:59], v[62:63], v[58:59]
	v_add_f64 v[62:63], v[72:73], v[58:59]
	v_add_f64 v[64:65], v[72:73], -v[62:63]
	v_add_f64 v[58:59], v[58:59], v[64:65]
	v_mul_f64 v[64:65], v[66:67], v[62:63]
	v_mul_f64 v[68:69], v[56:57], v[64:65]
	v_fma_f64 v[56:57], v[64:65], v[56:57], -v[68:69]
	v_fmac_f64_e32 v[56:57], v[64:65], v[52:53]
	v_add_f64 v[52:53], v[68:69], v[56:57]
	v_add_f64 v[70:71], v[62:63], -v[52:53]
	v_add_f64 v[62:63], v[62:63], -v[70:71]
	;; [unrolled: 1-line block ×4, first 2 shown]
	v_add_f64 v[52:53], v[58:59], v[52:53]
	v_add_f64 v[56:57], v[68:69], -v[56:57]
	v_add_f64 v[52:53], v[56:57], v[52:53]
	v_add_f64 v[56:57], v[60:61], v[64:65]
	;; [unrolled: 1-line block ×3, first 2 shown]
	v_add_f64 v[58:59], v[56:57], -v[60:61]
	v_mul_f64 v[52:53], v[66:67], v[52:53]
	v_add_f64 v[58:59], v[64:65], -v[58:59]
	v_add_f64 v[52:53], v[58:59], v[52:53]
	v_add_f64 v[58:59], v[56:57], v[52:53]
	v_add_f64 v[56:57], v[58:59], -v[56:57]
	s_mov_b32 s4, 0xbf559e2b
	v_add_f64 v[52:53], v[52:53], -v[56:57]
	v_mul_f64 v[56:57], v[58:59], v[58:59]
	v_mov_b32_e32 v60, 0x6b47b09a
	v_mov_b32_e32 v61, 0x3fc38538
	s_mov_b32 s5, 0x3fc3ab76
	v_fmac_f64_e32 v[60:61], s[4:5], v[56:57]
	v_mov_b32_e32 v62, 0xd7f4df2e
	v_mov_b32_e32 v63, 0x3fc7474d
	v_fmac_f64_e32 v[62:63], v[56:57], v[60:61]
	v_mov_b32_e32 v60, 0x16291751
	v_mov_b32_e32 v61, 0x3fcc71c0
	;; [unrolled: 3-line block ×5, first 2 shown]
	v_fmac_f64_e32 v[62:63], v[56:57], v[60:61]
	v_cvt_f64_i32_e32 v[60:61], v74
	s_mov_b32 s51, 0x3fe62e42
	v_mul_f64 v[64:65], v[60:61], s[50:51]
	v_fma_f64 v[66:67], v[60:61], s[50:51], -v[64:65]
	s_mov_b32 s53, 0x3c7abc9e
	v_fmac_f64_e32 v[66:67], s[52:53], v[60:61]
	v_add_f64 v[60:61], v[64:65], v[66:67]
	v_add_f64 v[64:65], v[60:61], -v[64:65]
	v_mul_f64 v[56:57], v[58:59], v[56:57]
	v_add_f64 v[64:65], v[66:67], -v[64:65]
	v_ldexp_f64 v[66:67], v[58:59], 1
	v_mul_f64 v[56:57], v[56:57], v[62:63]
	v_add_f64 v[58:59], v[66:67], v[56:57]
	v_add_f64 v[62:63], v[58:59], -v[66:67]
	v_ldexp_f64 v[52:53], v[52:53], 1
	v_add_f64 v[56:57], v[56:57], -v[62:63]
	v_add_f64 v[52:53], v[52:53], v[56:57]
	v_add_f64 v[56:57], v[58:59], v[52:53]
	v_add_f64 v[58:59], v[56:57], -v[58:59]
	v_add_f64 v[52:53], v[52:53], -v[58:59]
	v_add_f64 v[58:59], v[60:61], v[56:57]
	v_add_f64 v[62:63], v[58:59], -v[60:61]
	v_add_f64 v[66:67], v[58:59], -v[62:63]
	;; [unrolled: 1-line block ×4, first 2 shown]
	v_add_f64 v[56:57], v[56:57], v[60:61]
	v_add_f64 v[60:61], v[64:65], v[52:53]
	v_add_f64 v[62:63], v[60:61], -v[64:65]
	v_add_f64 v[56:57], v[60:61], v[56:57]
	v_add_f64 v[66:67], v[60:61], -v[62:63]
	;; [unrolled: 2-line block ×3, first 2 shown]
	v_add_f64 v[52:53], v[52:53], -v[62:63]
	v_add_f64 v[58:59], v[60:61], -v[58:59]
	v_add_f64 v[52:53], v[52:53], v[64:65]
	v_add_f64 v[56:57], v[56:57], -v[58:59]
	s_mov_b32 s4, 0
	v_add_f64 v[52:53], v[52:53], v[56:57]
	s_mov_b32 s5, 0x7ff00000
	v_add_f64 v[52:53], v[60:61], v[52:53]
	v_cmp_eq_f64_e64 s[4:5], s[4:5], v[46:47]
	v_cndmask_b32_e64 v52, v52, v46, s[4:5]
	v_cndmask_b32_e64 v53, v53, v47, s[4:5]
	v_mov_b32_e32 v56, 0x7ff80000
	v_cmp_ngt_f64_e64 s[4:5], -1.0, v[46:47]
	v_cndmask_b32_e64 v53, v56, v53, s[4:5]
	v_cmp_nge_f64_e64 s[4:5], -1.0, v[46:47]
	v_cndmask_b32_e64 v52, 0, v52, s[4:5]
	v_mov_b32_e32 v56, 0xfff00000
	v_cmp_neq_f64_e64 s[4:5], -1.0, v[46:47]
	v_cndmask_b32_e64 v53, v56, v53, s[4:5]
	v_add_f64 v[46:47], v[50:51], v[52:53]
.LBB58_73:
	s_or_b64 exec, exec, s[48:49]
.LBB58_74:
	s_or_b64 exec, exec, s[46:47]
	v_add_u32_e32 v50, -1, v1
	v_and_b32_e32 v51, 64, v1
	v_cmp_lt_i32_e64 s[4:5], v50, v51
	v_cndmask_b32_e64 v50, v50, v1, s[4:5]
	v_lshlrev_b32_e32 v50, 2, v50
	ds_bpermute_b32 v46, v50, v46
	ds_bpermute_b32 v47, v50, v47
	v_cmp_ne_u32_e64 s[4:5], 0, v0
	s_and_saveexec_b64 s[42:43], s[4:5]
	s_cbranch_execz .LBB58_78
; %bb.75:
	v_cmp_eq_u32_e64 s[4:5], 0, v1
	s_waitcnt lgkmcnt(0)
	v_cndmask_b32_e64 v47, v47, v49, s[4:5]
	v_cndmask_b32_e64 v46, v46, v48, s[4:5]
	v_max_f64 v[0:1], v[46:47], v[46:47]
	v_min_f64 v[42:43], v[0:1], v[40:41]
	v_cmp_u_f64_e64 s[4:5], v[46:47], v[46:47]
	v_max_f64 v[0:1], v[0:1], v[40:41]
	v_cndmask_b32_e64 v42, v42, v46, s[4:5]
	v_cndmask_b32_e64 v43, v43, v47, s[4:5]
	;; [unrolled: 1-line block ×8, first 2 shown]
	v_cmp_neq_f64_e64 s[4:5], v[42:43], v[0:1]
	v_cmp_class_f64_e64 s[38:39], v[42:43], s33
	s_or_b64 s[4:5], s[4:5], s[38:39]
	s_and_saveexec_b64 s[46:47], s[4:5]
	s_cbranch_execz .LBB58_77
; %bb.76:
	s_mov_b32 s4, 0x652b82fe
	v_add_f64 v[2:3], v[42:43], -v[0:1]
	s_mov_b32 s5, 0x3ff71547
	v_mul_f64 v[40:41], v[2:3], s[4:5]
	v_rndne_f64_e32 v[40:41], v[40:41]
	s_mov_b32 s49, 0xbfe62e42
	s_mov_b32 s48, 0xfefa39ef
	v_fma_f64 v[42:43], s[48:49], v[40:41], v[2:3]
	s_mov_b32 s51, 0xbc7abc9e
	s_mov_b32 s50, 0x3b39803f
	;; [unrolled: 1-line block ×3, first 2 shown]
	v_fmac_f64_e32 v[42:43], s[50:51], v[40:41]
	v_mov_b32_e32 v44, 0xfca7ab0c
	v_mov_b32_e32 v45, 0x3e928af3
	s_mov_b32 s5, 0x3e5ade15
	v_fmac_f64_e32 v[44:45], s[4:5], v[42:43]
	v_mov_b32_e32 v46, 0x623fde64
	v_mov_b32_e32 v47, 0x3ec71dee
	v_fmac_f64_e32 v[46:47], v[42:43], v[44:45]
	v_mov_b32_e32 v44, 0x7c89e6b0
	v_mov_b32_e32 v45, 0x3efa0199
	;; [unrolled: 3-line block ×8, first 2 shown]
	v_fmac_f64_e32 v[44:45], v[42:43], v[46:47]
	v_fma_f64 v[44:45], v[42:43], v[44:45], 1.0
	s_mov_b32 s4, 0
	s_mov_b32 s38, 0
	v_fma_f64 v[42:43], v[42:43], v[44:45], 1.0
	v_cvt_i32_f64_e32 v40, v[40:41]
	s_mov_b32 s5, 0x40900000
	s_mov_b32 s39, 0xc090cc00
	v_ldexp_f64 v[40:41], v[42:43], v40
	v_mov_b32_e32 v42, 0x7ff00000
	v_cmp_nlt_f64_e64 s[4:5], s[4:5], v[2:3]
	v_cmp_ngt_f64_e64 s[38:39], s[38:39], v[2:3]
	v_cndmask_b32_e64 v41, v42, v41, s[4:5]
	s_and_b64 s[4:5], s[38:39], s[4:5]
	v_cndmask_b32_e64 v3, 0, v41, s[38:39]
	v_cndmask_b32_e64 v2, 0, v40, s[4:5]
	v_add_f64 v[40:41], v[2:3], 1.0
	v_add_f64 v[42:43], v[40:41], -1.0
	v_add_f64 v[44:45], v[42:43], -v[40:41]
	v_add_f64 v[44:45], v[44:45], 1.0
	v_add_f64 v[42:43], v[2:3], -v[42:43]
	s_mov_b32 s4, 0x55555555
	v_add_f64 v[42:43], v[42:43], v[44:45]
	v_frexp_mant_f64_e32 v[44:45], v[40:41]
	s_mov_b32 s5, 0x3fe55555
	v_frexp_exp_i32_f64_e32 v46, v[40:41]
	v_cmp_gt_f64_e64 s[4:5], s[4:5], v[44:45]
	v_subbrev_co_u32_e64 v62, s[4:5], 0, v46, s[4:5]
	v_sub_u32_e32 v44, 0, v62
	v_ldexp_f64 v[40:41], v[40:41], v44
	v_ldexp_f64 v[42:43], v[42:43], v44
	v_add_f64 v[44:45], v[40:41], -1.0
	v_add_f64 v[50:51], v[40:41], 1.0
	v_add_f64 v[46:47], v[44:45], 1.0
	v_add_f64 v[52:53], v[50:51], -1.0
	v_add_f64 v[46:47], v[40:41], -v[46:47]
	v_add_f64 v[40:41], v[40:41], -v[52:53]
	v_add_f64 v[40:41], v[42:43], v[40:41]
	v_add_f64 v[46:47], v[42:43], v[46:47]
	;; [unrolled: 1-line block ×3, first 2 shown]
	v_rcp_f64_e32 v[52:53], v[42:43]
	v_add_f64 v[48:49], v[44:45], v[46:47]
	v_add_f64 v[44:45], v[48:49], -v[44:45]
	v_add_f64 v[44:45], v[46:47], -v[44:45]
	;; [unrolled: 1-line block ×4, first 2 shown]
	v_fma_f64 v[46:47], -v[42:43], v[52:53], 1.0
	v_fmac_f64_e32 v[52:53], v[46:47], v[52:53]
	v_fma_f64 v[46:47], -v[42:43], v[52:53], 1.0
	v_fmac_f64_e32 v[52:53], v[46:47], v[52:53]
	v_mul_f64 v[46:47], v[48:49], v[52:53]
	v_mul_f64 v[50:51], v[42:43], v[46:47]
	v_fma_f64 v[56:57], v[46:47], v[42:43], -v[50:51]
	v_fmac_f64_e32 v[56:57], v[46:47], v[40:41]
	v_add_f64 v[58:59], v[50:51], v[56:57]
	v_add_f64 v[60:61], v[48:49], -v[58:59]
	v_add_f64 v[48:49], v[48:49], -v[60:61]
	v_add_f64 v[50:51], v[58:59], -v[50:51]
	v_add_f64 v[48:49], v[48:49], -v[58:59]
	v_add_f64 v[44:45], v[44:45], v[48:49]
	v_add_f64 v[48:49], v[50:51], -v[56:57]
	v_add_f64 v[44:45], v[48:49], v[44:45]
	v_add_f64 v[48:49], v[60:61], v[44:45]
	v_add_f64 v[50:51], v[60:61], -v[48:49]
	v_add_f64 v[44:45], v[44:45], v[50:51]
	v_mul_f64 v[50:51], v[52:53], v[48:49]
	v_mul_f64 v[56:57], v[42:43], v[50:51]
	v_fma_f64 v[42:43], v[50:51], v[42:43], -v[56:57]
	v_fmac_f64_e32 v[42:43], v[50:51], v[40:41]
	v_add_f64 v[40:41], v[56:57], v[42:43]
	v_add_f64 v[58:59], v[48:49], -v[40:41]
	v_add_f64 v[48:49], v[48:49], -v[58:59]
	;; [unrolled: 1-line block ×4, first 2 shown]
	v_add_f64 v[40:41], v[44:45], v[40:41]
	v_add_f64 v[42:43], v[56:57], -v[42:43]
	v_add_f64 v[40:41], v[42:43], v[40:41]
	v_add_f64 v[42:43], v[46:47], v[50:51]
	;; [unrolled: 1-line block ×3, first 2 shown]
	v_add_f64 v[44:45], v[42:43], -v[46:47]
	v_mul_f64 v[40:41], v[52:53], v[40:41]
	v_add_f64 v[44:45], v[50:51], -v[44:45]
	v_add_f64 v[40:41], v[44:45], v[40:41]
	v_add_f64 v[44:45], v[42:43], v[40:41]
	v_add_f64 v[42:43], v[44:45], -v[42:43]
	s_mov_b32 s4, 0xbf559e2b
	v_add_f64 v[40:41], v[40:41], -v[42:43]
	v_mul_f64 v[42:43], v[44:45], v[44:45]
	v_mov_b32_e32 v46, 0x6b47b09a
	v_mov_b32_e32 v47, 0x3fc38538
	s_mov_b32 s5, 0x3fc3ab76
	v_fmac_f64_e32 v[46:47], s[4:5], v[42:43]
	v_mov_b32_e32 v48, 0xd7f4df2e
	v_mov_b32_e32 v49, 0x3fc7474d
	v_fmac_f64_e32 v[48:49], v[42:43], v[46:47]
	v_mov_b32_e32 v46, 0x16291751
	v_mov_b32_e32 v47, 0x3fcc71c0
	;; [unrolled: 3-line block ×5, first 2 shown]
	v_fmac_f64_e32 v[48:49], v[42:43], v[46:47]
	v_cvt_f64_i32_e32 v[46:47], v62
	s_mov_b32 s49, 0x3fe62e42
	v_mul_f64 v[50:51], v[46:47], s[48:49]
	v_fma_f64 v[52:53], v[46:47], s[48:49], -v[50:51]
	s_mov_b32 s51, 0x3c7abc9e
	v_fmac_f64_e32 v[52:53], s[50:51], v[46:47]
	v_add_f64 v[46:47], v[50:51], v[52:53]
	v_add_f64 v[50:51], v[46:47], -v[50:51]
	v_mul_f64 v[42:43], v[44:45], v[42:43]
	v_add_f64 v[50:51], v[52:53], -v[50:51]
	v_ldexp_f64 v[52:53], v[44:45], 1
	v_mul_f64 v[42:43], v[42:43], v[48:49]
	v_add_f64 v[44:45], v[52:53], v[42:43]
	v_add_f64 v[48:49], v[44:45], -v[52:53]
	v_ldexp_f64 v[40:41], v[40:41], 1
	v_add_f64 v[42:43], v[42:43], -v[48:49]
	v_add_f64 v[40:41], v[40:41], v[42:43]
	v_add_f64 v[42:43], v[44:45], v[40:41]
	v_add_f64 v[44:45], v[42:43], -v[44:45]
	v_add_f64 v[40:41], v[40:41], -v[44:45]
	v_add_f64 v[44:45], v[46:47], v[42:43]
	v_add_f64 v[48:49], v[44:45], -v[46:47]
	v_add_f64 v[52:53], v[44:45], -v[48:49]
	;; [unrolled: 1-line block ×4, first 2 shown]
	v_add_f64 v[42:43], v[42:43], v[46:47]
	v_add_f64 v[46:47], v[50:51], v[40:41]
	v_add_f64 v[48:49], v[46:47], -v[50:51]
	v_add_f64 v[42:43], v[46:47], v[42:43]
	v_add_f64 v[52:53], v[46:47], -v[48:49]
	;; [unrolled: 2-line block ×3, first 2 shown]
	v_add_f64 v[40:41], v[40:41], -v[48:49]
	v_add_f64 v[44:45], v[46:47], -v[44:45]
	v_add_f64 v[40:41], v[40:41], v[50:51]
	v_add_f64 v[42:43], v[42:43], -v[44:45]
	s_mov_b32 s4, 0
	v_add_f64 v[40:41], v[40:41], v[42:43]
	s_mov_b32 s5, 0x7ff00000
	v_add_f64 v[40:41], v[46:47], v[40:41]
	v_cmp_eq_f64_e64 s[4:5], s[4:5], v[2:3]
	v_cndmask_b32_e64 v40, v40, v2, s[4:5]
	v_cndmask_b32_e64 v41, v41, v3, s[4:5]
	v_mov_b32_e32 v42, 0x7ff80000
	v_cmp_ngt_f64_e64 s[4:5], -1.0, v[2:3]
	v_cndmask_b32_e64 v41, v42, v41, s[4:5]
	v_cmp_nge_f64_e64 s[4:5], -1.0, v[2:3]
	v_cndmask_b32_e64 v40, 0, v40, s[4:5]
	v_mov_b32_e32 v42, 0xfff00000
	v_cmp_neq_f64_e64 s[4:5], -1.0, v[2:3]
	v_cndmask_b32_e64 v41, v42, v41, s[4:5]
	v_add_f64 v[46:47], v[0:1], v[40:41]
.LBB58_77:
	s_or_b64 exec, exec, s[46:47]
	v_max_f64 v[0:1], v[46:47], v[46:47]
	v_min_f64 v[42:43], v[0:1], v[26:27]
	v_max_f64 v[44:45], v[0:1], v[26:27]
	v_pk_mov_b32 v[2:3], v[46:47], v[46:47] op_sel:[0,1]
	;;#ASMSTART
	;;#ASMEND
.LBB58_78:
	s_or_b64 exec, exec, s[42:43]
	v_cmp_u_f64_e64 s[4:5], v[2:3], v[2:3]
	v_cndmask_b32_e64 v0, v42, v2, s[4:5]
	v_cndmask_b32_e64 v1, v43, v3, s[4:5]
	;; [unrolled: 1-line block ×8, first 2 shown]
	v_cmp_neq_f64_e64 s[4:5], v[26:27], v[0:1]
	v_cmp_class_f64_e64 s[18:19], v[26:27], s33
	s_or_b64 s[4:5], s[4:5], s[18:19]
	v_pk_mov_b32 v[4:5], v[2:3], v[2:3] op_sel:[0,1]
	s_and_saveexec_b64 s[38:39], s[4:5]
	s_cbranch_execz .LBB58_80
; %bb.79:
	s_mov_b32 s4, 0x652b82fe
	v_add_f64 v[4:5], v[26:27], -v[0:1]
	s_mov_b32 s5, 0x3ff71547
	v_mul_f64 v[26:27], v[4:5], s[4:5]
	v_rndne_f64_e32 v[26:27], v[26:27]
	s_mov_b32 s43, 0xbfe62e42
	s_mov_b32 s42, 0xfefa39ef
	v_fma_f64 v[40:41], s[42:43], v[26:27], v[4:5]
	s_mov_b32 s47, 0xbc7abc9e
	s_mov_b32 s46, 0x3b39803f
	s_mov_b32 s4, 0x6a5dcb37
	v_fmac_f64_e32 v[40:41], s[46:47], v[26:27]
	v_mov_b32_e32 v42, 0xfca7ab0c
	v_mov_b32_e32 v43, 0x3e928af3
	s_mov_b32 s5, 0x3e5ade15
	v_fmac_f64_e32 v[42:43], s[4:5], v[40:41]
	v_mov_b32_e32 v44, 0x623fde64
	v_mov_b32_e32 v45, 0x3ec71dee
	v_fmac_f64_e32 v[44:45], v[40:41], v[42:43]
	v_mov_b32_e32 v42, 0x7c89e6b0
	v_mov_b32_e32 v43, 0x3efa0199
	;; [unrolled: 3-line block ×8, first 2 shown]
	v_fmac_f64_e32 v[42:43], v[40:41], v[44:45]
	v_fma_f64 v[42:43], v[40:41], v[42:43], 1.0
	s_mov_b32 s4, 0
	s_mov_b32 s18, 0
	v_fma_f64 v[40:41], v[40:41], v[42:43], 1.0
	v_cvt_i32_f64_e32 v26, v[26:27]
	s_mov_b32 s5, 0x40900000
	s_mov_b32 s19, 0xc090cc00
	v_ldexp_f64 v[26:27], v[40:41], v26
	v_mov_b32_e32 v40, 0x7ff00000
	v_cmp_nlt_f64_e64 s[4:5], s[4:5], v[4:5]
	v_cmp_ngt_f64_e64 s[18:19], s[18:19], v[4:5]
	v_cndmask_b32_e64 v27, v40, v27, s[4:5]
	s_and_b64 s[4:5], s[18:19], s[4:5]
	v_cndmask_b32_e64 v5, 0, v27, s[18:19]
	v_cndmask_b32_e64 v4, 0, v26, s[4:5]
	v_add_f64 v[26:27], v[4:5], 1.0
	v_add_f64 v[40:41], v[26:27], -1.0
	v_add_f64 v[42:43], v[40:41], -v[26:27]
	v_add_f64 v[42:43], v[42:43], 1.0
	v_add_f64 v[40:41], v[4:5], -v[40:41]
	s_mov_b32 s4, 0x55555555
	v_add_f64 v[40:41], v[40:41], v[42:43]
	v_frexp_mant_f64_e32 v[42:43], v[26:27]
	s_mov_b32 s5, 0x3fe55555
	v_frexp_exp_i32_f64_e32 v44, v[26:27]
	v_cmp_gt_f64_e64 s[4:5], s[4:5], v[42:43]
	v_subbrev_co_u32_e64 v60, s[4:5], 0, v44, s[4:5]
	v_sub_u32_e32 v42, 0, v60
	v_ldexp_f64 v[26:27], v[26:27], v42
	v_ldexp_f64 v[40:41], v[40:41], v42
	v_add_f64 v[42:43], v[26:27], -1.0
	v_add_f64 v[48:49], v[26:27], 1.0
	v_add_f64 v[44:45], v[42:43], 1.0
	v_add_f64 v[50:51], v[48:49], -1.0
	v_add_f64 v[44:45], v[26:27], -v[44:45]
	v_add_f64 v[26:27], v[26:27], -v[50:51]
	v_add_f64 v[26:27], v[40:41], v[26:27]
	v_add_f64 v[44:45], v[40:41], v[44:45]
	;; [unrolled: 1-line block ×3, first 2 shown]
	v_rcp_f64_e32 v[50:51], v[40:41]
	s_waitcnt lgkmcnt(0)
	v_add_f64 v[46:47], v[42:43], v[44:45]
	v_add_f64 v[42:43], v[46:47], -v[42:43]
	v_add_f64 v[42:43], v[44:45], -v[42:43]
	;; [unrolled: 1-line block ×4, first 2 shown]
	v_fma_f64 v[44:45], -v[40:41], v[50:51], 1.0
	v_fmac_f64_e32 v[50:51], v[44:45], v[50:51]
	v_fma_f64 v[44:45], -v[40:41], v[50:51], 1.0
	v_fmac_f64_e32 v[50:51], v[44:45], v[50:51]
	v_mul_f64 v[44:45], v[46:47], v[50:51]
	v_mul_f64 v[48:49], v[40:41], v[44:45]
	v_fma_f64 v[52:53], v[44:45], v[40:41], -v[48:49]
	v_fmac_f64_e32 v[52:53], v[44:45], v[26:27]
	v_add_f64 v[56:57], v[48:49], v[52:53]
	v_add_f64 v[58:59], v[46:47], -v[56:57]
	v_add_f64 v[46:47], v[46:47], -v[58:59]
	;; [unrolled: 1-line block ×4, first 2 shown]
	v_add_f64 v[42:43], v[42:43], v[46:47]
	v_add_f64 v[46:47], v[48:49], -v[52:53]
	v_add_f64 v[42:43], v[46:47], v[42:43]
	v_add_f64 v[46:47], v[58:59], v[42:43]
	v_add_f64 v[48:49], v[58:59], -v[46:47]
	v_add_f64 v[42:43], v[42:43], v[48:49]
	v_mul_f64 v[48:49], v[50:51], v[46:47]
	v_mul_f64 v[52:53], v[40:41], v[48:49]
	v_fma_f64 v[40:41], v[48:49], v[40:41], -v[52:53]
	v_fmac_f64_e32 v[40:41], v[48:49], v[26:27]
	v_add_f64 v[26:27], v[52:53], v[40:41]
	v_add_f64 v[56:57], v[46:47], -v[26:27]
	v_add_f64 v[46:47], v[46:47], -v[56:57]
	;; [unrolled: 1-line block ×4, first 2 shown]
	v_add_f64 v[26:27], v[42:43], v[26:27]
	v_add_f64 v[40:41], v[52:53], -v[40:41]
	v_add_f64 v[26:27], v[40:41], v[26:27]
	v_add_f64 v[40:41], v[44:45], v[48:49]
	v_add_f64 v[26:27], v[56:57], v[26:27]
	v_add_f64 v[42:43], v[40:41], -v[44:45]
	v_mul_f64 v[26:27], v[50:51], v[26:27]
	v_add_f64 v[42:43], v[48:49], -v[42:43]
	v_add_f64 v[26:27], v[42:43], v[26:27]
	v_add_f64 v[42:43], v[40:41], v[26:27]
	v_add_f64 v[40:41], v[42:43], -v[40:41]
	s_mov_b32 s4, 0xbf559e2b
	v_add_f64 v[26:27], v[26:27], -v[40:41]
	v_mul_f64 v[40:41], v[42:43], v[42:43]
	v_mov_b32_e32 v44, 0x6b47b09a
	v_mov_b32_e32 v45, 0x3fc38538
	s_mov_b32 s5, 0x3fc3ab76
	v_fmac_f64_e32 v[44:45], s[4:5], v[40:41]
	v_mov_b32_e32 v46, 0xd7f4df2e
	v_mov_b32_e32 v47, 0x3fc7474d
	v_fmac_f64_e32 v[46:47], v[40:41], v[44:45]
	v_mov_b32_e32 v44, 0x16291751
	v_mov_b32_e32 v45, 0x3fcc71c0
	;; [unrolled: 3-line block ×5, first 2 shown]
	v_fmac_f64_e32 v[46:47], v[40:41], v[44:45]
	v_cvt_f64_i32_e32 v[44:45], v60
	s_mov_b32 s43, 0x3fe62e42
	v_mul_f64 v[48:49], v[44:45], s[42:43]
	v_fma_f64 v[50:51], v[44:45], s[42:43], -v[48:49]
	s_mov_b32 s47, 0x3c7abc9e
	v_fmac_f64_e32 v[50:51], s[46:47], v[44:45]
	v_add_f64 v[44:45], v[48:49], v[50:51]
	v_add_f64 v[48:49], v[44:45], -v[48:49]
	v_mul_f64 v[40:41], v[42:43], v[40:41]
	v_add_f64 v[48:49], v[50:51], -v[48:49]
	v_ldexp_f64 v[50:51], v[42:43], 1
	v_mul_f64 v[40:41], v[40:41], v[46:47]
	v_add_f64 v[42:43], v[50:51], v[40:41]
	v_add_f64 v[46:47], v[42:43], -v[50:51]
	v_ldexp_f64 v[26:27], v[26:27], 1
	v_add_f64 v[40:41], v[40:41], -v[46:47]
	v_add_f64 v[26:27], v[26:27], v[40:41]
	v_add_f64 v[40:41], v[42:43], v[26:27]
	v_add_f64 v[42:43], v[40:41], -v[42:43]
	v_add_f64 v[26:27], v[26:27], -v[42:43]
	v_add_f64 v[42:43], v[44:45], v[40:41]
	v_add_f64 v[46:47], v[42:43], -v[44:45]
	v_add_f64 v[50:51], v[42:43], -v[46:47]
	;; [unrolled: 1-line block ×4, first 2 shown]
	v_add_f64 v[40:41], v[40:41], v[44:45]
	v_add_f64 v[44:45], v[48:49], v[26:27]
	v_add_f64 v[46:47], v[44:45], -v[48:49]
	v_add_f64 v[40:41], v[44:45], v[40:41]
	v_add_f64 v[50:51], v[44:45], -v[46:47]
	;; [unrolled: 2-line block ×3, first 2 shown]
	v_add_f64 v[26:27], v[26:27], -v[46:47]
	v_add_f64 v[42:43], v[44:45], -v[42:43]
	v_add_f64 v[26:27], v[26:27], v[48:49]
	v_add_f64 v[40:41], v[40:41], -v[42:43]
	s_mov_b32 s4, 0
	v_add_f64 v[26:27], v[26:27], v[40:41]
	s_mov_b32 s5, 0x7ff00000
	v_add_f64 v[26:27], v[44:45], v[26:27]
	v_cmp_eq_f64_e64 s[4:5], s[4:5], v[4:5]
	v_cndmask_b32_e64 v26, v26, v4, s[4:5]
	v_cndmask_b32_e64 v27, v27, v5, s[4:5]
	v_mov_b32_e32 v40, 0x7ff80000
	v_cmp_ngt_f64_e64 s[4:5], -1.0, v[4:5]
	v_cndmask_b32_e64 v27, v40, v27, s[4:5]
	v_cmp_nge_f64_e64 s[4:5], -1.0, v[4:5]
	v_cndmask_b32_e64 v26, 0, v26, s[4:5]
	v_mov_b32_e32 v40, 0xfff00000
	v_cmp_neq_f64_e64 s[4:5], -1.0, v[4:5]
	v_cndmask_b32_e64 v27, v40, v27, s[4:5]
	v_add_f64 v[4:5], v[0:1], v[26:27]
.LBB58_80:
	s_or_b64 exec, exec, s[38:39]
	v_max_f64 v[0:1], v[4:5], v[4:5]
	v_min_f64 v[26:27], v[0:1], v[22:23]
	v_cmp_u_f64_e64 s[4:5], v[4:5], v[4:5]
	v_max_f64 v[0:1], v[0:1], v[22:23]
	v_cndmask_b32_e64 v26, v26, v4, s[4:5]
	v_cndmask_b32_e64 v27, v27, v5, s[4:5]
	;; [unrolled: 1-line block ×8, first 2 shown]
	v_cmp_neq_f64_e64 s[4:5], v[26:27], v[0:1]
	v_cmp_class_f64_e64 s[18:19], v[26:27], s33
	s_or_b64 s[4:5], s[4:5], s[18:19]
	v_pk_mov_b32 v[18:19], v[4:5], v[4:5] op_sel:[0,1]
	s_and_saveexec_b64 s[20:21], s[4:5]
	s_cbranch_execz .LBB58_82
; %bb.81:
	s_mov_b32 s4, 0x652b82fe
	v_add_f64 v[18:19], v[26:27], -v[0:1]
	s_mov_b32 s5, 0x3ff71547
	v_mul_f64 v[22:23], v[18:19], s[4:5]
	v_rndne_f64_e32 v[22:23], v[22:23]
	s_mov_b32 s39, 0xbfe62e42
	s_mov_b32 s38, 0xfefa39ef
	v_fma_f64 v[26:27], s[38:39], v[22:23], v[18:19]
	s_mov_b32 s43, 0xbc7abc9e
	s_mov_b32 s42, 0x3b39803f
	;; [unrolled: 1-line block ×3, first 2 shown]
	v_fmac_f64_e32 v[26:27], s[42:43], v[22:23]
	v_mov_b32_e32 v40, 0xfca7ab0c
	v_mov_b32_e32 v41, 0x3e928af3
	s_mov_b32 s5, 0x3e5ade15
	v_fmac_f64_e32 v[40:41], s[4:5], v[26:27]
	v_mov_b32_e32 v42, 0x623fde64
	v_mov_b32_e32 v43, 0x3ec71dee
	v_fmac_f64_e32 v[42:43], v[26:27], v[40:41]
	v_mov_b32_e32 v40, 0x7c89e6b0
	v_mov_b32_e32 v41, 0x3efa0199
	;; [unrolled: 3-line block ×8, first 2 shown]
	v_fmac_f64_e32 v[40:41], v[26:27], v[42:43]
	v_fma_f64 v[40:41], v[26:27], v[40:41], 1.0
	s_mov_b32 s4, 0
	s_mov_b32 s18, 0
	v_fma_f64 v[26:27], v[26:27], v[40:41], 1.0
	v_cvt_i32_f64_e32 v22, v[22:23]
	s_mov_b32 s5, 0x40900000
	s_mov_b32 s19, 0xc090cc00
	v_ldexp_f64 v[22:23], v[26:27], v22
	v_mov_b32_e32 v26, 0x7ff00000
	v_cmp_nlt_f64_e64 s[4:5], s[4:5], v[18:19]
	v_cmp_ngt_f64_e64 s[18:19], s[18:19], v[18:19]
	v_cndmask_b32_e64 v23, v26, v23, s[4:5]
	s_and_b64 s[4:5], s[18:19], s[4:5]
	v_cndmask_b32_e64 v19, 0, v23, s[18:19]
	v_cndmask_b32_e64 v18, 0, v22, s[4:5]
	v_add_f64 v[22:23], v[18:19], 1.0
	v_add_f64 v[26:27], v[22:23], -1.0
	v_add_f64 v[40:41], v[26:27], -v[22:23]
	v_add_f64 v[40:41], v[40:41], 1.0
	v_add_f64 v[26:27], v[18:19], -v[26:27]
	s_mov_b32 s4, 0x55555555
	v_add_f64 v[26:27], v[26:27], v[40:41]
	v_frexp_mant_f64_e32 v[40:41], v[22:23]
	s_mov_b32 s5, 0x3fe55555
	v_frexp_exp_i32_f64_e32 v42, v[22:23]
	v_cmp_gt_f64_e64 s[4:5], s[4:5], v[40:41]
	v_subbrev_co_u32_e64 v58, s[4:5], 0, v42, s[4:5]
	v_sub_u32_e32 v40, 0, v58
	v_ldexp_f64 v[22:23], v[22:23], v40
	v_ldexp_f64 v[26:27], v[26:27], v40
	v_add_f64 v[40:41], v[22:23], -1.0
	s_waitcnt lgkmcnt(0)
	v_add_f64 v[46:47], v[22:23], 1.0
	v_add_f64 v[42:43], v[40:41], 1.0
	v_add_f64 v[48:49], v[46:47], -1.0
	v_add_f64 v[42:43], v[22:23], -v[42:43]
	v_add_f64 v[22:23], v[22:23], -v[48:49]
	v_add_f64 v[22:23], v[26:27], v[22:23]
	v_add_f64 v[42:43], v[26:27], v[42:43]
	;; [unrolled: 1-line block ×3, first 2 shown]
	v_rcp_f64_e32 v[48:49], v[26:27]
	v_add_f64 v[44:45], v[40:41], v[42:43]
	v_add_f64 v[40:41], v[44:45], -v[40:41]
	v_add_f64 v[40:41], v[42:43], -v[40:41]
	;; [unrolled: 1-line block ×4, first 2 shown]
	v_fma_f64 v[42:43], -v[26:27], v[48:49], 1.0
	v_fmac_f64_e32 v[48:49], v[42:43], v[48:49]
	v_fma_f64 v[42:43], -v[26:27], v[48:49], 1.0
	v_fmac_f64_e32 v[48:49], v[42:43], v[48:49]
	v_mul_f64 v[42:43], v[44:45], v[48:49]
	v_mul_f64 v[46:47], v[26:27], v[42:43]
	v_fma_f64 v[50:51], v[42:43], v[26:27], -v[46:47]
	v_fmac_f64_e32 v[50:51], v[42:43], v[22:23]
	v_add_f64 v[52:53], v[46:47], v[50:51]
	v_add_f64 v[56:57], v[44:45], -v[52:53]
	v_add_f64 v[44:45], v[44:45], -v[56:57]
	;; [unrolled: 1-line block ×4, first 2 shown]
	v_add_f64 v[40:41], v[40:41], v[44:45]
	v_add_f64 v[44:45], v[46:47], -v[50:51]
	v_add_f64 v[40:41], v[44:45], v[40:41]
	v_add_f64 v[44:45], v[56:57], v[40:41]
	v_add_f64 v[46:47], v[56:57], -v[44:45]
	v_add_f64 v[40:41], v[40:41], v[46:47]
	v_mul_f64 v[46:47], v[48:49], v[44:45]
	v_mul_f64 v[50:51], v[26:27], v[46:47]
	v_fma_f64 v[26:27], v[46:47], v[26:27], -v[50:51]
	v_fmac_f64_e32 v[26:27], v[46:47], v[22:23]
	v_add_f64 v[22:23], v[50:51], v[26:27]
	v_add_f64 v[52:53], v[44:45], -v[22:23]
	v_add_f64 v[44:45], v[44:45], -v[52:53]
	v_add_f64 v[50:51], v[22:23], -v[50:51]
	v_add_f64 v[22:23], v[44:45], -v[22:23]
	v_add_f64 v[22:23], v[40:41], v[22:23]
	v_add_f64 v[26:27], v[50:51], -v[26:27]
	v_add_f64 v[22:23], v[26:27], v[22:23]
	v_add_f64 v[26:27], v[42:43], v[46:47]
	;; [unrolled: 1-line block ×3, first 2 shown]
	v_add_f64 v[40:41], v[26:27], -v[42:43]
	v_mul_f64 v[22:23], v[48:49], v[22:23]
	v_add_f64 v[40:41], v[46:47], -v[40:41]
	v_add_f64 v[22:23], v[40:41], v[22:23]
	v_add_f64 v[40:41], v[26:27], v[22:23]
	v_add_f64 v[26:27], v[40:41], -v[26:27]
	s_mov_b32 s4, 0xbf559e2b
	v_add_f64 v[22:23], v[22:23], -v[26:27]
	v_mul_f64 v[26:27], v[40:41], v[40:41]
	v_mov_b32_e32 v42, 0x6b47b09a
	v_mov_b32_e32 v43, 0x3fc38538
	s_mov_b32 s5, 0x3fc3ab76
	v_fmac_f64_e32 v[42:43], s[4:5], v[26:27]
	v_mov_b32_e32 v44, 0xd7f4df2e
	v_mov_b32_e32 v45, 0x3fc7474d
	v_fmac_f64_e32 v[44:45], v[26:27], v[42:43]
	v_mov_b32_e32 v42, 0x16291751
	v_mov_b32_e32 v43, 0x3fcc71c0
	;; [unrolled: 3-line block ×5, first 2 shown]
	v_fmac_f64_e32 v[44:45], v[26:27], v[42:43]
	v_cvt_f64_i32_e32 v[42:43], v58
	s_mov_b32 s39, 0x3fe62e42
	v_mul_f64 v[46:47], v[42:43], s[38:39]
	v_fma_f64 v[48:49], v[42:43], s[38:39], -v[46:47]
	s_mov_b32 s43, 0x3c7abc9e
	v_fmac_f64_e32 v[48:49], s[42:43], v[42:43]
	v_add_f64 v[42:43], v[46:47], v[48:49]
	v_add_f64 v[46:47], v[42:43], -v[46:47]
	v_mul_f64 v[26:27], v[40:41], v[26:27]
	v_add_f64 v[46:47], v[48:49], -v[46:47]
	v_ldexp_f64 v[48:49], v[40:41], 1
	v_mul_f64 v[26:27], v[26:27], v[44:45]
	v_add_f64 v[40:41], v[48:49], v[26:27]
	v_add_f64 v[44:45], v[40:41], -v[48:49]
	v_ldexp_f64 v[22:23], v[22:23], 1
	v_add_f64 v[26:27], v[26:27], -v[44:45]
	v_add_f64 v[22:23], v[22:23], v[26:27]
	v_add_f64 v[26:27], v[40:41], v[22:23]
	v_add_f64 v[40:41], v[26:27], -v[40:41]
	v_add_f64 v[22:23], v[22:23], -v[40:41]
	v_add_f64 v[40:41], v[42:43], v[26:27]
	v_add_f64 v[44:45], v[40:41], -v[42:43]
	v_add_f64 v[48:49], v[40:41], -v[44:45]
	;; [unrolled: 1-line block ×4, first 2 shown]
	v_add_f64 v[26:27], v[26:27], v[42:43]
	v_add_f64 v[42:43], v[46:47], v[22:23]
	v_add_f64 v[44:45], v[42:43], -v[46:47]
	v_add_f64 v[26:27], v[42:43], v[26:27]
	v_add_f64 v[48:49], v[42:43], -v[44:45]
	v_add_f64 v[42:43], v[40:41], v[26:27]
	v_add_f64 v[46:47], v[46:47], -v[48:49]
	v_add_f64 v[22:23], v[22:23], -v[44:45]
	v_add_f64 v[40:41], v[42:43], -v[40:41]
	v_add_f64 v[22:23], v[22:23], v[46:47]
	v_add_f64 v[26:27], v[26:27], -v[40:41]
	s_mov_b32 s4, 0
	v_add_f64 v[22:23], v[22:23], v[26:27]
	s_mov_b32 s5, 0x7ff00000
	v_add_f64 v[22:23], v[42:43], v[22:23]
	v_cmp_eq_f64_e64 s[4:5], s[4:5], v[18:19]
	v_cndmask_b32_e64 v22, v22, v18, s[4:5]
	v_cndmask_b32_e64 v23, v23, v19, s[4:5]
	v_mov_b32_e32 v26, 0x7ff80000
	v_cmp_ngt_f64_e64 s[4:5], -1.0, v[18:19]
	v_cndmask_b32_e64 v23, v26, v23, s[4:5]
	v_cmp_nge_f64_e64 s[4:5], -1.0, v[18:19]
	v_cndmask_b32_e64 v22, 0, v22, s[4:5]
	v_mov_b32_e32 v26, 0xfff00000
	v_cmp_neq_f64_e64 s[4:5], -1.0, v[18:19]
	v_cndmask_b32_e64 v23, v26, v23, s[4:5]
	v_add_f64 v[18:19], v[0:1], v[22:23]
.LBB58_82:
	s_or_b64 exec, exec, s[20:21]
	v_max_f64 v[0:1], v[18:19], v[18:19]
	v_min_f64 v[22:23], v[0:1], v[24:25]
	v_cmp_u_f64_e64 s[4:5], v[18:19], v[18:19]
	v_max_f64 v[0:1], v[0:1], v[24:25]
	v_cndmask_b32_e64 v22, v22, v18, s[4:5]
	v_cndmask_b32_e64 v23, v23, v19, s[4:5]
	;; [unrolled: 1-line block ×8, first 2 shown]
	v_cmp_neq_f64_e64 s[4:5], v[22:23], v[0:1]
	v_cmp_class_f64_e64 s[18:19], v[22:23], s33
	s_or_b64 s[4:5], s[4:5], s[18:19]
	v_pk_mov_b32 v[20:21], v[18:19], v[18:19] op_sel:[0,1]
	s_and_saveexec_b64 s[20:21], s[4:5]
	s_cbranch_execz .LBB58_84
; %bb.83:
	s_mov_b32 s4, 0x652b82fe
	v_add_f64 v[20:21], v[22:23], -v[0:1]
	s_mov_b32 s5, 0x3ff71547
	v_mul_f64 v[22:23], v[20:21], s[4:5]
	v_rndne_f64_e32 v[22:23], v[22:23]
	s_mov_b32 s23, 0xbfe62e42
	s_mov_b32 s22, 0xfefa39ef
	v_fma_f64 v[24:25], s[22:23], v[22:23], v[20:21]
	s_mov_b32 s39, 0xbc7abc9e
	s_mov_b32 s38, 0x3b39803f
	;; [unrolled: 1-line block ×3, first 2 shown]
	v_fmac_f64_e32 v[24:25], s[38:39], v[22:23]
	v_mov_b32_e32 v26, 0xfca7ab0c
	v_mov_b32_e32 v27, 0x3e928af3
	s_mov_b32 s5, 0x3e5ade15
	v_fmac_f64_e32 v[26:27], s[4:5], v[24:25]
	v_mov_b32_e32 v40, 0x623fde64
	v_mov_b32_e32 v41, 0x3ec71dee
	v_fmac_f64_e32 v[40:41], v[24:25], v[26:27]
	v_mov_b32_e32 v26, 0x7c89e6b0
	v_mov_b32_e32 v27, 0x3efa0199
	;; [unrolled: 3-line block ×8, first 2 shown]
	v_fmac_f64_e32 v[26:27], v[24:25], v[40:41]
	v_fma_f64 v[26:27], v[24:25], v[26:27], 1.0
	s_mov_b32 s4, 0
	s_mov_b32 s18, 0
	v_fma_f64 v[24:25], v[24:25], v[26:27], 1.0
	v_cvt_i32_f64_e32 v22, v[22:23]
	s_mov_b32 s5, 0x40900000
	s_mov_b32 s19, 0xc090cc00
	v_ldexp_f64 v[22:23], v[24:25], v22
	v_mov_b32_e32 v24, 0x7ff00000
	v_cmp_nlt_f64_e64 s[4:5], s[4:5], v[20:21]
	v_cmp_ngt_f64_e64 s[18:19], s[18:19], v[20:21]
	v_cndmask_b32_e64 v23, v24, v23, s[4:5]
	s_and_b64 s[4:5], s[18:19], s[4:5]
	v_cndmask_b32_e64 v21, 0, v23, s[18:19]
	v_cndmask_b32_e64 v20, 0, v22, s[4:5]
	v_add_f64 v[22:23], v[20:21], 1.0
	v_add_f64 v[24:25], v[22:23], -1.0
	v_add_f64 v[26:27], v[24:25], -v[22:23]
	v_add_f64 v[26:27], v[26:27], 1.0
	v_add_f64 v[24:25], v[20:21], -v[24:25]
	s_mov_b32 s4, 0x55555555
	v_add_f64 v[24:25], v[24:25], v[26:27]
	v_frexp_mant_f64_e32 v[26:27], v[22:23]
	s_mov_b32 s5, 0x3fe55555
	v_frexp_exp_i32_f64_e32 v40, v[22:23]
	v_cmp_gt_f64_e64 s[4:5], s[4:5], v[26:27]
	v_subbrev_co_u32_e64 v56, s[4:5], 0, v40, s[4:5]
	v_sub_u32_e32 v26, 0, v56
	v_ldexp_f64 v[22:23], v[22:23], v26
	v_ldexp_f64 v[24:25], v[24:25], v26
	v_add_f64 v[26:27], v[22:23], -1.0
	v_add_f64 v[44:45], v[22:23], 1.0
	v_add_f64 v[40:41], v[26:27], 1.0
	s_waitcnt lgkmcnt(0)
	v_add_f64 v[46:47], v[44:45], -1.0
	v_add_f64 v[40:41], v[22:23], -v[40:41]
	v_add_f64 v[22:23], v[22:23], -v[46:47]
	v_add_f64 v[22:23], v[24:25], v[22:23]
	v_add_f64 v[40:41], v[24:25], v[40:41]
	;; [unrolled: 1-line block ×3, first 2 shown]
	v_rcp_f64_e32 v[46:47], v[24:25]
	v_add_f64 v[42:43], v[26:27], v[40:41]
	v_add_f64 v[26:27], v[42:43], -v[26:27]
	v_add_f64 v[26:27], v[40:41], -v[26:27]
	;; [unrolled: 1-line block ×4, first 2 shown]
	v_fma_f64 v[40:41], -v[24:25], v[46:47], 1.0
	v_fmac_f64_e32 v[46:47], v[40:41], v[46:47]
	v_fma_f64 v[40:41], -v[24:25], v[46:47], 1.0
	v_fmac_f64_e32 v[46:47], v[40:41], v[46:47]
	v_mul_f64 v[40:41], v[42:43], v[46:47]
	v_mul_f64 v[44:45], v[24:25], v[40:41]
	v_fma_f64 v[48:49], v[40:41], v[24:25], -v[44:45]
	v_fmac_f64_e32 v[48:49], v[40:41], v[22:23]
	v_add_f64 v[50:51], v[44:45], v[48:49]
	v_add_f64 v[52:53], v[42:43], -v[50:51]
	v_add_f64 v[42:43], v[42:43], -v[52:53]
	;; [unrolled: 1-line block ×4, first 2 shown]
	v_add_f64 v[26:27], v[26:27], v[42:43]
	v_add_f64 v[42:43], v[44:45], -v[48:49]
	v_add_f64 v[26:27], v[42:43], v[26:27]
	v_add_f64 v[42:43], v[52:53], v[26:27]
	v_add_f64 v[44:45], v[52:53], -v[42:43]
	v_add_f64 v[26:27], v[26:27], v[44:45]
	v_mul_f64 v[44:45], v[46:47], v[42:43]
	v_mul_f64 v[48:49], v[24:25], v[44:45]
	v_fma_f64 v[24:25], v[44:45], v[24:25], -v[48:49]
	v_fmac_f64_e32 v[24:25], v[44:45], v[22:23]
	v_add_f64 v[22:23], v[48:49], v[24:25]
	v_add_f64 v[50:51], v[42:43], -v[22:23]
	v_add_f64 v[42:43], v[42:43], -v[50:51]
	;; [unrolled: 1-line block ×4, first 2 shown]
	v_add_f64 v[22:23], v[26:27], v[22:23]
	v_add_f64 v[24:25], v[48:49], -v[24:25]
	v_add_f64 v[22:23], v[24:25], v[22:23]
	v_add_f64 v[24:25], v[40:41], v[44:45]
	;; [unrolled: 1-line block ×3, first 2 shown]
	v_add_f64 v[26:27], v[24:25], -v[40:41]
	v_mul_f64 v[22:23], v[46:47], v[22:23]
	v_add_f64 v[26:27], v[44:45], -v[26:27]
	v_add_f64 v[22:23], v[26:27], v[22:23]
	v_add_f64 v[26:27], v[24:25], v[22:23]
	v_add_f64 v[24:25], v[26:27], -v[24:25]
	s_mov_b32 s4, 0xbf559e2b
	v_add_f64 v[22:23], v[22:23], -v[24:25]
	v_mul_f64 v[24:25], v[26:27], v[26:27]
	v_mov_b32_e32 v40, 0x6b47b09a
	v_mov_b32_e32 v41, 0x3fc38538
	s_mov_b32 s5, 0x3fc3ab76
	v_fmac_f64_e32 v[40:41], s[4:5], v[24:25]
	v_mov_b32_e32 v42, 0xd7f4df2e
	v_mov_b32_e32 v43, 0x3fc7474d
	v_fmac_f64_e32 v[42:43], v[24:25], v[40:41]
	v_mov_b32_e32 v40, 0x16291751
	v_mov_b32_e32 v41, 0x3fcc71c0
	;; [unrolled: 3-line block ×5, first 2 shown]
	v_fmac_f64_e32 v[42:43], v[24:25], v[40:41]
	v_cvt_f64_i32_e32 v[40:41], v56
	s_mov_b32 s23, 0x3fe62e42
	v_mul_f64 v[44:45], v[40:41], s[22:23]
	v_fma_f64 v[46:47], v[40:41], s[22:23], -v[44:45]
	s_mov_b32 s39, 0x3c7abc9e
	v_fmac_f64_e32 v[46:47], s[38:39], v[40:41]
	v_add_f64 v[40:41], v[44:45], v[46:47]
	v_add_f64 v[44:45], v[40:41], -v[44:45]
	v_mul_f64 v[24:25], v[26:27], v[24:25]
	v_add_f64 v[44:45], v[46:47], -v[44:45]
	v_ldexp_f64 v[46:47], v[26:27], 1
	v_mul_f64 v[24:25], v[24:25], v[42:43]
	v_add_f64 v[26:27], v[46:47], v[24:25]
	v_add_f64 v[42:43], v[26:27], -v[46:47]
	v_ldexp_f64 v[22:23], v[22:23], 1
	v_add_f64 v[24:25], v[24:25], -v[42:43]
	v_add_f64 v[22:23], v[22:23], v[24:25]
	v_add_f64 v[24:25], v[26:27], v[22:23]
	v_add_f64 v[26:27], v[24:25], -v[26:27]
	v_add_f64 v[22:23], v[22:23], -v[26:27]
	v_add_f64 v[26:27], v[40:41], v[24:25]
	v_add_f64 v[42:43], v[26:27], -v[40:41]
	v_add_f64 v[46:47], v[26:27], -v[42:43]
	;; [unrolled: 1-line block ×4, first 2 shown]
	v_add_f64 v[24:25], v[24:25], v[40:41]
	v_add_f64 v[40:41], v[44:45], v[22:23]
	v_add_f64 v[42:43], v[40:41], -v[44:45]
	v_add_f64 v[24:25], v[40:41], v[24:25]
	v_add_f64 v[46:47], v[40:41], -v[42:43]
	;; [unrolled: 2-line block ×3, first 2 shown]
	v_add_f64 v[22:23], v[22:23], -v[42:43]
	v_add_f64 v[26:27], v[40:41], -v[26:27]
	v_add_f64 v[22:23], v[22:23], v[44:45]
	v_add_f64 v[24:25], v[24:25], -v[26:27]
	s_mov_b32 s4, 0
	v_add_f64 v[22:23], v[22:23], v[24:25]
	s_mov_b32 s5, 0x7ff00000
	v_add_f64 v[22:23], v[40:41], v[22:23]
	v_cmp_eq_f64_e64 s[4:5], s[4:5], v[20:21]
	v_cndmask_b32_e64 v22, v22, v20, s[4:5]
	v_cndmask_b32_e64 v23, v23, v21, s[4:5]
	v_mov_b32_e32 v24, 0x7ff80000
	v_cmp_ngt_f64_e64 s[4:5], -1.0, v[20:21]
	v_cndmask_b32_e64 v23, v24, v23, s[4:5]
	v_cmp_nge_f64_e64 s[4:5], -1.0, v[20:21]
	v_cndmask_b32_e64 v22, 0, v22, s[4:5]
	v_mov_b32_e32 v24, 0xfff00000
	v_cmp_neq_f64_e64 s[4:5], -1.0, v[20:21]
	v_cndmask_b32_e64 v23, v24, v23, s[4:5]
	v_add_f64 v[20:21], v[0:1], v[22:23]
.LBB58_84:
	s_or_b64 exec, exec, s[20:21]
	v_max_f64 v[0:1], v[20:21], v[20:21]
	v_min_f64 v[22:23], v[0:1], v[28:29]
	v_cmp_u_f64_e64 s[4:5], v[20:21], v[20:21]
	v_max_f64 v[0:1], v[0:1], v[28:29]
	v_cndmask_b32_e64 v22, v22, v20, s[4:5]
	v_cndmask_b32_e64 v23, v23, v21, s[4:5]
	;; [unrolled: 1-line block ×8, first 2 shown]
	v_cmp_neq_f64_e64 s[4:5], v[22:23], v[0:1]
	v_cmp_class_f64_e64 s[18:19], v[22:23], s33
	s_or_b64 s[4:5], s[4:5], s[18:19]
	v_pk_mov_b32 v[14:15], v[20:21], v[20:21] op_sel:[0,1]
	s_and_saveexec_b64 s[20:21], s[4:5]
	s_cbranch_execz .LBB58_86
; %bb.85:
	s_mov_b32 s4, 0x652b82fe
	v_add_f64 v[14:15], v[22:23], -v[0:1]
	s_mov_b32 s5, 0x3ff71547
	v_mul_f64 v[22:23], v[14:15], s[4:5]
	v_rndne_f64_e32 v[22:23], v[22:23]
	s_mov_b32 s23, 0xbfe62e42
	s_mov_b32 s22, 0xfefa39ef
	v_fma_f64 v[24:25], s[22:23], v[22:23], v[14:15]
	s_mov_b32 s25, 0xbc7abc9e
	s_mov_b32 s24, 0x3b39803f
	;; [unrolled: 1-line block ×3, first 2 shown]
	v_fmac_f64_e32 v[24:25], s[24:25], v[22:23]
	v_mov_b32_e32 v26, 0xfca7ab0c
	v_mov_b32_e32 v27, 0x3e928af3
	s_mov_b32 s5, 0x3e5ade15
	v_fmac_f64_e32 v[26:27], s[4:5], v[24:25]
	v_mov_b32_e32 v28, 0x623fde64
	v_mov_b32_e32 v29, 0x3ec71dee
	v_fmac_f64_e32 v[28:29], v[24:25], v[26:27]
	v_mov_b32_e32 v26, 0x7c89e6b0
	v_mov_b32_e32 v27, 0x3efa0199
	;; [unrolled: 3-line block ×8, first 2 shown]
	v_fmac_f64_e32 v[26:27], v[24:25], v[28:29]
	v_fma_f64 v[26:27], v[24:25], v[26:27], 1.0
	s_mov_b32 s4, 0
	s_mov_b32 s18, 0
	v_fma_f64 v[24:25], v[24:25], v[26:27], 1.0
	v_cvt_i32_f64_e32 v22, v[22:23]
	s_mov_b32 s5, 0x40900000
	s_mov_b32 s19, 0xc090cc00
	v_ldexp_f64 v[22:23], v[24:25], v22
	v_mov_b32_e32 v24, 0x7ff00000
	v_cmp_nlt_f64_e64 s[4:5], s[4:5], v[14:15]
	v_cmp_ngt_f64_e64 s[18:19], s[18:19], v[14:15]
	v_cndmask_b32_e64 v23, v24, v23, s[4:5]
	s_and_b64 s[4:5], s[18:19], s[4:5]
	v_cndmask_b32_e64 v15, 0, v23, s[18:19]
	v_cndmask_b32_e64 v14, 0, v22, s[4:5]
	v_add_f64 v[22:23], v[14:15], 1.0
	v_add_f64 v[24:25], v[22:23], -1.0
	v_add_f64 v[26:27], v[24:25], -v[22:23]
	v_add_f64 v[26:27], v[26:27], 1.0
	v_add_f64 v[24:25], v[14:15], -v[24:25]
	s_mov_b32 s4, 0x55555555
	v_add_f64 v[24:25], v[24:25], v[26:27]
	v_frexp_mant_f64_e32 v[26:27], v[22:23]
	s_mov_b32 s5, 0x3fe55555
	v_frexp_exp_i32_f64_e32 v28, v[22:23]
	v_cmp_gt_f64_e64 s[4:5], s[4:5], v[26:27]
	v_subbrev_co_u32_e64 v52, s[4:5], 0, v28, s[4:5]
	v_sub_u32_e32 v26, 0, v52
	v_ldexp_f64 v[22:23], v[22:23], v26
	v_ldexp_f64 v[24:25], v[24:25], v26
	v_add_f64 v[26:27], v[22:23], -1.0
	v_add_f64 v[42:43], v[22:23], 1.0
	v_add_f64 v[28:29], v[26:27], 1.0
	v_add_f64 v[44:45], v[42:43], -1.0
	v_add_f64 v[28:29], v[22:23], -v[28:29]
	v_add_f64 v[22:23], v[22:23], -v[44:45]
	v_add_f64 v[22:23], v[24:25], v[22:23]
	v_add_f64 v[28:29], v[24:25], v[28:29]
	;; [unrolled: 1-line block ×3, first 2 shown]
	v_rcp_f64_e32 v[44:45], v[24:25]
	v_add_f64 v[40:41], v[26:27], v[28:29]
	v_add_f64 v[26:27], v[40:41], -v[26:27]
	v_add_f64 v[26:27], v[28:29], -v[26:27]
	;; [unrolled: 1-line block ×4, first 2 shown]
	v_fma_f64 v[28:29], -v[24:25], v[44:45], 1.0
	v_fmac_f64_e32 v[44:45], v[28:29], v[44:45]
	v_fma_f64 v[28:29], -v[24:25], v[44:45], 1.0
	v_fmac_f64_e32 v[44:45], v[28:29], v[44:45]
	v_mul_f64 v[28:29], v[40:41], v[44:45]
	v_mul_f64 v[42:43], v[24:25], v[28:29]
	s_waitcnt lgkmcnt(0)
	v_fma_f64 v[46:47], v[28:29], v[24:25], -v[42:43]
	v_fmac_f64_e32 v[46:47], v[28:29], v[22:23]
	v_add_f64 v[48:49], v[42:43], v[46:47]
	v_add_f64 v[50:51], v[40:41], -v[48:49]
	v_add_f64 v[40:41], v[40:41], -v[50:51]
	;; [unrolled: 1-line block ×4, first 2 shown]
	v_add_f64 v[26:27], v[26:27], v[40:41]
	v_add_f64 v[40:41], v[42:43], -v[46:47]
	v_add_f64 v[26:27], v[40:41], v[26:27]
	v_add_f64 v[40:41], v[50:51], v[26:27]
	v_add_f64 v[42:43], v[50:51], -v[40:41]
	v_add_f64 v[26:27], v[26:27], v[42:43]
	v_mul_f64 v[42:43], v[44:45], v[40:41]
	v_mul_f64 v[46:47], v[24:25], v[42:43]
	v_fma_f64 v[24:25], v[42:43], v[24:25], -v[46:47]
	v_fmac_f64_e32 v[24:25], v[42:43], v[22:23]
	v_add_f64 v[22:23], v[46:47], v[24:25]
	v_add_f64 v[48:49], v[40:41], -v[22:23]
	v_add_f64 v[40:41], v[40:41], -v[48:49]
	;; [unrolled: 1-line block ×4, first 2 shown]
	v_add_f64 v[22:23], v[26:27], v[22:23]
	v_add_f64 v[24:25], v[46:47], -v[24:25]
	v_add_f64 v[22:23], v[24:25], v[22:23]
	v_add_f64 v[24:25], v[28:29], v[42:43]
	;; [unrolled: 1-line block ×3, first 2 shown]
	v_add_f64 v[26:27], v[24:25], -v[28:29]
	v_mul_f64 v[22:23], v[44:45], v[22:23]
	v_add_f64 v[26:27], v[42:43], -v[26:27]
	v_add_f64 v[22:23], v[26:27], v[22:23]
	v_add_f64 v[26:27], v[24:25], v[22:23]
	v_add_f64 v[24:25], v[26:27], -v[24:25]
	s_mov_b32 s4, 0xbf559e2b
	v_add_f64 v[22:23], v[22:23], -v[24:25]
	v_mul_f64 v[24:25], v[26:27], v[26:27]
	v_mov_b32_e32 v28, 0x6b47b09a
	v_mov_b32_e32 v29, 0x3fc38538
	s_mov_b32 s5, 0x3fc3ab76
	v_fmac_f64_e32 v[28:29], s[4:5], v[24:25]
	v_mov_b32_e32 v40, 0xd7f4df2e
	v_mov_b32_e32 v41, 0x3fc7474d
	v_fmac_f64_e32 v[40:41], v[24:25], v[28:29]
	v_mov_b32_e32 v28, 0x16291751
	v_mov_b32_e32 v29, 0x3fcc71c0
	;; [unrolled: 3-line block ×5, first 2 shown]
	v_fmac_f64_e32 v[40:41], v[24:25], v[28:29]
	v_cvt_f64_i32_e32 v[28:29], v52
	s_mov_b32 s23, 0x3fe62e42
	v_mul_f64 v[42:43], v[28:29], s[22:23]
	v_fma_f64 v[44:45], v[28:29], s[22:23], -v[42:43]
	s_mov_b32 s25, 0x3c7abc9e
	v_fmac_f64_e32 v[44:45], s[24:25], v[28:29]
	v_add_f64 v[28:29], v[42:43], v[44:45]
	v_add_f64 v[42:43], v[28:29], -v[42:43]
	v_mul_f64 v[24:25], v[26:27], v[24:25]
	v_add_f64 v[42:43], v[44:45], -v[42:43]
	v_ldexp_f64 v[44:45], v[26:27], 1
	v_mul_f64 v[24:25], v[24:25], v[40:41]
	v_add_f64 v[26:27], v[44:45], v[24:25]
	v_add_f64 v[40:41], v[26:27], -v[44:45]
	v_ldexp_f64 v[22:23], v[22:23], 1
	v_add_f64 v[24:25], v[24:25], -v[40:41]
	v_add_f64 v[22:23], v[22:23], v[24:25]
	v_add_f64 v[24:25], v[26:27], v[22:23]
	v_add_f64 v[26:27], v[24:25], -v[26:27]
	v_add_f64 v[22:23], v[22:23], -v[26:27]
	v_add_f64 v[26:27], v[28:29], v[24:25]
	v_add_f64 v[40:41], v[26:27], -v[28:29]
	v_add_f64 v[44:45], v[26:27], -v[40:41]
	;; [unrolled: 1-line block ×4, first 2 shown]
	v_add_f64 v[24:25], v[24:25], v[28:29]
	v_add_f64 v[28:29], v[42:43], v[22:23]
	v_add_f64 v[40:41], v[28:29], -v[42:43]
	v_add_f64 v[24:25], v[28:29], v[24:25]
	v_add_f64 v[44:45], v[28:29], -v[40:41]
	;; [unrolled: 2-line block ×3, first 2 shown]
	v_add_f64 v[22:23], v[22:23], -v[40:41]
	v_add_f64 v[26:27], v[28:29], -v[26:27]
	v_add_f64 v[22:23], v[22:23], v[42:43]
	v_add_f64 v[24:25], v[24:25], -v[26:27]
	s_mov_b32 s4, 0
	v_add_f64 v[22:23], v[22:23], v[24:25]
	s_mov_b32 s5, 0x7ff00000
	v_add_f64 v[22:23], v[28:29], v[22:23]
	v_cmp_eq_f64_e64 s[4:5], s[4:5], v[14:15]
	v_cndmask_b32_e64 v22, v22, v14, s[4:5]
	v_cndmask_b32_e64 v23, v23, v15, s[4:5]
	v_mov_b32_e32 v24, 0x7ff80000
	v_cmp_ngt_f64_e64 s[4:5], -1.0, v[14:15]
	v_cndmask_b32_e64 v23, v24, v23, s[4:5]
	v_cmp_nge_f64_e64 s[4:5], -1.0, v[14:15]
	v_cndmask_b32_e64 v22, 0, v22, s[4:5]
	v_mov_b32_e32 v24, 0xfff00000
	v_cmp_neq_f64_e64 s[4:5], -1.0, v[14:15]
	v_cndmask_b32_e64 v23, v24, v23, s[4:5]
	v_add_f64 v[14:15], v[0:1], v[22:23]
.LBB58_86:
	s_or_b64 exec, exec, s[20:21]
	v_max_f64 v[0:1], v[14:15], v[14:15]
	v_min_f64 v[22:23], v[0:1], v[30:31]
	v_cmp_u_f64_e64 s[4:5], v[14:15], v[14:15]
	v_max_f64 v[0:1], v[0:1], v[30:31]
	v_cndmask_b32_e64 v22, v22, v14, s[4:5]
	v_cndmask_b32_e64 v23, v23, v15, s[4:5]
	;; [unrolled: 1-line block ×8, first 2 shown]
	s_movk_i32 s26, 0x1f8
	v_cmp_neq_f64_e64 s[4:5], v[22:23], v[0:1]
	v_cmp_class_f64_e64 s[18:19], v[22:23], s26
	s_or_b64 s[4:5], s[4:5], s[18:19]
	v_pk_mov_b32 v[16:17], v[14:15], v[14:15] op_sel:[0,1]
	s_and_saveexec_b64 s[20:21], s[4:5]
	s_cbranch_execz .LBB58_88
; %bb.87:
	s_mov_b32 s4, 0x652b82fe
	v_add_f64 v[16:17], v[22:23], -v[0:1]
	s_mov_b32 s5, 0x3ff71547
	v_mul_f64 v[22:23], v[16:17], s[4:5]
	v_rndne_f64_e32 v[22:23], v[22:23]
	s_mov_b32 s23, 0xbfe62e42
	s_mov_b32 s22, 0xfefa39ef
	v_fma_f64 v[24:25], s[22:23], v[22:23], v[16:17]
	s_mov_b32 s25, 0xbc7abc9e
	s_mov_b32 s24, 0x3b39803f
	s_mov_b32 s4, 0x6a5dcb37
	v_fmac_f64_e32 v[24:25], s[24:25], v[22:23]
	v_mov_b32_e32 v26, 0xfca7ab0c
	v_mov_b32_e32 v27, 0x3e928af3
	s_mov_b32 s5, 0x3e5ade15
	v_fmac_f64_e32 v[26:27], s[4:5], v[24:25]
	v_mov_b32_e32 v28, 0x623fde64
	v_mov_b32_e32 v29, 0x3ec71dee
	v_fmac_f64_e32 v[28:29], v[24:25], v[26:27]
	v_mov_b32_e32 v26, 0x7c89e6b0
	v_mov_b32_e32 v27, 0x3efa0199
	;; [unrolled: 3-line block ×8, first 2 shown]
	v_fmac_f64_e32 v[26:27], v[24:25], v[28:29]
	v_fma_f64 v[26:27], v[24:25], v[26:27], 1.0
	s_mov_b32 s4, 0
	s_mov_b32 s18, 0
	v_fma_f64 v[24:25], v[24:25], v[26:27], 1.0
	v_cvt_i32_f64_e32 v22, v[22:23]
	s_mov_b32 s5, 0x40900000
	s_mov_b32 s19, 0xc090cc00
	v_ldexp_f64 v[22:23], v[24:25], v22
	v_mov_b32_e32 v24, 0x7ff00000
	v_cmp_nlt_f64_e64 s[4:5], s[4:5], v[16:17]
	v_cmp_ngt_f64_e64 s[18:19], s[18:19], v[16:17]
	v_cndmask_b32_e64 v23, v24, v23, s[4:5]
	s_and_b64 s[4:5], s[18:19], s[4:5]
	v_cndmask_b32_e64 v17, 0, v23, s[18:19]
	v_cndmask_b32_e64 v16, 0, v22, s[4:5]
	v_add_f64 v[22:23], v[16:17], 1.0
	v_add_f64 v[24:25], v[22:23], -1.0
	v_add_f64 v[26:27], v[24:25], -v[22:23]
	v_add_f64 v[26:27], v[26:27], 1.0
	v_add_f64 v[24:25], v[16:17], -v[24:25]
	s_mov_b32 s4, 0x55555555
	v_add_f64 v[24:25], v[24:25], v[26:27]
	v_frexp_mant_f64_e32 v[26:27], v[22:23]
	s_mov_b32 s5, 0x3fe55555
	v_frexp_exp_i32_f64_e32 v28, v[22:23]
	v_cmp_gt_f64_e64 s[4:5], s[4:5], v[26:27]
	v_subbrev_co_u32_e64 v50, s[4:5], 0, v28, s[4:5]
	v_sub_u32_e32 v26, 0, v50
	v_ldexp_f64 v[22:23], v[22:23], v26
	v_ldexp_f64 v[24:25], v[24:25], v26
	v_add_f64 v[26:27], v[22:23], -1.0
	v_add_f64 v[40:41], v[22:23], 1.0
	v_add_f64 v[28:29], v[26:27], 1.0
	v_add_f64 v[42:43], v[40:41], -1.0
	v_add_f64 v[28:29], v[22:23], -v[28:29]
	v_add_f64 v[22:23], v[22:23], -v[42:43]
	v_add_f64 v[22:23], v[24:25], v[22:23]
	v_add_f64 v[28:29], v[24:25], v[28:29]
	;; [unrolled: 1-line block ×3, first 2 shown]
	v_rcp_f64_e32 v[42:43], v[24:25]
	v_add_f64 v[30:31], v[26:27], v[28:29]
	v_add_f64 v[26:27], v[30:31], -v[26:27]
	v_add_f64 v[26:27], v[28:29], -v[26:27]
	;; [unrolled: 1-line block ×4, first 2 shown]
	v_fma_f64 v[28:29], -v[24:25], v[42:43], 1.0
	v_fmac_f64_e32 v[42:43], v[28:29], v[42:43]
	v_fma_f64 v[28:29], -v[24:25], v[42:43], 1.0
	v_fmac_f64_e32 v[42:43], v[28:29], v[42:43]
	v_mul_f64 v[28:29], v[30:31], v[42:43]
	v_mul_f64 v[40:41], v[24:25], v[28:29]
	v_fma_f64 v[44:45], v[28:29], v[24:25], -v[40:41]
	v_fmac_f64_e32 v[44:45], v[28:29], v[22:23]
	s_waitcnt lgkmcnt(0)
	v_add_f64 v[46:47], v[40:41], v[44:45]
	v_add_f64 v[48:49], v[30:31], -v[46:47]
	v_add_f64 v[30:31], v[30:31], -v[48:49]
	;; [unrolled: 1-line block ×4, first 2 shown]
	v_add_f64 v[26:27], v[26:27], v[30:31]
	v_add_f64 v[30:31], v[40:41], -v[44:45]
	v_add_f64 v[26:27], v[30:31], v[26:27]
	v_add_f64 v[30:31], v[48:49], v[26:27]
	v_add_f64 v[40:41], v[48:49], -v[30:31]
	v_add_f64 v[26:27], v[26:27], v[40:41]
	v_mul_f64 v[40:41], v[42:43], v[30:31]
	v_mul_f64 v[44:45], v[24:25], v[40:41]
	v_fma_f64 v[24:25], v[40:41], v[24:25], -v[44:45]
	v_fmac_f64_e32 v[24:25], v[40:41], v[22:23]
	v_add_f64 v[22:23], v[44:45], v[24:25]
	v_add_f64 v[46:47], v[30:31], -v[22:23]
	v_add_f64 v[30:31], v[30:31], -v[46:47]
	;; [unrolled: 1-line block ×4, first 2 shown]
	v_add_f64 v[22:23], v[26:27], v[22:23]
	v_add_f64 v[24:25], v[44:45], -v[24:25]
	v_add_f64 v[22:23], v[24:25], v[22:23]
	v_add_f64 v[24:25], v[28:29], v[40:41]
	;; [unrolled: 1-line block ×3, first 2 shown]
	v_add_f64 v[26:27], v[24:25], -v[28:29]
	v_mul_f64 v[22:23], v[42:43], v[22:23]
	v_add_f64 v[26:27], v[40:41], -v[26:27]
	v_add_f64 v[22:23], v[26:27], v[22:23]
	v_add_f64 v[26:27], v[24:25], v[22:23]
	v_add_f64 v[24:25], v[26:27], -v[24:25]
	s_mov_b32 s4, 0xbf559e2b
	v_add_f64 v[22:23], v[22:23], -v[24:25]
	v_mul_f64 v[24:25], v[26:27], v[26:27]
	v_mov_b32_e32 v28, 0x6b47b09a
	v_mov_b32_e32 v29, 0x3fc38538
	s_mov_b32 s5, 0x3fc3ab76
	v_fmac_f64_e32 v[28:29], s[4:5], v[24:25]
	v_mov_b32_e32 v30, 0xd7f4df2e
	v_mov_b32_e32 v31, 0x3fc7474d
	v_fmac_f64_e32 v[30:31], v[24:25], v[28:29]
	v_mov_b32_e32 v28, 0x16291751
	v_mov_b32_e32 v29, 0x3fcc71c0
	;; [unrolled: 3-line block ×5, first 2 shown]
	v_fmac_f64_e32 v[30:31], v[24:25], v[28:29]
	v_cvt_f64_i32_e32 v[28:29], v50
	s_mov_b32 s23, 0x3fe62e42
	v_mul_f64 v[40:41], v[28:29], s[22:23]
	v_fma_f64 v[42:43], v[28:29], s[22:23], -v[40:41]
	s_mov_b32 s25, 0x3c7abc9e
	v_fmac_f64_e32 v[42:43], s[24:25], v[28:29]
	v_add_f64 v[28:29], v[40:41], v[42:43]
	v_add_f64 v[40:41], v[28:29], -v[40:41]
	v_mul_f64 v[24:25], v[26:27], v[24:25]
	v_add_f64 v[40:41], v[42:43], -v[40:41]
	v_ldexp_f64 v[42:43], v[26:27], 1
	v_mul_f64 v[24:25], v[24:25], v[30:31]
	v_add_f64 v[26:27], v[42:43], v[24:25]
	v_add_f64 v[30:31], v[26:27], -v[42:43]
	v_ldexp_f64 v[22:23], v[22:23], 1
	v_add_f64 v[24:25], v[24:25], -v[30:31]
	v_add_f64 v[22:23], v[22:23], v[24:25]
	v_add_f64 v[24:25], v[26:27], v[22:23]
	v_add_f64 v[26:27], v[24:25], -v[26:27]
	v_add_f64 v[22:23], v[22:23], -v[26:27]
	v_add_f64 v[26:27], v[28:29], v[24:25]
	v_add_f64 v[30:31], v[26:27], -v[28:29]
	v_add_f64 v[42:43], v[26:27], -v[30:31]
	;; [unrolled: 1-line block ×4, first 2 shown]
	v_add_f64 v[24:25], v[24:25], v[28:29]
	v_add_f64 v[28:29], v[40:41], v[22:23]
	v_add_f64 v[30:31], v[28:29], -v[40:41]
	v_add_f64 v[24:25], v[28:29], v[24:25]
	v_add_f64 v[42:43], v[28:29], -v[30:31]
	;; [unrolled: 2-line block ×3, first 2 shown]
	v_add_f64 v[22:23], v[22:23], -v[30:31]
	v_add_f64 v[26:27], v[28:29], -v[26:27]
	v_add_f64 v[22:23], v[22:23], v[40:41]
	v_add_f64 v[24:25], v[24:25], -v[26:27]
	s_mov_b32 s4, 0
	v_add_f64 v[22:23], v[22:23], v[24:25]
	s_mov_b32 s5, 0x7ff00000
	v_add_f64 v[22:23], v[28:29], v[22:23]
	v_cmp_eq_f64_e64 s[4:5], s[4:5], v[16:17]
	v_cndmask_b32_e64 v22, v22, v16, s[4:5]
	v_cndmask_b32_e64 v23, v23, v17, s[4:5]
	v_mov_b32_e32 v24, 0x7ff80000
	v_cmp_ngt_f64_e64 s[4:5], -1.0, v[16:17]
	v_cndmask_b32_e64 v23, v24, v23, s[4:5]
	v_cmp_nge_f64_e64 s[4:5], -1.0, v[16:17]
	v_cndmask_b32_e64 v22, 0, v22, s[4:5]
	v_mov_b32_e32 v24, 0xfff00000
	v_cmp_neq_f64_e64 s[4:5], -1.0, v[16:17]
	v_cndmask_b32_e64 v23, v24, v23, s[4:5]
	v_add_f64 v[16:17], v[0:1], v[22:23]
.LBB58_88:
	s_or_b64 exec, exec, s[20:21]
	v_max_f64 v[0:1], v[16:17], v[16:17]
	v_min_f64 v[22:23], v[0:1], v[32:33]
	v_cmp_u_f64_e64 s[4:5], v[16:17], v[16:17]
	v_max_f64 v[0:1], v[0:1], v[32:33]
	v_cndmask_b32_e64 v22, v22, v16, s[4:5]
	v_cndmask_b32_e64 v23, v23, v17, s[4:5]
	;; [unrolled: 1-line block ×8, first 2 shown]
	v_cmp_neq_f64_e64 s[4:5], v[22:23], v[0:1]
	v_cmp_class_f64_e64 s[18:19], v[22:23], s26
	s_or_b64 s[4:5], s[4:5], s[18:19]
	v_pk_mov_b32 v[10:11], v[16:17], v[16:17] op_sel:[0,1]
	s_and_saveexec_b64 s[20:21], s[4:5]
	s_cbranch_execz .LBB58_90
; %bb.89:
	s_mov_b32 s4, 0x652b82fe
	v_add_f64 v[10:11], v[22:23], -v[0:1]
	s_mov_b32 s5, 0x3ff71547
	v_mul_f64 v[22:23], v[10:11], s[4:5]
	v_rndne_f64_e32 v[22:23], v[22:23]
	s_mov_b32 s23, 0xbfe62e42
	s_mov_b32 s22, 0xfefa39ef
	v_fma_f64 v[24:25], s[22:23], v[22:23], v[10:11]
	s_mov_b32 s25, 0xbc7abc9e
	s_mov_b32 s24, 0x3b39803f
	;; [unrolled: 1-line block ×3, first 2 shown]
	v_fmac_f64_e32 v[24:25], s[24:25], v[22:23]
	v_mov_b32_e32 v26, 0xfca7ab0c
	v_mov_b32_e32 v27, 0x3e928af3
	s_mov_b32 s5, 0x3e5ade15
	v_fmac_f64_e32 v[26:27], s[4:5], v[24:25]
	v_mov_b32_e32 v28, 0x623fde64
	v_mov_b32_e32 v29, 0x3ec71dee
	v_fmac_f64_e32 v[28:29], v[24:25], v[26:27]
	v_mov_b32_e32 v26, 0x7c89e6b0
	v_mov_b32_e32 v27, 0x3efa0199
	v_fmac_f64_e32 v[26:27], v[24:25], v[28:29]
	v_mov_b32_e32 v28, 0x14761f6e
	v_mov_b32_e32 v29, 0x3f2a01a0
	v_fmac_f64_e32 v[28:29], v[24:25], v[26:27]
	v_mov_b32_e32 v26, 0x1852b7b0
	v_mov_b32_e32 v27, 0x3f56c16c
	v_fmac_f64_e32 v[26:27], v[24:25], v[28:29]
	v_mov_b32_e32 v28, 0x11122322
	v_mov_b32_e32 v29, 0x3f811111
	v_fmac_f64_e32 v[28:29], v[24:25], v[26:27]
	v_mov_b32_e32 v26, 0x555502a1
	v_mov_b32_e32 v27, 0x3fa55555
	v_fmac_f64_e32 v[26:27], v[24:25], v[28:29]
	v_mov_b32_e32 v28, 0x55555511
	v_mov_b32_e32 v29, 0x3fc55555
	v_fmac_f64_e32 v[28:29], v[24:25], v[26:27]
	v_mov_b32_e32 v26, 11
	v_mov_b32_e32 v27, 0x3fe00000
	v_fmac_f64_e32 v[26:27], v[24:25], v[28:29]
	v_fma_f64 v[26:27], v[24:25], v[26:27], 1.0
	s_mov_b32 s4, 0
	s_mov_b32 s18, 0
	v_fma_f64 v[24:25], v[24:25], v[26:27], 1.0
	v_cvt_i32_f64_e32 v22, v[22:23]
	s_mov_b32 s5, 0x40900000
	s_mov_b32 s19, 0xc090cc00
	v_ldexp_f64 v[22:23], v[24:25], v22
	v_mov_b32_e32 v24, 0x7ff00000
	v_cmp_nlt_f64_e64 s[4:5], s[4:5], v[10:11]
	v_cmp_ngt_f64_e64 s[18:19], s[18:19], v[10:11]
	v_cndmask_b32_e64 v23, v24, v23, s[4:5]
	s_and_b64 s[4:5], s[18:19], s[4:5]
	v_cndmask_b32_e64 v11, 0, v23, s[18:19]
	v_cndmask_b32_e64 v10, 0, v22, s[4:5]
	v_add_f64 v[22:23], v[10:11], 1.0
	v_add_f64 v[24:25], v[22:23], -1.0
	v_add_f64 v[26:27], v[24:25], -v[22:23]
	v_add_f64 v[26:27], v[26:27], 1.0
	v_add_f64 v[24:25], v[10:11], -v[24:25]
	s_mov_b32 s4, 0x55555555
	v_add_f64 v[24:25], v[24:25], v[26:27]
	v_frexp_mant_f64_e32 v[26:27], v[22:23]
	s_mov_b32 s5, 0x3fe55555
	v_frexp_exp_i32_f64_e32 v28, v[22:23]
	v_cmp_gt_f64_e64 s[4:5], s[4:5], v[26:27]
	v_subbrev_co_u32_e64 v48, s[4:5], 0, v28, s[4:5]
	v_sub_u32_e32 v26, 0, v48
	v_ldexp_f64 v[22:23], v[22:23], v26
	v_ldexp_f64 v[24:25], v[24:25], v26
	v_add_f64 v[26:27], v[22:23], -1.0
	v_add_f64 v[32:33], v[22:23], 1.0
	v_add_f64 v[28:29], v[26:27], 1.0
	v_add_f64 v[40:41], v[32:33], -1.0
	v_add_f64 v[28:29], v[22:23], -v[28:29]
	v_add_f64 v[22:23], v[22:23], -v[40:41]
	v_add_f64 v[22:23], v[24:25], v[22:23]
	v_add_f64 v[28:29], v[24:25], v[28:29]
	;; [unrolled: 1-line block ×3, first 2 shown]
	v_rcp_f64_e32 v[40:41], v[24:25]
	v_add_f64 v[30:31], v[26:27], v[28:29]
	v_add_f64 v[26:27], v[30:31], -v[26:27]
	v_add_f64 v[26:27], v[28:29], -v[26:27]
	;; [unrolled: 1-line block ×4, first 2 shown]
	v_fma_f64 v[28:29], -v[24:25], v[40:41], 1.0
	v_fmac_f64_e32 v[40:41], v[28:29], v[40:41]
	v_fma_f64 v[28:29], -v[24:25], v[40:41], 1.0
	v_fmac_f64_e32 v[40:41], v[28:29], v[40:41]
	v_mul_f64 v[28:29], v[30:31], v[40:41]
	v_mul_f64 v[32:33], v[24:25], v[28:29]
	v_fma_f64 v[42:43], v[28:29], v[24:25], -v[32:33]
	v_fmac_f64_e32 v[42:43], v[28:29], v[22:23]
	v_add_f64 v[44:45], v[32:33], v[42:43]
	s_waitcnt lgkmcnt(0)
	v_add_f64 v[46:47], v[30:31], -v[44:45]
	v_add_f64 v[30:31], v[30:31], -v[46:47]
	;; [unrolled: 1-line block ×4, first 2 shown]
	v_add_f64 v[26:27], v[26:27], v[30:31]
	v_add_f64 v[30:31], v[32:33], -v[42:43]
	v_add_f64 v[26:27], v[30:31], v[26:27]
	v_add_f64 v[30:31], v[46:47], v[26:27]
	v_add_f64 v[32:33], v[46:47], -v[30:31]
	v_add_f64 v[26:27], v[26:27], v[32:33]
	v_mul_f64 v[32:33], v[40:41], v[30:31]
	v_mul_f64 v[42:43], v[24:25], v[32:33]
	v_fma_f64 v[24:25], v[32:33], v[24:25], -v[42:43]
	v_fmac_f64_e32 v[24:25], v[32:33], v[22:23]
	v_add_f64 v[22:23], v[42:43], v[24:25]
	v_add_f64 v[44:45], v[30:31], -v[22:23]
	v_add_f64 v[30:31], v[30:31], -v[44:45]
	v_add_f64 v[42:43], v[22:23], -v[42:43]
	v_add_f64 v[22:23], v[30:31], -v[22:23]
	v_add_f64 v[22:23], v[26:27], v[22:23]
	v_add_f64 v[24:25], v[42:43], -v[24:25]
	v_add_f64 v[22:23], v[24:25], v[22:23]
	v_add_f64 v[24:25], v[28:29], v[32:33]
	;; [unrolled: 1-line block ×3, first 2 shown]
	v_add_f64 v[26:27], v[24:25], -v[28:29]
	v_mul_f64 v[22:23], v[40:41], v[22:23]
	v_add_f64 v[26:27], v[32:33], -v[26:27]
	v_add_f64 v[22:23], v[26:27], v[22:23]
	v_add_f64 v[26:27], v[24:25], v[22:23]
	v_add_f64 v[24:25], v[26:27], -v[24:25]
	s_mov_b32 s4, 0xbf559e2b
	v_add_f64 v[22:23], v[22:23], -v[24:25]
	v_mul_f64 v[24:25], v[26:27], v[26:27]
	v_mov_b32_e32 v28, 0x6b47b09a
	v_mov_b32_e32 v29, 0x3fc38538
	s_mov_b32 s5, 0x3fc3ab76
	v_fmac_f64_e32 v[28:29], s[4:5], v[24:25]
	v_mov_b32_e32 v30, 0xd7f4df2e
	v_mov_b32_e32 v31, 0x3fc7474d
	v_fmac_f64_e32 v[30:31], v[24:25], v[28:29]
	v_mov_b32_e32 v28, 0x16291751
	v_mov_b32_e32 v29, 0x3fcc71c0
	v_fmac_f64_e32 v[28:29], v[24:25], v[30:31]
	v_mov_b32_e32 v30, 0x9b27acf1
	v_mov_b32_e32 v31, 0x3fd24924
	v_fmac_f64_e32 v[30:31], v[24:25], v[28:29]
	v_mov_b32_e32 v28, 0x998ef7b6
	v_mov_b32_e32 v29, 0x3fd99999
	v_fmac_f64_e32 v[28:29], v[24:25], v[30:31]
	v_mov_b32_e32 v30, 0x55555780
	v_mov_b32_e32 v31, 0x3fe55555
	v_fmac_f64_e32 v[30:31], v[24:25], v[28:29]
	v_cvt_f64_i32_e32 v[28:29], v48
	s_mov_b32 s23, 0x3fe62e42
	v_mul_f64 v[32:33], v[28:29], s[22:23]
	v_fma_f64 v[40:41], v[28:29], s[22:23], -v[32:33]
	s_mov_b32 s25, 0x3c7abc9e
	v_fmac_f64_e32 v[40:41], s[24:25], v[28:29]
	v_add_f64 v[28:29], v[32:33], v[40:41]
	v_add_f64 v[32:33], v[28:29], -v[32:33]
	v_mul_f64 v[24:25], v[26:27], v[24:25]
	v_add_f64 v[32:33], v[40:41], -v[32:33]
	v_ldexp_f64 v[40:41], v[26:27], 1
	v_mul_f64 v[24:25], v[24:25], v[30:31]
	v_add_f64 v[26:27], v[40:41], v[24:25]
	v_add_f64 v[30:31], v[26:27], -v[40:41]
	v_ldexp_f64 v[22:23], v[22:23], 1
	v_add_f64 v[24:25], v[24:25], -v[30:31]
	v_add_f64 v[22:23], v[22:23], v[24:25]
	v_add_f64 v[24:25], v[26:27], v[22:23]
	v_add_f64 v[26:27], v[24:25], -v[26:27]
	v_add_f64 v[22:23], v[22:23], -v[26:27]
	v_add_f64 v[26:27], v[28:29], v[24:25]
	v_add_f64 v[30:31], v[26:27], -v[28:29]
	v_add_f64 v[40:41], v[26:27], -v[30:31]
	;; [unrolled: 1-line block ×4, first 2 shown]
	v_add_f64 v[24:25], v[24:25], v[28:29]
	v_add_f64 v[28:29], v[32:33], v[22:23]
	v_add_f64 v[30:31], v[28:29], -v[32:33]
	v_add_f64 v[24:25], v[28:29], v[24:25]
	v_add_f64 v[40:41], v[28:29], -v[30:31]
	;; [unrolled: 2-line block ×3, first 2 shown]
	v_add_f64 v[22:23], v[22:23], -v[30:31]
	v_add_f64 v[26:27], v[28:29], -v[26:27]
	v_add_f64 v[22:23], v[22:23], v[32:33]
	v_add_f64 v[24:25], v[24:25], -v[26:27]
	s_mov_b32 s4, 0
	v_add_f64 v[22:23], v[22:23], v[24:25]
	s_mov_b32 s5, 0x7ff00000
	v_add_f64 v[22:23], v[28:29], v[22:23]
	v_cmp_eq_f64_e64 s[4:5], s[4:5], v[10:11]
	v_cndmask_b32_e64 v22, v22, v10, s[4:5]
	v_cndmask_b32_e64 v23, v23, v11, s[4:5]
	v_mov_b32_e32 v24, 0x7ff80000
	v_cmp_ngt_f64_e64 s[4:5], -1.0, v[10:11]
	v_cndmask_b32_e64 v23, v24, v23, s[4:5]
	v_cmp_nge_f64_e64 s[4:5], -1.0, v[10:11]
	v_cndmask_b32_e64 v22, 0, v22, s[4:5]
	v_mov_b32_e32 v24, 0xfff00000
	v_cmp_neq_f64_e64 s[4:5], -1.0, v[10:11]
	v_cndmask_b32_e64 v23, v24, v23, s[4:5]
	v_add_f64 v[10:11], v[0:1], v[22:23]
.LBB58_90:
	s_or_b64 exec, exec, s[20:21]
	v_max_f64 v[0:1], v[10:11], v[10:11]
	v_min_f64 v[22:23], v[0:1], v[34:35]
	v_cmp_u_f64_e64 s[4:5], v[10:11], v[10:11]
	v_max_f64 v[0:1], v[0:1], v[34:35]
	v_cndmask_b32_e64 v22, v22, v10, s[4:5]
	v_cndmask_b32_e64 v23, v23, v11, s[4:5]
	v_cndmask_b32_e64 v0, v0, v10, s[4:5]
	v_cndmask_b32_e64 v1, v1, v11, s[4:5]
	v_cndmask_b32_e64 v23, v23, v13, s[30:31]
	v_cndmask_b32_e64 v22, v22, v12, s[30:31]
	v_cndmask_b32_e64 v1, v1, v13, s[30:31]
	v_cndmask_b32_e64 v0, v0, v12, s[30:31]
	v_cmp_neq_f64_e64 s[4:5], v[22:23], v[0:1]
	v_cmp_class_f64_e64 s[18:19], v[22:23], s26
	s_or_b64 s[4:5], s[4:5], s[18:19]
	v_pk_mov_b32 v[12:13], v[10:11], v[10:11] op_sel:[0,1]
	s_and_saveexec_b64 s[20:21], s[4:5]
	s_cbranch_execz .LBB58_92
; %bb.91:
	s_mov_b32 s4, 0x652b82fe
	v_add_f64 v[12:13], v[22:23], -v[0:1]
	s_mov_b32 s5, 0x3ff71547
	v_mul_f64 v[22:23], v[12:13], s[4:5]
	v_rndne_f64_e32 v[22:23], v[22:23]
	s_mov_b32 s23, 0xbfe62e42
	s_mov_b32 s22, 0xfefa39ef
	v_fma_f64 v[24:25], s[22:23], v[22:23], v[12:13]
	s_mov_b32 s25, 0xbc7abc9e
	s_mov_b32 s24, 0x3b39803f
	;; [unrolled: 1-line block ×3, first 2 shown]
	v_fmac_f64_e32 v[24:25], s[24:25], v[22:23]
	v_mov_b32_e32 v26, 0xfca7ab0c
	v_mov_b32_e32 v27, 0x3e928af3
	s_mov_b32 s5, 0x3e5ade15
	v_fmac_f64_e32 v[26:27], s[4:5], v[24:25]
	v_mov_b32_e32 v28, 0x623fde64
	v_mov_b32_e32 v29, 0x3ec71dee
	v_fmac_f64_e32 v[28:29], v[24:25], v[26:27]
	v_mov_b32_e32 v26, 0x7c89e6b0
	v_mov_b32_e32 v27, 0x3efa0199
	;; [unrolled: 3-line block ×8, first 2 shown]
	v_fmac_f64_e32 v[26:27], v[24:25], v[28:29]
	v_fma_f64 v[26:27], v[24:25], v[26:27], 1.0
	s_mov_b32 s4, 0
	s_mov_b32 s18, 0
	v_fma_f64 v[24:25], v[24:25], v[26:27], 1.0
	v_cvt_i32_f64_e32 v22, v[22:23]
	s_mov_b32 s5, 0x40900000
	s_mov_b32 s19, 0xc090cc00
	v_ldexp_f64 v[22:23], v[24:25], v22
	v_mov_b32_e32 v24, 0x7ff00000
	v_cmp_nlt_f64_e64 s[4:5], s[4:5], v[12:13]
	v_cmp_ngt_f64_e64 s[18:19], s[18:19], v[12:13]
	v_cndmask_b32_e64 v23, v24, v23, s[4:5]
	s_and_b64 s[4:5], s[18:19], s[4:5]
	v_cndmask_b32_e64 v13, 0, v23, s[18:19]
	v_cndmask_b32_e64 v12, 0, v22, s[4:5]
	v_add_f64 v[22:23], v[12:13], 1.0
	v_add_f64 v[24:25], v[22:23], -1.0
	v_add_f64 v[26:27], v[24:25], -v[22:23]
	v_add_f64 v[26:27], v[26:27], 1.0
	v_add_f64 v[24:25], v[12:13], -v[24:25]
	s_mov_b32 s4, 0x55555555
	v_add_f64 v[24:25], v[24:25], v[26:27]
	v_frexp_mant_f64_e32 v[26:27], v[22:23]
	s_mov_b32 s5, 0x3fe55555
	v_frexp_exp_i32_f64_e32 v28, v[22:23]
	v_cmp_gt_f64_e64 s[4:5], s[4:5], v[26:27]
	s_waitcnt lgkmcnt(1)
	v_subbrev_co_u32_e64 v46, s[4:5], 0, v28, s[4:5]
	v_sub_u32_e32 v26, 0, v46
	v_ldexp_f64 v[22:23], v[22:23], v26
	v_ldexp_f64 v[24:25], v[24:25], v26
	v_add_f64 v[26:27], v[22:23], -1.0
	v_add_f64 v[32:33], v[22:23], 1.0
	v_add_f64 v[28:29], v[26:27], 1.0
	v_add_f64 v[34:35], v[32:33], -1.0
	v_add_f64 v[28:29], v[22:23], -v[28:29]
	v_add_f64 v[22:23], v[22:23], -v[34:35]
	v_add_f64 v[22:23], v[24:25], v[22:23]
	v_add_f64 v[28:29], v[24:25], v[28:29]
	;; [unrolled: 1-line block ×3, first 2 shown]
	v_rcp_f64_e32 v[34:35], v[24:25]
	v_add_f64 v[30:31], v[26:27], v[28:29]
	v_add_f64 v[26:27], v[30:31], -v[26:27]
	v_add_f64 v[26:27], v[28:29], -v[26:27]
	;; [unrolled: 1-line block ×4, first 2 shown]
	v_fma_f64 v[28:29], -v[24:25], v[34:35], 1.0
	v_fmac_f64_e32 v[34:35], v[28:29], v[34:35]
	v_fma_f64 v[28:29], -v[24:25], v[34:35], 1.0
	v_fmac_f64_e32 v[34:35], v[28:29], v[34:35]
	v_mul_f64 v[28:29], v[30:31], v[34:35]
	v_mul_f64 v[32:33], v[24:25], v[28:29]
	v_fma_f64 v[40:41], v[28:29], v[24:25], -v[32:33]
	v_fmac_f64_e32 v[40:41], v[28:29], v[22:23]
	v_add_f64 v[42:43], v[32:33], v[40:41]
	v_add_f64 v[44:45], v[30:31], -v[42:43]
	v_add_f64 v[30:31], v[30:31], -v[44:45]
	;; [unrolled: 1-line block ×4, first 2 shown]
	v_add_f64 v[26:27], v[26:27], v[30:31]
	v_add_f64 v[30:31], v[32:33], -v[40:41]
	v_add_f64 v[26:27], v[30:31], v[26:27]
	v_add_f64 v[30:31], v[44:45], v[26:27]
	v_add_f64 v[32:33], v[44:45], -v[30:31]
	v_add_f64 v[26:27], v[26:27], v[32:33]
	v_mul_f64 v[32:33], v[34:35], v[30:31]
	v_mul_f64 v[40:41], v[24:25], v[32:33]
	v_fma_f64 v[24:25], v[32:33], v[24:25], -v[40:41]
	v_fmac_f64_e32 v[24:25], v[32:33], v[22:23]
	v_add_f64 v[22:23], v[40:41], v[24:25]
	v_add_f64 v[42:43], v[30:31], -v[22:23]
	v_add_f64 v[30:31], v[30:31], -v[42:43]
	;; [unrolled: 1-line block ×4, first 2 shown]
	v_add_f64 v[22:23], v[26:27], v[22:23]
	v_add_f64 v[24:25], v[40:41], -v[24:25]
	v_add_f64 v[22:23], v[24:25], v[22:23]
	v_add_f64 v[24:25], v[28:29], v[32:33]
	;; [unrolled: 1-line block ×3, first 2 shown]
	v_add_f64 v[26:27], v[24:25], -v[28:29]
	v_mul_f64 v[22:23], v[34:35], v[22:23]
	v_add_f64 v[26:27], v[32:33], -v[26:27]
	v_add_f64 v[22:23], v[26:27], v[22:23]
	v_add_f64 v[26:27], v[24:25], v[22:23]
	v_add_f64 v[24:25], v[26:27], -v[24:25]
	s_mov_b32 s4, 0xbf559e2b
	v_add_f64 v[22:23], v[22:23], -v[24:25]
	v_mul_f64 v[24:25], v[26:27], v[26:27]
	v_mov_b32_e32 v28, 0x6b47b09a
	v_mov_b32_e32 v29, 0x3fc38538
	s_mov_b32 s5, 0x3fc3ab76
	v_fmac_f64_e32 v[28:29], s[4:5], v[24:25]
	v_mov_b32_e32 v30, 0xd7f4df2e
	v_mov_b32_e32 v31, 0x3fc7474d
	v_fmac_f64_e32 v[30:31], v[24:25], v[28:29]
	v_mov_b32_e32 v28, 0x16291751
	v_mov_b32_e32 v29, 0x3fcc71c0
	;; [unrolled: 3-line block ×5, first 2 shown]
	v_fmac_f64_e32 v[30:31], v[24:25], v[28:29]
	v_cvt_f64_i32_e32 v[28:29], v46
	s_mov_b32 s23, 0x3fe62e42
	v_mul_f64 v[32:33], v[28:29], s[22:23]
	v_fma_f64 v[34:35], v[28:29], s[22:23], -v[32:33]
	s_mov_b32 s25, 0x3c7abc9e
	v_fmac_f64_e32 v[34:35], s[24:25], v[28:29]
	v_add_f64 v[28:29], v[32:33], v[34:35]
	v_add_f64 v[32:33], v[28:29], -v[32:33]
	v_mul_f64 v[24:25], v[26:27], v[24:25]
	v_add_f64 v[32:33], v[34:35], -v[32:33]
	v_ldexp_f64 v[34:35], v[26:27], 1
	v_mul_f64 v[24:25], v[24:25], v[30:31]
	v_add_f64 v[26:27], v[34:35], v[24:25]
	v_add_f64 v[30:31], v[26:27], -v[34:35]
	v_ldexp_f64 v[22:23], v[22:23], 1
	v_add_f64 v[24:25], v[24:25], -v[30:31]
	v_add_f64 v[22:23], v[22:23], v[24:25]
	v_add_f64 v[24:25], v[26:27], v[22:23]
	v_add_f64 v[26:27], v[24:25], -v[26:27]
	v_add_f64 v[22:23], v[22:23], -v[26:27]
	v_add_f64 v[26:27], v[28:29], v[24:25]
	v_add_f64 v[30:31], v[26:27], -v[28:29]
	v_add_f64 v[34:35], v[26:27], -v[30:31]
	v_add_f64 v[28:29], v[28:29], -v[34:35]
	v_add_f64 v[24:25], v[24:25], -v[30:31]
	v_add_f64 v[24:25], v[24:25], v[28:29]
	v_add_f64 v[28:29], v[32:33], v[22:23]
	v_add_f64 v[30:31], v[28:29], -v[32:33]
	v_add_f64 v[24:25], v[28:29], v[24:25]
	v_add_f64 v[34:35], v[28:29], -v[30:31]
	;; [unrolled: 2-line block ×3, first 2 shown]
	v_add_f64 v[22:23], v[22:23], -v[30:31]
	v_add_f64 v[26:27], v[28:29], -v[26:27]
	v_add_f64 v[22:23], v[22:23], v[32:33]
	v_add_f64 v[24:25], v[24:25], -v[26:27]
	s_mov_b32 s4, 0
	v_add_f64 v[22:23], v[22:23], v[24:25]
	s_mov_b32 s5, 0x7ff00000
	v_add_f64 v[22:23], v[28:29], v[22:23]
	v_cmp_eq_f64_e64 s[4:5], s[4:5], v[12:13]
	v_cndmask_b32_e64 v22, v22, v12, s[4:5]
	v_cndmask_b32_e64 v23, v23, v13, s[4:5]
	v_mov_b32_e32 v24, 0x7ff80000
	v_cmp_ngt_f64_e64 s[4:5], -1.0, v[12:13]
	v_cndmask_b32_e64 v23, v24, v23, s[4:5]
	v_cmp_nge_f64_e64 s[4:5], -1.0, v[12:13]
	v_cndmask_b32_e64 v22, 0, v22, s[4:5]
	v_mov_b32_e32 v24, 0xfff00000
	v_cmp_neq_f64_e64 s[4:5], -1.0, v[12:13]
	v_cndmask_b32_e64 v23, v24, v23, s[4:5]
	v_add_f64 v[12:13], v[0:1], v[22:23]
.LBB58_92:
	s_or_b64 exec, exec, s[20:21]
	v_max_f64 v[0:1], v[12:13], v[12:13]
	v_min_f64 v[22:23], v[0:1], v[36:37]
	v_cmp_u_f64_e64 s[4:5], v[12:13], v[12:13]
	v_max_f64 v[0:1], v[0:1], v[36:37]
	v_cndmask_b32_e64 v22, v22, v12, s[4:5]
	v_cndmask_b32_e64 v23, v23, v13, s[4:5]
	;; [unrolled: 1-line block ×8, first 2 shown]
	v_cmp_neq_f64_e64 s[4:5], v[22:23], v[0:1]
	v_cmp_class_f64_e64 s[18:19], v[22:23], s26
	s_or_b64 s[4:5], s[4:5], s[18:19]
	v_pk_mov_b32 v[6:7], v[12:13], v[12:13] op_sel:[0,1]
	s_and_saveexec_b64 s[20:21], s[4:5]
	s_cbranch_execz .LBB58_94
; %bb.93:
	s_mov_b32 s4, 0x652b82fe
	v_add_f64 v[6:7], v[22:23], -v[0:1]
	s_mov_b32 s5, 0x3ff71547
	v_mul_f64 v[22:23], v[6:7], s[4:5]
	v_rndne_f64_e32 v[22:23], v[22:23]
	s_mov_b32 s23, 0xbfe62e42
	s_mov_b32 s22, 0xfefa39ef
	v_fma_f64 v[24:25], s[22:23], v[22:23], v[6:7]
	s_mov_b32 s25, 0xbc7abc9e
	s_mov_b32 s24, 0x3b39803f
	;; [unrolled: 1-line block ×3, first 2 shown]
	v_fmac_f64_e32 v[24:25], s[24:25], v[22:23]
	v_mov_b32_e32 v26, 0xfca7ab0c
	v_mov_b32_e32 v27, 0x3e928af3
	s_mov_b32 s5, 0x3e5ade15
	v_fmac_f64_e32 v[26:27], s[4:5], v[24:25]
	v_mov_b32_e32 v28, 0x623fde64
	v_mov_b32_e32 v29, 0x3ec71dee
	v_fmac_f64_e32 v[28:29], v[24:25], v[26:27]
	v_mov_b32_e32 v26, 0x7c89e6b0
	v_mov_b32_e32 v27, 0x3efa0199
	;; [unrolled: 3-line block ×8, first 2 shown]
	v_fmac_f64_e32 v[26:27], v[24:25], v[28:29]
	v_fma_f64 v[26:27], v[24:25], v[26:27], 1.0
	s_mov_b32 s4, 0
	s_mov_b32 s18, 0
	v_fma_f64 v[24:25], v[24:25], v[26:27], 1.0
	v_cvt_i32_f64_e32 v22, v[22:23]
	s_mov_b32 s5, 0x40900000
	s_mov_b32 s19, 0xc090cc00
	v_ldexp_f64 v[22:23], v[24:25], v22
	v_mov_b32_e32 v24, 0x7ff00000
	v_cmp_nlt_f64_e64 s[4:5], s[4:5], v[6:7]
	v_cmp_ngt_f64_e64 s[18:19], s[18:19], v[6:7]
	v_cndmask_b32_e64 v23, v24, v23, s[4:5]
	s_and_b64 s[4:5], s[18:19], s[4:5]
	v_cndmask_b32_e64 v7, 0, v23, s[18:19]
	v_cndmask_b32_e64 v6, 0, v22, s[4:5]
	v_add_f64 v[22:23], v[6:7], 1.0
	v_add_f64 v[24:25], v[22:23], -1.0
	v_add_f64 v[26:27], v[24:25], -v[22:23]
	v_add_f64 v[26:27], v[26:27], 1.0
	v_add_f64 v[24:25], v[6:7], -v[24:25]
	s_mov_b32 s4, 0x55555555
	v_add_f64 v[24:25], v[24:25], v[26:27]
	v_frexp_mant_f64_e32 v[26:27], v[22:23]
	s_mov_b32 s5, 0x3fe55555
	v_frexp_exp_i32_f64_e32 v28, v[22:23]
	v_cmp_gt_f64_e64 s[4:5], s[4:5], v[26:27]
	v_subbrev_co_u32_e64 v44, s[4:5], 0, v28, s[4:5]
	v_sub_u32_e32 v26, 0, v44
	v_ldexp_f64 v[22:23], v[22:23], v26
	v_ldexp_f64 v[24:25], v[24:25], v26
	v_add_f64 v[26:27], v[22:23], -1.0
	v_add_f64 v[32:33], v[22:23], 1.0
	v_add_f64 v[28:29], v[26:27], 1.0
	v_add_f64 v[34:35], v[32:33], -1.0
	v_add_f64 v[28:29], v[22:23], -v[28:29]
	v_add_f64 v[22:23], v[22:23], -v[34:35]
	v_add_f64 v[22:23], v[24:25], v[22:23]
	v_add_f64 v[28:29], v[24:25], v[28:29]
	;; [unrolled: 1-line block ×3, first 2 shown]
	v_rcp_f64_e32 v[34:35], v[24:25]
	v_add_f64 v[30:31], v[26:27], v[28:29]
	v_add_f64 v[26:27], v[30:31], -v[26:27]
	v_add_f64 v[26:27], v[28:29], -v[26:27]
	;; [unrolled: 1-line block ×4, first 2 shown]
	v_fma_f64 v[28:29], -v[24:25], v[34:35], 1.0
	v_fmac_f64_e32 v[34:35], v[28:29], v[34:35]
	v_fma_f64 v[28:29], -v[24:25], v[34:35], 1.0
	v_fmac_f64_e32 v[34:35], v[28:29], v[34:35]
	v_mul_f64 v[28:29], v[30:31], v[34:35]
	v_mul_f64 v[32:33], v[24:25], v[28:29]
	v_fma_f64 v[36:37], v[28:29], v[24:25], -v[32:33]
	v_fmac_f64_e32 v[36:37], v[28:29], v[22:23]
	v_add_f64 v[40:41], v[32:33], v[36:37]
	v_add_f64 v[42:43], v[30:31], -v[40:41]
	v_add_f64 v[30:31], v[30:31], -v[42:43]
	;; [unrolled: 1-line block ×4, first 2 shown]
	v_add_f64 v[26:27], v[26:27], v[30:31]
	v_add_f64 v[30:31], v[32:33], -v[36:37]
	v_add_f64 v[26:27], v[30:31], v[26:27]
	v_add_f64 v[30:31], v[42:43], v[26:27]
	v_add_f64 v[32:33], v[42:43], -v[30:31]
	v_add_f64 v[26:27], v[26:27], v[32:33]
	v_mul_f64 v[32:33], v[34:35], v[30:31]
	v_mul_f64 v[36:37], v[24:25], v[32:33]
	v_fma_f64 v[24:25], v[32:33], v[24:25], -v[36:37]
	v_fmac_f64_e32 v[24:25], v[32:33], v[22:23]
	v_add_f64 v[22:23], v[36:37], v[24:25]
	v_add_f64 v[40:41], v[30:31], -v[22:23]
	v_add_f64 v[30:31], v[30:31], -v[40:41]
	;; [unrolled: 1-line block ×4, first 2 shown]
	v_add_f64 v[22:23], v[26:27], v[22:23]
	v_add_f64 v[24:25], v[36:37], -v[24:25]
	v_add_f64 v[22:23], v[24:25], v[22:23]
	v_add_f64 v[24:25], v[28:29], v[32:33]
	;; [unrolled: 1-line block ×3, first 2 shown]
	v_add_f64 v[26:27], v[24:25], -v[28:29]
	v_mul_f64 v[22:23], v[34:35], v[22:23]
	v_add_f64 v[26:27], v[32:33], -v[26:27]
	v_add_f64 v[22:23], v[26:27], v[22:23]
	v_add_f64 v[26:27], v[24:25], v[22:23]
	v_add_f64 v[24:25], v[26:27], -v[24:25]
	s_mov_b32 s4, 0xbf559e2b
	v_add_f64 v[22:23], v[22:23], -v[24:25]
	v_mul_f64 v[24:25], v[26:27], v[26:27]
	v_mov_b32_e32 v28, 0x6b47b09a
	v_mov_b32_e32 v29, 0x3fc38538
	s_mov_b32 s5, 0x3fc3ab76
	v_fmac_f64_e32 v[28:29], s[4:5], v[24:25]
	v_mov_b32_e32 v30, 0xd7f4df2e
	v_mov_b32_e32 v31, 0x3fc7474d
	v_fmac_f64_e32 v[30:31], v[24:25], v[28:29]
	v_mov_b32_e32 v28, 0x16291751
	v_mov_b32_e32 v29, 0x3fcc71c0
	;; [unrolled: 3-line block ×5, first 2 shown]
	v_fmac_f64_e32 v[30:31], v[24:25], v[28:29]
	v_cvt_f64_i32_e32 v[28:29], v44
	s_mov_b32 s23, 0x3fe62e42
	v_mul_f64 v[32:33], v[28:29], s[22:23]
	v_fma_f64 v[34:35], v[28:29], s[22:23], -v[32:33]
	s_mov_b32 s25, 0x3c7abc9e
	v_fmac_f64_e32 v[34:35], s[24:25], v[28:29]
	v_add_f64 v[28:29], v[32:33], v[34:35]
	v_add_f64 v[32:33], v[28:29], -v[32:33]
	v_mul_f64 v[24:25], v[26:27], v[24:25]
	v_add_f64 v[32:33], v[34:35], -v[32:33]
	v_ldexp_f64 v[34:35], v[26:27], 1
	v_mul_f64 v[24:25], v[24:25], v[30:31]
	v_add_f64 v[26:27], v[34:35], v[24:25]
	v_add_f64 v[30:31], v[26:27], -v[34:35]
	v_ldexp_f64 v[22:23], v[22:23], 1
	v_add_f64 v[24:25], v[24:25], -v[30:31]
	v_add_f64 v[22:23], v[22:23], v[24:25]
	v_add_f64 v[24:25], v[26:27], v[22:23]
	v_add_f64 v[26:27], v[24:25], -v[26:27]
	v_add_f64 v[22:23], v[22:23], -v[26:27]
	v_add_f64 v[26:27], v[28:29], v[24:25]
	v_add_f64 v[30:31], v[26:27], -v[28:29]
	v_add_f64 v[34:35], v[26:27], -v[30:31]
	;; [unrolled: 1-line block ×4, first 2 shown]
	v_add_f64 v[24:25], v[24:25], v[28:29]
	v_add_f64 v[28:29], v[32:33], v[22:23]
	v_add_f64 v[30:31], v[28:29], -v[32:33]
	v_add_f64 v[24:25], v[28:29], v[24:25]
	v_add_f64 v[34:35], v[28:29], -v[30:31]
	;; [unrolled: 2-line block ×3, first 2 shown]
	v_add_f64 v[22:23], v[22:23], -v[30:31]
	v_add_f64 v[26:27], v[28:29], -v[26:27]
	v_add_f64 v[22:23], v[22:23], v[32:33]
	v_add_f64 v[24:25], v[24:25], -v[26:27]
	s_mov_b32 s4, 0
	v_add_f64 v[22:23], v[22:23], v[24:25]
	s_mov_b32 s5, 0x7ff00000
	v_add_f64 v[22:23], v[28:29], v[22:23]
	v_cmp_eq_f64_e64 s[4:5], s[4:5], v[6:7]
	v_cndmask_b32_e64 v22, v22, v6, s[4:5]
	v_cndmask_b32_e64 v23, v23, v7, s[4:5]
	v_mov_b32_e32 v24, 0x7ff80000
	v_cmp_ngt_f64_e64 s[4:5], -1.0, v[6:7]
	v_cndmask_b32_e64 v23, v24, v23, s[4:5]
	v_cmp_nge_f64_e64 s[4:5], -1.0, v[6:7]
	v_cndmask_b32_e64 v22, 0, v22, s[4:5]
	v_mov_b32_e32 v24, 0xfff00000
	v_cmp_neq_f64_e64 s[4:5], -1.0, v[6:7]
	v_cndmask_b32_e64 v23, v24, v23, s[4:5]
	v_add_f64 v[6:7], v[0:1], v[22:23]
.LBB58_94:
	s_or_b64 exec, exec, s[20:21]
	v_max_f64 v[0:1], v[6:7], v[6:7]
	v_min_f64 v[22:23], v[0:1], v[38:39]
	v_cmp_u_f64_e64 s[4:5], v[6:7], v[6:7]
	v_max_f64 v[0:1], v[0:1], v[38:39]
	v_cndmask_b32_e64 v22, v22, v6, s[4:5]
	v_cndmask_b32_e64 v23, v23, v7, s[4:5]
	;; [unrolled: 1-line block ×8, first 2 shown]
	s_movk_i32 s18, 0x1f8
	v_cmp_neq_f64_e64 s[4:5], v[22:23], v[0:1]
	v_cmp_class_f64_e64 s[18:19], v[22:23], s18
	s_or_b64 s[4:5], s[4:5], s[18:19]
	v_pk_mov_b32 v[8:9], v[6:7], v[6:7] op_sel:[0,1]
	s_and_saveexec_b64 s[20:21], s[4:5]
	s_cbranch_execz .LBB58_96
; %bb.95:
	s_mov_b32 s4, 0x652b82fe
	v_add_f64 v[8:9], v[22:23], -v[0:1]
	s_mov_b32 s5, 0x3ff71547
	v_mul_f64 v[22:23], v[8:9], s[4:5]
	v_rndne_f64_e32 v[22:23], v[22:23]
	s_mov_b32 s23, 0xbfe62e42
	s_mov_b32 s22, 0xfefa39ef
	v_fma_f64 v[24:25], s[22:23], v[22:23], v[8:9]
	s_mov_b32 s25, 0xbc7abc9e
	s_mov_b32 s24, 0x3b39803f
	;; [unrolled: 1-line block ×3, first 2 shown]
	v_fmac_f64_e32 v[24:25], s[24:25], v[22:23]
	v_mov_b32_e32 v26, 0xfca7ab0c
	v_mov_b32_e32 v27, 0x3e928af3
	s_mov_b32 s5, 0x3e5ade15
	v_fmac_f64_e32 v[26:27], s[4:5], v[24:25]
	v_mov_b32_e32 v28, 0x623fde64
	v_mov_b32_e32 v29, 0x3ec71dee
	v_fmac_f64_e32 v[28:29], v[24:25], v[26:27]
	v_mov_b32_e32 v26, 0x7c89e6b0
	v_mov_b32_e32 v27, 0x3efa0199
	v_fmac_f64_e32 v[26:27], v[24:25], v[28:29]
	v_mov_b32_e32 v28, 0x14761f6e
	v_mov_b32_e32 v29, 0x3f2a01a0
	v_fmac_f64_e32 v[28:29], v[24:25], v[26:27]
	v_mov_b32_e32 v26, 0x1852b7b0
	v_mov_b32_e32 v27, 0x3f56c16c
	v_fmac_f64_e32 v[26:27], v[24:25], v[28:29]
	v_mov_b32_e32 v28, 0x11122322
	v_mov_b32_e32 v29, 0x3f811111
	v_fmac_f64_e32 v[28:29], v[24:25], v[26:27]
	v_mov_b32_e32 v26, 0x555502a1
	v_mov_b32_e32 v27, 0x3fa55555
	v_fmac_f64_e32 v[26:27], v[24:25], v[28:29]
	v_mov_b32_e32 v28, 0x55555511
	v_mov_b32_e32 v29, 0x3fc55555
	v_fmac_f64_e32 v[28:29], v[24:25], v[26:27]
	v_mov_b32_e32 v26, 11
	v_mov_b32_e32 v27, 0x3fe00000
	v_fmac_f64_e32 v[26:27], v[24:25], v[28:29]
	v_fma_f64 v[26:27], v[24:25], v[26:27], 1.0
	s_mov_b32 s4, 0
	s_mov_b32 s18, 0
	v_fma_f64 v[24:25], v[24:25], v[26:27], 1.0
	v_cvt_i32_f64_e32 v22, v[22:23]
	s_mov_b32 s5, 0x40900000
	s_mov_b32 s19, 0xc090cc00
	v_ldexp_f64 v[22:23], v[24:25], v22
	v_mov_b32_e32 v24, 0x7ff00000
	v_cmp_nlt_f64_e64 s[4:5], s[4:5], v[8:9]
	v_cmp_ngt_f64_e64 s[18:19], s[18:19], v[8:9]
	v_cndmask_b32_e64 v23, v24, v23, s[4:5]
	s_and_b64 s[4:5], s[18:19], s[4:5]
	v_cndmask_b32_e64 v9, 0, v23, s[18:19]
	v_cndmask_b32_e64 v8, 0, v22, s[4:5]
	v_add_f64 v[22:23], v[8:9], 1.0
	v_add_f64 v[24:25], v[22:23], -1.0
	v_add_f64 v[26:27], v[24:25], -v[22:23]
	v_add_f64 v[26:27], v[26:27], 1.0
	v_add_f64 v[24:25], v[8:9], -v[24:25]
	s_mov_b32 s4, 0x55555555
	v_add_f64 v[24:25], v[24:25], v[26:27]
	v_frexp_mant_f64_e32 v[26:27], v[22:23]
	s_mov_b32 s5, 0x3fe55555
	v_frexp_exp_i32_f64_e32 v28, v[22:23]
	v_cmp_gt_f64_e64 s[4:5], s[4:5], v[26:27]
	v_subbrev_co_u32_e64 v42, s[4:5], 0, v28, s[4:5]
	v_sub_u32_e32 v26, 0, v42
	v_ldexp_f64 v[22:23], v[22:23], v26
	v_ldexp_f64 v[24:25], v[24:25], v26
	v_add_f64 v[26:27], v[22:23], -1.0
	v_add_f64 v[32:33], v[22:23], 1.0
	v_add_f64 v[28:29], v[26:27], 1.0
	v_add_f64 v[34:35], v[32:33], -1.0
	v_add_f64 v[28:29], v[22:23], -v[28:29]
	v_add_f64 v[22:23], v[22:23], -v[34:35]
	v_add_f64 v[22:23], v[24:25], v[22:23]
	v_add_f64 v[28:29], v[24:25], v[28:29]
	;; [unrolled: 1-line block ×3, first 2 shown]
	v_rcp_f64_e32 v[34:35], v[24:25]
	v_add_f64 v[30:31], v[26:27], v[28:29]
	v_add_f64 v[26:27], v[30:31], -v[26:27]
	v_add_f64 v[26:27], v[28:29], -v[26:27]
	;; [unrolled: 1-line block ×4, first 2 shown]
	v_fma_f64 v[28:29], -v[24:25], v[34:35], 1.0
	v_fmac_f64_e32 v[34:35], v[28:29], v[34:35]
	v_fma_f64 v[28:29], -v[24:25], v[34:35], 1.0
	v_fmac_f64_e32 v[34:35], v[28:29], v[34:35]
	v_mul_f64 v[28:29], v[30:31], v[34:35]
	v_mul_f64 v[32:33], v[24:25], v[28:29]
	v_fma_f64 v[36:37], v[28:29], v[24:25], -v[32:33]
	v_fmac_f64_e32 v[36:37], v[28:29], v[22:23]
	v_add_f64 v[38:39], v[32:33], v[36:37]
	v_add_f64 v[40:41], v[30:31], -v[38:39]
	v_add_f64 v[30:31], v[30:31], -v[40:41]
	;; [unrolled: 1-line block ×4, first 2 shown]
	v_add_f64 v[26:27], v[26:27], v[30:31]
	v_add_f64 v[30:31], v[32:33], -v[36:37]
	v_add_f64 v[26:27], v[30:31], v[26:27]
	v_add_f64 v[30:31], v[40:41], v[26:27]
	v_add_f64 v[32:33], v[40:41], -v[30:31]
	v_add_f64 v[26:27], v[26:27], v[32:33]
	v_mul_f64 v[32:33], v[34:35], v[30:31]
	v_mul_f64 v[36:37], v[24:25], v[32:33]
	v_fma_f64 v[24:25], v[32:33], v[24:25], -v[36:37]
	v_fmac_f64_e32 v[24:25], v[32:33], v[22:23]
	v_add_f64 v[22:23], v[36:37], v[24:25]
	v_add_f64 v[38:39], v[30:31], -v[22:23]
	v_add_f64 v[30:31], v[30:31], -v[38:39]
	;; [unrolled: 1-line block ×4, first 2 shown]
	v_add_f64 v[22:23], v[26:27], v[22:23]
	v_add_f64 v[24:25], v[36:37], -v[24:25]
	v_add_f64 v[22:23], v[24:25], v[22:23]
	v_add_f64 v[24:25], v[28:29], v[32:33]
	;; [unrolled: 1-line block ×3, first 2 shown]
	v_add_f64 v[26:27], v[24:25], -v[28:29]
	v_mul_f64 v[22:23], v[34:35], v[22:23]
	v_add_f64 v[26:27], v[32:33], -v[26:27]
	v_add_f64 v[22:23], v[26:27], v[22:23]
	v_add_f64 v[26:27], v[24:25], v[22:23]
	v_add_f64 v[24:25], v[26:27], -v[24:25]
	s_mov_b32 s4, 0xbf559e2b
	v_add_f64 v[22:23], v[22:23], -v[24:25]
	v_mul_f64 v[24:25], v[26:27], v[26:27]
	v_mov_b32_e32 v28, 0x6b47b09a
	v_mov_b32_e32 v29, 0x3fc38538
	s_mov_b32 s5, 0x3fc3ab76
	v_fmac_f64_e32 v[28:29], s[4:5], v[24:25]
	v_mov_b32_e32 v30, 0xd7f4df2e
	v_mov_b32_e32 v31, 0x3fc7474d
	v_fmac_f64_e32 v[30:31], v[24:25], v[28:29]
	v_mov_b32_e32 v28, 0x16291751
	v_mov_b32_e32 v29, 0x3fcc71c0
	;; [unrolled: 3-line block ×5, first 2 shown]
	v_fmac_f64_e32 v[30:31], v[24:25], v[28:29]
	v_cvt_f64_i32_e32 v[28:29], v42
	s_mov_b32 s23, 0x3fe62e42
	v_mul_f64 v[32:33], v[28:29], s[22:23]
	v_fma_f64 v[34:35], v[28:29], s[22:23], -v[32:33]
	s_mov_b32 s25, 0x3c7abc9e
	v_fmac_f64_e32 v[34:35], s[24:25], v[28:29]
	v_add_f64 v[28:29], v[32:33], v[34:35]
	v_add_f64 v[32:33], v[28:29], -v[32:33]
	v_mul_f64 v[24:25], v[26:27], v[24:25]
	v_add_f64 v[32:33], v[34:35], -v[32:33]
	v_ldexp_f64 v[34:35], v[26:27], 1
	v_mul_f64 v[24:25], v[24:25], v[30:31]
	v_add_f64 v[26:27], v[34:35], v[24:25]
	v_add_f64 v[30:31], v[26:27], -v[34:35]
	v_ldexp_f64 v[22:23], v[22:23], 1
	v_add_f64 v[24:25], v[24:25], -v[30:31]
	v_add_f64 v[22:23], v[22:23], v[24:25]
	v_add_f64 v[24:25], v[26:27], v[22:23]
	v_add_f64 v[26:27], v[24:25], -v[26:27]
	v_add_f64 v[22:23], v[22:23], -v[26:27]
	v_add_f64 v[26:27], v[28:29], v[24:25]
	v_add_f64 v[30:31], v[26:27], -v[28:29]
	v_add_f64 v[34:35], v[26:27], -v[30:31]
	;; [unrolled: 1-line block ×4, first 2 shown]
	v_add_f64 v[24:25], v[24:25], v[28:29]
	v_add_f64 v[28:29], v[32:33], v[22:23]
	v_add_f64 v[30:31], v[28:29], -v[32:33]
	v_add_f64 v[24:25], v[28:29], v[24:25]
	v_add_f64 v[34:35], v[28:29], -v[30:31]
	;; [unrolled: 2-line block ×3, first 2 shown]
	v_add_f64 v[22:23], v[22:23], -v[30:31]
	v_add_f64 v[26:27], v[28:29], -v[26:27]
	v_add_f64 v[22:23], v[22:23], v[32:33]
	v_add_f64 v[24:25], v[24:25], -v[26:27]
	s_mov_b32 s4, 0
	v_add_f64 v[22:23], v[22:23], v[24:25]
	s_mov_b32 s5, 0x7ff00000
	v_add_f64 v[22:23], v[28:29], v[22:23]
	v_cmp_eq_f64_e64 s[4:5], s[4:5], v[8:9]
	v_cndmask_b32_e64 v22, v22, v8, s[4:5]
	v_cndmask_b32_e64 v23, v23, v9, s[4:5]
	v_mov_b32_e32 v24, 0x7ff80000
	v_cmp_ngt_f64_e64 s[4:5], -1.0, v[8:9]
	v_cndmask_b32_e64 v23, v24, v23, s[4:5]
	v_cmp_nge_f64_e64 s[4:5], -1.0, v[8:9]
	v_cndmask_b32_e64 v22, 0, v22, s[4:5]
	v_mov_b32_e32 v24, 0xfff00000
	v_cmp_neq_f64_e64 s[4:5], -1.0, v[8:9]
	v_cndmask_b32_e64 v23, v24, v23, s[4:5]
	v_add_f64 v[8:9], v[0:1], v[22:23]
.LBB58_96:
	s_or_b64 exec, exec, s[20:21]
	v_add_u32_e32 v0, v54, v55
	s_waitcnt lgkmcnt(0)
	s_barrier
	ds_write_b128 v0, v[2:5]
	ds_write_b128 v0, v[18:21] offset:16
	ds_write_b128 v0, v[14:17] offset:32
	ds_write_b128 v0, v[10:13] offset:48
	ds_write_b128 v0, v[6:9] offset:64
	s_waitcnt lgkmcnt(0)
	s_barrier
	ds_read2st64_b64 v[12:15], v54 offset0:2 offset1:4
	ds_read2st64_b64 v[8:11], v54 offset0:6 offset1:8
	;; [unrolled: 1-line block ×4, first 2 shown]
	ds_read_b64 v[16:17], v54 offset:9216
	v_mov_b32_e32 v19, s45
	v_add_co_u32_e64 v18, s[4:5], s44, v54
	v_addc_co_u32_e64 v19, s[4:5], 0, v19, s[4:5]
	s_and_saveexec_b64 s[4:5], vcc
	s_cbranch_execnz .LBB58_107
; %bb.97:
	s_or_b64 exec, exec, s[4:5]
	s_and_saveexec_b64 s[4:5], s[0:1]
	s_cbranch_execnz .LBB58_108
.LBB58_98:
	s_or_b64 exec, exec, s[4:5]
	s_and_saveexec_b64 s[0:1], s[2:3]
	s_cbranch_execnz .LBB58_109
.LBB58_99:
	s_or_b64 exec, exec, s[0:1]
	s_and_saveexec_b64 s[0:1], s[40:41]
	s_cbranch_execnz .LBB58_110
.LBB58_100:
	s_or_b64 exec, exec, s[0:1]
	s_and_saveexec_b64 s[0:1], s[6:7]
	s_cbranch_execnz .LBB58_111
.LBB58_101:
	s_or_b64 exec, exec, s[0:1]
	s_and_saveexec_b64 s[0:1], s[8:9]
	s_cbranch_execnz .LBB58_112
.LBB58_102:
	s_or_b64 exec, exec, s[0:1]
	s_and_saveexec_b64 s[0:1], s[10:11]
	s_cbranch_execnz .LBB58_113
.LBB58_103:
	s_or_b64 exec, exec, s[0:1]
	s_and_saveexec_b64 s[0:1], s[12:13]
	s_cbranch_execnz .LBB58_114
.LBB58_104:
	s_or_b64 exec, exec, s[0:1]
	s_and_saveexec_b64 s[0:1], s[14:15]
	s_cbranch_execnz .LBB58_115
.LBB58_105:
	s_or_b64 exec, exec, s[0:1]
	s_and_saveexec_b64 s[0:1], s[16:17]
	s_cbranch_execnz .LBB58_116
.LBB58_106:
	s_endpgm
.LBB58_107:
	ds_read_b64 v[20:21], v54
	s_waitcnt lgkmcnt(0)
	global_store_dwordx2 v[18:19], v[20:21], off
	s_or_b64 exec, exec, s[4:5]
	s_and_saveexec_b64 s[4:5], s[0:1]
	s_cbranch_execz .LBB58_98
.LBB58_108:
	s_waitcnt lgkmcnt(4)
	global_store_dwordx2 v[18:19], v[12:13], off offset:1024
	s_or_b64 exec, exec, s[4:5]
	s_and_saveexec_b64 s[0:1], s[2:3]
	s_cbranch_execz .LBB58_99
.LBB58_109:
	s_waitcnt lgkmcnt(4)
	global_store_dwordx2 v[18:19], v[14:15], off offset:2048
	s_or_b64 exec, exec, s[0:1]
	s_and_saveexec_b64 s[0:1], s[40:41]
	s_cbranch_execz .LBB58_100
.LBB58_110:
	s_waitcnt lgkmcnt(3)
	global_store_dwordx2 v[18:19], v[8:9], off offset:3072
	s_or_b64 exec, exec, s[0:1]
	s_and_saveexec_b64 s[0:1], s[6:7]
	s_cbranch_execz .LBB58_101
.LBB58_111:
	s_waitcnt lgkmcnt(3)
	v_add_co_u32_e32 v8, vcc, 0x1000, v18
	v_addc_co_u32_e32 v9, vcc, 0, v19, vcc
	global_store_dwordx2 v[8:9], v[10:11], off
	s_or_b64 exec, exec, s[0:1]
	s_and_saveexec_b64 s[0:1], s[8:9]
	s_cbranch_execz .LBB58_102
.LBB58_112:
	s_waitcnt lgkmcnt(3)
	v_add_co_u32_e32 v8, vcc, 0x1000, v18
	v_addc_co_u32_e32 v9, vcc, 0, v19, vcc
	s_waitcnt lgkmcnt(2)
	global_store_dwordx2 v[8:9], v[4:5], off offset:1024
	s_or_b64 exec, exec, s[0:1]
	s_and_saveexec_b64 s[0:1], s[10:11]
	s_cbranch_execz .LBB58_103
.LBB58_113:
	s_waitcnt lgkmcnt(2)
	v_add_co_u32_e32 v4, vcc, 0x1000, v18
	v_addc_co_u32_e32 v5, vcc, 0, v19, vcc
	global_store_dwordx2 v[4:5], v[6:7], off offset:2048
	s_or_b64 exec, exec, s[0:1]
	s_and_saveexec_b64 s[0:1], s[12:13]
	s_cbranch_execz .LBB58_104
.LBB58_114:
	s_waitcnt lgkmcnt(2)
	v_add_co_u32_e32 v4, vcc, 0x1000, v18
	v_addc_co_u32_e32 v5, vcc, 0, v19, vcc
	s_waitcnt lgkmcnt(1)
	global_store_dwordx2 v[4:5], v[0:1], off offset:3072
	s_or_b64 exec, exec, s[0:1]
	s_and_saveexec_b64 s[0:1], s[14:15]
	s_cbranch_execz .LBB58_105
.LBB58_115:
	s_waitcnt lgkmcnt(1)
	v_add_co_u32_e32 v0, vcc, 0x2000, v18
	v_addc_co_u32_e32 v1, vcc, 0, v19, vcc
	global_store_dwordx2 v[0:1], v[2:3], off
	s_or_b64 exec, exec, s[0:1]
	s_and_saveexec_b64 s[0:1], s[16:17]
	s_cbranch_execz .LBB58_106
.LBB58_116:
	s_waitcnt lgkmcnt(1)
	v_add_co_u32_e32 v0, vcc, 0x2000, v18
	v_addc_co_u32_e32 v1, vcc, 0, v19, vcc
	s_waitcnt lgkmcnt(0)
	global_store_dwordx2 v[0:1], v[16:17], off offset:1024
	s_endpgm
	.section	.rodata,"a",@progbits
	.p2align	6, 0x0
	.amdhsa_kernel _ZN7rocprim17ROCPRIM_400000_NS6detail17trampoline_kernelINS0_14default_configENS1_20scan_config_selectorIdEEZZNS1_9scan_implILNS1_25lookback_scan_determinismE0ELb0ELb0ES3_PKdPddZZZN2at6native31launch_logcumsumexp_cuda_kernelERKNSB_10TensorBaseESF_lENKUlvE_clEvENKUlvE_clEvEUlddE_dEEDaPvRmT3_T4_T5_mT6_P12ihipStream_tbENKUlT_T0_E_clISt17integral_constantIbLb1EESV_IbLb0EEEEDaSR_SS_EUlSR_E0_NS1_11comp_targetILNS1_3genE4ELNS1_11target_archE910ELNS1_3gpuE8ELNS1_3repE0EEENS1_30default_config_static_selectorELNS0_4arch9wavefront6targetE1EEEvT1_
		.amdhsa_group_segment_fixed_size 10240
		.amdhsa_private_segment_fixed_size 0
		.amdhsa_kernarg_size 40
		.amdhsa_user_sgpr_count 6
		.amdhsa_user_sgpr_private_segment_buffer 1
		.amdhsa_user_sgpr_dispatch_ptr 0
		.amdhsa_user_sgpr_queue_ptr 0
		.amdhsa_user_sgpr_kernarg_segment_ptr 1
		.amdhsa_user_sgpr_dispatch_id 0
		.amdhsa_user_sgpr_flat_scratch_init 0
		.amdhsa_user_sgpr_kernarg_preload_length 0
		.amdhsa_user_sgpr_kernarg_preload_offset 0
		.amdhsa_user_sgpr_private_segment_size 0
		.amdhsa_uses_dynamic_stack 0
		.amdhsa_system_sgpr_private_segment_wavefront_offset 0
		.amdhsa_system_sgpr_workgroup_id_x 1
		.amdhsa_system_sgpr_workgroup_id_y 0
		.amdhsa_system_sgpr_workgroup_id_z 0
		.amdhsa_system_sgpr_workgroup_info 0
		.amdhsa_system_vgpr_workitem_id 0
		.amdhsa_next_free_vgpr 76
		.amdhsa_next_free_sgpr 56
		.amdhsa_accum_offset 76
		.amdhsa_reserve_vcc 1
		.amdhsa_reserve_flat_scratch 0
		.amdhsa_float_round_mode_32 0
		.amdhsa_float_round_mode_16_64 0
		.amdhsa_float_denorm_mode_32 3
		.amdhsa_float_denorm_mode_16_64 3
		.amdhsa_dx10_clamp 1
		.amdhsa_ieee_mode 1
		.amdhsa_fp16_overflow 0
		.amdhsa_tg_split 0
		.amdhsa_exception_fp_ieee_invalid_op 0
		.amdhsa_exception_fp_denorm_src 0
		.amdhsa_exception_fp_ieee_div_zero 0
		.amdhsa_exception_fp_ieee_overflow 0
		.amdhsa_exception_fp_ieee_underflow 0
		.amdhsa_exception_fp_ieee_inexact 0
		.amdhsa_exception_int_div_zero 0
	.end_amdhsa_kernel
	.section	.text._ZN7rocprim17ROCPRIM_400000_NS6detail17trampoline_kernelINS0_14default_configENS1_20scan_config_selectorIdEEZZNS1_9scan_implILNS1_25lookback_scan_determinismE0ELb0ELb0ES3_PKdPddZZZN2at6native31launch_logcumsumexp_cuda_kernelERKNSB_10TensorBaseESF_lENKUlvE_clEvENKUlvE_clEvEUlddE_dEEDaPvRmT3_T4_T5_mT6_P12ihipStream_tbENKUlT_T0_E_clISt17integral_constantIbLb1EESV_IbLb0EEEEDaSR_SS_EUlSR_E0_NS1_11comp_targetILNS1_3genE4ELNS1_11target_archE910ELNS1_3gpuE8ELNS1_3repE0EEENS1_30default_config_static_selectorELNS0_4arch9wavefront6targetE1EEEvT1_,"axG",@progbits,_ZN7rocprim17ROCPRIM_400000_NS6detail17trampoline_kernelINS0_14default_configENS1_20scan_config_selectorIdEEZZNS1_9scan_implILNS1_25lookback_scan_determinismE0ELb0ELb0ES3_PKdPddZZZN2at6native31launch_logcumsumexp_cuda_kernelERKNSB_10TensorBaseESF_lENKUlvE_clEvENKUlvE_clEvEUlddE_dEEDaPvRmT3_T4_T5_mT6_P12ihipStream_tbENKUlT_T0_E_clISt17integral_constantIbLb1EESV_IbLb0EEEEDaSR_SS_EUlSR_E0_NS1_11comp_targetILNS1_3genE4ELNS1_11target_archE910ELNS1_3gpuE8ELNS1_3repE0EEENS1_30default_config_static_selectorELNS0_4arch9wavefront6targetE1EEEvT1_,comdat
.Lfunc_end58:
	.size	_ZN7rocprim17ROCPRIM_400000_NS6detail17trampoline_kernelINS0_14default_configENS1_20scan_config_selectorIdEEZZNS1_9scan_implILNS1_25lookback_scan_determinismE0ELb0ELb0ES3_PKdPddZZZN2at6native31launch_logcumsumexp_cuda_kernelERKNSB_10TensorBaseESF_lENKUlvE_clEvENKUlvE_clEvEUlddE_dEEDaPvRmT3_T4_T5_mT6_P12ihipStream_tbENKUlT_T0_E_clISt17integral_constantIbLb1EESV_IbLb0EEEEDaSR_SS_EUlSR_E0_NS1_11comp_targetILNS1_3genE4ELNS1_11target_archE910ELNS1_3gpuE8ELNS1_3repE0EEENS1_30default_config_static_selectorELNS0_4arch9wavefront6targetE1EEEvT1_, .Lfunc_end58-_ZN7rocprim17ROCPRIM_400000_NS6detail17trampoline_kernelINS0_14default_configENS1_20scan_config_selectorIdEEZZNS1_9scan_implILNS1_25lookback_scan_determinismE0ELb0ELb0ES3_PKdPddZZZN2at6native31launch_logcumsumexp_cuda_kernelERKNSB_10TensorBaseESF_lENKUlvE_clEvENKUlvE_clEvEUlddE_dEEDaPvRmT3_T4_T5_mT6_P12ihipStream_tbENKUlT_T0_E_clISt17integral_constantIbLb1EESV_IbLb0EEEEDaSR_SS_EUlSR_E0_NS1_11comp_targetILNS1_3genE4ELNS1_11target_archE910ELNS1_3gpuE8ELNS1_3repE0EEENS1_30default_config_static_selectorELNS0_4arch9wavefront6targetE1EEEvT1_
                                        ; -- End function
	.section	.AMDGPU.csdata,"",@progbits
; Kernel info:
; codeLenInByte = 44864
; NumSgprs: 60
; NumVgprs: 76
; NumAgprs: 0
; TotalNumVgprs: 76
; ScratchSize: 0
; MemoryBound: 0
; FloatMode: 240
; IeeeMode: 1
; LDSByteSize: 10240 bytes/workgroup (compile time only)
; SGPRBlocks: 7
; VGPRBlocks: 9
; NumSGPRsForWavesPerEU: 60
; NumVGPRsForWavesPerEU: 76
; AccumOffset: 76
; Occupancy: 3
; WaveLimiterHint : 0
; COMPUTE_PGM_RSRC2:SCRATCH_EN: 0
; COMPUTE_PGM_RSRC2:USER_SGPR: 6
; COMPUTE_PGM_RSRC2:TRAP_HANDLER: 0
; COMPUTE_PGM_RSRC2:TGID_X_EN: 1
; COMPUTE_PGM_RSRC2:TGID_Y_EN: 0
; COMPUTE_PGM_RSRC2:TGID_Z_EN: 0
; COMPUTE_PGM_RSRC2:TIDIG_COMP_CNT: 0
; COMPUTE_PGM_RSRC3_GFX90A:ACCUM_OFFSET: 18
; COMPUTE_PGM_RSRC3_GFX90A:TG_SPLIT: 0
	.section	.text._ZN7rocprim17ROCPRIM_400000_NS6detail17trampoline_kernelINS0_14default_configENS1_20scan_config_selectorIdEEZZNS1_9scan_implILNS1_25lookback_scan_determinismE0ELb0ELb0ES3_PKdPddZZZN2at6native31launch_logcumsumexp_cuda_kernelERKNSB_10TensorBaseESF_lENKUlvE_clEvENKUlvE_clEvEUlddE_dEEDaPvRmT3_T4_T5_mT6_P12ihipStream_tbENKUlT_T0_E_clISt17integral_constantIbLb1EESV_IbLb0EEEEDaSR_SS_EUlSR_E0_NS1_11comp_targetILNS1_3genE3ELNS1_11target_archE908ELNS1_3gpuE7ELNS1_3repE0EEENS1_30default_config_static_selectorELNS0_4arch9wavefront6targetE1EEEvT1_,"axG",@progbits,_ZN7rocprim17ROCPRIM_400000_NS6detail17trampoline_kernelINS0_14default_configENS1_20scan_config_selectorIdEEZZNS1_9scan_implILNS1_25lookback_scan_determinismE0ELb0ELb0ES3_PKdPddZZZN2at6native31launch_logcumsumexp_cuda_kernelERKNSB_10TensorBaseESF_lENKUlvE_clEvENKUlvE_clEvEUlddE_dEEDaPvRmT3_T4_T5_mT6_P12ihipStream_tbENKUlT_T0_E_clISt17integral_constantIbLb1EESV_IbLb0EEEEDaSR_SS_EUlSR_E0_NS1_11comp_targetILNS1_3genE3ELNS1_11target_archE908ELNS1_3gpuE7ELNS1_3repE0EEENS1_30default_config_static_selectorELNS0_4arch9wavefront6targetE1EEEvT1_,comdat
	.globl	_ZN7rocprim17ROCPRIM_400000_NS6detail17trampoline_kernelINS0_14default_configENS1_20scan_config_selectorIdEEZZNS1_9scan_implILNS1_25lookback_scan_determinismE0ELb0ELb0ES3_PKdPddZZZN2at6native31launch_logcumsumexp_cuda_kernelERKNSB_10TensorBaseESF_lENKUlvE_clEvENKUlvE_clEvEUlddE_dEEDaPvRmT3_T4_T5_mT6_P12ihipStream_tbENKUlT_T0_E_clISt17integral_constantIbLb1EESV_IbLb0EEEEDaSR_SS_EUlSR_E0_NS1_11comp_targetILNS1_3genE3ELNS1_11target_archE908ELNS1_3gpuE7ELNS1_3repE0EEENS1_30default_config_static_selectorELNS0_4arch9wavefront6targetE1EEEvT1_ ; -- Begin function _ZN7rocprim17ROCPRIM_400000_NS6detail17trampoline_kernelINS0_14default_configENS1_20scan_config_selectorIdEEZZNS1_9scan_implILNS1_25lookback_scan_determinismE0ELb0ELb0ES3_PKdPddZZZN2at6native31launch_logcumsumexp_cuda_kernelERKNSB_10TensorBaseESF_lENKUlvE_clEvENKUlvE_clEvEUlddE_dEEDaPvRmT3_T4_T5_mT6_P12ihipStream_tbENKUlT_T0_E_clISt17integral_constantIbLb1EESV_IbLb0EEEEDaSR_SS_EUlSR_E0_NS1_11comp_targetILNS1_3genE3ELNS1_11target_archE908ELNS1_3gpuE7ELNS1_3repE0EEENS1_30default_config_static_selectorELNS0_4arch9wavefront6targetE1EEEvT1_
	.p2align	8
	.type	_ZN7rocprim17ROCPRIM_400000_NS6detail17trampoline_kernelINS0_14default_configENS1_20scan_config_selectorIdEEZZNS1_9scan_implILNS1_25lookback_scan_determinismE0ELb0ELb0ES3_PKdPddZZZN2at6native31launch_logcumsumexp_cuda_kernelERKNSB_10TensorBaseESF_lENKUlvE_clEvENKUlvE_clEvEUlddE_dEEDaPvRmT3_T4_T5_mT6_P12ihipStream_tbENKUlT_T0_E_clISt17integral_constantIbLb1EESV_IbLb0EEEEDaSR_SS_EUlSR_E0_NS1_11comp_targetILNS1_3genE3ELNS1_11target_archE908ELNS1_3gpuE7ELNS1_3repE0EEENS1_30default_config_static_selectorELNS0_4arch9wavefront6targetE1EEEvT1_,@function
_ZN7rocprim17ROCPRIM_400000_NS6detail17trampoline_kernelINS0_14default_configENS1_20scan_config_selectorIdEEZZNS1_9scan_implILNS1_25lookback_scan_determinismE0ELb0ELb0ES3_PKdPddZZZN2at6native31launch_logcumsumexp_cuda_kernelERKNSB_10TensorBaseESF_lENKUlvE_clEvENKUlvE_clEvEUlddE_dEEDaPvRmT3_T4_T5_mT6_P12ihipStream_tbENKUlT_T0_E_clISt17integral_constantIbLb1EESV_IbLb0EEEEDaSR_SS_EUlSR_E0_NS1_11comp_targetILNS1_3genE3ELNS1_11target_archE908ELNS1_3gpuE7ELNS1_3repE0EEENS1_30default_config_static_selectorELNS0_4arch9wavefront6targetE1EEEvT1_: ; @_ZN7rocprim17ROCPRIM_400000_NS6detail17trampoline_kernelINS0_14default_configENS1_20scan_config_selectorIdEEZZNS1_9scan_implILNS1_25lookback_scan_determinismE0ELb0ELb0ES3_PKdPddZZZN2at6native31launch_logcumsumexp_cuda_kernelERKNSB_10TensorBaseESF_lENKUlvE_clEvENKUlvE_clEvEUlddE_dEEDaPvRmT3_T4_T5_mT6_P12ihipStream_tbENKUlT_T0_E_clISt17integral_constantIbLb1EESV_IbLb0EEEEDaSR_SS_EUlSR_E0_NS1_11comp_targetILNS1_3genE3ELNS1_11target_archE908ELNS1_3gpuE7ELNS1_3repE0EEENS1_30default_config_static_selectorELNS0_4arch9wavefront6targetE1EEEvT1_
; %bb.0:
	.section	.rodata,"a",@progbits
	.p2align	6, 0x0
	.amdhsa_kernel _ZN7rocprim17ROCPRIM_400000_NS6detail17trampoline_kernelINS0_14default_configENS1_20scan_config_selectorIdEEZZNS1_9scan_implILNS1_25lookback_scan_determinismE0ELb0ELb0ES3_PKdPddZZZN2at6native31launch_logcumsumexp_cuda_kernelERKNSB_10TensorBaseESF_lENKUlvE_clEvENKUlvE_clEvEUlddE_dEEDaPvRmT3_T4_T5_mT6_P12ihipStream_tbENKUlT_T0_E_clISt17integral_constantIbLb1EESV_IbLb0EEEEDaSR_SS_EUlSR_E0_NS1_11comp_targetILNS1_3genE3ELNS1_11target_archE908ELNS1_3gpuE7ELNS1_3repE0EEENS1_30default_config_static_selectorELNS0_4arch9wavefront6targetE1EEEvT1_
		.amdhsa_group_segment_fixed_size 0
		.amdhsa_private_segment_fixed_size 0
		.amdhsa_kernarg_size 40
		.amdhsa_user_sgpr_count 6
		.amdhsa_user_sgpr_private_segment_buffer 1
		.amdhsa_user_sgpr_dispatch_ptr 0
		.amdhsa_user_sgpr_queue_ptr 0
		.amdhsa_user_sgpr_kernarg_segment_ptr 1
		.amdhsa_user_sgpr_dispatch_id 0
		.amdhsa_user_sgpr_flat_scratch_init 0
		.amdhsa_user_sgpr_kernarg_preload_length 0
		.amdhsa_user_sgpr_kernarg_preload_offset 0
		.amdhsa_user_sgpr_private_segment_size 0
		.amdhsa_uses_dynamic_stack 0
		.amdhsa_system_sgpr_private_segment_wavefront_offset 0
		.amdhsa_system_sgpr_workgroup_id_x 1
		.amdhsa_system_sgpr_workgroup_id_y 0
		.amdhsa_system_sgpr_workgroup_id_z 0
		.amdhsa_system_sgpr_workgroup_info 0
		.amdhsa_system_vgpr_workitem_id 0
		.amdhsa_next_free_vgpr 1
		.amdhsa_next_free_sgpr 0
		.amdhsa_accum_offset 4
		.amdhsa_reserve_vcc 0
		.amdhsa_reserve_flat_scratch 0
		.amdhsa_float_round_mode_32 0
		.amdhsa_float_round_mode_16_64 0
		.amdhsa_float_denorm_mode_32 3
		.amdhsa_float_denorm_mode_16_64 3
		.amdhsa_dx10_clamp 1
		.amdhsa_ieee_mode 1
		.amdhsa_fp16_overflow 0
		.amdhsa_tg_split 0
		.amdhsa_exception_fp_ieee_invalid_op 0
		.amdhsa_exception_fp_denorm_src 0
		.amdhsa_exception_fp_ieee_div_zero 0
		.amdhsa_exception_fp_ieee_overflow 0
		.amdhsa_exception_fp_ieee_underflow 0
		.amdhsa_exception_fp_ieee_inexact 0
		.amdhsa_exception_int_div_zero 0
	.end_amdhsa_kernel
	.section	.text._ZN7rocprim17ROCPRIM_400000_NS6detail17trampoline_kernelINS0_14default_configENS1_20scan_config_selectorIdEEZZNS1_9scan_implILNS1_25lookback_scan_determinismE0ELb0ELb0ES3_PKdPddZZZN2at6native31launch_logcumsumexp_cuda_kernelERKNSB_10TensorBaseESF_lENKUlvE_clEvENKUlvE_clEvEUlddE_dEEDaPvRmT3_T4_T5_mT6_P12ihipStream_tbENKUlT_T0_E_clISt17integral_constantIbLb1EESV_IbLb0EEEEDaSR_SS_EUlSR_E0_NS1_11comp_targetILNS1_3genE3ELNS1_11target_archE908ELNS1_3gpuE7ELNS1_3repE0EEENS1_30default_config_static_selectorELNS0_4arch9wavefront6targetE1EEEvT1_,"axG",@progbits,_ZN7rocprim17ROCPRIM_400000_NS6detail17trampoline_kernelINS0_14default_configENS1_20scan_config_selectorIdEEZZNS1_9scan_implILNS1_25lookback_scan_determinismE0ELb0ELb0ES3_PKdPddZZZN2at6native31launch_logcumsumexp_cuda_kernelERKNSB_10TensorBaseESF_lENKUlvE_clEvENKUlvE_clEvEUlddE_dEEDaPvRmT3_T4_T5_mT6_P12ihipStream_tbENKUlT_T0_E_clISt17integral_constantIbLb1EESV_IbLb0EEEEDaSR_SS_EUlSR_E0_NS1_11comp_targetILNS1_3genE3ELNS1_11target_archE908ELNS1_3gpuE7ELNS1_3repE0EEENS1_30default_config_static_selectorELNS0_4arch9wavefront6targetE1EEEvT1_,comdat
.Lfunc_end59:
	.size	_ZN7rocprim17ROCPRIM_400000_NS6detail17trampoline_kernelINS0_14default_configENS1_20scan_config_selectorIdEEZZNS1_9scan_implILNS1_25lookback_scan_determinismE0ELb0ELb0ES3_PKdPddZZZN2at6native31launch_logcumsumexp_cuda_kernelERKNSB_10TensorBaseESF_lENKUlvE_clEvENKUlvE_clEvEUlddE_dEEDaPvRmT3_T4_T5_mT6_P12ihipStream_tbENKUlT_T0_E_clISt17integral_constantIbLb1EESV_IbLb0EEEEDaSR_SS_EUlSR_E0_NS1_11comp_targetILNS1_3genE3ELNS1_11target_archE908ELNS1_3gpuE7ELNS1_3repE0EEENS1_30default_config_static_selectorELNS0_4arch9wavefront6targetE1EEEvT1_, .Lfunc_end59-_ZN7rocprim17ROCPRIM_400000_NS6detail17trampoline_kernelINS0_14default_configENS1_20scan_config_selectorIdEEZZNS1_9scan_implILNS1_25lookback_scan_determinismE0ELb0ELb0ES3_PKdPddZZZN2at6native31launch_logcumsumexp_cuda_kernelERKNSB_10TensorBaseESF_lENKUlvE_clEvENKUlvE_clEvEUlddE_dEEDaPvRmT3_T4_T5_mT6_P12ihipStream_tbENKUlT_T0_E_clISt17integral_constantIbLb1EESV_IbLb0EEEEDaSR_SS_EUlSR_E0_NS1_11comp_targetILNS1_3genE3ELNS1_11target_archE908ELNS1_3gpuE7ELNS1_3repE0EEENS1_30default_config_static_selectorELNS0_4arch9wavefront6targetE1EEEvT1_
                                        ; -- End function
	.section	.AMDGPU.csdata,"",@progbits
; Kernel info:
; codeLenInByte = 0
; NumSgprs: 4
; NumVgprs: 0
; NumAgprs: 0
; TotalNumVgprs: 0
; ScratchSize: 0
; MemoryBound: 0
; FloatMode: 240
; IeeeMode: 1
; LDSByteSize: 0 bytes/workgroup (compile time only)
; SGPRBlocks: 0
; VGPRBlocks: 0
; NumSGPRsForWavesPerEU: 4
; NumVGPRsForWavesPerEU: 1
; AccumOffset: 4
; Occupancy: 8
; WaveLimiterHint : 0
; COMPUTE_PGM_RSRC2:SCRATCH_EN: 0
; COMPUTE_PGM_RSRC2:USER_SGPR: 6
; COMPUTE_PGM_RSRC2:TRAP_HANDLER: 0
; COMPUTE_PGM_RSRC2:TGID_X_EN: 1
; COMPUTE_PGM_RSRC2:TGID_Y_EN: 0
; COMPUTE_PGM_RSRC2:TGID_Z_EN: 0
; COMPUTE_PGM_RSRC2:TIDIG_COMP_CNT: 0
; COMPUTE_PGM_RSRC3_GFX90A:ACCUM_OFFSET: 0
; COMPUTE_PGM_RSRC3_GFX90A:TG_SPLIT: 0
	.section	.text._ZN7rocprim17ROCPRIM_400000_NS6detail17trampoline_kernelINS0_14default_configENS1_20scan_config_selectorIdEEZZNS1_9scan_implILNS1_25lookback_scan_determinismE0ELb0ELb0ES3_PKdPddZZZN2at6native31launch_logcumsumexp_cuda_kernelERKNSB_10TensorBaseESF_lENKUlvE_clEvENKUlvE_clEvEUlddE_dEEDaPvRmT3_T4_T5_mT6_P12ihipStream_tbENKUlT_T0_E_clISt17integral_constantIbLb1EESV_IbLb0EEEEDaSR_SS_EUlSR_E0_NS1_11comp_targetILNS1_3genE2ELNS1_11target_archE906ELNS1_3gpuE6ELNS1_3repE0EEENS1_30default_config_static_selectorELNS0_4arch9wavefront6targetE1EEEvT1_,"axG",@progbits,_ZN7rocprim17ROCPRIM_400000_NS6detail17trampoline_kernelINS0_14default_configENS1_20scan_config_selectorIdEEZZNS1_9scan_implILNS1_25lookback_scan_determinismE0ELb0ELb0ES3_PKdPddZZZN2at6native31launch_logcumsumexp_cuda_kernelERKNSB_10TensorBaseESF_lENKUlvE_clEvENKUlvE_clEvEUlddE_dEEDaPvRmT3_T4_T5_mT6_P12ihipStream_tbENKUlT_T0_E_clISt17integral_constantIbLb1EESV_IbLb0EEEEDaSR_SS_EUlSR_E0_NS1_11comp_targetILNS1_3genE2ELNS1_11target_archE906ELNS1_3gpuE6ELNS1_3repE0EEENS1_30default_config_static_selectorELNS0_4arch9wavefront6targetE1EEEvT1_,comdat
	.globl	_ZN7rocprim17ROCPRIM_400000_NS6detail17trampoline_kernelINS0_14default_configENS1_20scan_config_selectorIdEEZZNS1_9scan_implILNS1_25lookback_scan_determinismE0ELb0ELb0ES3_PKdPddZZZN2at6native31launch_logcumsumexp_cuda_kernelERKNSB_10TensorBaseESF_lENKUlvE_clEvENKUlvE_clEvEUlddE_dEEDaPvRmT3_T4_T5_mT6_P12ihipStream_tbENKUlT_T0_E_clISt17integral_constantIbLb1EESV_IbLb0EEEEDaSR_SS_EUlSR_E0_NS1_11comp_targetILNS1_3genE2ELNS1_11target_archE906ELNS1_3gpuE6ELNS1_3repE0EEENS1_30default_config_static_selectorELNS0_4arch9wavefront6targetE1EEEvT1_ ; -- Begin function _ZN7rocprim17ROCPRIM_400000_NS6detail17trampoline_kernelINS0_14default_configENS1_20scan_config_selectorIdEEZZNS1_9scan_implILNS1_25lookback_scan_determinismE0ELb0ELb0ES3_PKdPddZZZN2at6native31launch_logcumsumexp_cuda_kernelERKNSB_10TensorBaseESF_lENKUlvE_clEvENKUlvE_clEvEUlddE_dEEDaPvRmT3_T4_T5_mT6_P12ihipStream_tbENKUlT_T0_E_clISt17integral_constantIbLb1EESV_IbLb0EEEEDaSR_SS_EUlSR_E0_NS1_11comp_targetILNS1_3genE2ELNS1_11target_archE906ELNS1_3gpuE6ELNS1_3repE0EEENS1_30default_config_static_selectorELNS0_4arch9wavefront6targetE1EEEvT1_
	.p2align	8
	.type	_ZN7rocprim17ROCPRIM_400000_NS6detail17trampoline_kernelINS0_14default_configENS1_20scan_config_selectorIdEEZZNS1_9scan_implILNS1_25lookback_scan_determinismE0ELb0ELb0ES3_PKdPddZZZN2at6native31launch_logcumsumexp_cuda_kernelERKNSB_10TensorBaseESF_lENKUlvE_clEvENKUlvE_clEvEUlddE_dEEDaPvRmT3_T4_T5_mT6_P12ihipStream_tbENKUlT_T0_E_clISt17integral_constantIbLb1EESV_IbLb0EEEEDaSR_SS_EUlSR_E0_NS1_11comp_targetILNS1_3genE2ELNS1_11target_archE906ELNS1_3gpuE6ELNS1_3repE0EEENS1_30default_config_static_selectorELNS0_4arch9wavefront6targetE1EEEvT1_,@function
_ZN7rocprim17ROCPRIM_400000_NS6detail17trampoline_kernelINS0_14default_configENS1_20scan_config_selectorIdEEZZNS1_9scan_implILNS1_25lookback_scan_determinismE0ELb0ELb0ES3_PKdPddZZZN2at6native31launch_logcumsumexp_cuda_kernelERKNSB_10TensorBaseESF_lENKUlvE_clEvENKUlvE_clEvEUlddE_dEEDaPvRmT3_T4_T5_mT6_P12ihipStream_tbENKUlT_T0_E_clISt17integral_constantIbLb1EESV_IbLb0EEEEDaSR_SS_EUlSR_E0_NS1_11comp_targetILNS1_3genE2ELNS1_11target_archE906ELNS1_3gpuE6ELNS1_3repE0EEENS1_30default_config_static_selectorELNS0_4arch9wavefront6targetE1EEEvT1_: ; @_ZN7rocprim17ROCPRIM_400000_NS6detail17trampoline_kernelINS0_14default_configENS1_20scan_config_selectorIdEEZZNS1_9scan_implILNS1_25lookback_scan_determinismE0ELb0ELb0ES3_PKdPddZZZN2at6native31launch_logcumsumexp_cuda_kernelERKNSB_10TensorBaseESF_lENKUlvE_clEvENKUlvE_clEvEUlddE_dEEDaPvRmT3_T4_T5_mT6_P12ihipStream_tbENKUlT_T0_E_clISt17integral_constantIbLb1EESV_IbLb0EEEEDaSR_SS_EUlSR_E0_NS1_11comp_targetILNS1_3genE2ELNS1_11target_archE906ELNS1_3gpuE6ELNS1_3repE0EEENS1_30default_config_static_selectorELNS0_4arch9wavefront6targetE1EEEvT1_
; %bb.0:
	.section	.rodata,"a",@progbits
	.p2align	6, 0x0
	.amdhsa_kernel _ZN7rocprim17ROCPRIM_400000_NS6detail17trampoline_kernelINS0_14default_configENS1_20scan_config_selectorIdEEZZNS1_9scan_implILNS1_25lookback_scan_determinismE0ELb0ELb0ES3_PKdPddZZZN2at6native31launch_logcumsumexp_cuda_kernelERKNSB_10TensorBaseESF_lENKUlvE_clEvENKUlvE_clEvEUlddE_dEEDaPvRmT3_T4_T5_mT6_P12ihipStream_tbENKUlT_T0_E_clISt17integral_constantIbLb1EESV_IbLb0EEEEDaSR_SS_EUlSR_E0_NS1_11comp_targetILNS1_3genE2ELNS1_11target_archE906ELNS1_3gpuE6ELNS1_3repE0EEENS1_30default_config_static_selectorELNS0_4arch9wavefront6targetE1EEEvT1_
		.amdhsa_group_segment_fixed_size 0
		.amdhsa_private_segment_fixed_size 0
		.amdhsa_kernarg_size 40
		.amdhsa_user_sgpr_count 6
		.amdhsa_user_sgpr_private_segment_buffer 1
		.amdhsa_user_sgpr_dispatch_ptr 0
		.amdhsa_user_sgpr_queue_ptr 0
		.amdhsa_user_sgpr_kernarg_segment_ptr 1
		.amdhsa_user_sgpr_dispatch_id 0
		.amdhsa_user_sgpr_flat_scratch_init 0
		.amdhsa_user_sgpr_kernarg_preload_length 0
		.amdhsa_user_sgpr_kernarg_preload_offset 0
		.amdhsa_user_sgpr_private_segment_size 0
		.amdhsa_uses_dynamic_stack 0
		.amdhsa_system_sgpr_private_segment_wavefront_offset 0
		.amdhsa_system_sgpr_workgroup_id_x 1
		.amdhsa_system_sgpr_workgroup_id_y 0
		.amdhsa_system_sgpr_workgroup_id_z 0
		.amdhsa_system_sgpr_workgroup_info 0
		.amdhsa_system_vgpr_workitem_id 0
		.amdhsa_next_free_vgpr 1
		.amdhsa_next_free_sgpr 0
		.amdhsa_accum_offset 4
		.amdhsa_reserve_vcc 0
		.amdhsa_reserve_flat_scratch 0
		.amdhsa_float_round_mode_32 0
		.amdhsa_float_round_mode_16_64 0
		.amdhsa_float_denorm_mode_32 3
		.amdhsa_float_denorm_mode_16_64 3
		.amdhsa_dx10_clamp 1
		.amdhsa_ieee_mode 1
		.amdhsa_fp16_overflow 0
		.amdhsa_tg_split 0
		.amdhsa_exception_fp_ieee_invalid_op 0
		.amdhsa_exception_fp_denorm_src 0
		.amdhsa_exception_fp_ieee_div_zero 0
		.amdhsa_exception_fp_ieee_overflow 0
		.amdhsa_exception_fp_ieee_underflow 0
		.amdhsa_exception_fp_ieee_inexact 0
		.amdhsa_exception_int_div_zero 0
	.end_amdhsa_kernel
	.section	.text._ZN7rocprim17ROCPRIM_400000_NS6detail17trampoline_kernelINS0_14default_configENS1_20scan_config_selectorIdEEZZNS1_9scan_implILNS1_25lookback_scan_determinismE0ELb0ELb0ES3_PKdPddZZZN2at6native31launch_logcumsumexp_cuda_kernelERKNSB_10TensorBaseESF_lENKUlvE_clEvENKUlvE_clEvEUlddE_dEEDaPvRmT3_T4_T5_mT6_P12ihipStream_tbENKUlT_T0_E_clISt17integral_constantIbLb1EESV_IbLb0EEEEDaSR_SS_EUlSR_E0_NS1_11comp_targetILNS1_3genE2ELNS1_11target_archE906ELNS1_3gpuE6ELNS1_3repE0EEENS1_30default_config_static_selectorELNS0_4arch9wavefront6targetE1EEEvT1_,"axG",@progbits,_ZN7rocprim17ROCPRIM_400000_NS6detail17trampoline_kernelINS0_14default_configENS1_20scan_config_selectorIdEEZZNS1_9scan_implILNS1_25lookback_scan_determinismE0ELb0ELb0ES3_PKdPddZZZN2at6native31launch_logcumsumexp_cuda_kernelERKNSB_10TensorBaseESF_lENKUlvE_clEvENKUlvE_clEvEUlddE_dEEDaPvRmT3_T4_T5_mT6_P12ihipStream_tbENKUlT_T0_E_clISt17integral_constantIbLb1EESV_IbLb0EEEEDaSR_SS_EUlSR_E0_NS1_11comp_targetILNS1_3genE2ELNS1_11target_archE906ELNS1_3gpuE6ELNS1_3repE0EEENS1_30default_config_static_selectorELNS0_4arch9wavefront6targetE1EEEvT1_,comdat
.Lfunc_end60:
	.size	_ZN7rocprim17ROCPRIM_400000_NS6detail17trampoline_kernelINS0_14default_configENS1_20scan_config_selectorIdEEZZNS1_9scan_implILNS1_25lookback_scan_determinismE0ELb0ELb0ES3_PKdPddZZZN2at6native31launch_logcumsumexp_cuda_kernelERKNSB_10TensorBaseESF_lENKUlvE_clEvENKUlvE_clEvEUlddE_dEEDaPvRmT3_T4_T5_mT6_P12ihipStream_tbENKUlT_T0_E_clISt17integral_constantIbLb1EESV_IbLb0EEEEDaSR_SS_EUlSR_E0_NS1_11comp_targetILNS1_3genE2ELNS1_11target_archE906ELNS1_3gpuE6ELNS1_3repE0EEENS1_30default_config_static_selectorELNS0_4arch9wavefront6targetE1EEEvT1_, .Lfunc_end60-_ZN7rocprim17ROCPRIM_400000_NS6detail17trampoline_kernelINS0_14default_configENS1_20scan_config_selectorIdEEZZNS1_9scan_implILNS1_25lookback_scan_determinismE0ELb0ELb0ES3_PKdPddZZZN2at6native31launch_logcumsumexp_cuda_kernelERKNSB_10TensorBaseESF_lENKUlvE_clEvENKUlvE_clEvEUlddE_dEEDaPvRmT3_T4_T5_mT6_P12ihipStream_tbENKUlT_T0_E_clISt17integral_constantIbLb1EESV_IbLb0EEEEDaSR_SS_EUlSR_E0_NS1_11comp_targetILNS1_3genE2ELNS1_11target_archE906ELNS1_3gpuE6ELNS1_3repE0EEENS1_30default_config_static_selectorELNS0_4arch9wavefront6targetE1EEEvT1_
                                        ; -- End function
	.section	.AMDGPU.csdata,"",@progbits
; Kernel info:
; codeLenInByte = 0
; NumSgprs: 4
; NumVgprs: 0
; NumAgprs: 0
; TotalNumVgprs: 0
; ScratchSize: 0
; MemoryBound: 0
; FloatMode: 240
; IeeeMode: 1
; LDSByteSize: 0 bytes/workgroup (compile time only)
; SGPRBlocks: 0
; VGPRBlocks: 0
; NumSGPRsForWavesPerEU: 4
; NumVGPRsForWavesPerEU: 1
; AccumOffset: 4
; Occupancy: 8
; WaveLimiterHint : 0
; COMPUTE_PGM_RSRC2:SCRATCH_EN: 0
; COMPUTE_PGM_RSRC2:USER_SGPR: 6
; COMPUTE_PGM_RSRC2:TRAP_HANDLER: 0
; COMPUTE_PGM_RSRC2:TGID_X_EN: 1
; COMPUTE_PGM_RSRC2:TGID_Y_EN: 0
; COMPUTE_PGM_RSRC2:TGID_Z_EN: 0
; COMPUTE_PGM_RSRC2:TIDIG_COMP_CNT: 0
; COMPUTE_PGM_RSRC3_GFX90A:ACCUM_OFFSET: 0
; COMPUTE_PGM_RSRC3_GFX90A:TG_SPLIT: 0
	.section	.text._ZN7rocprim17ROCPRIM_400000_NS6detail17trampoline_kernelINS0_14default_configENS1_20scan_config_selectorIdEEZZNS1_9scan_implILNS1_25lookback_scan_determinismE0ELb0ELb0ES3_PKdPddZZZN2at6native31launch_logcumsumexp_cuda_kernelERKNSB_10TensorBaseESF_lENKUlvE_clEvENKUlvE_clEvEUlddE_dEEDaPvRmT3_T4_T5_mT6_P12ihipStream_tbENKUlT_T0_E_clISt17integral_constantIbLb1EESV_IbLb0EEEEDaSR_SS_EUlSR_E0_NS1_11comp_targetILNS1_3genE10ELNS1_11target_archE1201ELNS1_3gpuE5ELNS1_3repE0EEENS1_30default_config_static_selectorELNS0_4arch9wavefront6targetE1EEEvT1_,"axG",@progbits,_ZN7rocprim17ROCPRIM_400000_NS6detail17trampoline_kernelINS0_14default_configENS1_20scan_config_selectorIdEEZZNS1_9scan_implILNS1_25lookback_scan_determinismE0ELb0ELb0ES3_PKdPddZZZN2at6native31launch_logcumsumexp_cuda_kernelERKNSB_10TensorBaseESF_lENKUlvE_clEvENKUlvE_clEvEUlddE_dEEDaPvRmT3_T4_T5_mT6_P12ihipStream_tbENKUlT_T0_E_clISt17integral_constantIbLb1EESV_IbLb0EEEEDaSR_SS_EUlSR_E0_NS1_11comp_targetILNS1_3genE10ELNS1_11target_archE1201ELNS1_3gpuE5ELNS1_3repE0EEENS1_30default_config_static_selectorELNS0_4arch9wavefront6targetE1EEEvT1_,comdat
	.globl	_ZN7rocprim17ROCPRIM_400000_NS6detail17trampoline_kernelINS0_14default_configENS1_20scan_config_selectorIdEEZZNS1_9scan_implILNS1_25lookback_scan_determinismE0ELb0ELb0ES3_PKdPddZZZN2at6native31launch_logcumsumexp_cuda_kernelERKNSB_10TensorBaseESF_lENKUlvE_clEvENKUlvE_clEvEUlddE_dEEDaPvRmT3_T4_T5_mT6_P12ihipStream_tbENKUlT_T0_E_clISt17integral_constantIbLb1EESV_IbLb0EEEEDaSR_SS_EUlSR_E0_NS1_11comp_targetILNS1_3genE10ELNS1_11target_archE1201ELNS1_3gpuE5ELNS1_3repE0EEENS1_30default_config_static_selectorELNS0_4arch9wavefront6targetE1EEEvT1_ ; -- Begin function _ZN7rocprim17ROCPRIM_400000_NS6detail17trampoline_kernelINS0_14default_configENS1_20scan_config_selectorIdEEZZNS1_9scan_implILNS1_25lookback_scan_determinismE0ELb0ELb0ES3_PKdPddZZZN2at6native31launch_logcumsumexp_cuda_kernelERKNSB_10TensorBaseESF_lENKUlvE_clEvENKUlvE_clEvEUlddE_dEEDaPvRmT3_T4_T5_mT6_P12ihipStream_tbENKUlT_T0_E_clISt17integral_constantIbLb1EESV_IbLb0EEEEDaSR_SS_EUlSR_E0_NS1_11comp_targetILNS1_3genE10ELNS1_11target_archE1201ELNS1_3gpuE5ELNS1_3repE0EEENS1_30default_config_static_selectorELNS0_4arch9wavefront6targetE1EEEvT1_
	.p2align	8
	.type	_ZN7rocprim17ROCPRIM_400000_NS6detail17trampoline_kernelINS0_14default_configENS1_20scan_config_selectorIdEEZZNS1_9scan_implILNS1_25lookback_scan_determinismE0ELb0ELb0ES3_PKdPddZZZN2at6native31launch_logcumsumexp_cuda_kernelERKNSB_10TensorBaseESF_lENKUlvE_clEvENKUlvE_clEvEUlddE_dEEDaPvRmT3_T4_T5_mT6_P12ihipStream_tbENKUlT_T0_E_clISt17integral_constantIbLb1EESV_IbLb0EEEEDaSR_SS_EUlSR_E0_NS1_11comp_targetILNS1_3genE10ELNS1_11target_archE1201ELNS1_3gpuE5ELNS1_3repE0EEENS1_30default_config_static_selectorELNS0_4arch9wavefront6targetE1EEEvT1_,@function
_ZN7rocprim17ROCPRIM_400000_NS6detail17trampoline_kernelINS0_14default_configENS1_20scan_config_selectorIdEEZZNS1_9scan_implILNS1_25lookback_scan_determinismE0ELb0ELb0ES3_PKdPddZZZN2at6native31launch_logcumsumexp_cuda_kernelERKNSB_10TensorBaseESF_lENKUlvE_clEvENKUlvE_clEvEUlddE_dEEDaPvRmT3_T4_T5_mT6_P12ihipStream_tbENKUlT_T0_E_clISt17integral_constantIbLb1EESV_IbLb0EEEEDaSR_SS_EUlSR_E0_NS1_11comp_targetILNS1_3genE10ELNS1_11target_archE1201ELNS1_3gpuE5ELNS1_3repE0EEENS1_30default_config_static_selectorELNS0_4arch9wavefront6targetE1EEEvT1_: ; @_ZN7rocprim17ROCPRIM_400000_NS6detail17trampoline_kernelINS0_14default_configENS1_20scan_config_selectorIdEEZZNS1_9scan_implILNS1_25lookback_scan_determinismE0ELb0ELb0ES3_PKdPddZZZN2at6native31launch_logcumsumexp_cuda_kernelERKNSB_10TensorBaseESF_lENKUlvE_clEvENKUlvE_clEvEUlddE_dEEDaPvRmT3_T4_T5_mT6_P12ihipStream_tbENKUlT_T0_E_clISt17integral_constantIbLb1EESV_IbLb0EEEEDaSR_SS_EUlSR_E0_NS1_11comp_targetILNS1_3genE10ELNS1_11target_archE1201ELNS1_3gpuE5ELNS1_3repE0EEENS1_30default_config_static_selectorELNS0_4arch9wavefront6targetE1EEEvT1_
; %bb.0:
	.section	.rodata,"a",@progbits
	.p2align	6, 0x0
	.amdhsa_kernel _ZN7rocprim17ROCPRIM_400000_NS6detail17trampoline_kernelINS0_14default_configENS1_20scan_config_selectorIdEEZZNS1_9scan_implILNS1_25lookback_scan_determinismE0ELb0ELb0ES3_PKdPddZZZN2at6native31launch_logcumsumexp_cuda_kernelERKNSB_10TensorBaseESF_lENKUlvE_clEvENKUlvE_clEvEUlddE_dEEDaPvRmT3_T4_T5_mT6_P12ihipStream_tbENKUlT_T0_E_clISt17integral_constantIbLb1EESV_IbLb0EEEEDaSR_SS_EUlSR_E0_NS1_11comp_targetILNS1_3genE10ELNS1_11target_archE1201ELNS1_3gpuE5ELNS1_3repE0EEENS1_30default_config_static_selectorELNS0_4arch9wavefront6targetE1EEEvT1_
		.amdhsa_group_segment_fixed_size 0
		.amdhsa_private_segment_fixed_size 0
		.amdhsa_kernarg_size 40
		.amdhsa_user_sgpr_count 6
		.amdhsa_user_sgpr_private_segment_buffer 1
		.amdhsa_user_sgpr_dispatch_ptr 0
		.amdhsa_user_sgpr_queue_ptr 0
		.amdhsa_user_sgpr_kernarg_segment_ptr 1
		.amdhsa_user_sgpr_dispatch_id 0
		.amdhsa_user_sgpr_flat_scratch_init 0
		.amdhsa_user_sgpr_kernarg_preload_length 0
		.amdhsa_user_sgpr_kernarg_preload_offset 0
		.amdhsa_user_sgpr_private_segment_size 0
		.amdhsa_uses_dynamic_stack 0
		.amdhsa_system_sgpr_private_segment_wavefront_offset 0
		.amdhsa_system_sgpr_workgroup_id_x 1
		.amdhsa_system_sgpr_workgroup_id_y 0
		.amdhsa_system_sgpr_workgroup_id_z 0
		.amdhsa_system_sgpr_workgroup_info 0
		.amdhsa_system_vgpr_workitem_id 0
		.amdhsa_next_free_vgpr 1
		.amdhsa_next_free_sgpr 0
		.amdhsa_accum_offset 4
		.amdhsa_reserve_vcc 0
		.amdhsa_reserve_flat_scratch 0
		.amdhsa_float_round_mode_32 0
		.amdhsa_float_round_mode_16_64 0
		.amdhsa_float_denorm_mode_32 3
		.amdhsa_float_denorm_mode_16_64 3
		.amdhsa_dx10_clamp 1
		.amdhsa_ieee_mode 1
		.amdhsa_fp16_overflow 0
		.amdhsa_tg_split 0
		.amdhsa_exception_fp_ieee_invalid_op 0
		.amdhsa_exception_fp_denorm_src 0
		.amdhsa_exception_fp_ieee_div_zero 0
		.amdhsa_exception_fp_ieee_overflow 0
		.amdhsa_exception_fp_ieee_underflow 0
		.amdhsa_exception_fp_ieee_inexact 0
		.amdhsa_exception_int_div_zero 0
	.end_amdhsa_kernel
	.section	.text._ZN7rocprim17ROCPRIM_400000_NS6detail17trampoline_kernelINS0_14default_configENS1_20scan_config_selectorIdEEZZNS1_9scan_implILNS1_25lookback_scan_determinismE0ELb0ELb0ES3_PKdPddZZZN2at6native31launch_logcumsumexp_cuda_kernelERKNSB_10TensorBaseESF_lENKUlvE_clEvENKUlvE_clEvEUlddE_dEEDaPvRmT3_T4_T5_mT6_P12ihipStream_tbENKUlT_T0_E_clISt17integral_constantIbLb1EESV_IbLb0EEEEDaSR_SS_EUlSR_E0_NS1_11comp_targetILNS1_3genE10ELNS1_11target_archE1201ELNS1_3gpuE5ELNS1_3repE0EEENS1_30default_config_static_selectorELNS0_4arch9wavefront6targetE1EEEvT1_,"axG",@progbits,_ZN7rocprim17ROCPRIM_400000_NS6detail17trampoline_kernelINS0_14default_configENS1_20scan_config_selectorIdEEZZNS1_9scan_implILNS1_25lookback_scan_determinismE0ELb0ELb0ES3_PKdPddZZZN2at6native31launch_logcumsumexp_cuda_kernelERKNSB_10TensorBaseESF_lENKUlvE_clEvENKUlvE_clEvEUlddE_dEEDaPvRmT3_T4_T5_mT6_P12ihipStream_tbENKUlT_T0_E_clISt17integral_constantIbLb1EESV_IbLb0EEEEDaSR_SS_EUlSR_E0_NS1_11comp_targetILNS1_3genE10ELNS1_11target_archE1201ELNS1_3gpuE5ELNS1_3repE0EEENS1_30default_config_static_selectorELNS0_4arch9wavefront6targetE1EEEvT1_,comdat
.Lfunc_end61:
	.size	_ZN7rocprim17ROCPRIM_400000_NS6detail17trampoline_kernelINS0_14default_configENS1_20scan_config_selectorIdEEZZNS1_9scan_implILNS1_25lookback_scan_determinismE0ELb0ELb0ES3_PKdPddZZZN2at6native31launch_logcumsumexp_cuda_kernelERKNSB_10TensorBaseESF_lENKUlvE_clEvENKUlvE_clEvEUlddE_dEEDaPvRmT3_T4_T5_mT6_P12ihipStream_tbENKUlT_T0_E_clISt17integral_constantIbLb1EESV_IbLb0EEEEDaSR_SS_EUlSR_E0_NS1_11comp_targetILNS1_3genE10ELNS1_11target_archE1201ELNS1_3gpuE5ELNS1_3repE0EEENS1_30default_config_static_selectorELNS0_4arch9wavefront6targetE1EEEvT1_, .Lfunc_end61-_ZN7rocprim17ROCPRIM_400000_NS6detail17trampoline_kernelINS0_14default_configENS1_20scan_config_selectorIdEEZZNS1_9scan_implILNS1_25lookback_scan_determinismE0ELb0ELb0ES3_PKdPddZZZN2at6native31launch_logcumsumexp_cuda_kernelERKNSB_10TensorBaseESF_lENKUlvE_clEvENKUlvE_clEvEUlddE_dEEDaPvRmT3_T4_T5_mT6_P12ihipStream_tbENKUlT_T0_E_clISt17integral_constantIbLb1EESV_IbLb0EEEEDaSR_SS_EUlSR_E0_NS1_11comp_targetILNS1_3genE10ELNS1_11target_archE1201ELNS1_3gpuE5ELNS1_3repE0EEENS1_30default_config_static_selectorELNS0_4arch9wavefront6targetE1EEEvT1_
                                        ; -- End function
	.section	.AMDGPU.csdata,"",@progbits
; Kernel info:
; codeLenInByte = 0
; NumSgprs: 4
; NumVgprs: 0
; NumAgprs: 0
; TotalNumVgprs: 0
; ScratchSize: 0
; MemoryBound: 0
; FloatMode: 240
; IeeeMode: 1
; LDSByteSize: 0 bytes/workgroup (compile time only)
; SGPRBlocks: 0
; VGPRBlocks: 0
; NumSGPRsForWavesPerEU: 4
; NumVGPRsForWavesPerEU: 1
; AccumOffset: 4
; Occupancy: 8
; WaveLimiterHint : 0
; COMPUTE_PGM_RSRC2:SCRATCH_EN: 0
; COMPUTE_PGM_RSRC2:USER_SGPR: 6
; COMPUTE_PGM_RSRC2:TRAP_HANDLER: 0
; COMPUTE_PGM_RSRC2:TGID_X_EN: 1
; COMPUTE_PGM_RSRC2:TGID_Y_EN: 0
; COMPUTE_PGM_RSRC2:TGID_Z_EN: 0
; COMPUTE_PGM_RSRC2:TIDIG_COMP_CNT: 0
; COMPUTE_PGM_RSRC3_GFX90A:ACCUM_OFFSET: 0
; COMPUTE_PGM_RSRC3_GFX90A:TG_SPLIT: 0
	.section	.text._ZN7rocprim17ROCPRIM_400000_NS6detail17trampoline_kernelINS0_14default_configENS1_20scan_config_selectorIdEEZZNS1_9scan_implILNS1_25lookback_scan_determinismE0ELb0ELb0ES3_PKdPddZZZN2at6native31launch_logcumsumexp_cuda_kernelERKNSB_10TensorBaseESF_lENKUlvE_clEvENKUlvE_clEvEUlddE_dEEDaPvRmT3_T4_T5_mT6_P12ihipStream_tbENKUlT_T0_E_clISt17integral_constantIbLb1EESV_IbLb0EEEEDaSR_SS_EUlSR_E0_NS1_11comp_targetILNS1_3genE10ELNS1_11target_archE1200ELNS1_3gpuE4ELNS1_3repE0EEENS1_30default_config_static_selectorELNS0_4arch9wavefront6targetE1EEEvT1_,"axG",@progbits,_ZN7rocprim17ROCPRIM_400000_NS6detail17trampoline_kernelINS0_14default_configENS1_20scan_config_selectorIdEEZZNS1_9scan_implILNS1_25lookback_scan_determinismE0ELb0ELb0ES3_PKdPddZZZN2at6native31launch_logcumsumexp_cuda_kernelERKNSB_10TensorBaseESF_lENKUlvE_clEvENKUlvE_clEvEUlddE_dEEDaPvRmT3_T4_T5_mT6_P12ihipStream_tbENKUlT_T0_E_clISt17integral_constantIbLb1EESV_IbLb0EEEEDaSR_SS_EUlSR_E0_NS1_11comp_targetILNS1_3genE10ELNS1_11target_archE1200ELNS1_3gpuE4ELNS1_3repE0EEENS1_30default_config_static_selectorELNS0_4arch9wavefront6targetE1EEEvT1_,comdat
	.globl	_ZN7rocprim17ROCPRIM_400000_NS6detail17trampoline_kernelINS0_14default_configENS1_20scan_config_selectorIdEEZZNS1_9scan_implILNS1_25lookback_scan_determinismE0ELb0ELb0ES3_PKdPddZZZN2at6native31launch_logcumsumexp_cuda_kernelERKNSB_10TensorBaseESF_lENKUlvE_clEvENKUlvE_clEvEUlddE_dEEDaPvRmT3_T4_T5_mT6_P12ihipStream_tbENKUlT_T0_E_clISt17integral_constantIbLb1EESV_IbLb0EEEEDaSR_SS_EUlSR_E0_NS1_11comp_targetILNS1_3genE10ELNS1_11target_archE1200ELNS1_3gpuE4ELNS1_3repE0EEENS1_30default_config_static_selectorELNS0_4arch9wavefront6targetE1EEEvT1_ ; -- Begin function _ZN7rocprim17ROCPRIM_400000_NS6detail17trampoline_kernelINS0_14default_configENS1_20scan_config_selectorIdEEZZNS1_9scan_implILNS1_25lookback_scan_determinismE0ELb0ELb0ES3_PKdPddZZZN2at6native31launch_logcumsumexp_cuda_kernelERKNSB_10TensorBaseESF_lENKUlvE_clEvENKUlvE_clEvEUlddE_dEEDaPvRmT3_T4_T5_mT6_P12ihipStream_tbENKUlT_T0_E_clISt17integral_constantIbLb1EESV_IbLb0EEEEDaSR_SS_EUlSR_E0_NS1_11comp_targetILNS1_3genE10ELNS1_11target_archE1200ELNS1_3gpuE4ELNS1_3repE0EEENS1_30default_config_static_selectorELNS0_4arch9wavefront6targetE1EEEvT1_
	.p2align	8
	.type	_ZN7rocprim17ROCPRIM_400000_NS6detail17trampoline_kernelINS0_14default_configENS1_20scan_config_selectorIdEEZZNS1_9scan_implILNS1_25lookback_scan_determinismE0ELb0ELb0ES3_PKdPddZZZN2at6native31launch_logcumsumexp_cuda_kernelERKNSB_10TensorBaseESF_lENKUlvE_clEvENKUlvE_clEvEUlddE_dEEDaPvRmT3_T4_T5_mT6_P12ihipStream_tbENKUlT_T0_E_clISt17integral_constantIbLb1EESV_IbLb0EEEEDaSR_SS_EUlSR_E0_NS1_11comp_targetILNS1_3genE10ELNS1_11target_archE1200ELNS1_3gpuE4ELNS1_3repE0EEENS1_30default_config_static_selectorELNS0_4arch9wavefront6targetE1EEEvT1_,@function
_ZN7rocprim17ROCPRIM_400000_NS6detail17trampoline_kernelINS0_14default_configENS1_20scan_config_selectorIdEEZZNS1_9scan_implILNS1_25lookback_scan_determinismE0ELb0ELb0ES3_PKdPddZZZN2at6native31launch_logcumsumexp_cuda_kernelERKNSB_10TensorBaseESF_lENKUlvE_clEvENKUlvE_clEvEUlddE_dEEDaPvRmT3_T4_T5_mT6_P12ihipStream_tbENKUlT_T0_E_clISt17integral_constantIbLb1EESV_IbLb0EEEEDaSR_SS_EUlSR_E0_NS1_11comp_targetILNS1_3genE10ELNS1_11target_archE1200ELNS1_3gpuE4ELNS1_3repE0EEENS1_30default_config_static_selectorELNS0_4arch9wavefront6targetE1EEEvT1_: ; @_ZN7rocprim17ROCPRIM_400000_NS6detail17trampoline_kernelINS0_14default_configENS1_20scan_config_selectorIdEEZZNS1_9scan_implILNS1_25lookback_scan_determinismE0ELb0ELb0ES3_PKdPddZZZN2at6native31launch_logcumsumexp_cuda_kernelERKNSB_10TensorBaseESF_lENKUlvE_clEvENKUlvE_clEvEUlddE_dEEDaPvRmT3_T4_T5_mT6_P12ihipStream_tbENKUlT_T0_E_clISt17integral_constantIbLb1EESV_IbLb0EEEEDaSR_SS_EUlSR_E0_NS1_11comp_targetILNS1_3genE10ELNS1_11target_archE1200ELNS1_3gpuE4ELNS1_3repE0EEENS1_30default_config_static_selectorELNS0_4arch9wavefront6targetE1EEEvT1_
; %bb.0:
	.section	.rodata,"a",@progbits
	.p2align	6, 0x0
	.amdhsa_kernel _ZN7rocprim17ROCPRIM_400000_NS6detail17trampoline_kernelINS0_14default_configENS1_20scan_config_selectorIdEEZZNS1_9scan_implILNS1_25lookback_scan_determinismE0ELb0ELb0ES3_PKdPddZZZN2at6native31launch_logcumsumexp_cuda_kernelERKNSB_10TensorBaseESF_lENKUlvE_clEvENKUlvE_clEvEUlddE_dEEDaPvRmT3_T4_T5_mT6_P12ihipStream_tbENKUlT_T0_E_clISt17integral_constantIbLb1EESV_IbLb0EEEEDaSR_SS_EUlSR_E0_NS1_11comp_targetILNS1_3genE10ELNS1_11target_archE1200ELNS1_3gpuE4ELNS1_3repE0EEENS1_30default_config_static_selectorELNS0_4arch9wavefront6targetE1EEEvT1_
		.amdhsa_group_segment_fixed_size 0
		.amdhsa_private_segment_fixed_size 0
		.amdhsa_kernarg_size 40
		.amdhsa_user_sgpr_count 6
		.amdhsa_user_sgpr_private_segment_buffer 1
		.amdhsa_user_sgpr_dispatch_ptr 0
		.amdhsa_user_sgpr_queue_ptr 0
		.amdhsa_user_sgpr_kernarg_segment_ptr 1
		.amdhsa_user_sgpr_dispatch_id 0
		.amdhsa_user_sgpr_flat_scratch_init 0
		.amdhsa_user_sgpr_kernarg_preload_length 0
		.amdhsa_user_sgpr_kernarg_preload_offset 0
		.amdhsa_user_sgpr_private_segment_size 0
		.amdhsa_uses_dynamic_stack 0
		.amdhsa_system_sgpr_private_segment_wavefront_offset 0
		.amdhsa_system_sgpr_workgroup_id_x 1
		.amdhsa_system_sgpr_workgroup_id_y 0
		.amdhsa_system_sgpr_workgroup_id_z 0
		.amdhsa_system_sgpr_workgroup_info 0
		.amdhsa_system_vgpr_workitem_id 0
		.amdhsa_next_free_vgpr 1
		.amdhsa_next_free_sgpr 0
		.amdhsa_accum_offset 4
		.amdhsa_reserve_vcc 0
		.amdhsa_reserve_flat_scratch 0
		.amdhsa_float_round_mode_32 0
		.amdhsa_float_round_mode_16_64 0
		.amdhsa_float_denorm_mode_32 3
		.amdhsa_float_denorm_mode_16_64 3
		.amdhsa_dx10_clamp 1
		.amdhsa_ieee_mode 1
		.amdhsa_fp16_overflow 0
		.amdhsa_tg_split 0
		.amdhsa_exception_fp_ieee_invalid_op 0
		.amdhsa_exception_fp_denorm_src 0
		.amdhsa_exception_fp_ieee_div_zero 0
		.amdhsa_exception_fp_ieee_overflow 0
		.amdhsa_exception_fp_ieee_underflow 0
		.amdhsa_exception_fp_ieee_inexact 0
		.amdhsa_exception_int_div_zero 0
	.end_amdhsa_kernel
	.section	.text._ZN7rocprim17ROCPRIM_400000_NS6detail17trampoline_kernelINS0_14default_configENS1_20scan_config_selectorIdEEZZNS1_9scan_implILNS1_25lookback_scan_determinismE0ELb0ELb0ES3_PKdPddZZZN2at6native31launch_logcumsumexp_cuda_kernelERKNSB_10TensorBaseESF_lENKUlvE_clEvENKUlvE_clEvEUlddE_dEEDaPvRmT3_T4_T5_mT6_P12ihipStream_tbENKUlT_T0_E_clISt17integral_constantIbLb1EESV_IbLb0EEEEDaSR_SS_EUlSR_E0_NS1_11comp_targetILNS1_3genE10ELNS1_11target_archE1200ELNS1_3gpuE4ELNS1_3repE0EEENS1_30default_config_static_selectorELNS0_4arch9wavefront6targetE1EEEvT1_,"axG",@progbits,_ZN7rocprim17ROCPRIM_400000_NS6detail17trampoline_kernelINS0_14default_configENS1_20scan_config_selectorIdEEZZNS1_9scan_implILNS1_25lookback_scan_determinismE0ELb0ELb0ES3_PKdPddZZZN2at6native31launch_logcumsumexp_cuda_kernelERKNSB_10TensorBaseESF_lENKUlvE_clEvENKUlvE_clEvEUlddE_dEEDaPvRmT3_T4_T5_mT6_P12ihipStream_tbENKUlT_T0_E_clISt17integral_constantIbLb1EESV_IbLb0EEEEDaSR_SS_EUlSR_E0_NS1_11comp_targetILNS1_3genE10ELNS1_11target_archE1200ELNS1_3gpuE4ELNS1_3repE0EEENS1_30default_config_static_selectorELNS0_4arch9wavefront6targetE1EEEvT1_,comdat
.Lfunc_end62:
	.size	_ZN7rocprim17ROCPRIM_400000_NS6detail17trampoline_kernelINS0_14default_configENS1_20scan_config_selectorIdEEZZNS1_9scan_implILNS1_25lookback_scan_determinismE0ELb0ELb0ES3_PKdPddZZZN2at6native31launch_logcumsumexp_cuda_kernelERKNSB_10TensorBaseESF_lENKUlvE_clEvENKUlvE_clEvEUlddE_dEEDaPvRmT3_T4_T5_mT6_P12ihipStream_tbENKUlT_T0_E_clISt17integral_constantIbLb1EESV_IbLb0EEEEDaSR_SS_EUlSR_E0_NS1_11comp_targetILNS1_3genE10ELNS1_11target_archE1200ELNS1_3gpuE4ELNS1_3repE0EEENS1_30default_config_static_selectorELNS0_4arch9wavefront6targetE1EEEvT1_, .Lfunc_end62-_ZN7rocprim17ROCPRIM_400000_NS6detail17trampoline_kernelINS0_14default_configENS1_20scan_config_selectorIdEEZZNS1_9scan_implILNS1_25lookback_scan_determinismE0ELb0ELb0ES3_PKdPddZZZN2at6native31launch_logcumsumexp_cuda_kernelERKNSB_10TensorBaseESF_lENKUlvE_clEvENKUlvE_clEvEUlddE_dEEDaPvRmT3_T4_T5_mT6_P12ihipStream_tbENKUlT_T0_E_clISt17integral_constantIbLb1EESV_IbLb0EEEEDaSR_SS_EUlSR_E0_NS1_11comp_targetILNS1_3genE10ELNS1_11target_archE1200ELNS1_3gpuE4ELNS1_3repE0EEENS1_30default_config_static_selectorELNS0_4arch9wavefront6targetE1EEEvT1_
                                        ; -- End function
	.section	.AMDGPU.csdata,"",@progbits
; Kernel info:
; codeLenInByte = 0
; NumSgprs: 4
; NumVgprs: 0
; NumAgprs: 0
; TotalNumVgprs: 0
; ScratchSize: 0
; MemoryBound: 0
; FloatMode: 240
; IeeeMode: 1
; LDSByteSize: 0 bytes/workgroup (compile time only)
; SGPRBlocks: 0
; VGPRBlocks: 0
; NumSGPRsForWavesPerEU: 4
; NumVGPRsForWavesPerEU: 1
; AccumOffset: 4
; Occupancy: 8
; WaveLimiterHint : 0
; COMPUTE_PGM_RSRC2:SCRATCH_EN: 0
; COMPUTE_PGM_RSRC2:USER_SGPR: 6
; COMPUTE_PGM_RSRC2:TRAP_HANDLER: 0
; COMPUTE_PGM_RSRC2:TGID_X_EN: 1
; COMPUTE_PGM_RSRC2:TGID_Y_EN: 0
; COMPUTE_PGM_RSRC2:TGID_Z_EN: 0
; COMPUTE_PGM_RSRC2:TIDIG_COMP_CNT: 0
; COMPUTE_PGM_RSRC3_GFX90A:ACCUM_OFFSET: 0
; COMPUTE_PGM_RSRC3_GFX90A:TG_SPLIT: 0
	.section	.text._ZN7rocprim17ROCPRIM_400000_NS6detail17trampoline_kernelINS0_14default_configENS1_20scan_config_selectorIdEEZZNS1_9scan_implILNS1_25lookback_scan_determinismE0ELb0ELb0ES3_PKdPddZZZN2at6native31launch_logcumsumexp_cuda_kernelERKNSB_10TensorBaseESF_lENKUlvE_clEvENKUlvE_clEvEUlddE_dEEDaPvRmT3_T4_T5_mT6_P12ihipStream_tbENKUlT_T0_E_clISt17integral_constantIbLb1EESV_IbLb0EEEEDaSR_SS_EUlSR_E0_NS1_11comp_targetILNS1_3genE9ELNS1_11target_archE1100ELNS1_3gpuE3ELNS1_3repE0EEENS1_30default_config_static_selectorELNS0_4arch9wavefront6targetE1EEEvT1_,"axG",@progbits,_ZN7rocprim17ROCPRIM_400000_NS6detail17trampoline_kernelINS0_14default_configENS1_20scan_config_selectorIdEEZZNS1_9scan_implILNS1_25lookback_scan_determinismE0ELb0ELb0ES3_PKdPddZZZN2at6native31launch_logcumsumexp_cuda_kernelERKNSB_10TensorBaseESF_lENKUlvE_clEvENKUlvE_clEvEUlddE_dEEDaPvRmT3_T4_T5_mT6_P12ihipStream_tbENKUlT_T0_E_clISt17integral_constantIbLb1EESV_IbLb0EEEEDaSR_SS_EUlSR_E0_NS1_11comp_targetILNS1_3genE9ELNS1_11target_archE1100ELNS1_3gpuE3ELNS1_3repE0EEENS1_30default_config_static_selectorELNS0_4arch9wavefront6targetE1EEEvT1_,comdat
	.globl	_ZN7rocprim17ROCPRIM_400000_NS6detail17trampoline_kernelINS0_14default_configENS1_20scan_config_selectorIdEEZZNS1_9scan_implILNS1_25lookback_scan_determinismE0ELb0ELb0ES3_PKdPddZZZN2at6native31launch_logcumsumexp_cuda_kernelERKNSB_10TensorBaseESF_lENKUlvE_clEvENKUlvE_clEvEUlddE_dEEDaPvRmT3_T4_T5_mT6_P12ihipStream_tbENKUlT_T0_E_clISt17integral_constantIbLb1EESV_IbLb0EEEEDaSR_SS_EUlSR_E0_NS1_11comp_targetILNS1_3genE9ELNS1_11target_archE1100ELNS1_3gpuE3ELNS1_3repE0EEENS1_30default_config_static_selectorELNS0_4arch9wavefront6targetE1EEEvT1_ ; -- Begin function _ZN7rocprim17ROCPRIM_400000_NS6detail17trampoline_kernelINS0_14default_configENS1_20scan_config_selectorIdEEZZNS1_9scan_implILNS1_25lookback_scan_determinismE0ELb0ELb0ES3_PKdPddZZZN2at6native31launch_logcumsumexp_cuda_kernelERKNSB_10TensorBaseESF_lENKUlvE_clEvENKUlvE_clEvEUlddE_dEEDaPvRmT3_T4_T5_mT6_P12ihipStream_tbENKUlT_T0_E_clISt17integral_constantIbLb1EESV_IbLb0EEEEDaSR_SS_EUlSR_E0_NS1_11comp_targetILNS1_3genE9ELNS1_11target_archE1100ELNS1_3gpuE3ELNS1_3repE0EEENS1_30default_config_static_selectorELNS0_4arch9wavefront6targetE1EEEvT1_
	.p2align	8
	.type	_ZN7rocprim17ROCPRIM_400000_NS6detail17trampoline_kernelINS0_14default_configENS1_20scan_config_selectorIdEEZZNS1_9scan_implILNS1_25lookback_scan_determinismE0ELb0ELb0ES3_PKdPddZZZN2at6native31launch_logcumsumexp_cuda_kernelERKNSB_10TensorBaseESF_lENKUlvE_clEvENKUlvE_clEvEUlddE_dEEDaPvRmT3_T4_T5_mT6_P12ihipStream_tbENKUlT_T0_E_clISt17integral_constantIbLb1EESV_IbLb0EEEEDaSR_SS_EUlSR_E0_NS1_11comp_targetILNS1_3genE9ELNS1_11target_archE1100ELNS1_3gpuE3ELNS1_3repE0EEENS1_30default_config_static_selectorELNS0_4arch9wavefront6targetE1EEEvT1_,@function
_ZN7rocprim17ROCPRIM_400000_NS6detail17trampoline_kernelINS0_14default_configENS1_20scan_config_selectorIdEEZZNS1_9scan_implILNS1_25lookback_scan_determinismE0ELb0ELb0ES3_PKdPddZZZN2at6native31launch_logcumsumexp_cuda_kernelERKNSB_10TensorBaseESF_lENKUlvE_clEvENKUlvE_clEvEUlddE_dEEDaPvRmT3_T4_T5_mT6_P12ihipStream_tbENKUlT_T0_E_clISt17integral_constantIbLb1EESV_IbLb0EEEEDaSR_SS_EUlSR_E0_NS1_11comp_targetILNS1_3genE9ELNS1_11target_archE1100ELNS1_3gpuE3ELNS1_3repE0EEENS1_30default_config_static_selectorELNS0_4arch9wavefront6targetE1EEEvT1_: ; @_ZN7rocprim17ROCPRIM_400000_NS6detail17trampoline_kernelINS0_14default_configENS1_20scan_config_selectorIdEEZZNS1_9scan_implILNS1_25lookback_scan_determinismE0ELb0ELb0ES3_PKdPddZZZN2at6native31launch_logcumsumexp_cuda_kernelERKNSB_10TensorBaseESF_lENKUlvE_clEvENKUlvE_clEvEUlddE_dEEDaPvRmT3_T4_T5_mT6_P12ihipStream_tbENKUlT_T0_E_clISt17integral_constantIbLb1EESV_IbLb0EEEEDaSR_SS_EUlSR_E0_NS1_11comp_targetILNS1_3genE9ELNS1_11target_archE1100ELNS1_3gpuE3ELNS1_3repE0EEENS1_30default_config_static_selectorELNS0_4arch9wavefront6targetE1EEEvT1_
; %bb.0:
	.section	.rodata,"a",@progbits
	.p2align	6, 0x0
	.amdhsa_kernel _ZN7rocprim17ROCPRIM_400000_NS6detail17trampoline_kernelINS0_14default_configENS1_20scan_config_selectorIdEEZZNS1_9scan_implILNS1_25lookback_scan_determinismE0ELb0ELb0ES3_PKdPddZZZN2at6native31launch_logcumsumexp_cuda_kernelERKNSB_10TensorBaseESF_lENKUlvE_clEvENKUlvE_clEvEUlddE_dEEDaPvRmT3_T4_T5_mT6_P12ihipStream_tbENKUlT_T0_E_clISt17integral_constantIbLb1EESV_IbLb0EEEEDaSR_SS_EUlSR_E0_NS1_11comp_targetILNS1_3genE9ELNS1_11target_archE1100ELNS1_3gpuE3ELNS1_3repE0EEENS1_30default_config_static_selectorELNS0_4arch9wavefront6targetE1EEEvT1_
		.amdhsa_group_segment_fixed_size 0
		.amdhsa_private_segment_fixed_size 0
		.amdhsa_kernarg_size 40
		.amdhsa_user_sgpr_count 6
		.amdhsa_user_sgpr_private_segment_buffer 1
		.amdhsa_user_sgpr_dispatch_ptr 0
		.amdhsa_user_sgpr_queue_ptr 0
		.amdhsa_user_sgpr_kernarg_segment_ptr 1
		.amdhsa_user_sgpr_dispatch_id 0
		.amdhsa_user_sgpr_flat_scratch_init 0
		.amdhsa_user_sgpr_kernarg_preload_length 0
		.amdhsa_user_sgpr_kernarg_preload_offset 0
		.amdhsa_user_sgpr_private_segment_size 0
		.amdhsa_uses_dynamic_stack 0
		.amdhsa_system_sgpr_private_segment_wavefront_offset 0
		.amdhsa_system_sgpr_workgroup_id_x 1
		.amdhsa_system_sgpr_workgroup_id_y 0
		.amdhsa_system_sgpr_workgroup_id_z 0
		.amdhsa_system_sgpr_workgroup_info 0
		.amdhsa_system_vgpr_workitem_id 0
		.amdhsa_next_free_vgpr 1
		.amdhsa_next_free_sgpr 0
		.amdhsa_accum_offset 4
		.amdhsa_reserve_vcc 0
		.amdhsa_reserve_flat_scratch 0
		.amdhsa_float_round_mode_32 0
		.amdhsa_float_round_mode_16_64 0
		.amdhsa_float_denorm_mode_32 3
		.amdhsa_float_denorm_mode_16_64 3
		.amdhsa_dx10_clamp 1
		.amdhsa_ieee_mode 1
		.amdhsa_fp16_overflow 0
		.amdhsa_tg_split 0
		.amdhsa_exception_fp_ieee_invalid_op 0
		.amdhsa_exception_fp_denorm_src 0
		.amdhsa_exception_fp_ieee_div_zero 0
		.amdhsa_exception_fp_ieee_overflow 0
		.amdhsa_exception_fp_ieee_underflow 0
		.amdhsa_exception_fp_ieee_inexact 0
		.amdhsa_exception_int_div_zero 0
	.end_amdhsa_kernel
	.section	.text._ZN7rocprim17ROCPRIM_400000_NS6detail17trampoline_kernelINS0_14default_configENS1_20scan_config_selectorIdEEZZNS1_9scan_implILNS1_25lookback_scan_determinismE0ELb0ELb0ES3_PKdPddZZZN2at6native31launch_logcumsumexp_cuda_kernelERKNSB_10TensorBaseESF_lENKUlvE_clEvENKUlvE_clEvEUlddE_dEEDaPvRmT3_T4_T5_mT6_P12ihipStream_tbENKUlT_T0_E_clISt17integral_constantIbLb1EESV_IbLb0EEEEDaSR_SS_EUlSR_E0_NS1_11comp_targetILNS1_3genE9ELNS1_11target_archE1100ELNS1_3gpuE3ELNS1_3repE0EEENS1_30default_config_static_selectorELNS0_4arch9wavefront6targetE1EEEvT1_,"axG",@progbits,_ZN7rocprim17ROCPRIM_400000_NS6detail17trampoline_kernelINS0_14default_configENS1_20scan_config_selectorIdEEZZNS1_9scan_implILNS1_25lookback_scan_determinismE0ELb0ELb0ES3_PKdPddZZZN2at6native31launch_logcumsumexp_cuda_kernelERKNSB_10TensorBaseESF_lENKUlvE_clEvENKUlvE_clEvEUlddE_dEEDaPvRmT3_T4_T5_mT6_P12ihipStream_tbENKUlT_T0_E_clISt17integral_constantIbLb1EESV_IbLb0EEEEDaSR_SS_EUlSR_E0_NS1_11comp_targetILNS1_3genE9ELNS1_11target_archE1100ELNS1_3gpuE3ELNS1_3repE0EEENS1_30default_config_static_selectorELNS0_4arch9wavefront6targetE1EEEvT1_,comdat
.Lfunc_end63:
	.size	_ZN7rocprim17ROCPRIM_400000_NS6detail17trampoline_kernelINS0_14default_configENS1_20scan_config_selectorIdEEZZNS1_9scan_implILNS1_25lookback_scan_determinismE0ELb0ELb0ES3_PKdPddZZZN2at6native31launch_logcumsumexp_cuda_kernelERKNSB_10TensorBaseESF_lENKUlvE_clEvENKUlvE_clEvEUlddE_dEEDaPvRmT3_T4_T5_mT6_P12ihipStream_tbENKUlT_T0_E_clISt17integral_constantIbLb1EESV_IbLb0EEEEDaSR_SS_EUlSR_E0_NS1_11comp_targetILNS1_3genE9ELNS1_11target_archE1100ELNS1_3gpuE3ELNS1_3repE0EEENS1_30default_config_static_selectorELNS0_4arch9wavefront6targetE1EEEvT1_, .Lfunc_end63-_ZN7rocprim17ROCPRIM_400000_NS6detail17trampoline_kernelINS0_14default_configENS1_20scan_config_selectorIdEEZZNS1_9scan_implILNS1_25lookback_scan_determinismE0ELb0ELb0ES3_PKdPddZZZN2at6native31launch_logcumsumexp_cuda_kernelERKNSB_10TensorBaseESF_lENKUlvE_clEvENKUlvE_clEvEUlddE_dEEDaPvRmT3_T4_T5_mT6_P12ihipStream_tbENKUlT_T0_E_clISt17integral_constantIbLb1EESV_IbLb0EEEEDaSR_SS_EUlSR_E0_NS1_11comp_targetILNS1_3genE9ELNS1_11target_archE1100ELNS1_3gpuE3ELNS1_3repE0EEENS1_30default_config_static_selectorELNS0_4arch9wavefront6targetE1EEEvT1_
                                        ; -- End function
	.section	.AMDGPU.csdata,"",@progbits
; Kernel info:
; codeLenInByte = 0
; NumSgprs: 4
; NumVgprs: 0
; NumAgprs: 0
; TotalNumVgprs: 0
; ScratchSize: 0
; MemoryBound: 0
; FloatMode: 240
; IeeeMode: 1
; LDSByteSize: 0 bytes/workgroup (compile time only)
; SGPRBlocks: 0
; VGPRBlocks: 0
; NumSGPRsForWavesPerEU: 4
; NumVGPRsForWavesPerEU: 1
; AccumOffset: 4
; Occupancy: 8
; WaveLimiterHint : 0
; COMPUTE_PGM_RSRC2:SCRATCH_EN: 0
; COMPUTE_PGM_RSRC2:USER_SGPR: 6
; COMPUTE_PGM_RSRC2:TRAP_HANDLER: 0
; COMPUTE_PGM_RSRC2:TGID_X_EN: 1
; COMPUTE_PGM_RSRC2:TGID_Y_EN: 0
; COMPUTE_PGM_RSRC2:TGID_Z_EN: 0
; COMPUTE_PGM_RSRC2:TIDIG_COMP_CNT: 0
; COMPUTE_PGM_RSRC3_GFX90A:ACCUM_OFFSET: 0
; COMPUTE_PGM_RSRC3_GFX90A:TG_SPLIT: 0
	.section	.text._ZN7rocprim17ROCPRIM_400000_NS6detail17trampoline_kernelINS0_14default_configENS1_20scan_config_selectorIdEEZZNS1_9scan_implILNS1_25lookback_scan_determinismE0ELb0ELb0ES3_PKdPddZZZN2at6native31launch_logcumsumexp_cuda_kernelERKNSB_10TensorBaseESF_lENKUlvE_clEvENKUlvE_clEvEUlddE_dEEDaPvRmT3_T4_T5_mT6_P12ihipStream_tbENKUlT_T0_E_clISt17integral_constantIbLb1EESV_IbLb0EEEEDaSR_SS_EUlSR_E0_NS1_11comp_targetILNS1_3genE8ELNS1_11target_archE1030ELNS1_3gpuE2ELNS1_3repE0EEENS1_30default_config_static_selectorELNS0_4arch9wavefront6targetE1EEEvT1_,"axG",@progbits,_ZN7rocprim17ROCPRIM_400000_NS6detail17trampoline_kernelINS0_14default_configENS1_20scan_config_selectorIdEEZZNS1_9scan_implILNS1_25lookback_scan_determinismE0ELb0ELb0ES3_PKdPddZZZN2at6native31launch_logcumsumexp_cuda_kernelERKNSB_10TensorBaseESF_lENKUlvE_clEvENKUlvE_clEvEUlddE_dEEDaPvRmT3_T4_T5_mT6_P12ihipStream_tbENKUlT_T0_E_clISt17integral_constantIbLb1EESV_IbLb0EEEEDaSR_SS_EUlSR_E0_NS1_11comp_targetILNS1_3genE8ELNS1_11target_archE1030ELNS1_3gpuE2ELNS1_3repE0EEENS1_30default_config_static_selectorELNS0_4arch9wavefront6targetE1EEEvT1_,comdat
	.globl	_ZN7rocprim17ROCPRIM_400000_NS6detail17trampoline_kernelINS0_14default_configENS1_20scan_config_selectorIdEEZZNS1_9scan_implILNS1_25lookback_scan_determinismE0ELb0ELb0ES3_PKdPddZZZN2at6native31launch_logcumsumexp_cuda_kernelERKNSB_10TensorBaseESF_lENKUlvE_clEvENKUlvE_clEvEUlddE_dEEDaPvRmT3_T4_T5_mT6_P12ihipStream_tbENKUlT_T0_E_clISt17integral_constantIbLb1EESV_IbLb0EEEEDaSR_SS_EUlSR_E0_NS1_11comp_targetILNS1_3genE8ELNS1_11target_archE1030ELNS1_3gpuE2ELNS1_3repE0EEENS1_30default_config_static_selectorELNS0_4arch9wavefront6targetE1EEEvT1_ ; -- Begin function _ZN7rocprim17ROCPRIM_400000_NS6detail17trampoline_kernelINS0_14default_configENS1_20scan_config_selectorIdEEZZNS1_9scan_implILNS1_25lookback_scan_determinismE0ELb0ELb0ES3_PKdPddZZZN2at6native31launch_logcumsumexp_cuda_kernelERKNSB_10TensorBaseESF_lENKUlvE_clEvENKUlvE_clEvEUlddE_dEEDaPvRmT3_T4_T5_mT6_P12ihipStream_tbENKUlT_T0_E_clISt17integral_constantIbLb1EESV_IbLb0EEEEDaSR_SS_EUlSR_E0_NS1_11comp_targetILNS1_3genE8ELNS1_11target_archE1030ELNS1_3gpuE2ELNS1_3repE0EEENS1_30default_config_static_selectorELNS0_4arch9wavefront6targetE1EEEvT1_
	.p2align	8
	.type	_ZN7rocprim17ROCPRIM_400000_NS6detail17trampoline_kernelINS0_14default_configENS1_20scan_config_selectorIdEEZZNS1_9scan_implILNS1_25lookback_scan_determinismE0ELb0ELb0ES3_PKdPddZZZN2at6native31launch_logcumsumexp_cuda_kernelERKNSB_10TensorBaseESF_lENKUlvE_clEvENKUlvE_clEvEUlddE_dEEDaPvRmT3_T4_T5_mT6_P12ihipStream_tbENKUlT_T0_E_clISt17integral_constantIbLb1EESV_IbLb0EEEEDaSR_SS_EUlSR_E0_NS1_11comp_targetILNS1_3genE8ELNS1_11target_archE1030ELNS1_3gpuE2ELNS1_3repE0EEENS1_30default_config_static_selectorELNS0_4arch9wavefront6targetE1EEEvT1_,@function
_ZN7rocprim17ROCPRIM_400000_NS6detail17trampoline_kernelINS0_14default_configENS1_20scan_config_selectorIdEEZZNS1_9scan_implILNS1_25lookback_scan_determinismE0ELb0ELb0ES3_PKdPddZZZN2at6native31launch_logcumsumexp_cuda_kernelERKNSB_10TensorBaseESF_lENKUlvE_clEvENKUlvE_clEvEUlddE_dEEDaPvRmT3_T4_T5_mT6_P12ihipStream_tbENKUlT_T0_E_clISt17integral_constantIbLb1EESV_IbLb0EEEEDaSR_SS_EUlSR_E0_NS1_11comp_targetILNS1_3genE8ELNS1_11target_archE1030ELNS1_3gpuE2ELNS1_3repE0EEENS1_30default_config_static_selectorELNS0_4arch9wavefront6targetE1EEEvT1_: ; @_ZN7rocprim17ROCPRIM_400000_NS6detail17trampoline_kernelINS0_14default_configENS1_20scan_config_selectorIdEEZZNS1_9scan_implILNS1_25lookback_scan_determinismE0ELb0ELb0ES3_PKdPddZZZN2at6native31launch_logcumsumexp_cuda_kernelERKNSB_10TensorBaseESF_lENKUlvE_clEvENKUlvE_clEvEUlddE_dEEDaPvRmT3_T4_T5_mT6_P12ihipStream_tbENKUlT_T0_E_clISt17integral_constantIbLb1EESV_IbLb0EEEEDaSR_SS_EUlSR_E0_NS1_11comp_targetILNS1_3genE8ELNS1_11target_archE1030ELNS1_3gpuE2ELNS1_3repE0EEENS1_30default_config_static_selectorELNS0_4arch9wavefront6targetE1EEEvT1_
; %bb.0:
	.section	.rodata,"a",@progbits
	.p2align	6, 0x0
	.amdhsa_kernel _ZN7rocprim17ROCPRIM_400000_NS6detail17trampoline_kernelINS0_14default_configENS1_20scan_config_selectorIdEEZZNS1_9scan_implILNS1_25lookback_scan_determinismE0ELb0ELb0ES3_PKdPddZZZN2at6native31launch_logcumsumexp_cuda_kernelERKNSB_10TensorBaseESF_lENKUlvE_clEvENKUlvE_clEvEUlddE_dEEDaPvRmT3_T4_T5_mT6_P12ihipStream_tbENKUlT_T0_E_clISt17integral_constantIbLb1EESV_IbLb0EEEEDaSR_SS_EUlSR_E0_NS1_11comp_targetILNS1_3genE8ELNS1_11target_archE1030ELNS1_3gpuE2ELNS1_3repE0EEENS1_30default_config_static_selectorELNS0_4arch9wavefront6targetE1EEEvT1_
		.amdhsa_group_segment_fixed_size 0
		.amdhsa_private_segment_fixed_size 0
		.amdhsa_kernarg_size 40
		.amdhsa_user_sgpr_count 6
		.amdhsa_user_sgpr_private_segment_buffer 1
		.amdhsa_user_sgpr_dispatch_ptr 0
		.amdhsa_user_sgpr_queue_ptr 0
		.amdhsa_user_sgpr_kernarg_segment_ptr 1
		.amdhsa_user_sgpr_dispatch_id 0
		.amdhsa_user_sgpr_flat_scratch_init 0
		.amdhsa_user_sgpr_kernarg_preload_length 0
		.amdhsa_user_sgpr_kernarg_preload_offset 0
		.amdhsa_user_sgpr_private_segment_size 0
		.amdhsa_uses_dynamic_stack 0
		.amdhsa_system_sgpr_private_segment_wavefront_offset 0
		.amdhsa_system_sgpr_workgroup_id_x 1
		.amdhsa_system_sgpr_workgroup_id_y 0
		.amdhsa_system_sgpr_workgroup_id_z 0
		.amdhsa_system_sgpr_workgroup_info 0
		.amdhsa_system_vgpr_workitem_id 0
		.amdhsa_next_free_vgpr 1
		.amdhsa_next_free_sgpr 0
		.amdhsa_accum_offset 4
		.amdhsa_reserve_vcc 0
		.amdhsa_reserve_flat_scratch 0
		.amdhsa_float_round_mode_32 0
		.amdhsa_float_round_mode_16_64 0
		.amdhsa_float_denorm_mode_32 3
		.amdhsa_float_denorm_mode_16_64 3
		.amdhsa_dx10_clamp 1
		.amdhsa_ieee_mode 1
		.amdhsa_fp16_overflow 0
		.amdhsa_tg_split 0
		.amdhsa_exception_fp_ieee_invalid_op 0
		.amdhsa_exception_fp_denorm_src 0
		.amdhsa_exception_fp_ieee_div_zero 0
		.amdhsa_exception_fp_ieee_overflow 0
		.amdhsa_exception_fp_ieee_underflow 0
		.amdhsa_exception_fp_ieee_inexact 0
		.amdhsa_exception_int_div_zero 0
	.end_amdhsa_kernel
	.section	.text._ZN7rocprim17ROCPRIM_400000_NS6detail17trampoline_kernelINS0_14default_configENS1_20scan_config_selectorIdEEZZNS1_9scan_implILNS1_25lookback_scan_determinismE0ELb0ELb0ES3_PKdPddZZZN2at6native31launch_logcumsumexp_cuda_kernelERKNSB_10TensorBaseESF_lENKUlvE_clEvENKUlvE_clEvEUlddE_dEEDaPvRmT3_T4_T5_mT6_P12ihipStream_tbENKUlT_T0_E_clISt17integral_constantIbLb1EESV_IbLb0EEEEDaSR_SS_EUlSR_E0_NS1_11comp_targetILNS1_3genE8ELNS1_11target_archE1030ELNS1_3gpuE2ELNS1_3repE0EEENS1_30default_config_static_selectorELNS0_4arch9wavefront6targetE1EEEvT1_,"axG",@progbits,_ZN7rocprim17ROCPRIM_400000_NS6detail17trampoline_kernelINS0_14default_configENS1_20scan_config_selectorIdEEZZNS1_9scan_implILNS1_25lookback_scan_determinismE0ELb0ELb0ES3_PKdPddZZZN2at6native31launch_logcumsumexp_cuda_kernelERKNSB_10TensorBaseESF_lENKUlvE_clEvENKUlvE_clEvEUlddE_dEEDaPvRmT3_T4_T5_mT6_P12ihipStream_tbENKUlT_T0_E_clISt17integral_constantIbLb1EESV_IbLb0EEEEDaSR_SS_EUlSR_E0_NS1_11comp_targetILNS1_3genE8ELNS1_11target_archE1030ELNS1_3gpuE2ELNS1_3repE0EEENS1_30default_config_static_selectorELNS0_4arch9wavefront6targetE1EEEvT1_,comdat
.Lfunc_end64:
	.size	_ZN7rocprim17ROCPRIM_400000_NS6detail17trampoline_kernelINS0_14default_configENS1_20scan_config_selectorIdEEZZNS1_9scan_implILNS1_25lookback_scan_determinismE0ELb0ELb0ES3_PKdPddZZZN2at6native31launch_logcumsumexp_cuda_kernelERKNSB_10TensorBaseESF_lENKUlvE_clEvENKUlvE_clEvEUlddE_dEEDaPvRmT3_T4_T5_mT6_P12ihipStream_tbENKUlT_T0_E_clISt17integral_constantIbLb1EESV_IbLb0EEEEDaSR_SS_EUlSR_E0_NS1_11comp_targetILNS1_3genE8ELNS1_11target_archE1030ELNS1_3gpuE2ELNS1_3repE0EEENS1_30default_config_static_selectorELNS0_4arch9wavefront6targetE1EEEvT1_, .Lfunc_end64-_ZN7rocprim17ROCPRIM_400000_NS6detail17trampoline_kernelINS0_14default_configENS1_20scan_config_selectorIdEEZZNS1_9scan_implILNS1_25lookback_scan_determinismE0ELb0ELb0ES3_PKdPddZZZN2at6native31launch_logcumsumexp_cuda_kernelERKNSB_10TensorBaseESF_lENKUlvE_clEvENKUlvE_clEvEUlddE_dEEDaPvRmT3_T4_T5_mT6_P12ihipStream_tbENKUlT_T0_E_clISt17integral_constantIbLb1EESV_IbLb0EEEEDaSR_SS_EUlSR_E0_NS1_11comp_targetILNS1_3genE8ELNS1_11target_archE1030ELNS1_3gpuE2ELNS1_3repE0EEENS1_30default_config_static_selectorELNS0_4arch9wavefront6targetE1EEEvT1_
                                        ; -- End function
	.section	.AMDGPU.csdata,"",@progbits
; Kernel info:
; codeLenInByte = 0
; NumSgprs: 4
; NumVgprs: 0
; NumAgprs: 0
; TotalNumVgprs: 0
; ScratchSize: 0
; MemoryBound: 0
; FloatMode: 240
; IeeeMode: 1
; LDSByteSize: 0 bytes/workgroup (compile time only)
; SGPRBlocks: 0
; VGPRBlocks: 0
; NumSGPRsForWavesPerEU: 4
; NumVGPRsForWavesPerEU: 1
; AccumOffset: 4
; Occupancy: 8
; WaveLimiterHint : 0
; COMPUTE_PGM_RSRC2:SCRATCH_EN: 0
; COMPUTE_PGM_RSRC2:USER_SGPR: 6
; COMPUTE_PGM_RSRC2:TRAP_HANDLER: 0
; COMPUTE_PGM_RSRC2:TGID_X_EN: 1
; COMPUTE_PGM_RSRC2:TGID_Y_EN: 0
; COMPUTE_PGM_RSRC2:TGID_Z_EN: 0
; COMPUTE_PGM_RSRC2:TIDIG_COMP_CNT: 0
; COMPUTE_PGM_RSRC3_GFX90A:ACCUM_OFFSET: 0
; COMPUTE_PGM_RSRC3_GFX90A:TG_SPLIT: 0
	.section	.text._ZN7rocprim17ROCPRIM_400000_NS6detail31init_lookback_scan_state_kernelINS1_19lookback_scan_stateIdLb0ELb1EEENS1_16block_id_wrapperIjLb1EEEEEvT_jT0_jPNS7_10value_typeE,"axG",@progbits,_ZN7rocprim17ROCPRIM_400000_NS6detail31init_lookback_scan_state_kernelINS1_19lookback_scan_stateIdLb0ELb1EEENS1_16block_id_wrapperIjLb1EEEEEvT_jT0_jPNS7_10value_typeE,comdat
	.protected	_ZN7rocprim17ROCPRIM_400000_NS6detail31init_lookback_scan_state_kernelINS1_19lookback_scan_stateIdLb0ELb1EEENS1_16block_id_wrapperIjLb1EEEEEvT_jT0_jPNS7_10value_typeE ; -- Begin function _ZN7rocprim17ROCPRIM_400000_NS6detail31init_lookback_scan_state_kernelINS1_19lookback_scan_stateIdLb0ELb1EEENS1_16block_id_wrapperIjLb1EEEEEvT_jT0_jPNS7_10value_typeE
	.globl	_ZN7rocprim17ROCPRIM_400000_NS6detail31init_lookback_scan_state_kernelINS1_19lookback_scan_stateIdLb0ELb1EEENS1_16block_id_wrapperIjLb1EEEEEvT_jT0_jPNS7_10value_typeE
	.p2align	8
	.type	_ZN7rocprim17ROCPRIM_400000_NS6detail31init_lookback_scan_state_kernelINS1_19lookback_scan_stateIdLb0ELb1EEENS1_16block_id_wrapperIjLb1EEEEEvT_jT0_jPNS7_10value_typeE,@function
_ZN7rocprim17ROCPRIM_400000_NS6detail31init_lookback_scan_state_kernelINS1_19lookback_scan_stateIdLb0ELb1EEENS1_16block_id_wrapperIjLb1EEEEEvT_jT0_jPNS7_10value_typeE: ; @_ZN7rocprim17ROCPRIM_400000_NS6detail31init_lookback_scan_state_kernelINS1_19lookback_scan_stateIdLb0ELb1EEENS1_16block_id_wrapperIjLb1EEEEEvT_jT0_jPNS7_10value_typeE
; %bb.0:
	s_load_dword s7, s[4:5], 0x34
	s_load_dwordx2 s[2:3], s[4:5], 0x20
	s_load_dwordx2 s[0:1], s[4:5], 0x0
	s_load_dword s14, s[4:5], 0x8
	s_waitcnt lgkmcnt(0)
	s_and_b32 s7, s7, 0xffff
	s_mul_i32 s6, s6, s7
	s_cmp_eq_u64 s[2:3], 0
	v_add_u32_e32 v0, s6, v0
	s_cbranch_scc1 .LBB65_8
; %bb.1:
	s_load_dword s8, s[4:5], 0x18
	s_mov_b32 s9, 0
	s_waitcnt lgkmcnt(0)
	s_cmp_lt_u32 s8, s14
	s_cselect_b32 s6, s8, 0
	v_cmp_eq_u32_e32 vcc, s6, v0
	s_and_saveexec_b64 s[6:7], vcc
	s_cbranch_execz .LBB65_7
; %bb.2:
	s_add_i32 s8, s8, 64
	s_lshl_b64 s[8:9], s[8:9], 4
	s_add_u32 s12, s0, s8
	s_addc_u32 s13, s1, s9
	v_pk_mov_b32 v[2:3], s[12:13], s[12:13] op_sel:[0,1]
	;;#ASMSTART
	global_load_dwordx4 v[2:5], v[2:3] off glc	
s_waitcnt vmcnt(0)
	;;#ASMEND
	v_mov_b32_e32 v7, 0
	v_and_b32_e32 v6, 0xff, v4
	s_mov_b64 s[10:11], 0
	v_cmp_eq_u64_e32 vcc, 0, v[6:7]
	s_and_saveexec_b64 s[8:9], vcc
	s_cbranch_execz .LBB65_6
; %bb.3:
	v_pk_mov_b32 v[8:9], s[12:13], s[12:13] op_sel:[0,1]
.LBB65_4:                               ; =>This Inner Loop Header: Depth=1
	;;#ASMSTART
	global_load_dwordx4 v[2:5], v[8:9] off glc	
s_waitcnt vmcnt(0)
	;;#ASMEND
	v_and_b32_e32 v6, 0xff, v4
	v_cmp_ne_u64_e32 vcc, 0, v[6:7]
	s_or_b64 s[10:11], vcc, s[10:11]
	s_andn2_b64 exec, exec, s[10:11]
	s_cbranch_execnz .LBB65_4
; %bb.5:
	s_or_b64 exec, exec, s[10:11]
.LBB65_6:
	s_or_b64 exec, exec, s[8:9]
	v_mov_b32_e32 v1, 0
	global_store_dwordx2 v1, v[2:3], s[2:3]
.LBB65_7:
	s_or_b64 exec, exec, s[6:7]
.LBB65_8:
	v_cmp_eq_u32_e32 vcc, 0, v0
	s_and_saveexec_b64 s[2:3], vcc
	s_cbranch_execnz .LBB65_12
; %bb.9:
	s_or_b64 exec, exec, s[2:3]
	v_cmp_gt_u32_e32 vcc, s14, v0
	s_and_saveexec_b64 s[2:3], vcc
	s_cbranch_execnz .LBB65_13
.LBB65_10:
	s_or_b64 exec, exec, s[2:3]
	v_cmp_gt_u32_e32 vcc, 64, v0
	s_and_saveexec_b64 s[2:3], vcc
	s_cbranch_execnz .LBB65_14
.LBB65_11:
	s_endpgm
.LBB65_12:
	s_load_dwordx2 s[4:5], s[4:5], 0x10
	v_mov_b32_e32 v1, 0
	s_waitcnt lgkmcnt(0)
	global_store_dword v1, v1, s[4:5]
	s_or_b64 exec, exec, s[2:3]
	v_cmp_gt_u32_e32 vcc, s14, v0
	s_and_saveexec_b64 s[2:3], vcc
	s_cbranch_execz .LBB65_10
.LBB65_13:
	v_add_u32_e32 v2, 64, v0
	v_mov_b32_e32 v3, 0
	v_lshlrev_b64 v[4:5], 4, v[2:3]
	v_mov_b32_e32 v1, s1
	v_add_co_u32_e32 v6, vcc, s0, v4
	v_addc_co_u32_e32 v7, vcc, v1, v5, vcc
	v_mov_b32_e32 v2, v3
	v_mov_b32_e32 v4, v3
	;; [unrolled: 1-line block ×3, first 2 shown]
	global_store_dwordx4 v[6:7], v[2:5], off
	s_or_b64 exec, exec, s[2:3]
	v_cmp_gt_u32_e32 vcc, 64, v0
	s_and_saveexec_b64 s[2:3], vcc
	s_cbranch_execz .LBB65_11
.LBB65_14:
	v_mov_b32_e32 v1, 0
	v_lshlrev_b64 v[2:3], 4, v[0:1]
	v_mov_b32_e32 v0, s1
	v_add_co_u32_e32 v4, vcc, s0, v2
	v_addc_co_u32_e32 v5, vcc, v0, v3, vcc
	v_mov_b32_e32 v2, 0xff
	v_mov_b32_e32 v0, v1
	;; [unrolled: 1-line block ×3, first 2 shown]
	global_store_dwordx4 v[4:5], v[0:3], off
	s_endpgm
	.section	.rodata,"a",@progbits
	.p2align	6, 0x0
	.amdhsa_kernel _ZN7rocprim17ROCPRIM_400000_NS6detail31init_lookback_scan_state_kernelINS1_19lookback_scan_stateIdLb0ELb1EEENS1_16block_id_wrapperIjLb1EEEEEvT_jT0_jPNS7_10value_typeE
		.amdhsa_group_segment_fixed_size 0
		.amdhsa_private_segment_fixed_size 0
		.amdhsa_kernarg_size 296
		.amdhsa_user_sgpr_count 6
		.amdhsa_user_sgpr_private_segment_buffer 1
		.amdhsa_user_sgpr_dispatch_ptr 0
		.amdhsa_user_sgpr_queue_ptr 0
		.amdhsa_user_sgpr_kernarg_segment_ptr 1
		.amdhsa_user_sgpr_dispatch_id 0
		.amdhsa_user_sgpr_flat_scratch_init 0
		.amdhsa_user_sgpr_kernarg_preload_length 0
		.amdhsa_user_sgpr_kernarg_preload_offset 0
		.amdhsa_user_sgpr_private_segment_size 0
		.amdhsa_uses_dynamic_stack 0
		.amdhsa_system_sgpr_private_segment_wavefront_offset 0
		.amdhsa_system_sgpr_workgroup_id_x 1
		.amdhsa_system_sgpr_workgroup_id_y 0
		.amdhsa_system_sgpr_workgroup_id_z 0
		.amdhsa_system_sgpr_workgroup_info 0
		.amdhsa_system_vgpr_workitem_id 0
		.amdhsa_next_free_vgpr 10
		.amdhsa_next_free_sgpr 15
		.amdhsa_accum_offset 12
		.amdhsa_reserve_vcc 1
		.amdhsa_reserve_flat_scratch 0
		.amdhsa_float_round_mode_32 0
		.amdhsa_float_round_mode_16_64 0
		.amdhsa_float_denorm_mode_32 3
		.amdhsa_float_denorm_mode_16_64 3
		.amdhsa_dx10_clamp 1
		.amdhsa_ieee_mode 1
		.amdhsa_fp16_overflow 0
		.amdhsa_tg_split 0
		.amdhsa_exception_fp_ieee_invalid_op 0
		.amdhsa_exception_fp_denorm_src 0
		.amdhsa_exception_fp_ieee_div_zero 0
		.amdhsa_exception_fp_ieee_overflow 0
		.amdhsa_exception_fp_ieee_underflow 0
		.amdhsa_exception_fp_ieee_inexact 0
		.amdhsa_exception_int_div_zero 0
	.end_amdhsa_kernel
	.section	.text._ZN7rocprim17ROCPRIM_400000_NS6detail31init_lookback_scan_state_kernelINS1_19lookback_scan_stateIdLb0ELb1EEENS1_16block_id_wrapperIjLb1EEEEEvT_jT0_jPNS7_10value_typeE,"axG",@progbits,_ZN7rocprim17ROCPRIM_400000_NS6detail31init_lookback_scan_state_kernelINS1_19lookback_scan_stateIdLb0ELb1EEENS1_16block_id_wrapperIjLb1EEEEEvT_jT0_jPNS7_10value_typeE,comdat
.Lfunc_end65:
	.size	_ZN7rocprim17ROCPRIM_400000_NS6detail31init_lookback_scan_state_kernelINS1_19lookback_scan_stateIdLb0ELb1EEENS1_16block_id_wrapperIjLb1EEEEEvT_jT0_jPNS7_10value_typeE, .Lfunc_end65-_ZN7rocprim17ROCPRIM_400000_NS6detail31init_lookback_scan_state_kernelINS1_19lookback_scan_stateIdLb0ELb1EEENS1_16block_id_wrapperIjLb1EEEEEvT_jT0_jPNS7_10value_typeE
                                        ; -- End function
	.section	.AMDGPU.csdata,"",@progbits
; Kernel info:
; codeLenInByte = 440
; NumSgprs: 19
; NumVgprs: 10
; NumAgprs: 0
; TotalNumVgprs: 10
; ScratchSize: 0
; MemoryBound: 0
; FloatMode: 240
; IeeeMode: 1
; LDSByteSize: 0 bytes/workgroup (compile time only)
; SGPRBlocks: 2
; VGPRBlocks: 1
; NumSGPRsForWavesPerEU: 19
; NumVGPRsForWavesPerEU: 10
; AccumOffset: 12
; Occupancy: 8
; WaveLimiterHint : 0
; COMPUTE_PGM_RSRC2:SCRATCH_EN: 0
; COMPUTE_PGM_RSRC2:USER_SGPR: 6
; COMPUTE_PGM_RSRC2:TRAP_HANDLER: 0
; COMPUTE_PGM_RSRC2:TGID_X_EN: 1
; COMPUTE_PGM_RSRC2:TGID_Y_EN: 0
; COMPUTE_PGM_RSRC2:TGID_Z_EN: 0
; COMPUTE_PGM_RSRC2:TIDIG_COMP_CNT: 0
; COMPUTE_PGM_RSRC3_GFX90A:ACCUM_OFFSET: 2
; COMPUTE_PGM_RSRC3_GFX90A:TG_SPLIT: 0
	.section	.text._ZN7rocprim17ROCPRIM_400000_NS6detail17trampoline_kernelINS0_14default_configENS1_20scan_config_selectorIdEEZZNS1_9scan_implILNS1_25lookback_scan_determinismE0ELb0ELb0ES3_PKdPddZZZN2at6native31launch_logcumsumexp_cuda_kernelERKNSB_10TensorBaseESF_lENKUlvE_clEvENKUlvE_clEvEUlddE_dEEDaPvRmT3_T4_T5_mT6_P12ihipStream_tbENKUlT_T0_E_clISt17integral_constantIbLb0EESV_IbLb1EEEEDaSR_SS_EUlSR_E_NS1_11comp_targetILNS1_3genE0ELNS1_11target_archE4294967295ELNS1_3gpuE0ELNS1_3repE0EEENS1_30default_config_static_selectorELNS0_4arch9wavefront6targetE1EEEvT1_,"axG",@progbits,_ZN7rocprim17ROCPRIM_400000_NS6detail17trampoline_kernelINS0_14default_configENS1_20scan_config_selectorIdEEZZNS1_9scan_implILNS1_25lookback_scan_determinismE0ELb0ELb0ES3_PKdPddZZZN2at6native31launch_logcumsumexp_cuda_kernelERKNSB_10TensorBaseESF_lENKUlvE_clEvENKUlvE_clEvEUlddE_dEEDaPvRmT3_T4_T5_mT6_P12ihipStream_tbENKUlT_T0_E_clISt17integral_constantIbLb0EESV_IbLb1EEEEDaSR_SS_EUlSR_E_NS1_11comp_targetILNS1_3genE0ELNS1_11target_archE4294967295ELNS1_3gpuE0ELNS1_3repE0EEENS1_30default_config_static_selectorELNS0_4arch9wavefront6targetE1EEEvT1_,comdat
	.globl	_ZN7rocprim17ROCPRIM_400000_NS6detail17trampoline_kernelINS0_14default_configENS1_20scan_config_selectorIdEEZZNS1_9scan_implILNS1_25lookback_scan_determinismE0ELb0ELb0ES3_PKdPddZZZN2at6native31launch_logcumsumexp_cuda_kernelERKNSB_10TensorBaseESF_lENKUlvE_clEvENKUlvE_clEvEUlddE_dEEDaPvRmT3_T4_T5_mT6_P12ihipStream_tbENKUlT_T0_E_clISt17integral_constantIbLb0EESV_IbLb1EEEEDaSR_SS_EUlSR_E_NS1_11comp_targetILNS1_3genE0ELNS1_11target_archE4294967295ELNS1_3gpuE0ELNS1_3repE0EEENS1_30default_config_static_selectorELNS0_4arch9wavefront6targetE1EEEvT1_ ; -- Begin function _ZN7rocprim17ROCPRIM_400000_NS6detail17trampoline_kernelINS0_14default_configENS1_20scan_config_selectorIdEEZZNS1_9scan_implILNS1_25lookback_scan_determinismE0ELb0ELb0ES3_PKdPddZZZN2at6native31launch_logcumsumexp_cuda_kernelERKNSB_10TensorBaseESF_lENKUlvE_clEvENKUlvE_clEvEUlddE_dEEDaPvRmT3_T4_T5_mT6_P12ihipStream_tbENKUlT_T0_E_clISt17integral_constantIbLb0EESV_IbLb1EEEEDaSR_SS_EUlSR_E_NS1_11comp_targetILNS1_3genE0ELNS1_11target_archE4294967295ELNS1_3gpuE0ELNS1_3repE0EEENS1_30default_config_static_selectorELNS0_4arch9wavefront6targetE1EEEvT1_
	.p2align	8
	.type	_ZN7rocprim17ROCPRIM_400000_NS6detail17trampoline_kernelINS0_14default_configENS1_20scan_config_selectorIdEEZZNS1_9scan_implILNS1_25lookback_scan_determinismE0ELb0ELb0ES3_PKdPddZZZN2at6native31launch_logcumsumexp_cuda_kernelERKNSB_10TensorBaseESF_lENKUlvE_clEvENKUlvE_clEvEUlddE_dEEDaPvRmT3_T4_T5_mT6_P12ihipStream_tbENKUlT_T0_E_clISt17integral_constantIbLb0EESV_IbLb1EEEEDaSR_SS_EUlSR_E_NS1_11comp_targetILNS1_3genE0ELNS1_11target_archE4294967295ELNS1_3gpuE0ELNS1_3repE0EEENS1_30default_config_static_selectorELNS0_4arch9wavefront6targetE1EEEvT1_,@function
_ZN7rocprim17ROCPRIM_400000_NS6detail17trampoline_kernelINS0_14default_configENS1_20scan_config_selectorIdEEZZNS1_9scan_implILNS1_25lookback_scan_determinismE0ELb0ELb0ES3_PKdPddZZZN2at6native31launch_logcumsumexp_cuda_kernelERKNSB_10TensorBaseESF_lENKUlvE_clEvENKUlvE_clEvEUlddE_dEEDaPvRmT3_T4_T5_mT6_P12ihipStream_tbENKUlT_T0_E_clISt17integral_constantIbLb0EESV_IbLb1EEEEDaSR_SS_EUlSR_E_NS1_11comp_targetILNS1_3genE0ELNS1_11target_archE4294967295ELNS1_3gpuE0ELNS1_3repE0EEENS1_30default_config_static_selectorELNS0_4arch9wavefront6targetE1EEEvT1_: ; @_ZN7rocprim17ROCPRIM_400000_NS6detail17trampoline_kernelINS0_14default_configENS1_20scan_config_selectorIdEEZZNS1_9scan_implILNS1_25lookback_scan_determinismE0ELb0ELb0ES3_PKdPddZZZN2at6native31launch_logcumsumexp_cuda_kernelERKNSB_10TensorBaseESF_lENKUlvE_clEvENKUlvE_clEvEUlddE_dEEDaPvRmT3_T4_T5_mT6_P12ihipStream_tbENKUlT_T0_E_clISt17integral_constantIbLb0EESV_IbLb1EEEEDaSR_SS_EUlSR_E_NS1_11comp_targetILNS1_3genE0ELNS1_11target_archE4294967295ELNS1_3gpuE0ELNS1_3repE0EEENS1_30default_config_static_selectorELNS0_4arch9wavefront6targetE1EEEvT1_
; %bb.0:
	.section	.rodata,"a",@progbits
	.p2align	6, 0x0
	.amdhsa_kernel _ZN7rocprim17ROCPRIM_400000_NS6detail17trampoline_kernelINS0_14default_configENS1_20scan_config_selectorIdEEZZNS1_9scan_implILNS1_25lookback_scan_determinismE0ELb0ELb0ES3_PKdPddZZZN2at6native31launch_logcumsumexp_cuda_kernelERKNSB_10TensorBaseESF_lENKUlvE_clEvENKUlvE_clEvEUlddE_dEEDaPvRmT3_T4_T5_mT6_P12ihipStream_tbENKUlT_T0_E_clISt17integral_constantIbLb0EESV_IbLb1EEEEDaSR_SS_EUlSR_E_NS1_11comp_targetILNS1_3genE0ELNS1_11target_archE4294967295ELNS1_3gpuE0ELNS1_3repE0EEENS1_30default_config_static_selectorELNS0_4arch9wavefront6targetE1EEEvT1_
		.amdhsa_group_segment_fixed_size 0
		.amdhsa_private_segment_fixed_size 0
		.amdhsa_kernarg_size 104
		.amdhsa_user_sgpr_count 6
		.amdhsa_user_sgpr_private_segment_buffer 1
		.amdhsa_user_sgpr_dispatch_ptr 0
		.amdhsa_user_sgpr_queue_ptr 0
		.amdhsa_user_sgpr_kernarg_segment_ptr 1
		.amdhsa_user_sgpr_dispatch_id 0
		.amdhsa_user_sgpr_flat_scratch_init 0
		.amdhsa_user_sgpr_kernarg_preload_length 0
		.amdhsa_user_sgpr_kernarg_preload_offset 0
		.amdhsa_user_sgpr_private_segment_size 0
		.amdhsa_uses_dynamic_stack 0
		.amdhsa_system_sgpr_private_segment_wavefront_offset 0
		.amdhsa_system_sgpr_workgroup_id_x 1
		.amdhsa_system_sgpr_workgroup_id_y 0
		.amdhsa_system_sgpr_workgroup_id_z 0
		.amdhsa_system_sgpr_workgroup_info 0
		.amdhsa_system_vgpr_workitem_id 0
		.amdhsa_next_free_vgpr 1
		.amdhsa_next_free_sgpr 0
		.amdhsa_accum_offset 4
		.amdhsa_reserve_vcc 0
		.amdhsa_reserve_flat_scratch 0
		.amdhsa_float_round_mode_32 0
		.amdhsa_float_round_mode_16_64 0
		.amdhsa_float_denorm_mode_32 3
		.amdhsa_float_denorm_mode_16_64 3
		.amdhsa_dx10_clamp 1
		.amdhsa_ieee_mode 1
		.amdhsa_fp16_overflow 0
		.amdhsa_tg_split 0
		.amdhsa_exception_fp_ieee_invalid_op 0
		.amdhsa_exception_fp_denorm_src 0
		.amdhsa_exception_fp_ieee_div_zero 0
		.amdhsa_exception_fp_ieee_overflow 0
		.amdhsa_exception_fp_ieee_underflow 0
		.amdhsa_exception_fp_ieee_inexact 0
		.amdhsa_exception_int_div_zero 0
	.end_amdhsa_kernel
	.section	.text._ZN7rocprim17ROCPRIM_400000_NS6detail17trampoline_kernelINS0_14default_configENS1_20scan_config_selectorIdEEZZNS1_9scan_implILNS1_25lookback_scan_determinismE0ELb0ELb0ES3_PKdPddZZZN2at6native31launch_logcumsumexp_cuda_kernelERKNSB_10TensorBaseESF_lENKUlvE_clEvENKUlvE_clEvEUlddE_dEEDaPvRmT3_T4_T5_mT6_P12ihipStream_tbENKUlT_T0_E_clISt17integral_constantIbLb0EESV_IbLb1EEEEDaSR_SS_EUlSR_E_NS1_11comp_targetILNS1_3genE0ELNS1_11target_archE4294967295ELNS1_3gpuE0ELNS1_3repE0EEENS1_30default_config_static_selectorELNS0_4arch9wavefront6targetE1EEEvT1_,"axG",@progbits,_ZN7rocprim17ROCPRIM_400000_NS6detail17trampoline_kernelINS0_14default_configENS1_20scan_config_selectorIdEEZZNS1_9scan_implILNS1_25lookback_scan_determinismE0ELb0ELb0ES3_PKdPddZZZN2at6native31launch_logcumsumexp_cuda_kernelERKNSB_10TensorBaseESF_lENKUlvE_clEvENKUlvE_clEvEUlddE_dEEDaPvRmT3_T4_T5_mT6_P12ihipStream_tbENKUlT_T0_E_clISt17integral_constantIbLb0EESV_IbLb1EEEEDaSR_SS_EUlSR_E_NS1_11comp_targetILNS1_3genE0ELNS1_11target_archE4294967295ELNS1_3gpuE0ELNS1_3repE0EEENS1_30default_config_static_selectorELNS0_4arch9wavefront6targetE1EEEvT1_,comdat
.Lfunc_end66:
	.size	_ZN7rocprim17ROCPRIM_400000_NS6detail17trampoline_kernelINS0_14default_configENS1_20scan_config_selectorIdEEZZNS1_9scan_implILNS1_25lookback_scan_determinismE0ELb0ELb0ES3_PKdPddZZZN2at6native31launch_logcumsumexp_cuda_kernelERKNSB_10TensorBaseESF_lENKUlvE_clEvENKUlvE_clEvEUlddE_dEEDaPvRmT3_T4_T5_mT6_P12ihipStream_tbENKUlT_T0_E_clISt17integral_constantIbLb0EESV_IbLb1EEEEDaSR_SS_EUlSR_E_NS1_11comp_targetILNS1_3genE0ELNS1_11target_archE4294967295ELNS1_3gpuE0ELNS1_3repE0EEENS1_30default_config_static_selectorELNS0_4arch9wavefront6targetE1EEEvT1_, .Lfunc_end66-_ZN7rocprim17ROCPRIM_400000_NS6detail17trampoline_kernelINS0_14default_configENS1_20scan_config_selectorIdEEZZNS1_9scan_implILNS1_25lookback_scan_determinismE0ELb0ELb0ES3_PKdPddZZZN2at6native31launch_logcumsumexp_cuda_kernelERKNSB_10TensorBaseESF_lENKUlvE_clEvENKUlvE_clEvEUlddE_dEEDaPvRmT3_T4_T5_mT6_P12ihipStream_tbENKUlT_T0_E_clISt17integral_constantIbLb0EESV_IbLb1EEEEDaSR_SS_EUlSR_E_NS1_11comp_targetILNS1_3genE0ELNS1_11target_archE4294967295ELNS1_3gpuE0ELNS1_3repE0EEENS1_30default_config_static_selectorELNS0_4arch9wavefront6targetE1EEEvT1_
                                        ; -- End function
	.section	.AMDGPU.csdata,"",@progbits
; Kernel info:
; codeLenInByte = 0
; NumSgprs: 4
; NumVgprs: 0
; NumAgprs: 0
; TotalNumVgprs: 0
; ScratchSize: 0
; MemoryBound: 0
; FloatMode: 240
; IeeeMode: 1
; LDSByteSize: 0 bytes/workgroup (compile time only)
; SGPRBlocks: 0
; VGPRBlocks: 0
; NumSGPRsForWavesPerEU: 4
; NumVGPRsForWavesPerEU: 1
; AccumOffset: 4
; Occupancy: 8
; WaveLimiterHint : 0
; COMPUTE_PGM_RSRC2:SCRATCH_EN: 0
; COMPUTE_PGM_RSRC2:USER_SGPR: 6
; COMPUTE_PGM_RSRC2:TRAP_HANDLER: 0
; COMPUTE_PGM_RSRC2:TGID_X_EN: 1
; COMPUTE_PGM_RSRC2:TGID_Y_EN: 0
; COMPUTE_PGM_RSRC2:TGID_Z_EN: 0
; COMPUTE_PGM_RSRC2:TIDIG_COMP_CNT: 0
; COMPUTE_PGM_RSRC3_GFX90A:ACCUM_OFFSET: 0
; COMPUTE_PGM_RSRC3_GFX90A:TG_SPLIT: 0
	.section	.text._ZN7rocprim17ROCPRIM_400000_NS6detail17trampoline_kernelINS0_14default_configENS1_20scan_config_selectorIdEEZZNS1_9scan_implILNS1_25lookback_scan_determinismE0ELb0ELb0ES3_PKdPddZZZN2at6native31launch_logcumsumexp_cuda_kernelERKNSB_10TensorBaseESF_lENKUlvE_clEvENKUlvE_clEvEUlddE_dEEDaPvRmT3_T4_T5_mT6_P12ihipStream_tbENKUlT_T0_E_clISt17integral_constantIbLb0EESV_IbLb1EEEEDaSR_SS_EUlSR_E_NS1_11comp_targetILNS1_3genE5ELNS1_11target_archE942ELNS1_3gpuE9ELNS1_3repE0EEENS1_30default_config_static_selectorELNS0_4arch9wavefront6targetE1EEEvT1_,"axG",@progbits,_ZN7rocprim17ROCPRIM_400000_NS6detail17trampoline_kernelINS0_14default_configENS1_20scan_config_selectorIdEEZZNS1_9scan_implILNS1_25lookback_scan_determinismE0ELb0ELb0ES3_PKdPddZZZN2at6native31launch_logcumsumexp_cuda_kernelERKNSB_10TensorBaseESF_lENKUlvE_clEvENKUlvE_clEvEUlddE_dEEDaPvRmT3_T4_T5_mT6_P12ihipStream_tbENKUlT_T0_E_clISt17integral_constantIbLb0EESV_IbLb1EEEEDaSR_SS_EUlSR_E_NS1_11comp_targetILNS1_3genE5ELNS1_11target_archE942ELNS1_3gpuE9ELNS1_3repE0EEENS1_30default_config_static_selectorELNS0_4arch9wavefront6targetE1EEEvT1_,comdat
	.globl	_ZN7rocprim17ROCPRIM_400000_NS6detail17trampoline_kernelINS0_14default_configENS1_20scan_config_selectorIdEEZZNS1_9scan_implILNS1_25lookback_scan_determinismE0ELb0ELb0ES3_PKdPddZZZN2at6native31launch_logcumsumexp_cuda_kernelERKNSB_10TensorBaseESF_lENKUlvE_clEvENKUlvE_clEvEUlddE_dEEDaPvRmT3_T4_T5_mT6_P12ihipStream_tbENKUlT_T0_E_clISt17integral_constantIbLb0EESV_IbLb1EEEEDaSR_SS_EUlSR_E_NS1_11comp_targetILNS1_3genE5ELNS1_11target_archE942ELNS1_3gpuE9ELNS1_3repE0EEENS1_30default_config_static_selectorELNS0_4arch9wavefront6targetE1EEEvT1_ ; -- Begin function _ZN7rocprim17ROCPRIM_400000_NS6detail17trampoline_kernelINS0_14default_configENS1_20scan_config_selectorIdEEZZNS1_9scan_implILNS1_25lookback_scan_determinismE0ELb0ELb0ES3_PKdPddZZZN2at6native31launch_logcumsumexp_cuda_kernelERKNSB_10TensorBaseESF_lENKUlvE_clEvENKUlvE_clEvEUlddE_dEEDaPvRmT3_T4_T5_mT6_P12ihipStream_tbENKUlT_T0_E_clISt17integral_constantIbLb0EESV_IbLb1EEEEDaSR_SS_EUlSR_E_NS1_11comp_targetILNS1_3genE5ELNS1_11target_archE942ELNS1_3gpuE9ELNS1_3repE0EEENS1_30default_config_static_selectorELNS0_4arch9wavefront6targetE1EEEvT1_
	.p2align	8
	.type	_ZN7rocprim17ROCPRIM_400000_NS6detail17trampoline_kernelINS0_14default_configENS1_20scan_config_selectorIdEEZZNS1_9scan_implILNS1_25lookback_scan_determinismE0ELb0ELb0ES3_PKdPddZZZN2at6native31launch_logcumsumexp_cuda_kernelERKNSB_10TensorBaseESF_lENKUlvE_clEvENKUlvE_clEvEUlddE_dEEDaPvRmT3_T4_T5_mT6_P12ihipStream_tbENKUlT_T0_E_clISt17integral_constantIbLb0EESV_IbLb1EEEEDaSR_SS_EUlSR_E_NS1_11comp_targetILNS1_3genE5ELNS1_11target_archE942ELNS1_3gpuE9ELNS1_3repE0EEENS1_30default_config_static_selectorELNS0_4arch9wavefront6targetE1EEEvT1_,@function
_ZN7rocprim17ROCPRIM_400000_NS6detail17trampoline_kernelINS0_14default_configENS1_20scan_config_selectorIdEEZZNS1_9scan_implILNS1_25lookback_scan_determinismE0ELb0ELb0ES3_PKdPddZZZN2at6native31launch_logcumsumexp_cuda_kernelERKNSB_10TensorBaseESF_lENKUlvE_clEvENKUlvE_clEvEUlddE_dEEDaPvRmT3_T4_T5_mT6_P12ihipStream_tbENKUlT_T0_E_clISt17integral_constantIbLb0EESV_IbLb1EEEEDaSR_SS_EUlSR_E_NS1_11comp_targetILNS1_3genE5ELNS1_11target_archE942ELNS1_3gpuE9ELNS1_3repE0EEENS1_30default_config_static_selectorELNS0_4arch9wavefront6targetE1EEEvT1_: ; @_ZN7rocprim17ROCPRIM_400000_NS6detail17trampoline_kernelINS0_14default_configENS1_20scan_config_selectorIdEEZZNS1_9scan_implILNS1_25lookback_scan_determinismE0ELb0ELb0ES3_PKdPddZZZN2at6native31launch_logcumsumexp_cuda_kernelERKNSB_10TensorBaseESF_lENKUlvE_clEvENKUlvE_clEvEUlddE_dEEDaPvRmT3_T4_T5_mT6_P12ihipStream_tbENKUlT_T0_E_clISt17integral_constantIbLb0EESV_IbLb1EEEEDaSR_SS_EUlSR_E_NS1_11comp_targetILNS1_3genE5ELNS1_11target_archE942ELNS1_3gpuE9ELNS1_3repE0EEENS1_30default_config_static_selectorELNS0_4arch9wavefront6targetE1EEEvT1_
; %bb.0:
	.section	.rodata,"a",@progbits
	.p2align	6, 0x0
	.amdhsa_kernel _ZN7rocprim17ROCPRIM_400000_NS6detail17trampoline_kernelINS0_14default_configENS1_20scan_config_selectorIdEEZZNS1_9scan_implILNS1_25lookback_scan_determinismE0ELb0ELb0ES3_PKdPddZZZN2at6native31launch_logcumsumexp_cuda_kernelERKNSB_10TensorBaseESF_lENKUlvE_clEvENKUlvE_clEvEUlddE_dEEDaPvRmT3_T4_T5_mT6_P12ihipStream_tbENKUlT_T0_E_clISt17integral_constantIbLb0EESV_IbLb1EEEEDaSR_SS_EUlSR_E_NS1_11comp_targetILNS1_3genE5ELNS1_11target_archE942ELNS1_3gpuE9ELNS1_3repE0EEENS1_30default_config_static_selectorELNS0_4arch9wavefront6targetE1EEEvT1_
		.amdhsa_group_segment_fixed_size 0
		.amdhsa_private_segment_fixed_size 0
		.amdhsa_kernarg_size 104
		.amdhsa_user_sgpr_count 6
		.amdhsa_user_sgpr_private_segment_buffer 1
		.amdhsa_user_sgpr_dispatch_ptr 0
		.amdhsa_user_sgpr_queue_ptr 0
		.amdhsa_user_sgpr_kernarg_segment_ptr 1
		.amdhsa_user_sgpr_dispatch_id 0
		.amdhsa_user_sgpr_flat_scratch_init 0
		.amdhsa_user_sgpr_kernarg_preload_length 0
		.amdhsa_user_sgpr_kernarg_preload_offset 0
		.amdhsa_user_sgpr_private_segment_size 0
		.amdhsa_uses_dynamic_stack 0
		.amdhsa_system_sgpr_private_segment_wavefront_offset 0
		.amdhsa_system_sgpr_workgroup_id_x 1
		.amdhsa_system_sgpr_workgroup_id_y 0
		.amdhsa_system_sgpr_workgroup_id_z 0
		.amdhsa_system_sgpr_workgroup_info 0
		.amdhsa_system_vgpr_workitem_id 0
		.amdhsa_next_free_vgpr 1
		.amdhsa_next_free_sgpr 0
		.amdhsa_accum_offset 4
		.amdhsa_reserve_vcc 0
		.amdhsa_reserve_flat_scratch 0
		.amdhsa_float_round_mode_32 0
		.amdhsa_float_round_mode_16_64 0
		.amdhsa_float_denorm_mode_32 3
		.amdhsa_float_denorm_mode_16_64 3
		.amdhsa_dx10_clamp 1
		.amdhsa_ieee_mode 1
		.amdhsa_fp16_overflow 0
		.amdhsa_tg_split 0
		.amdhsa_exception_fp_ieee_invalid_op 0
		.amdhsa_exception_fp_denorm_src 0
		.amdhsa_exception_fp_ieee_div_zero 0
		.amdhsa_exception_fp_ieee_overflow 0
		.amdhsa_exception_fp_ieee_underflow 0
		.amdhsa_exception_fp_ieee_inexact 0
		.amdhsa_exception_int_div_zero 0
	.end_amdhsa_kernel
	.section	.text._ZN7rocprim17ROCPRIM_400000_NS6detail17trampoline_kernelINS0_14default_configENS1_20scan_config_selectorIdEEZZNS1_9scan_implILNS1_25lookback_scan_determinismE0ELb0ELb0ES3_PKdPddZZZN2at6native31launch_logcumsumexp_cuda_kernelERKNSB_10TensorBaseESF_lENKUlvE_clEvENKUlvE_clEvEUlddE_dEEDaPvRmT3_T4_T5_mT6_P12ihipStream_tbENKUlT_T0_E_clISt17integral_constantIbLb0EESV_IbLb1EEEEDaSR_SS_EUlSR_E_NS1_11comp_targetILNS1_3genE5ELNS1_11target_archE942ELNS1_3gpuE9ELNS1_3repE0EEENS1_30default_config_static_selectorELNS0_4arch9wavefront6targetE1EEEvT1_,"axG",@progbits,_ZN7rocprim17ROCPRIM_400000_NS6detail17trampoline_kernelINS0_14default_configENS1_20scan_config_selectorIdEEZZNS1_9scan_implILNS1_25lookback_scan_determinismE0ELb0ELb0ES3_PKdPddZZZN2at6native31launch_logcumsumexp_cuda_kernelERKNSB_10TensorBaseESF_lENKUlvE_clEvENKUlvE_clEvEUlddE_dEEDaPvRmT3_T4_T5_mT6_P12ihipStream_tbENKUlT_T0_E_clISt17integral_constantIbLb0EESV_IbLb1EEEEDaSR_SS_EUlSR_E_NS1_11comp_targetILNS1_3genE5ELNS1_11target_archE942ELNS1_3gpuE9ELNS1_3repE0EEENS1_30default_config_static_selectorELNS0_4arch9wavefront6targetE1EEEvT1_,comdat
.Lfunc_end67:
	.size	_ZN7rocprim17ROCPRIM_400000_NS6detail17trampoline_kernelINS0_14default_configENS1_20scan_config_selectorIdEEZZNS1_9scan_implILNS1_25lookback_scan_determinismE0ELb0ELb0ES3_PKdPddZZZN2at6native31launch_logcumsumexp_cuda_kernelERKNSB_10TensorBaseESF_lENKUlvE_clEvENKUlvE_clEvEUlddE_dEEDaPvRmT3_T4_T5_mT6_P12ihipStream_tbENKUlT_T0_E_clISt17integral_constantIbLb0EESV_IbLb1EEEEDaSR_SS_EUlSR_E_NS1_11comp_targetILNS1_3genE5ELNS1_11target_archE942ELNS1_3gpuE9ELNS1_3repE0EEENS1_30default_config_static_selectorELNS0_4arch9wavefront6targetE1EEEvT1_, .Lfunc_end67-_ZN7rocprim17ROCPRIM_400000_NS6detail17trampoline_kernelINS0_14default_configENS1_20scan_config_selectorIdEEZZNS1_9scan_implILNS1_25lookback_scan_determinismE0ELb0ELb0ES3_PKdPddZZZN2at6native31launch_logcumsumexp_cuda_kernelERKNSB_10TensorBaseESF_lENKUlvE_clEvENKUlvE_clEvEUlddE_dEEDaPvRmT3_T4_T5_mT6_P12ihipStream_tbENKUlT_T0_E_clISt17integral_constantIbLb0EESV_IbLb1EEEEDaSR_SS_EUlSR_E_NS1_11comp_targetILNS1_3genE5ELNS1_11target_archE942ELNS1_3gpuE9ELNS1_3repE0EEENS1_30default_config_static_selectorELNS0_4arch9wavefront6targetE1EEEvT1_
                                        ; -- End function
	.section	.AMDGPU.csdata,"",@progbits
; Kernel info:
; codeLenInByte = 0
; NumSgprs: 4
; NumVgprs: 0
; NumAgprs: 0
; TotalNumVgprs: 0
; ScratchSize: 0
; MemoryBound: 0
; FloatMode: 240
; IeeeMode: 1
; LDSByteSize: 0 bytes/workgroup (compile time only)
; SGPRBlocks: 0
; VGPRBlocks: 0
; NumSGPRsForWavesPerEU: 4
; NumVGPRsForWavesPerEU: 1
; AccumOffset: 4
; Occupancy: 8
; WaveLimiterHint : 0
; COMPUTE_PGM_RSRC2:SCRATCH_EN: 0
; COMPUTE_PGM_RSRC2:USER_SGPR: 6
; COMPUTE_PGM_RSRC2:TRAP_HANDLER: 0
; COMPUTE_PGM_RSRC2:TGID_X_EN: 1
; COMPUTE_PGM_RSRC2:TGID_Y_EN: 0
; COMPUTE_PGM_RSRC2:TGID_Z_EN: 0
; COMPUTE_PGM_RSRC2:TIDIG_COMP_CNT: 0
; COMPUTE_PGM_RSRC3_GFX90A:ACCUM_OFFSET: 0
; COMPUTE_PGM_RSRC3_GFX90A:TG_SPLIT: 0
	.section	.text._ZN7rocprim17ROCPRIM_400000_NS6detail17trampoline_kernelINS0_14default_configENS1_20scan_config_selectorIdEEZZNS1_9scan_implILNS1_25lookback_scan_determinismE0ELb0ELb0ES3_PKdPddZZZN2at6native31launch_logcumsumexp_cuda_kernelERKNSB_10TensorBaseESF_lENKUlvE_clEvENKUlvE_clEvEUlddE_dEEDaPvRmT3_T4_T5_mT6_P12ihipStream_tbENKUlT_T0_E_clISt17integral_constantIbLb0EESV_IbLb1EEEEDaSR_SS_EUlSR_E_NS1_11comp_targetILNS1_3genE4ELNS1_11target_archE910ELNS1_3gpuE8ELNS1_3repE0EEENS1_30default_config_static_selectorELNS0_4arch9wavefront6targetE1EEEvT1_,"axG",@progbits,_ZN7rocprim17ROCPRIM_400000_NS6detail17trampoline_kernelINS0_14default_configENS1_20scan_config_selectorIdEEZZNS1_9scan_implILNS1_25lookback_scan_determinismE0ELb0ELb0ES3_PKdPddZZZN2at6native31launch_logcumsumexp_cuda_kernelERKNSB_10TensorBaseESF_lENKUlvE_clEvENKUlvE_clEvEUlddE_dEEDaPvRmT3_T4_T5_mT6_P12ihipStream_tbENKUlT_T0_E_clISt17integral_constantIbLb0EESV_IbLb1EEEEDaSR_SS_EUlSR_E_NS1_11comp_targetILNS1_3genE4ELNS1_11target_archE910ELNS1_3gpuE8ELNS1_3repE0EEENS1_30default_config_static_selectorELNS0_4arch9wavefront6targetE1EEEvT1_,comdat
	.globl	_ZN7rocprim17ROCPRIM_400000_NS6detail17trampoline_kernelINS0_14default_configENS1_20scan_config_selectorIdEEZZNS1_9scan_implILNS1_25lookback_scan_determinismE0ELb0ELb0ES3_PKdPddZZZN2at6native31launch_logcumsumexp_cuda_kernelERKNSB_10TensorBaseESF_lENKUlvE_clEvENKUlvE_clEvEUlddE_dEEDaPvRmT3_T4_T5_mT6_P12ihipStream_tbENKUlT_T0_E_clISt17integral_constantIbLb0EESV_IbLb1EEEEDaSR_SS_EUlSR_E_NS1_11comp_targetILNS1_3genE4ELNS1_11target_archE910ELNS1_3gpuE8ELNS1_3repE0EEENS1_30default_config_static_selectorELNS0_4arch9wavefront6targetE1EEEvT1_ ; -- Begin function _ZN7rocprim17ROCPRIM_400000_NS6detail17trampoline_kernelINS0_14default_configENS1_20scan_config_selectorIdEEZZNS1_9scan_implILNS1_25lookback_scan_determinismE0ELb0ELb0ES3_PKdPddZZZN2at6native31launch_logcumsumexp_cuda_kernelERKNSB_10TensorBaseESF_lENKUlvE_clEvENKUlvE_clEvEUlddE_dEEDaPvRmT3_T4_T5_mT6_P12ihipStream_tbENKUlT_T0_E_clISt17integral_constantIbLb0EESV_IbLb1EEEEDaSR_SS_EUlSR_E_NS1_11comp_targetILNS1_3genE4ELNS1_11target_archE910ELNS1_3gpuE8ELNS1_3repE0EEENS1_30default_config_static_selectorELNS0_4arch9wavefront6targetE1EEEvT1_
	.p2align	8
	.type	_ZN7rocprim17ROCPRIM_400000_NS6detail17trampoline_kernelINS0_14default_configENS1_20scan_config_selectorIdEEZZNS1_9scan_implILNS1_25lookback_scan_determinismE0ELb0ELb0ES3_PKdPddZZZN2at6native31launch_logcumsumexp_cuda_kernelERKNSB_10TensorBaseESF_lENKUlvE_clEvENKUlvE_clEvEUlddE_dEEDaPvRmT3_T4_T5_mT6_P12ihipStream_tbENKUlT_T0_E_clISt17integral_constantIbLb0EESV_IbLb1EEEEDaSR_SS_EUlSR_E_NS1_11comp_targetILNS1_3genE4ELNS1_11target_archE910ELNS1_3gpuE8ELNS1_3repE0EEENS1_30default_config_static_selectorELNS0_4arch9wavefront6targetE1EEEvT1_,@function
_ZN7rocprim17ROCPRIM_400000_NS6detail17trampoline_kernelINS0_14default_configENS1_20scan_config_selectorIdEEZZNS1_9scan_implILNS1_25lookback_scan_determinismE0ELb0ELb0ES3_PKdPddZZZN2at6native31launch_logcumsumexp_cuda_kernelERKNSB_10TensorBaseESF_lENKUlvE_clEvENKUlvE_clEvEUlddE_dEEDaPvRmT3_T4_T5_mT6_P12ihipStream_tbENKUlT_T0_E_clISt17integral_constantIbLb0EESV_IbLb1EEEEDaSR_SS_EUlSR_E_NS1_11comp_targetILNS1_3genE4ELNS1_11target_archE910ELNS1_3gpuE8ELNS1_3repE0EEENS1_30default_config_static_selectorELNS0_4arch9wavefront6targetE1EEEvT1_: ; @_ZN7rocprim17ROCPRIM_400000_NS6detail17trampoline_kernelINS0_14default_configENS1_20scan_config_selectorIdEEZZNS1_9scan_implILNS1_25lookback_scan_determinismE0ELb0ELb0ES3_PKdPddZZZN2at6native31launch_logcumsumexp_cuda_kernelERKNSB_10TensorBaseESF_lENKUlvE_clEvENKUlvE_clEvEUlddE_dEEDaPvRmT3_T4_T5_mT6_P12ihipStream_tbENKUlT_T0_E_clISt17integral_constantIbLb0EESV_IbLb1EEEEDaSR_SS_EUlSR_E_NS1_11comp_targetILNS1_3genE4ELNS1_11target_archE910ELNS1_3gpuE8ELNS1_3repE0EEENS1_30default_config_static_selectorELNS0_4arch9wavefront6targetE1EEEvT1_
; %bb.0:
	s_load_dwordx2 s[34:35], s[4:5], 0x30
	v_cmp_ne_u32_e64 s[0:1], 0, v0
	v_cmp_eq_u32_e64 s[2:3], 0, v0
	s_and_saveexec_b64 s[6:7], s[2:3]
	s_cbranch_execz .LBB68_4
; %bb.1:
	s_mov_b64 s[10:11], exec
	v_mbcnt_lo_u32_b32 v1, s10, 0
	v_mbcnt_hi_u32_b32 v1, s11, v1
	v_cmp_eq_u32_e32 vcc, 0, v1
                                        ; implicit-def: $vgpr2
	s_and_saveexec_b64 s[8:9], vcc
	s_cbranch_execz .LBB68_3
; %bb.2:
	s_load_dwordx2 s[12:13], s[4:5], 0x60
	s_bcnt1_i32_b64 s10, s[10:11]
	v_mov_b32_e32 v2, 0
	v_mov_b32_e32 v3, s10
	s_waitcnt lgkmcnt(0)
	global_atomic_add v2, v2, v3, s[12:13] glc
.LBB68_3:
	s_or_b64 exec, exec, s[8:9]
	s_waitcnt vmcnt(0)
	v_readfirstlane_b32 s8, v2
	v_add_u32_e32 v1, s8, v1
	v_mov_b32_e32 v2, 0
	ds_write_b32 v2, v1
.LBB68_4:
	s_or_b64 exec, exec, s[6:7]
	s_load_dwordx8 s[24:31], s[4:5], 0x0
	s_load_dword s6, s[4:5], 0x38
	s_load_dwordx8 s[36:43], s[4:5], 0x40
	v_mov_b32_e32 v1, 0
	s_waitcnt lgkmcnt(0)
	s_barrier
	ds_read_b32 v1, v1
	s_lshl_b64 s[44:45], s[26:27], 3
	s_add_u32 s7, s24, s44
	s_addc_u32 s8, s25, s45
	s_add_i32 s6, s6, -1
	s_mul_i32 s9, s6, 0x500
	s_sub_u32 s33, s30, s9
	s_waitcnt lgkmcnt(0)
	v_readfirstlane_b32 s77, v1
	s_subb_u32 s76, s31, 0
	s_mul_i32 s4, s77, 0x500
	s_mov_b32 s5, 0
	s_cmp_lg_u32 s77, s6
	s_cselect_b64 s[30:31], -1, 0
	s_lshl_b64 s[46:47], s[4:5], 3
	s_add_u32 s6, s7, s46
	s_addc_u32 s7, s8, s47
	s_mov_b64 s[4:5], -1
	s_and_b64 vcc, exec, s[30:31]
	v_lshlrev_b32_e32 v92, 3, v0
	s_barrier
	s_cbranch_vccz .LBB68_6
; %bb.5:
	v_mov_b32_e32 v1, s7
	v_add_co_u32_e32 v20, vcc, s6, v92
	v_addc_co_u32_e32 v1, vcc, 0, v1, vcc
	v_add_co_u32_e32 v10, vcc, 0x1000, v20
	v_addc_co_u32_e32 v11, vcc, 0, v1, vcc
	global_load_dwordx2 v[2:3], v92, s[6:7]
	global_load_dwordx2 v[4:5], v92, s[6:7] offset:1024
	global_load_dwordx2 v[6:7], v92, s[6:7] offset:2048
	;; [unrolled: 1-line block ×3, first 2 shown]
	global_load_dwordx2 v[12:13], v[10:11], off
	global_load_dwordx2 v[14:15], v[10:11], off offset:1024
	global_load_dwordx2 v[16:17], v[10:11], off offset:2048
	;; [unrolled: 1-line block ×3, first 2 shown]
	v_add_co_u32_e32 v10, vcc, 0x2000, v20
	v_addc_co_u32_e32 v11, vcc, 0, v1, vcc
	global_load_dwordx2 v[20:21], v[10:11], off
	global_load_dwordx2 v[22:23], v[10:11], off offset:1024
	s_mov_b64 s[4:5], 0
	s_waitcnt vmcnt(8)
	ds_write2st64_b64 v92, v[2:3], v[4:5] offset1:2
	s_waitcnt vmcnt(6)
	ds_write2st64_b64 v92, v[6:7], v[8:9] offset0:4 offset1:6
	s_waitcnt vmcnt(4)
	ds_write2st64_b64 v92, v[12:13], v[14:15] offset0:8 offset1:10
	;; [unrolled: 2-line block ×4, first 2 shown]
	s_waitcnt lgkmcnt(0)
	s_barrier
.LBB68_6:
	s_andn2_b64 vcc, exec, s[4:5]
	v_cmp_gt_u32_e64 s[4:5], s33, v0
	s_cbranch_vccnz .LBB68_28
; %bb.7:
	v_mov_b32_e32 v1, 0
	global_load_dwordx2 v[2:3], v1, s[6:7]
	s_waitcnt vmcnt(0)
	v_mov_b32_e32 v4, v2
	v_mov_b32_e32 v5, v3
	;; [unrolled: 1-line block ×16, first 2 shown]
	v_pk_mov_b32 v[34:35], v[30:31], v[30:31] op_sel:[0,1]
	v_pk_mov_b32 v[32:33], v[28:29], v[28:29] op_sel:[0,1]
	;; [unrolled: 1-line block ×16, first 2 shown]
	s_and_saveexec_b64 s[8:9], s[4:5]
	s_cbranch_execz .LBB68_9
; %bb.8:
	global_load_dwordx2 v[36:37], v92, s[6:7]
	v_mov_b32_e32 v4, v2
	v_mov_b32_e32 v5, v3
	;; [unrolled: 1-line block ×16, first 2 shown]
	v_pk_mov_b32 v[34:35], v[30:31], v[30:31] op_sel:[0,1]
	v_pk_mov_b32 v[32:33], v[28:29], v[28:29] op_sel:[0,1]
	;; [unrolled: 1-line block ×16, first 2 shown]
	s_waitcnt vmcnt(0)
	v_pk_mov_b32 v[2:3], v[36:37], v[36:37] op_sel:[0,1]
.LBB68_9:
	s_or_b64 exec, exec, s[8:9]
	v_or_b32_e32 v1, 0x80, v0
	v_cmp_gt_u32_e32 vcc, s33, v1
	s_and_saveexec_b64 s[4:5], vcc
	s_cbranch_execz .LBB68_11
; %bb.10:
	global_load_dwordx2 v[6:7], v92, s[6:7] offset:1024
.LBB68_11:
	s_or_b64 exec, exec, s[4:5]
	v_or_b32_e32 v1, 0x100, v0
	v_cmp_gt_u32_e32 vcc, s33, v1
	s_and_saveexec_b64 s[4:5], vcc
	s_cbranch_execz .LBB68_13
; %bb.12:
	global_load_dwordx2 v[8:9], v92, s[6:7] offset:2048
.LBB68_13:
	;; [unrolled: 8-line block ×3, first 2 shown]
	s_or_b64 exec, exec, s[4:5]
	v_or_b32_e32 v1, 0x200, v0
	v_cmp_gt_u32_e32 vcc, s33, v1
	s_and_saveexec_b64 s[4:5], vcc
	s_cbranch_execz .LBB68_17
; %bb.16:
	v_lshlrev_b32_e32 v1, 3, v1
	global_load_dwordx2 v[12:13], v1, s[6:7]
.LBB68_17:
	s_or_b64 exec, exec, s[4:5]
	v_or_b32_e32 v1, 0x280, v0
	v_cmp_gt_u32_e32 vcc, s33, v1
	s_and_saveexec_b64 s[4:5], vcc
	s_cbranch_execz .LBB68_19
; %bb.18:
	v_lshlrev_b32_e32 v1, 3, v1
	global_load_dwordx2 v[14:15], v1, s[6:7]
.LBB68_19:
	;; [unrolled: 9-line block ×6, first 2 shown]
	s_or_b64 exec, exec, s[4:5]
	s_waitcnt vmcnt(0)
	ds_write2st64_b64 v92, v[2:3], v[6:7] offset1:2
	ds_write2st64_b64 v92, v[8:9], v[10:11] offset0:4 offset1:6
	ds_write2st64_b64 v92, v[12:13], v[14:15] offset0:8 offset1:10
	;; [unrolled: 1-line block ×4, first 2 shown]
	s_waitcnt lgkmcnt(0)
	s_barrier
.LBB68_28:
	v_mul_u32_u24_e32 v93, 10, v0
	v_lshlrev_b32_e32 v1, 3, v93
	ds_read_b128 v[2:5], v1
	ds_read_b128 v[18:21], v1 offset:16
	ds_read_b128 v[14:17], v1 offset:32
	;; [unrolled: 1-line block ×4, first 2 shown]
	s_cmp_lg_u32 s77, 0
	s_waitcnt lgkmcnt(4)
	v_cmp_u_f64_e64 s[4:5], v[4:5], v[4:5]
	v_max_f64 v[42:43], v[4:5], v[4:5]
	s_waitcnt lgkmcnt(0)
	s_barrier
	s_cbranch_scc0 .LBB68_179
; %bb.29:
	v_max_f64 v[48:49], v[2:3], v[2:3]
	v_min_f64 v[22:23], v[48:49], v[42:43]
	v_cmp_u_f64_e64 s[22:23], v[2:3], v[2:3]
	v_cndmask_b32_e64 v22, v22, v2, s[22:23]
	v_cndmask_b32_e64 v23, v23, v3, s[22:23]
	;; [unrolled: 1-line block ×4, first 2 shown]
	v_max_f64 v[22:23], v[48:49], v[42:43]
	v_cndmask_b32_e64 v22, v22, v2, s[22:23]
	v_cndmask_b32_e64 v23, v23, v3, s[22:23]
	;; [unrolled: 1-line block ×4, first 2 shown]
	s_movk_i32 s14, 0x1f8
	v_cmp_neq_f64_e32 vcc, v[26:27], v[24:25]
	v_cmp_class_f64_e64 s[6:7], v[26:27], s14
	s_or_b64 s[6:7], vcc, s[6:7]
	v_pk_mov_b32 v[22:23], v[2:3], v[2:3] op_sel:[0,1]
	s_and_saveexec_b64 s[8:9], s[6:7]
	s_cbranch_execz .LBB68_31
; %bb.30:
	s_mov_b32 s6, 0x652b82fe
	v_add_f64 v[22:23], v[26:27], -v[24:25]
	s_mov_b32 s7, 0x3ff71547
	v_mul_f64 v[26:27], v[22:23], s[6:7]
	v_rndne_f64_e32 v[26:27], v[26:27]
	s_mov_b32 s11, 0xbfe62e42
	s_mov_b32 s10, 0xfefa39ef
	v_fma_f64 v[28:29], s[10:11], v[26:27], v[22:23]
	s_mov_b32 s13, 0xbc7abc9e
	s_mov_b32 s12, 0x3b39803f
	;; [unrolled: 1-line block ×3, first 2 shown]
	v_fmac_f64_e32 v[28:29], s[12:13], v[26:27]
	v_mov_b32_e32 v30, 0xfca7ab0c
	v_mov_b32_e32 v31, 0x3e928af3
	s_mov_b32 s7, 0x3e5ade15
	v_fmac_f64_e32 v[30:31], s[6:7], v[28:29]
	v_mov_b32_e32 v32, 0x623fde64
	v_mov_b32_e32 v33, 0x3ec71dee
	v_fmac_f64_e32 v[32:33], v[28:29], v[30:31]
	v_mov_b32_e32 v30, 0x7c89e6b0
	v_mov_b32_e32 v31, 0x3efa0199
	;; [unrolled: 3-line block ×8, first 2 shown]
	s_mov_b32 s6, 0
	v_fmac_f64_e32 v[30:31], v[28:29], v[32:33]
	s_mov_b32 s7, 0x40900000
	v_fma_f64 v[30:31], v[28:29], v[30:31], 1.0
	v_cmp_nlt_f64_e32 vcc, s[6:7], v[22:23]
	s_mov_b32 s6, 0
	v_fma_f64 v[28:29], v[28:29], v[30:31], 1.0
	v_cvt_i32_f64_e32 v26, v[26:27]
	s_mov_b32 s7, 0xc090cc00
	v_ldexp_f64 v[26:27], v[28:29], v26
	v_mov_b32_e32 v28, 0x7ff00000
	v_cmp_ngt_f64_e64 s[6:7], s[6:7], v[22:23]
	v_cndmask_b32_e32 v27, v28, v27, vcc
	s_and_b64 vcc, s[6:7], vcc
	v_cndmask_b32_e64 v23, 0, v27, s[6:7]
	v_cndmask_b32_e32 v22, 0, v26, vcc
	v_add_f64 v[26:27], v[22:23], 1.0
	v_add_f64 v[28:29], v[26:27], -1.0
	v_add_f64 v[30:31], v[28:29], -v[26:27]
	v_add_f64 v[30:31], v[30:31], 1.0
	v_add_f64 v[28:29], v[22:23], -v[28:29]
	s_mov_b32 s6, 0x55555555
	v_add_f64 v[28:29], v[28:29], v[30:31]
	v_frexp_mant_f64_e32 v[30:31], v[26:27]
	s_mov_b32 s7, 0x3fe55555
	v_frexp_exp_i32_f64_e32 v32, v[26:27]
	v_cmp_gt_f64_e32 vcc, s[6:7], v[30:31]
	v_subbrev_co_u32_e32 v50, vcc, 0, v32, vcc
	v_sub_u32_e32 v30, 0, v50
	v_ldexp_f64 v[26:27], v[26:27], v30
	v_ldexp_f64 v[28:29], v[28:29], v30
	v_add_f64 v[30:31], v[26:27], -1.0
	v_add_f64 v[36:37], v[26:27], 1.0
	v_add_f64 v[32:33], v[30:31], 1.0
	v_add_f64 v[38:39], v[36:37], -1.0
	v_add_f64 v[32:33], v[26:27], -v[32:33]
	v_add_f64 v[26:27], v[26:27], -v[38:39]
	v_add_f64 v[26:27], v[28:29], v[26:27]
	v_add_f64 v[32:33], v[28:29], v[32:33]
	;; [unrolled: 1-line block ×3, first 2 shown]
	v_rcp_f64_e32 v[38:39], v[28:29]
	v_add_f64 v[34:35], v[30:31], v[32:33]
	v_add_f64 v[30:31], v[34:35], -v[30:31]
	v_add_f64 v[30:31], v[32:33], -v[30:31]
	v_add_f64 v[32:33], v[28:29], -v[36:37]
	v_add_f64 v[26:27], v[26:27], -v[32:33]
	v_fma_f64 v[32:33], -v[28:29], v[38:39], 1.0
	v_fmac_f64_e32 v[38:39], v[32:33], v[38:39]
	v_fma_f64 v[32:33], -v[28:29], v[38:39], 1.0
	v_fmac_f64_e32 v[38:39], v[32:33], v[38:39]
	v_mul_f64 v[32:33], v[34:35], v[38:39]
	v_mul_f64 v[36:37], v[28:29], v[32:33]
	v_fma_f64 v[40:41], v[32:33], v[28:29], -v[36:37]
	v_fmac_f64_e32 v[40:41], v[32:33], v[26:27]
	v_add_f64 v[44:45], v[36:37], v[40:41]
	v_add_f64 v[46:47], v[34:35], -v[44:45]
	v_add_f64 v[34:35], v[34:35], -v[46:47]
	;; [unrolled: 1-line block ×4, first 2 shown]
	v_add_f64 v[30:31], v[30:31], v[34:35]
	v_add_f64 v[34:35], v[36:37], -v[40:41]
	v_add_f64 v[30:31], v[34:35], v[30:31]
	v_add_f64 v[34:35], v[46:47], v[30:31]
	v_add_f64 v[36:37], v[46:47], -v[34:35]
	v_add_f64 v[30:31], v[30:31], v[36:37]
	v_mul_f64 v[36:37], v[38:39], v[34:35]
	v_mul_f64 v[40:41], v[28:29], v[36:37]
	v_fma_f64 v[28:29], v[36:37], v[28:29], -v[40:41]
	v_fmac_f64_e32 v[28:29], v[36:37], v[26:27]
	v_add_f64 v[26:27], v[40:41], v[28:29]
	v_add_f64 v[44:45], v[34:35], -v[26:27]
	v_add_f64 v[34:35], v[34:35], -v[44:45]
	;; [unrolled: 1-line block ×4, first 2 shown]
	v_add_f64 v[26:27], v[30:31], v[26:27]
	v_add_f64 v[28:29], v[40:41], -v[28:29]
	v_add_f64 v[26:27], v[28:29], v[26:27]
	v_add_f64 v[28:29], v[32:33], v[36:37]
	;; [unrolled: 1-line block ×3, first 2 shown]
	v_add_f64 v[30:31], v[28:29], -v[32:33]
	v_mul_f64 v[26:27], v[38:39], v[26:27]
	v_add_f64 v[30:31], v[36:37], -v[30:31]
	v_add_f64 v[26:27], v[30:31], v[26:27]
	v_add_f64 v[30:31], v[28:29], v[26:27]
	v_add_f64 v[28:29], v[30:31], -v[28:29]
	s_mov_b32 s6, 0xbf559e2b
	v_add_f64 v[26:27], v[26:27], -v[28:29]
	v_mul_f64 v[28:29], v[30:31], v[30:31]
	v_mov_b32_e32 v32, 0x6b47b09a
	v_mov_b32_e32 v33, 0x3fc38538
	s_mov_b32 s7, 0x3fc3ab76
	v_fmac_f64_e32 v[32:33], s[6:7], v[28:29]
	v_mov_b32_e32 v34, 0xd7f4df2e
	v_mov_b32_e32 v35, 0x3fc7474d
	v_fmac_f64_e32 v[34:35], v[28:29], v[32:33]
	v_mov_b32_e32 v32, 0x16291751
	v_mov_b32_e32 v33, 0x3fcc71c0
	;; [unrolled: 3-line block ×5, first 2 shown]
	v_fmac_f64_e32 v[34:35], v[28:29], v[32:33]
	v_cvt_f64_i32_e32 v[32:33], v50
	s_mov_b32 s11, 0x3fe62e42
	v_mul_f64 v[36:37], v[32:33], s[10:11]
	v_fma_f64 v[38:39], v[32:33], s[10:11], -v[36:37]
	s_mov_b32 s13, 0x3c7abc9e
	v_fmac_f64_e32 v[38:39], s[12:13], v[32:33]
	v_add_f64 v[32:33], v[36:37], v[38:39]
	v_add_f64 v[36:37], v[32:33], -v[36:37]
	v_mul_f64 v[28:29], v[30:31], v[28:29]
	v_add_f64 v[36:37], v[38:39], -v[36:37]
	v_ldexp_f64 v[38:39], v[30:31], 1
	v_mul_f64 v[28:29], v[28:29], v[34:35]
	v_add_f64 v[30:31], v[38:39], v[28:29]
	v_add_f64 v[34:35], v[30:31], -v[38:39]
	v_ldexp_f64 v[26:27], v[26:27], 1
	v_add_f64 v[28:29], v[28:29], -v[34:35]
	v_add_f64 v[26:27], v[26:27], v[28:29]
	v_add_f64 v[28:29], v[30:31], v[26:27]
	v_add_f64 v[30:31], v[28:29], -v[30:31]
	v_add_f64 v[26:27], v[26:27], -v[30:31]
	v_add_f64 v[30:31], v[32:33], v[28:29]
	v_add_f64 v[34:35], v[30:31], -v[32:33]
	v_add_f64 v[38:39], v[30:31], -v[34:35]
	v_add_f64 v[32:33], v[32:33], -v[38:39]
	v_add_f64 v[28:29], v[28:29], -v[34:35]
	v_add_f64 v[28:29], v[28:29], v[32:33]
	v_add_f64 v[32:33], v[36:37], v[26:27]
	v_add_f64 v[34:35], v[32:33], -v[36:37]
	v_add_f64 v[28:29], v[32:33], v[28:29]
	v_add_f64 v[38:39], v[32:33], -v[34:35]
	;; [unrolled: 2-line block ×3, first 2 shown]
	v_add_f64 v[26:27], v[26:27], -v[34:35]
	v_add_f64 v[30:31], v[32:33], -v[30:31]
	v_add_f64 v[26:27], v[26:27], v[36:37]
	v_add_f64 v[28:29], v[28:29], -v[30:31]
	s_mov_b32 s6, 0
	v_add_f64 v[26:27], v[26:27], v[28:29]
	s_mov_b32 s7, 0x7ff00000
	v_add_f64 v[26:27], v[32:33], v[26:27]
	v_cmp_eq_f64_e32 vcc, s[6:7], v[22:23]
	v_cndmask_b32_e32 v26, v26, v22, vcc
	v_cndmask_b32_e32 v27, v27, v23, vcc
	v_mov_b32_e32 v28, 0x7ff80000
	v_cmp_ngt_f64_e32 vcc, -1.0, v[22:23]
	v_cndmask_b32_e32 v27, v28, v27, vcc
	v_cmp_nge_f64_e32 vcc, -1.0, v[22:23]
	v_cndmask_b32_e32 v26, 0, v26, vcc
	v_mov_b32_e32 v28, 0xfff00000
	v_cmp_neq_f64_e32 vcc, -1.0, v[22:23]
	v_cndmask_b32_e32 v27, v28, v27, vcc
	v_add_f64 v[22:23], v[24:25], v[26:27]
.LBB68_31:
	s_or_b64 exec, exec, s[8:9]
	v_max_f64 v[30:31], v[18:19], v[18:19]
	v_max_f64 v[24:25], v[22:23], v[22:23]
	v_min_f64 v[26:27], v[24:25], v[30:31]
	v_cmp_u_f64_e32 vcc, v[22:23], v[22:23]
	v_max_f64 v[24:25], v[24:25], v[30:31]
	v_cndmask_b32_e32 v26, v26, v22, vcc
	v_cndmask_b32_e32 v27, v27, v23, vcc
	v_cmp_u_f64_e64 s[6:7], v[18:19], v[18:19]
	v_cndmask_b32_e32 v24, v24, v22, vcc
	v_cndmask_b32_e32 v25, v25, v23, vcc
	v_cndmask_b32_e64 v27, v27, v19, s[6:7]
	v_cndmask_b32_e64 v26, v26, v18, s[6:7]
	;; [unrolled: 1-line block ×4, first 2 shown]
	v_cmp_neq_f64_e32 vcc, v[26:27], v[24:25]
	v_cmp_class_f64_e64 s[8:9], v[26:27], s14
	s_or_b64 s[8:9], vcc, s[8:9]
	s_and_saveexec_b64 s[10:11], s[8:9]
	s_cbranch_execz .LBB68_33
; %bb.32:
	s_mov_b32 s8, 0x652b82fe
	v_add_f64 v[22:23], v[26:27], -v[24:25]
	s_mov_b32 s9, 0x3ff71547
	v_mul_f64 v[26:27], v[22:23], s[8:9]
	v_rndne_f64_e32 v[26:27], v[26:27]
	s_mov_b32 s13, 0xbfe62e42
	s_mov_b32 s12, 0xfefa39ef
	v_fma_f64 v[28:29], s[12:13], v[26:27], v[22:23]
	s_mov_b32 s15, 0xbc7abc9e
	s_mov_b32 s14, 0x3b39803f
	;; [unrolled: 1-line block ×3, first 2 shown]
	v_fmac_f64_e32 v[28:29], s[14:15], v[26:27]
	v_mov_b32_e32 v32, 0xfca7ab0c
	v_mov_b32_e32 v33, 0x3e928af3
	s_mov_b32 s9, 0x3e5ade15
	v_fmac_f64_e32 v[32:33], s[8:9], v[28:29]
	v_mov_b32_e32 v34, 0x623fde64
	v_mov_b32_e32 v35, 0x3ec71dee
	v_fmac_f64_e32 v[34:35], v[28:29], v[32:33]
	v_mov_b32_e32 v32, 0x7c89e6b0
	v_mov_b32_e32 v33, 0x3efa0199
	;; [unrolled: 3-line block ×8, first 2 shown]
	s_mov_b32 s8, 0
	v_fmac_f64_e32 v[32:33], v[28:29], v[34:35]
	s_mov_b32 s9, 0x40900000
	v_fma_f64 v[32:33], v[28:29], v[32:33], 1.0
	v_cmp_nlt_f64_e32 vcc, s[8:9], v[22:23]
	s_mov_b32 s8, 0
	v_fma_f64 v[28:29], v[28:29], v[32:33], 1.0
	v_cvt_i32_f64_e32 v26, v[26:27]
	s_mov_b32 s9, 0xc090cc00
	v_ldexp_f64 v[26:27], v[28:29], v26
	v_mov_b32_e32 v28, 0x7ff00000
	v_cmp_ngt_f64_e64 s[8:9], s[8:9], v[22:23]
	v_cndmask_b32_e32 v27, v28, v27, vcc
	s_and_b64 vcc, s[8:9], vcc
	v_cndmask_b32_e64 v23, 0, v27, s[8:9]
	v_cndmask_b32_e32 v22, 0, v26, vcc
	v_add_f64 v[26:27], v[22:23], 1.0
	v_add_f64 v[28:29], v[26:27], -1.0
	v_add_f64 v[32:33], v[28:29], -v[26:27]
	v_add_f64 v[32:33], v[32:33], 1.0
	v_add_f64 v[28:29], v[22:23], -v[28:29]
	s_mov_b32 s8, 0x55555555
	v_add_f64 v[28:29], v[28:29], v[32:33]
	v_frexp_mant_f64_e32 v[32:33], v[26:27]
	s_mov_b32 s9, 0x3fe55555
	v_frexp_exp_i32_f64_e32 v34, v[26:27]
	v_cmp_gt_f64_e32 vcc, s[8:9], v[32:33]
	v_subbrev_co_u32_e32 v52, vcc, 0, v34, vcc
	v_sub_u32_e32 v32, 0, v52
	v_ldexp_f64 v[26:27], v[26:27], v32
	v_ldexp_f64 v[28:29], v[28:29], v32
	v_add_f64 v[32:33], v[26:27], -1.0
	v_add_f64 v[38:39], v[26:27], 1.0
	v_add_f64 v[34:35], v[32:33], 1.0
	v_add_f64 v[40:41], v[38:39], -1.0
	v_add_f64 v[34:35], v[26:27], -v[34:35]
	v_add_f64 v[26:27], v[26:27], -v[40:41]
	v_add_f64 v[26:27], v[28:29], v[26:27]
	v_add_f64 v[34:35], v[28:29], v[34:35]
	;; [unrolled: 1-line block ×3, first 2 shown]
	v_rcp_f64_e32 v[40:41], v[28:29]
	v_add_f64 v[36:37], v[32:33], v[34:35]
	v_add_f64 v[32:33], v[36:37], -v[32:33]
	v_add_f64 v[32:33], v[34:35], -v[32:33]
	v_add_f64 v[34:35], v[28:29], -v[38:39]
	v_add_f64 v[26:27], v[26:27], -v[34:35]
	v_fma_f64 v[34:35], -v[28:29], v[40:41], 1.0
	v_fmac_f64_e32 v[40:41], v[34:35], v[40:41]
	v_fma_f64 v[34:35], -v[28:29], v[40:41], 1.0
	v_fmac_f64_e32 v[40:41], v[34:35], v[40:41]
	v_mul_f64 v[34:35], v[36:37], v[40:41]
	v_mul_f64 v[38:39], v[28:29], v[34:35]
	v_fma_f64 v[44:45], v[34:35], v[28:29], -v[38:39]
	v_fmac_f64_e32 v[44:45], v[34:35], v[26:27]
	v_add_f64 v[46:47], v[38:39], v[44:45]
	v_add_f64 v[50:51], v[36:37], -v[46:47]
	v_add_f64 v[36:37], v[36:37], -v[50:51]
	;; [unrolled: 1-line block ×4, first 2 shown]
	v_add_f64 v[32:33], v[32:33], v[36:37]
	v_add_f64 v[36:37], v[38:39], -v[44:45]
	v_add_f64 v[32:33], v[36:37], v[32:33]
	v_add_f64 v[36:37], v[50:51], v[32:33]
	v_add_f64 v[38:39], v[50:51], -v[36:37]
	v_add_f64 v[32:33], v[32:33], v[38:39]
	v_mul_f64 v[38:39], v[40:41], v[36:37]
	v_mul_f64 v[44:45], v[28:29], v[38:39]
	v_fma_f64 v[28:29], v[38:39], v[28:29], -v[44:45]
	v_fmac_f64_e32 v[28:29], v[38:39], v[26:27]
	v_add_f64 v[26:27], v[44:45], v[28:29]
	v_add_f64 v[46:47], v[36:37], -v[26:27]
	v_add_f64 v[36:37], v[36:37], -v[46:47]
	;; [unrolled: 1-line block ×4, first 2 shown]
	v_add_f64 v[26:27], v[32:33], v[26:27]
	v_add_f64 v[28:29], v[44:45], -v[28:29]
	v_add_f64 v[26:27], v[28:29], v[26:27]
	v_add_f64 v[28:29], v[34:35], v[38:39]
	;; [unrolled: 1-line block ×3, first 2 shown]
	v_add_f64 v[32:33], v[28:29], -v[34:35]
	v_mul_f64 v[26:27], v[40:41], v[26:27]
	v_add_f64 v[32:33], v[38:39], -v[32:33]
	v_add_f64 v[26:27], v[32:33], v[26:27]
	v_add_f64 v[32:33], v[28:29], v[26:27]
	v_add_f64 v[28:29], v[32:33], -v[28:29]
	s_mov_b32 s8, 0xbf559e2b
	v_add_f64 v[26:27], v[26:27], -v[28:29]
	v_mul_f64 v[28:29], v[32:33], v[32:33]
	v_mov_b32_e32 v34, 0x6b47b09a
	v_mov_b32_e32 v35, 0x3fc38538
	s_mov_b32 s9, 0x3fc3ab76
	v_fmac_f64_e32 v[34:35], s[8:9], v[28:29]
	v_mov_b32_e32 v36, 0xd7f4df2e
	v_mov_b32_e32 v37, 0x3fc7474d
	v_fmac_f64_e32 v[36:37], v[28:29], v[34:35]
	v_mov_b32_e32 v34, 0x16291751
	v_mov_b32_e32 v35, 0x3fcc71c0
	;; [unrolled: 3-line block ×5, first 2 shown]
	v_fmac_f64_e32 v[36:37], v[28:29], v[34:35]
	v_cvt_f64_i32_e32 v[34:35], v52
	s_mov_b32 s13, 0x3fe62e42
	v_mul_f64 v[38:39], v[34:35], s[12:13]
	v_fma_f64 v[40:41], v[34:35], s[12:13], -v[38:39]
	s_mov_b32 s15, 0x3c7abc9e
	v_fmac_f64_e32 v[40:41], s[14:15], v[34:35]
	v_add_f64 v[34:35], v[38:39], v[40:41]
	v_add_f64 v[38:39], v[34:35], -v[38:39]
	v_mul_f64 v[28:29], v[32:33], v[28:29]
	v_add_f64 v[38:39], v[40:41], -v[38:39]
	v_ldexp_f64 v[40:41], v[32:33], 1
	v_mul_f64 v[28:29], v[28:29], v[36:37]
	v_add_f64 v[32:33], v[40:41], v[28:29]
	v_add_f64 v[36:37], v[32:33], -v[40:41]
	v_ldexp_f64 v[26:27], v[26:27], 1
	v_add_f64 v[28:29], v[28:29], -v[36:37]
	v_add_f64 v[26:27], v[26:27], v[28:29]
	v_add_f64 v[28:29], v[32:33], v[26:27]
	v_add_f64 v[32:33], v[28:29], -v[32:33]
	v_add_f64 v[26:27], v[26:27], -v[32:33]
	v_add_f64 v[32:33], v[34:35], v[28:29]
	v_add_f64 v[36:37], v[32:33], -v[34:35]
	v_add_f64 v[40:41], v[32:33], -v[36:37]
	;; [unrolled: 1-line block ×4, first 2 shown]
	v_add_f64 v[28:29], v[28:29], v[34:35]
	v_add_f64 v[34:35], v[38:39], v[26:27]
	v_add_f64 v[36:37], v[34:35], -v[38:39]
	v_add_f64 v[28:29], v[34:35], v[28:29]
	v_add_f64 v[40:41], v[34:35], -v[36:37]
	;; [unrolled: 2-line block ×3, first 2 shown]
	v_add_f64 v[26:27], v[26:27], -v[36:37]
	v_add_f64 v[32:33], v[34:35], -v[32:33]
	v_add_f64 v[26:27], v[26:27], v[38:39]
	v_add_f64 v[28:29], v[28:29], -v[32:33]
	s_mov_b32 s8, 0
	v_add_f64 v[26:27], v[26:27], v[28:29]
	s_mov_b32 s9, 0x7ff00000
	v_add_f64 v[26:27], v[34:35], v[26:27]
	v_cmp_eq_f64_e32 vcc, s[8:9], v[22:23]
	v_cndmask_b32_e32 v26, v26, v22, vcc
	v_cndmask_b32_e32 v27, v27, v23, vcc
	v_mov_b32_e32 v28, 0x7ff80000
	v_cmp_ngt_f64_e32 vcc, -1.0, v[22:23]
	v_cndmask_b32_e32 v27, v28, v27, vcc
	v_cmp_nge_f64_e32 vcc, -1.0, v[22:23]
	v_cndmask_b32_e32 v26, 0, v26, vcc
	v_mov_b32_e32 v28, 0xfff00000
	v_cmp_neq_f64_e32 vcc, -1.0, v[22:23]
	v_cndmask_b32_e32 v27, v28, v27, vcc
	v_add_f64 v[22:23], v[24:25], v[26:27]
.LBB68_33:
	s_or_b64 exec, exec, s[10:11]
	v_max_f64 v[32:33], v[20:21], v[20:21]
	v_max_f64 v[24:25], v[22:23], v[22:23]
	v_min_f64 v[26:27], v[24:25], v[32:33]
	v_cmp_u_f64_e32 vcc, v[22:23], v[22:23]
	v_max_f64 v[24:25], v[24:25], v[32:33]
	v_cndmask_b32_e32 v26, v26, v22, vcc
	v_cndmask_b32_e32 v27, v27, v23, vcc
	v_cmp_u_f64_e64 s[8:9], v[20:21], v[20:21]
	v_cndmask_b32_e32 v24, v24, v22, vcc
	v_cndmask_b32_e32 v25, v25, v23, vcc
	v_cndmask_b32_e64 v27, v27, v21, s[8:9]
	v_cndmask_b32_e64 v26, v26, v20, s[8:9]
	;; [unrolled: 1-line block ×4, first 2 shown]
	s_movk_i32 s18, 0x1f8
	v_cmp_neq_f64_e32 vcc, v[26:27], v[24:25]
	v_cmp_class_f64_e64 s[10:11], v[26:27], s18
	s_or_b64 s[10:11], vcc, s[10:11]
	s_and_saveexec_b64 s[12:13], s[10:11]
	s_cbranch_execz .LBB68_35
; %bb.34:
	s_mov_b32 s10, 0x652b82fe
	v_add_f64 v[22:23], v[26:27], -v[24:25]
	s_mov_b32 s11, 0x3ff71547
	v_mul_f64 v[26:27], v[22:23], s[10:11]
	v_rndne_f64_e32 v[26:27], v[26:27]
	s_mov_b32 s15, 0xbfe62e42
	s_mov_b32 s14, 0xfefa39ef
	v_fma_f64 v[28:29], s[14:15], v[26:27], v[22:23]
	s_mov_b32 s17, 0xbc7abc9e
	s_mov_b32 s16, 0x3b39803f
	;; [unrolled: 1-line block ×3, first 2 shown]
	v_fmac_f64_e32 v[28:29], s[16:17], v[26:27]
	v_mov_b32_e32 v34, 0xfca7ab0c
	v_mov_b32_e32 v35, 0x3e928af3
	s_mov_b32 s11, 0x3e5ade15
	v_fmac_f64_e32 v[34:35], s[10:11], v[28:29]
	v_mov_b32_e32 v36, 0x623fde64
	v_mov_b32_e32 v37, 0x3ec71dee
	v_fmac_f64_e32 v[36:37], v[28:29], v[34:35]
	v_mov_b32_e32 v34, 0x7c89e6b0
	v_mov_b32_e32 v35, 0x3efa0199
	;; [unrolled: 3-line block ×8, first 2 shown]
	s_mov_b32 s10, 0
	v_fmac_f64_e32 v[34:35], v[28:29], v[36:37]
	s_mov_b32 s11, 0x40900000
	v_fma_f64 v[34:35], v[28:29], v[34:35], 1.0
	v_cmp_nlt_f64_e32 vcc, s[10:11], v[22:23]
	s_mov_b32 s10, 0
	v_fma_f64 v[28:29], v[28:29], v[34:35], 1.0
	v_cvt_i32_f64_e32 v26, v[26:27]
	s_mov_b32 s11, 0xc090cc00
	v_ldexp_f64 v[26:27], v[28:29], v26
	v_mov_b32_e32 v28, 0x7ff00000
	v_cmp_ngt_f64_e64 s[10:11], s[10:11], v[22:23]
	v_cndmask_b32_e32 v27, v28, v27, vcc
	s_and_b64 vcc, s[10:11], vcc
	v_cndmask_b32_e64 v23, 0, v27, s[10:11]
	v_cndmask_b32_e32 v22, 0, v26, vcc
	v_add_f64 v[26:27], v[22:23], 1.0
	v_add_f64 v[28:29], v[26:27], -1.0
	v_add_f64 v[34:35], v[28:29], -v[26:27]
	v_add_f64 v[34:35], v[34:35], 1.0
	v_add_f64 v[28:29], v[22:23], -v[28:29]
	s_mov_b32 s10, 0x55555555
	v_add_f64 v[28:29], v[28:29], v[34:35]
	v_frexp_mant_f64_e32 v[34:35], v[26:27]
	s_mov_b32 s11, 0x3fe55555
	v_frexp_exp_i32_f64_e32 v36, v[26:27]
	v_cmp_gt_f64_e32 vcc, s[10:11], v[34:35]
	v_subbrev_co_u32_e32 v54, vcc, 0, v36, vcc
	v_sub_u32_e32 v34, 0, v54
	v_ldexp_f64 v[26:27], v[26:27], v34
	v_ldexp_f64 v[28:29], v[28:29], v34
	v_add_f64 v[34:35], v[26:27], -1.0
	v_add_f64 v[40:41], v[26:27], 1.0
	v_add_f64 v[36:37], v[34:35], 1.0
	v_add_f64 v[44:45], v[40:41], -1.0
	v_add_f64 v[36:37], v[26:27], -v[36:37]
	v_add_f64 v[26:27], v[26:27], -v[44:45]
	v_add_f64 v[26:27], v[28:29], v[26:27]
	v_add_f64 v[36:37], v[28:29], v[36:37]
	;; [unrolled: 1-line block ×3, first 2 shown]
	v_rcp_f64_e32 v[44:45], v[28:29]
	v_add_f64 v[38:39], v[34:35], v[36:37]
	v_add_f64 v[34:35], v[38:39], -v[34:35]
	v_add_f64 v[34:35], v[36:37], -v[34:35]
	;; [unrolled: 1-line block ×4, first 2 shown]
	v_fma_f64 v[36:37], -v[28:29], v[44:45], 1.0
	v_fmac_f64_e32 v[44:45], v[36:37], v[44:45]
	v_fma_f64 v[36:37], -v[28:29], v[44:45], 1.0
	v_fmac_f64_e32 v[44:45], v[36:37], v[44:45]
	v_mul_f64 v[36:37], v[38:39], v[44:45]
	v_mul_f64 v[40:41], v[28:29], v[36:37]
	v_fma_f64 v[46:47], v[36:37], v[28:29], -v[40:41]
	v_fmac_f64_e32 v[46:47], v[36:37], v[26:27]
	v_add_f64 v[50:51], v[40:41], v[46:47]
	v_add_f64 v[52:53], v[38:39], -v[50:51]
	v_add_f64 v[38:39], v[38:39], -v[52:53]
	;; [unrolled: 1-line block ×4, first 2 shown]
	v_add_f64 v[34:35], v[34:35], v[38:39]
	v_add_f64 v[38:39], v[40:41], -v[46:47]
	v_add_f64 v[34:35], v[38:39], v[34:35]
	v_add_f64 v[38:39], v[52:53], v[34:35]
	v_add_f64 v[40:41], v[52:53], -v[38:39]
	v_add_f64 v[34:35], v[34:35], v[40:41]
	v_mul_f64 v[40:41], v[44:45], v[38:39]
	v_mul_f64 v[46:47], v[28:29], v[40:41]
	v_fma_f64 v[28:29], v[40:41], v[28:29], -v[46:47]
	v_fmac_f64_e32 v[28:29], v[40:41], v[26:27]
	v_add_f64 v[26:27], v[46:47], v[28:29]
	v_add_f64 v[50:51], v[38:39], -v[26:27]
	v_add_f64 v[38:39], v[38:39], -v[50:51]
	v_add_f64 v[46:47], v[26:27], -v[46:47]
	v_add_f64 v[26:27], v[38:39], -v[26:27]
	v_add_f64 v[26:27], v[34:35], v[26:27]
	v_add_f64 v[28:29], v[46:47], -v[28:29]
	v_add_f64 v[26:27], v[28:29], v[26:27]
	v_add_f64 v[28:29], v[36:37], v[40:41]
	;; [unrolled: 1-line block ×3, first 2 shown]
	v_add_f64 v[34:35], v[28:29], -v[36:37]
	v_mul_f64 v[26:27], v[44:45], v[26:27]
	v_add_f64 v[34:35], v[40:41], -v[34:35]
	v_add_f64 v[26:27], v[34:35], v[26:27]
	v_add_f64 v[34:35], v[28:29], v[26:27]
	v_add_f64 v[28:29], v[34:35], -v[28:29]
	s_mov_b32 s10, 0xbf559e2b
	v_add_f64 v[26:27], v[26:27], -v[28:29]
	v_mul_f64 v[28:29], v[34:35], v[34:35]
	v_mov_b32_e32 v36, 0x6b47b09a
	v_mov_b32_e32 v37, 0x3fc38538
	s_mov_b32 s11, 0x3fc3ab76
	v_fmac_f64_e32 v[36:37], s[10:11], v[28:29]
	v_mov_b32_e32 v38, 0xd7f4df2e
	v_mov_b32_e32 v39, 0x3fc7474d
	v_fmac_f64_e32 v[38:39], v[28:29], v[36:37]
	v_mov_b32_e32 v36, 0x16291751
	v_mov_b32_e32 v37, 0x3fcc71c0
	;; [unrolled: 3-line block ×5, first 2 shown]
	v_fmac_f64_e32 v[38:39], v[28:29], v[36:37]
	v_cvt_f64_i32_e32 v[36:37], v54
	s_mov_b32 s15, 0x3fe62e42
	v_mul_f64 v[40:41], v[36:37], s[14:15]
	v_fma_f64 v[44:45], v[36:37], s[14:15], -v[40:41]
	s_mov_b32 s17, 0x3c7abc9e
	v_fmac_f64_e32 v[44:45], s[16:17], v[36:37]
	v_add_f64 v[36:37], v[40:41], v[44:45]
	v_add_f64 v[40:41], v[36:37], -v[40:41]
	v_mul_f64 v[28:29], v[34:35], v[28:29]
	v_add_f64 v[40:41], v[44:45], -v[40:41]
	v_ldexp_f64 v[44:45], v[34:35], 1
	v_mul_f64 v[28:29], v[28:29], v[38:39]
	v_add_f64 v[34:35], v[44:45], v[28:29]
	v_add_f64 v[38:39], v[34:35], -v[44:45]
	v_ldexp_f64 v[26:27], v[26:27], 1
	v_add_f64 v[28:29], v[28:29], -v[38:39]
	v_add_f64 v[26:27], v[26:27], v[28:29]
	v_add_f64 v[28:29], v[34:35], v[26:27]
	v_add_f64 v[34:35], v[28:29], -v[34:35]
	v_add_f64 v[26:27], v[26:27], -v[34:35]
	v_add_f64 v[34:35], v[36:37], v[28:29]
	v_add_f64 v[38:39], v[34:35], -v[36:37]
	v_add_f64 v[44:45], v[34:35], -v[38:39]
	;; [unrolled: 1-line block ×4, first 2 shown]
	v_add_f64 v[28:29], v[28:29], v[36:37]
	v_add_f64 v[36:37], v[40:41], v[26:27]
	v_add_f64 v[38:39], v[36:37], -v[40:41]
	v_add_f64 v[28:29], v[36:37], v[28:29]
	v_add_f64 v[44:45], v[36:37], -v[38:39]
	;; [unrolled: 2-line block ×3, first 2 shown]
	v_add_f64 v[26:27], v[26:27], -v[38:39]
	v_add_f64 v[34:35], v[36:37], -v[34:35]
	v_add_f64 v[26:27], v[26:27], v[40:41]
	v_add_f64 v[28:29], v[28:29], -v[34:35]
	s_mov_b32 s10, 0
	v_add_f64 v[26:27], v[26:27], v[28:29]
	s_mov_b32 s11, 0x7ff00000
	v_add_f64 v[26:27], v[36:37], v[26:27]
	v_cmp_eq_f64_e32 vcc, s[10:11], v[22:23]
	v_cndmask_b32_e32 v26, v26, v22, vcc
	v_cndmask_b32_e32 v27, v27, v23, vcc
	v_mov_b32_e32 v28, 0x7ff80000
	v_cmp_ngt_f64_e32 vcc, -1.0, v[22:23]
	v_cndmask_b32_e32 v27, v28, v27, vcc
	v_cmp_nge_f64_e32 vcc, -1.0, v[22:23]
	v_cndmask_b32_e32 v26, 0, v26, vcc
	v_mov_b32_e32 v28, 0xfff00000
	v_cmp_neq_f64_e32 vcc, -1.0, v[22:23]
	v_cndmask_b32_e32 v27, v28, v27, vcc
	v_add_f64 v[22:23], v[24:25], v[26:27]
.LBB68_35:
	s_or_b64 exec, exec, s[12:13]
	v_max_f64 v[34:35], v[14:15], v[14:15]
	v_max_f64 v[24:25], v[22:23], v[22:23]
	v_min_f64 v[26:27], v[24:25], v[34:35]
	v_cmp_u_f64_e32 vcc, v[22:23], v[22:23]
	v_max_f64 v[24:25], v[24:25], v[34:35]
	v_cndmask_b32_e32 v26, v26, v22, vcc
	v_cndmask_b32_e32 v27, v27, v23, vcc
	v_cmp_u_f64_e64 s[10:11], v[14:15], v[14:15]
	v_cndmask_b32_e32 v24, v24, v22, vcc
	v_cndmask_b32_e32 v25, v25, v23, vcc
	v_cndmask_b32_e64 v27, v27, v15, s[10:11]
	v_cndmask_b32_e64 v26, v26, v14, s[10:11]
	;; [unrolled: 1-line block ×4, first 2 shown]
	v_cmp_neq_f64_e32 vcc, v[26:27], v[24:25]
	v_cmp_class_f64_e64 s[12:13], v[26:27], s18
	s_or_b64 s[12:13], vcc, s[12:13]
	s_and_saveexec_b64 s[14:15], s[12:13]
	s_cbranch_execz .LBB68_37
; %bb.36:
	s_mov_b32 s12, 0x652b82fe
	v_add_f64 v[22:23], v[26:27], -v[24:25]
	s_mov_b32 s13, 0x3ff71547
	v_mul_f64 v[26:27], v[22:23], s[12:13]
	v_rndne_f64_e32 v[26:27], v[26:27]
	s_mov_b32 s17, 0xbfe62e42
	s_mov_b32 s16, 0xfefa39ef
	v_fma_f64 v[28:29], s[16:17], v[26:27], v[22:23]
	s_mov_b32 s19, 0xbc7abc9e
	s_mov_b32 s18, 0x3b39803f
	;; [unrolled: 1-line block ×3, first 2 shown]
	v_fmac_f64_e32 v[28:29], s[18:19], v[26:27]
	v_mov_b32_e32 v36, 0xfca7ab0c
	v_mov_b32_e32 v37, 0x3e928af3
	s_mov_b32 s13, 0x3e5ade15
	v_fmac_f64_e32 v[36:37], s[12:13], v[28:29]
	v_mov_b32_e32 v38, 0x623fde64
	v_mov_b32_e32 v39, 0x3ec71dee
	v_fmac_f64_e32 v[38:39], v[28:29], v[36:37]
	v_mov_b32_e32 v36, 0x7c89e6b0
	v_mov_b32_e32 v37, 0x3efa0199
	;; [unrolled: 3-line block ×8, first 2 shown]
	s_mov_b32 s12, 0
	v_fmac_f64_e32 v[36:37], v[28:29], v[38:39]
	s_mov_b32 s13, 0x40900000
	v_fma_f64 v[36:37], v[28:29], v[36:37], 1.0
	v_cmp_nlt_f64_e32 vcc, s[12:13], v[22:23]
	s_mov_b32 s12, 0
	v_fma_f64 v[28:29], v[28:29], v[36:37], 1.0
	v_cvt_i32_f64_e32 v26, v[26:27]
	s_mov_b32 s13, 0xc090cc00
	v_ldexp_f64 v[26:27], v[28:29], v26
	v_mov_b32_e32 v28, 0x7ff00000
	v_cmp_ngt_f64_e64 s[12:13], s[12:13], v[22:23]
	v_cndmask_b32_e32 v27, v28, v27, vcc
	s_and_b64 vcc, s[12:13], vcc
	v_cndmask_b32_e64 v23, 0, v27, s[12:13]
	v_cndmask_b32_e32 v22, 0, v26, vcc
	v_add_f64 v[26:27], v[22:23], 1.0
	v_add_f64 v[28:29], v[26:27], -1.0
	v_add_f64 v[36:37], v[28:29], -v[26:27]
	v_add_f64 v[36:37], v[36:37], 1.0
	v_add_f64 v[28:29], v[22:23], -v[28:29]
	s_mov_b32 s12, 0x55555555
	v_add_f64 v[28:29], v[28:29], v[36:37]
	v_frexp_mant_f64_e32 v[36:37], v[26:27]
	s_mov_b32 s13, 0x3fe55555
	v_frexp_exp_i32_f64_e32 v38, v[26:27]
	v_cmp_gt_f64_e32 vcc, s[12:13], v[36:37]
	v_subbrev_co_u32_e32 v56, vcc, 0, v38, vcc
	v_sub_u32_e32 v36, 0, v56
	v_ldexp_f64 v[26:27], v[26:27], v36
	v_ldexp_f64 v[28:29], v[28:29], v36
	v_add_f64 v[36:37], v[26:27], -1.0
	v_add_f64 v[44:45], v[26:27], 1.0
	v_add_f64 v[38:39], v[36:37], 1.0
	v_add_f64 v[46:47], v[44:45], -1.0
	v_add_f64 v[38:39], v[26:27], -v[38:39]
	v_add_f64 v[26:27], v[26:27], -v[46:47]
	v_add_f64 v[26:27], v[28:29], v[26:27]
	v_add_f64 v[38:39], v[28:29], v[38:39]
	;; [unrolled: 1-line block ×3, first 2 shown]
	v_rcp_f64_e32 v[46:47], v[28:29]
	v_add_f64 v[40:41], v[36:37], v[38:39]
	v_add_f64 v[36:37], v[40:41], -v[36:37]
	v_add_f64 v[36:37], v[38:39], -v[36:37]
	;; [unrolled: 1-line block ×4, first 2 shown]
	v_fma_f64 v[38:39], -v[28:29], v[46:47], 1.0
	v_fmac_f64_e32 v[46:47], v[38:39], v[46:47]
	v_fma_f64 v[38:39], -v[28:29], v[46:47], 1.0
	v_fmac_f64_e32 v[46:47], v[38:39], v[46:47]
	v_mul_f64 v[38:39], v[40:41], v[46:47]
	v_mul_f64 v[44:45], v[28:29], v[38:39]
	v_fma_f64 v[50:51], v[38:39], v[28:29], -v[44:45]
	v_fmac_f64_e32 v[50:51], v[38:39], v[26:27]
	v_add_f64 v[52:53], v[44:45], v[50:51]
	v_add_f64 v[54:55], v[40:41], -v[52:53]
	v_add_f64 v[40:41], v[40:41], -v[54:55]
	;; [unrolled: 1-line block ×4, first 2 shown]
	v_add_f64 v[36:37], v[36:37], v[40:41]
	v_add_f64 v[40:41], v[44:45], -v[50:51]
	v_add_f64 v[36:37], v[40:41], v[36:37]
	v_add_f64 v[40:41], v[54:55], v[36:37]
	v_add_f64 v[44:45], v[54:55], -v[40:41]
	v_add_f64 v[36:37], v[36:37], v[44:45]
	v_mul_f64 v[44:45], v[46:47], v[40:41]
	v_mul_f64 v[50:51], v[28:29], v[44:45]
	v_fma_f64 v[28:29], v[44:45], v[28:29], -v[50:51]
	v_fmac_f64_e32 v[28:29], v[44:45], v[26:27]
	v_add_f64 v[26:27], v[50:51], v[28:29]
	v_add_f64 v[52:53], v[40:41], -v[26:27]
	v_add_f64 v[40:41], v[40:41], -v[52:53]
	;; [unrolled: 1-line block ×4, first 2 shown]
	v_add_f64 v[26:27], v[36:37], v[26:27]
	v_add_f64 v[28:29], v[50:51], -v[28:29]
	v_add_f64 v[26:27], v[28:29], v[26:27]
	v_add_f64 v[28:29], v[38:39], v[44:45]
	;; [unrolled: 1-line block ×3, first 2 shown]
	v_add_f64 v[36:37], v[28:29], -v[38:39]
	v_mul_f64 v[26:27], v[46:47], v[26:27]
	v_add_f64 v[36:37], v[44:45], -v[36:37]
	v_add_f64 v[26:27], v[36:37], v[26:27]
	v_add_f64 v[36:37], v[28:29], v[26:27]
	v_add_f64 v[28:29], v[36:37], -v[28:29]
	s_mov_b32 s12, 0xbf559e2b
	v_add_f64 v[26:27], v[26:27], -v[28:29]
	v_mul_f64 v[28:29], v[36:37], v[36:37]
	v_mov_b32_e32 v38, 0x6b47b09a
	v_mov_b32_e32 v39, 0x3fc38538
	s_mov_b32 s13, 0x3fc3ab76
	v_fmac_f64_e32 v[38:39], s[12:13], v[28:29]
	v_mov_b32_e32 v40, 0xd7f4df2e
	v_mov_b32_e32 v41, 0x3fc7474d
	v_fmac_f64_e32 v[40:41], v[28:29], v[38:39]
	v_mov_b32_e32 v38, 0x16291751
	v_mov_b32_e32 v39, 0x3fcc71c0
	;; [unrolled: 3-line block ×5, first 2 shown]
	v_fmac_f64_e32 v[40:41], v[28:29], v[38:39]
	v_cvt_f64_i32_e32 v[38:39], v56
	s_mov_b32 s17, 0x3fe62e42
	v_mul_f64 v[44:45], v[38:39], s[16:17]
	v_fma_f64 v[46:47], v[38:39], s[16:17], -v[44:45]
	s_mov_b32 s19, 0x3c7abc9e
	v_fmac_f64_e32 v[46:47], s[18:19], v[38:39]
	v_add_f64 v[38:39], v[44:45], v[46:47]
	v_add_f64 v[44:45], v[38:39], -v[44:45]
	v_mul_f64 v[28:29], v[36:37], v[28:29]
	v_add_f64 v[44:45], v[46:47], -v[44:45]
	v_ldexp_f64 v[46:47], v[36:37], 1
	v_mul_f64 v[28:29], v[28:29], v[40:41]
	v_add_f64 v[36:37], v[46:47], v[28:29]
	v_add_f64 v[40:41], v[36:37], -v[46:47]
	v_ldexp_f64 v[26:27], v[26:27], 1
	v_add_f64 v[28:29], v[28:29], -v[40:41]
	v_add_f64 v[26:27], v[26:27], v[28:29]
	v_add_f64 v[28:29], v[36:37], v[26:27]
	v_add_f64 v[36:37], v[28:29], -v[36:37]
	v_add_f64 v[26:27], v[26:27], -v[36:37]
	v_add_f64 v[36:37], v[38:39], v[28:29]
	v_add_f64 v[40:41], v[36:37], -v[38:39]
	v_add_f64 v[46:47], v[36:37], -v[40:41]
	;; [unrolled: 1-line block ×4, first 2 shown]
	v_add_f64 v[28:29], v[28:29], v[38:39]
	v_add_f64 v[38:39], v[44:45], v[26:27]
	v_add_f64 v[40:41], v[38:39], -v[44:45]
	v_add_f64 v[28:29], v[38:39], v[28:29]
	v_add_f64 v[46:47], v[38:39], -v[40:41]
	;; [unrolled: 2-line block ×3, first 2 shown]
	v_add_f64 v[26:27], v[26:27], -v[40:41]
	v_add_f64 v[36:37], v[38:39], -v[36:37]
	v_add_f64 v[26:27], v[26:27], v[44:45]
	v_add_f64 v[28:29], v[28:29], -v[36:37]
	s_mov_b32 s12, 0
	v_add_f64 v[26:27], v[26:27], v[28:29]
	s_mov_b32 s13, 0x7ff00000
	v_add_f64 v[26:27], v[38:39], v[26:27]
	v_cmp_eq_f64_e32 vcc, s[12:13], v[22:23]
	v_cndmask_b32_e32 v26, v26, v22, vcc
	v_cndmask_b32_e32 v27, v27, v23, vcc
	v_mov_b32_e32 v28, 0x7ff80000
	v_cmp_ngt_f64_e32 vcc, -1.0, v[22:23]
	v_cndmask_b32_e32 v27, v28, v27, vcc
	v_cmp_nge_f64_e32 vcc, -1.0, v[22:23]
	v_cndmask_b32_e32 v26, 0, v26, vcc
	v_mov_b32_e32 v28, 0xfff00000
	v_cmp_neq_f64_e32 vcc, -1.0, v[22:23]
	v_cndmask_b32_e32 v27, v28, v27, vcc
	v_add_f64 v[22:23], v[24:25], v[26:27]
.LBB68_37:
	s_or_b64 exec, exec, s[14:15]
	v_max_f64 v[36:37], v[16:17], v[16:17]
	v_max_f64 v[24:25], v[22:23], v[22:23]
	v_min_f64 v[26:27], v[24:25], v[36:37]
	v_cmp_u_f64_e32 vcc, v[22:23], v[22:23]
	v_max_f64 v[24:25], v[24:25], v[36:37]
	v_cndmask_b32_e32 v26, v26, v22, vcc
	v_cndmask_b32_e32 v27, v27, v23, vcc
	v_cmp_u_f64_e64 s[12:13], v[16:17], v[16:17]
	v_cndmask_b32_e32 v24, v24, v22, vcc
	v_cndmask_b32_e32 v25, v25, v23, vcc
	v_cndmask_b32_e64 v27, v27, v17, s[12:13]
	v_cndmask_b32_e64 v26, v26, v16, s[12:13]
	;; [unrolled: 1-line block ×4, first 2 shown]
	s_movk_i32 s24, 0x1f8
	v_cmp_neq_f64_e32 vcc, v[26:27], v[24:25]
	v_cmp_class_f64_e64 s[14:15], v[26:27], s24
	s_or_b64 s[14:15], vcc, s[14:15]
	s_and_saveexec_b64 s[16:17], s[14:15]
	s_cbranch_execz .LBB68_39
; %bb.38:
	s_mov_b32 s14, 0x652b82fe
	v_add_f64 v[22:23], v[26:27], -v[24:25]
	s_mov_b32 s15, 0x3ff71547
	v_mul_f64 v[26:27], v[22:23], s[14:15]
	v_rndne_f64_e32 v[26:27], v[26:27]
	s_mov_b32 s19, 0xbfe62e42
	s_mov_b32 s18, 0xfefa39ef
	v_fma_f64 v[28:29], s[18:19], v[26:27], v[22:23]
	s_mov_b32 s21, 0xbc7abc9e
	s_mov_b32 s20, 0x3b39803f
	;; [unrolled: 1-line block ×3, first 2 shown]
	v_fmac_f64_e32 v[28:29], s[20:21], v[26:27]
	v_mov_b32_e32 v38, 0xfca7ab0c
	v_mov_b32_e32 v39, 0x3e928af3
	s_mov_b32 s15, 0x3e5ade15
	v_fmac_f64_e32 v[38:39], s[14:15], v[28:29]
	v_mov_b32_e32 v40, 0x623fde64
	v_mov_b32_e32 v41, 0x3ec71dee
	v_fmac_f64_e32 v[40:41], v[28:29], v[38:39]
	v_mov_b32_e32 v38, 0x7c89e6b0
	v_mov_b32_e32 v39, 0x3efa0199
	;; [unrolled: 3-line block ×8, first 2 shown]
	s_mov_b32 s14, 0
	v_fmac_f64_e32 v[38:39], v[28:29], v[40:41]
	s_mov_b32 s15, 0x40900000
	v_fma_f64 v[38:39], v[28:29], v[38:39], 1.0
	v_cmp_nlt_f64_e32 vcc, s[14:15], v[22:23]
	s_mov_b32 s14, 0
	v_fma_f64 v[28:29], v[28:29], v[38:39], 1.0
	v_cvt_i32_f64_e32 v26, v[26:27]
	s_mov_b32 s15, 0xc090cc00
	v_ldexp_f64 v[26:27], v[28:29], v26
	v_mov_b32_e32 v28, 0x7ff00000
	v_cmp_ngt_f64_e64 s[14:15], s[14:15], v[22:23]
	v_cndmask_b32_e32 v27, v28, v27, vcc
	s_and_b64 vcc, s[14:15], vcc
	v_cndmask_b32_e64 v23, 0, v27, s[14:15]
	v_cndmask_b32_e32 v22, 0, v26, vcc
	v_add_f64 v[26:27], v[22:23], 1.0
	v_add_f64 v[28:29], v[26:27], -1.0
	v_add_f64 v[38:39], v[28:29], -v[26:27]
	v_add_f64 v[38:39], v[38:39], 1.0
	v_add_f64 v[28:29], v[22:23], -v[28:29]
	s_mov_b32 s14, 0x55555555
	v_add_f64 v[28:29], v[28:29], v[38:39]
	v_frexp_mant_f64_e32 v[38:39], v[26:27]
	s_mov_b32 s15, 0x3fe55555
	v_frexp_exp_i32_f64_e32 v40, v[26:27]
	v_cmp_gt_f64_e32 vcc, s[14:15], v[38:39]
	v_subbrev_co_u32_e32 v58, vcc, 0, v40, vcc
	v_sub_u32_e32 v38, 0, v58
	v_ldexp_f64 v[26:27], v[26:27], v38
	v_ldexp_f64 v[28:29], v[28:29], v38
	v_add_f64 v[38:39], v[26:27], -1.0
	v_add_f64 v[46:47], v[26:27], 1.0
	v_add_f64 v[40:41], v[38:39], 1.0
	v_add_f64 v[50:51], v[46:47], -1.0
	v_add_f64 v[40:41], v[26:27], -v[40:41]
	v_add_f64 v[26:27], v[26:27], -v[50:51]
	v_add_f64 v[26:27], v[28:29], v[26:27]
	v_add_f64 v[40:41], v[28:29], v[40:41]
	;; [unrolled: 1-line block ×3, first 2 shown]
	v_rcp_f64_e32 v[50:51], v[28:29]
	v_add_f64 v[44:45], v[38:39], v[40:41]
	v_add_f64 v[38:39], v[44:45], -v[38:39]
	v_add_f64 v[38:39], v[40:41], -v[38:39]
	v_add_f64 v[40:41], v[28:29], -v[46:47]
	v_add_f64 v[26:27], v[26:27], -v[40:41]
	v_fma_f64 v[40:41], -v[28:29], v[50:51], 1.0
	v_fmac_f64_e32 v[50:51], v[40:41], v[50:51]
	v_fma_f64 v[40:41], -v[28:29], v[50:51], 1.0
	v_fmac_f64_e32 v[50:51], v[40:41], v[50:51]
	v_mul_f64 v[40:41], v[44:45], v[50:51]
	v_mul_f64 v[46:47], v[28:29], v[40:41]
	v_fma_f64 v[52:53], v[40:41], v[28:29], -v[46:47]
	v_fmac_f64_e32 v[52:53], v[40:41], v[26:27]
	v_add_f64 v[54:55], v[46:47], v[52:53]
	v_add_f64 v[56:57], v[44:45], -v[54:55]
	v_add_f64 v[44:45], v[44:45], -v[56:57]
	v_add_f64 v[46:47], v[54:55], -v[46:47]
	v_add_f64 v[44:45], v[44:45], -v[54:55]
	v_add_f64 v[38:39], v[38:39], v[44:45]
	v_add_f64 v[44:45], v[46:47], -v[52:53]
	v_add_f64 v[38:39], v[44:45], v[38:39]
	v_add_f64 v[44:45], v[56:57], v[38:39]
	v_add_f64 v[46:47], v[56:57], -v[44:45]
	v_add_f64 v[38:39], v[38:39], v[46:47]
	v_mul_f64 v[46:47], v[50:51], v[44:45]
	v_mul_f64 v[52:53], v[28:29], v[46:47]
	v_fma_f64 v[28:29], v[46:47], v[28:29], -v[52:53]
	v_fmac_f64_e32 v[28:29], v[46:47], v[26:27]
	v_add_f64 v[26:27], v[52:53], v[28:29]
	v_add_f64 v[54:55], v[44:45], -v[26:27]
	v_add_f64 v[44:45], v[44:45], -v[54:55]
	;; [unrolled: 1-line block ×4, first 2 shown]
	v_add_f64 v[26:27], v[38:39], v[26:27]
	v_add_f64 v[28:29], v[52:53], -v[28:29]
	v_add_f64 v[26:27], v[28:29], v[26:27]
	v_add_f64 v[28:29], v[40:41], v[46:47]
	;; [unrolled: 1-line block ×3, first 2 shown]
	v_add_f64 v[38:39], v[28:29], -v[40:41]
	v_mul_f64 v[26:27], v[50:51], v[26:27]
	v_add_f64 v[38:39], v[46:47], -v[38:39]
	v_add_f64 v[26:27], v[38:39], v[26:27]
	v_add_f64 v[38:39], v[28:29], v[26:27]
	v_add_f64 v[28:29], v[38:39], -v[28:29]
	s_mov_b32 s14, 0xbf559e2b
	v_add_f64 v[26:27], v[26:27], -v[28:29]
	v_mul_f64 v[28:29], v[38:39], v[38:39]
	v_mov_b32_e32 v40, 0x6b47b09a
	v_mov_b32_e32 v41, 0x3fc38538
	s_mov_b32 s15, 0x3fc3ab76
	v_fmac_f64_e32 v[40:41], s[14:15], v[28:29]
	v_mov_b32_e32 v44, 0xd7f4df2e
	v_mov_b32_e32 v45, 0x3fc7474d
	v_fmac_f64_e32 v[44:45], v[28:29], v[40:41]
	v_mov_b32_e32 v40, 0x16291751
	v_mov_b32_e32 v41, 0x3fcc71c0
	;; [unrolled: 3-line block ×5, first 2 shown]
	v_fmac_f64_e32 v[44:45], v[28:29], v[40:41]
	v_cvt_f64_i32_e32 v[40:41], v58
	s_mov_b32 s19, 0x3fe62e42
	v_mul_f64 v[46:47], v[40:41], s[18:19]
	v_fma_f64 v[50:51], v[40:41], s[18:19], -v[46:47]
	s_mov_b32 s21, 0x3c7abc9e
	v_fmac_f64_e32 v[50:51], s[20:21], v[40:41]
	v_add_f64 v[40:41], v[46:47], v[50:51]
	v_add_f64 v[46:47], v[40:41], -v[46:47]
	v_mul_f64 v[28:29], v[38:39], v[28:29]
	v_add_f64 v[46:47], v[50:51], -v[46:47]
	v_ldexp_f64 v[50:51], v[38:39], 1
	v_mul_f64 v[28:29], v[28:29], v[44:45]
	v_add_f64 v[38:39], v[50:51], v[28:29]
	v_add_f64 v[44:45], v[38:39], -v[50:51]
	v_ldexp_f64 v[26:27], v[26:27], 1
	v_add_f64 v[28:29], v[28:29], -v[44:45]
	v_add_f64 v[26:27], v[26:27], v[28:29]
	v_add_f64 v[28:29], v[38:39], v[26:27]
	v_add_f64 v[38:39], v[28:29], -v[38:39]
	v_add_f64 v[26:27], v[26:27], -v[38:39]
	v_add_f64 v[38:39], v[40:41], v[28:29]
	v_add_f64 v[44:45], v[38:39], -v[40:41]
	v_add_f64 v[50:51], v[38:39], -v[44:45]
	;; [unrolled: 1-line block ×4, first 2 shown]
	v_add_f64 v[28:29], v[28:29], v[40:41]
	v_add_f64 v[40:41], v[46:47], v[26:27]
	v_add_f64 v[44:45], v[40:41], -v[46:47]
	v_add_f64 v[28:29], v[40:41], v[28:29]
	v_add_f64 v[50:51], v[40:41], -v[44:45]
	;; [unrolled: 2-line block ×3, first 2 shown]
	v_add_f64 v[26:27], v[26:27], -v[44:45]
	v_add_f64 v[38:39], v[40:41], -v[38:39]
	v_add_f64 v[26:27], v[26:27], v[46:47]
	v_add_f64 v[28:29], v[28:29], -v[38:39]
	s_mov_b32 s14, 0
	v_add_f64 v[26:27], v[26:27], v[28:29]
	s_mov_b32 s15, 0x7ff00000
	v_add_f64 v[26:27], v[40:41], v[26:27]
	v_cmp_eq_f64_e32 vcc, s[14:15], v[22:23]
	v_cndmask_b32_e32 v26, v26, v22, vcc
	v_cndmask_b32_e32 v27, v27, v23, vcc
	v_mov_b32_e32 v28, 0x7ff80000
	v_cmp_ngt_f64_e32 vcc, -1.0, v[22:23]
	v_cndmask_b32_e32 v27, v28, v27, vcc
	v_cmp_nge_f64_e32 vcc, -1.0, v[22:23]
	v_cndmask_b32_e32 v26, 0, v26, vcc
	v_mov_b32_e32 v28, 0xfff00000
	v_cmp_neq_f64_e32 vcc, -1.0, v[22:23]
	v_cndmask_b32_e32 v27, v28, v27, vcc
	v_add_f64 v[22:23], v[24:25], v[26:27]
.LBB68_39:
	s_or_b64 exec, exec, s[16:17]
	v_max_f64 v[38:39], v[10:11], v[10:11]
	v_max_f64 v[24:25], v[22:23], v[22:23]
	v_min_f64 v[26:27], v[24:25], v[38:39]
	v_cmp_u_f64_e32 vcc, v[22:23], v[22:23]
	v_max_f64 v[24:25], v[24:25], v[38:39]
	v_cndmask_b32_e32 v26, v26, v22, vcc
	v_cndmask_b32_e32 v27, v27, v23, vcc
	v_cmp_u_f64_e64 s[14:15], v[10:11], v[10:11]
	v_cndmask_b32_e32 v24, v24, v22, vcc
	v_cndmask_b32_e32 v25, v25, v23, vcc
	v_cndmask_b32_e64 v27, v27, v11, s[14:15]
	v_cndmask_b32_e64 v26, v26, v10, s[14:15]
	;; [unrolled: 1-line block ×4, first 2 shown]
	v_cmp_neq_f64_e32 vcc, v[26:27], v[24:25]
	v_cmp_class_f64_e64 s[16:17], v[26:27], s24
	s_or_b64 s[16:17], vcc, s[16:17]
	s_and_saveexec_b64 s[18:19], s[16:17]
	s_cbranch_execz .LBB68_41
; %bb.40:
	s_mov_b32 s16, 0x652b82fe
	v_add_f64 v[22:23], v[26:27], -v[24:25]
	s_mov_b32 s17, 0x3ff71547
	v_mul_f64 v[26:27], v[22:23], s[16:17]
	v_rndne_f64_e32 v[26:27], v[26:27]
	s_mov_b32 s21, 0xbfe62e42
	s_mov_b32 s20, 0xfefa39ef
	v_fma_f64 v[28:29], s[20:21], v[26:27], v[22:23]
	s_mov_b32 s25, 0xbc7abc9e
	s_mov_b32 s24, 0x3b39803f
	;; [unrolled: 1-line block ×3, first 2 shown]
	v_fmac_f64_e32 v[28:29], s[24:25], v[26:27]
	v_mov_b32_e32 v40, 0xfca7ab0c
	v_mov_b32_e32 v41, 0x3e928af3
	s_mov_b32 s17, 0x3e5ade15
	v_fmac_f64_e32 v[40:41], s[16:17], v[28:29]
	v_mov_b32_e32 v44, 0x623fde64
	v_mov_b32_e32 v45, 0x3ec71dee
	v_fmac_f64_e32 v[44:45], v[28:29], v[40:41]
	v_mov_b32_e32 v40, 0x7c89e6b0
	v_mov_b32_e32 v41, 0x3efa0199
	;; [unrolled: 3-line block ×8, first 2 shown]
	s_mov_b32 s16, 0
	v_fmac_f64_e32 v[40:41], v[28:29], v[44:45]
	s_mov_b32 s17, 0x40900000
	v_fma_f64 v[40:41], v[28:29], v[40:41], 1.0
	v_cmp_nlt_f64_e32 vcc, s[16:17], v[22:23]
	s_mov_b32 s16, 0
	v_fma_f64 v[28:29], v[28:29], v[40:41], 1.0
	v_cvt_i32_f64_e32 v26, v[26:27]
	s_mov_b32 s17, 0xc090cc00
	v_ldexp_f64 v[26:27], v[28:29], v26
	v_mov_b32_e32 v28, 0x7ff00000
	v_cmp_ngt_f64_e64 s[16:17], s[16:17], v[22:23]
	v_cndmask_b32_e32 v27, v28, v27, vcc
	s_and_b64 vcc, s[16:17], vcc
	v_cndmask_b32_e64 v23, 0, v27, s[16:17]
	v_cndmask_b32_e32 v22, 0, v26, vcc
	v_add_f64 v[26:27], v[22:23], 1.0
	v_add_f64 v[28:29], v[26:27], -1.0
	v_add_f64 v[40:41], v[28:29], -v[26:27]
	v_add_f64 v[40:41], v[40:41], 1.0
	v_add_f64 v[28:29], v[22:23], -v[28:29]
	s_mov_b32 s16, 0x55555555
	v_add_f64 v[28:29], v[28:29], v[40:41]
	v_frexp_mant_f64_e32 v[40:41], v[26:27]
	s_mov_b32 s17, 0x3fe55555
	v_frexp_exp_i32_f64_e32 v44, v[26:27]
	v_cmp_gt_f64_e32 vcc, s[16:17], v[40:41]
	v_subbrev_co_u32_e32 v60, vcc, 0, v44, vcc
	v_sub_u32_e32 v40, 0, v60
	v_ldexp_f64 v[26:27], v[26:27], v40
	v_ldexp_f64 v[28:29], v[28:29], v40
	v_add_f64 v[40:41], v[26:27], -1.0
	v_add_f64 v[50:51], v[26:27], 1.0
	v_add_f64 v[44:45], v[40:41], 1.0
	v_add_f64 v[52:53], v[50:51], -1.0
	v_add_f64 v[44:45], v[26:27], -v[44:45]
	v_add_f64 v[26:27], v[26:27], -v[52:53]
	v_add_f64 v[26:27], v[28:29], v[26:27]
	v_add_f64 v[44:45], v[28:29], v[44:45]
	v_add_f64 v[28:29], v[50:51], v[26:27]
	v_rcp_f64_e32 v[52:53], v[28:29]
	v_add_f64 v[46:47], v[40:41], v[44:45]
	v_add_f64 v[40:41], v[46:47], -v[40:41]
	v_add_f64 v[40:41], v[44:45], -v[40:41]
	;; [unrolled: 1-line block ×4, first 2 shown]
	v_fma_f64 v[44:45], -v[28:29], v[52:53], 1.0
	v_fmac_f64_e32 v[52:53], v[44:45], v[52:53]
	v_fma_f64 v[44:45], -v[28:29], v[52:53], 1.0
	v_fmac_f64_e32 v[52:53], v[44:45], v[52:53]
	v_mul_f64 v[44:45], v[46:47], v[52:53]
	v_mul_f64 v[50:51], v[28:29], v[44:45]
	v_fma_f64 v[54:55], v[44:45], v[28:29], -v[50:51]
	v_fmac_f64_e32 v[54:55], v[44:45], v[26:27]
	v_add_f64 v[56:57], v[50:51], v[54:55]
	v_add_f64 v[58:59], v[46:47], -v[56:57]
	v_add_f64 v[46:47], v[46:47], -v[58:59]
	;; [unrolled: 1-line block ×4, first 2 shown]
	v_add_f64 v[40:41], v[40:41], v[46:47]
	v_add_f64 v[46:47], v[50:51], -v[54:55]
	v_add_f64 v[40:41], v[46:47], v[40:41]
	v_add_f64 v[46:47], v[58:59], v[40:41]
	v_add_f64 v[50:51], v[58:59], -v[46:47]
	v_add_f64 v[40:41], v[40:41], v[50:51]
	v_mul_f64 v[50:51], v[52:53], v[46:47]
	v_mul_f64 v[54:55], v[28:29], v[50:51]
	v_fma_f64 v[28:29], v[50:51], v[28:29], -v[54:55]
	v_fmac_f64_e32 v[28:29], v[50:51], v[26:27]
	v_add_f64 v[26:27], v[54:55], v[28:29]
	v_add_f64 v[56:57], v[46:47], -v[26:27]
	v_add_f64 v[46:47], v[46:47], -v[56:57]
	;; [unrolled: 1-line block ×4, first 2 shown]
	v_add_f64 v[26:27], v[40:41], v[26:27]
	v_add_f64 v[28:29], v[54:55], -v[28:29]
	v_add_f64 v[26:27], v[28:29], v[26:27]
	v_add_f64 v[28:29], v[44:45], v[50:51]
	;; [unrolled: 1-line block ×3, first 2 shown]
	v_add_f64 v[40:41], v[28:29], -v[44:45]
	v_mul_f64 v[26:27], v[52:53], v[26:27]
	v_add_f64 v[40:41], v[50:51], -v[40:41]
	v_add_f64 v[26:27], v[40:41], v[26:27]
	v_add_f64 v[40:41], v[28:29], v[26:27]
	v_add_f64 v[28:29], v[40:41], -v[28:29]
	s_mov_b32 s16, 0xbf559e2b
	v_add_f64 v[26:27], v[26:27], -v[28:29]
	v_mul_f64 v[28:29], v[40:41], v[40:41]
	v_mov_b32_e32 v44, 0x6b47b09a
	v_mov_b32_e32 v45, 0x3fc38538
	s_mov_b32 s17, 0x3fc3ab76
	v_fmac_f64_e32 v[44:45], s[16:17], v[28:29]
	v_mov_b32_e32 v46, 0xd7f4df2e
	v_mov_b32_e32 v47, 0x3fc7474d
	v_fmac_f64_e32 v[46:47], v[28:29], v[44:45]
	v_mov_b32_e32 v44, 0x16291751
	v_mov_b32_e32 v45, 0x3fcc71c0
	;; [unrolled: 3-line block ×5, first 2 shown]
	v_fmac_f64_e32 v[46:47], v[28:29], v[44:45]
	v_cvt_f64_i32_e32 v[44:45], v60
	s_mov_b32 s21, 0x3fe62e42
	v_mul_f64 v[50:51], v[44:45], s[20:21]
	v_fma_f64 v[52:53], v[44:45], s[20:21], -v[50:51]
	s_mov_b32 s25, 0x3c7abc9e
	v_fmac_f64_e32 v[52:53], s[24:25], v[44:45]
	v_add_f64 v[44:45], v[50:51], v[52:53]
	v_add_f64 v[50:51], v[44:45], -v[50:51]
	v_mul_f64 v[28:29], v[40:41], v[28:29]
	v_add_f64 v[50:51], v[52:53], -v[50:51]
	v_ldexp_f64 v[52:53], v[40:41], 1
	v_mul_f64 v[28:29], v[28:29], v[46:47]
	v_add_f64 v[40:41], v[52:53], v[28:29]
	v_add_f64 v[46:47], v[40:41], -v[52:53]
	v_ldexp_f64 v[26:27], v[26:27], 1
	v_add_f64 v[28:29], v[28:29], -v[46:47]
	v_add_f64 v[26:27], v[26:27], v[28:29]
	v_add_f64 v[28:29], v[40:41], v[26:27]
	v_add_f64 v[40:41], v[28:29], -v[40:41]
	v_add_f64 v[26:27], v[26:27], -v[40:41]
	v_add_f64 v[40:41], v[44:45], v[28:29]
	v_add_f64 v[46:47], v[40:41], -v[44:45]
	v_add_f64 v[52:53], v[40:41], -v[46:47]
	;; [unrolled: 1-line block ×4, first 2 shown]
	v_add_f64 v[28:29], v[28:29], v[44:45]
	v_add_f64 v[44:45], v[50:51], v[26:27]
	v_add_f64 v[46:47], v[44:45], -v[50:51]
	v_add_f64 v[28:29], v[44:45], v[28:29]
	v_add_f64 v[52:53], v[44:45], -v[46:47]
	;; [unrolled: 2-line block ×3, first 2 shown]
	v_add_f64 v[26:27], v[26:27], -v[46:47]
	v_add_f64 v[40:41], v[44:45], -v[40:41]
	v_add_f64 v[26:27], v[26:27], v[50:51]
	v_add_f64 v[28:29], v[28:29], -v[40:41]
	s_mov_b32 s16, 0
	v_add_f64 v[26:27], v[26:27], v[28:29]
	s_mov_b32 s17, 0x7ff00000
	v_add_f64 v[26:27], v[44:45], v[26:27]
	v_cmp_eq_f64_e32 vcc, s[16:17], v[22:23]
	v_cndmask_b32_e32 v26, v26, v22, vcc
	v_cndmask_b32_e32 v27, v27, v23, vcc
	v_mov_b32_e32 v28, 0x7ff80000
	v_cmp_ngt_f64_e32 vcc, -1.0, v[22:23]
	v_cndmask_b32_e32 v27, v28, v27, vcc
	v_cmp_nge_f64_e32 vcc, -1.0, v[22:23]
	v_cndmask_b32_e32 v26, 0, v26, vcc
	v_mov_b32_e32 v28, 0xfff00000
	v_cmp_neq_f64_e32 vcc, -1.0, v[22:23]
	v_cndmask_b32_e32 v27, v28, v27, vcc
	v_add_f64 v[22:23], v[24:25], v[26:27]
.LBB68_41:
	s_or_b64 exec, exec, s[18:19]
	v_max_f64 v[40:41], v[12:13], v[12:13]
	v_max_f64 v[24:25], v[22:23], v[22:23]
	v_min_f64 v[26:27], v[24:25], v[40:41]
	v_cmp_u_f64_e32 vcc, v[22:23], v[22:23]
	v_max_f64 v[24:25], v[24:25], v[40:41]
	v_cndmask_b32_e32 v26, v26, v22, vcc
	v_cndmask_b32_e32 v27, v27, v23, vcc
	v_cmp_u_f64_e64 s[16:17], v[12:13], v[12:13]
	v_cndmask_b32_e32 v24, v24, v22, vcc
	v_cndmask_b32_e32 v25, v25, v23, vcc
	v_cndmask_b32_e64 v27, v27, v13, s[16:17]
	v_cndmask_b32_e64 v26, v26, v12, s[16:17]
	;; [unrolled: 1-line block ×4, first 2 shown]
	s_movk_i32 s48, 0x1f8
	v_cmp_neq_f64_e32 vcc, v[26:27], v[24:25]
	v_cmp_class_f64_e64 s[18:19], v[26:27], s48
	s_or_b64 s[18:19], vcc, s[18:19]
	s_and_saveexec_b64 s[20:21], s[18:19]
	s_cbranch_execz .LBB68_43
; %bb.42:
	s_mov_b32 s18, 0x652b82fe
	v_add_f64 v[22:23], v[26:27], -v[24:25]
	s_mov_b32 s19, 0x3ff71547
	v_mul_f64 v[26:27], v[22:23], s[18:19]
	v_rndne_f64_e32 v[26:27], v[26:27]
	s_mov_b32 s25, 0xbfe62e42
	s_mov_b32 s24, 0xfefa39ef
	v_fma_f64 v[28:29], s[24:25], v[26:27], v[22:23]
	s_mov_b32 s27, 0xbc7abc9e
	s_mov_b32 s26, 0x3b39803f
	s_mov_b32 s18, 0x6a5dcb37
	v_fmac_f64_e32 v[28:29], s[26:27], v[26:27]
	v_mov_b32_e32 v44, 0xfca7ab0c
	v_mov_b32_e32 v45, 0x3e928af3
	s_mov_b32 s19, 0x3e5ade15
	v_fmac_f64_e32 v[44:45], s[18:19], v[28:29]
	v_mov_b32_e32 v46, 0x623fde64
	v_mov_b32_e32 v47, 0x3ec71dee
	v_fmac_f64_e32 v[46:47], v[28:29], v[44:45]
	v_mov_b32_e32 v44, 0x7c89e6b0
	v_mov_b32_e32 v45, 0x3efa0199
	;; [unrolled: 3-line block ×8, first 2 shown]
	s_mov_b32 s18, 0
	v_fmac_f64_e32 v[44:45], v[28:29], v[46:47]
	s_mov_b32 s19, 0x40900000
	v_fma_f64 v[44:45], v[28:29], v[44:45], 1.0
	v_cmp_nlt_f64_e32 vcc, s[18:19], v[22:23]
	s_mov_b32 s18, 0
	v_fma_f64 v[28:29], v[28:29], v[44:45], 1.0
	v_cvt_i32_f64_e32 v26, v[26:27]
	s_mov_b32 s19, 0xc090cc00
	v_ldexp_f64 v[26:27], v[28:29], v26
	v_mov_b32_e32 v28, 0x7ff00000
	v_cmp_ngt_f64_e64 s[18:19], s[18:19], v[22:23]
	v_cndmask_b32_e32 v27, v28, v27, vcc
	s_and_b64 vcc, s[18:19], vcc
	v_cndmask_b32_e64 v23, 0, v27, s[18:19]
	v_cndmask_b32_e32 v22, 0, v26, vcc
	v_add_f64 v[26:27], v[22:23], 1.0
	v_add_f64 v[28:29], v[26:27], -1.0
	v_add_f64 v[44:45], v[28:29], -v[26:27]
	v_add_f64 v[44:45], v[44:45], 1.0
	v_add_f64 v[28:29], v[22:23], -v[28:29]
	s_mov_b32 s18, 0x55555555
	v_add_f64 v[28:29], v[28:29], v[44:45]
	v_frexp_mant_f64_e32 v[44:45], v[26:27]
	s_mov_b32 s19, 0x3fe55555
	v_frexp_exp_i32_f64_e32 v46, v[26:27]
	v_cmp_gt_f64_e32 vcc, s[18:19], v[44:45]
	v_subbrev_co_u32_e32 v62, vcc, 0, v46, vcc
	v_sub_u32_e32 v44, 0, v62
	v_ldexp_f64 v[26:27], v[26:27], v44
	v_ldexp_f64 v[28:29], v[28:29], v44
	v_add_f64 v[44:45], v[26:27], -1.0
	v_add_f64 v[52:53], v[26:27], 1.0
	v_add_f64 v[46:47], v[44:45], 1.0
	v_add_f64 v[54:55], v[52:53], -1.0
	v_add_f64 v[46:47], v[26:27], -v[46:47]
	v_add_f64 v[26:27], v[26:27], -v[54:55]
	v_add_f64 v[26:27], v[28:29], v[26:27]
	v_add_f64 v[46:47], v[28:29], v[46:47]
	;; [unrolled: 1-line block ×3, first 2 shown]
	v_rcp_f64_e32 v[54:55], v[28:29]
	v_add_f64 v[50:51], v[44:45], v[46:47]
	v_add_f64 v[44:45], v[50:51], -v[44:45]
	v_add_f64 v[44:45], v[46:47], -v[44:45]
	v_add_f64 v[46:47], v[28:29], -v[52:53]
	v_add_f64 v[26:27], v[26:27], -v[46:47]
	v_fma_f64 v[46:47], -v[28:29], v[54:55], 1.0
	v_fmac_f64_e32 v[54:55], v[46:47], v[54:55]
	v_fma_f64 v[46:47], -v[28:29], v[54:55], 1.0
	v_fmac_f64_e32 v[54:55], v[46:47], v[54:55]
	v_mul_f64 v[46:47], v[50:51], v[54:55]
	v_mul_f64 v[52:53], v[28:29], v[46:47]
	v_fma_f64 v[56:57], v[46:47], v[28:29], -v[52:53]
	v_fmac_f64_e32 v[56:57], v[46:47], v[26:27]
	v_add_f64 v[58:59], v[52:53], v[56:57]
	v_add_f64 v[60:61], v[50:51], -v[58:59]
	v_add_f64 v[50:51], v[50:51], -v[60:61]
	;; [unrolled: 1-line block ×4, first 2 shown]
	v_add_f64 v[44:45], v[44:45], v[50:51]
	v_add_f64 v[50:51], v[52:53], -v[56:57]
	v_add_f64 v[44:45], v[50:51], v[44:45]
	v_add_f64 v[50:51], v[60:61], v[44:45]
	v_add_f64 v[52:53], v[60:61], -v[50:51]
	v_add_f64 v[44:45], v[44:45], v[52:53]
	v_mul_f64 v[52:53], v[54:55], v[50:51]
	v_mul_f64 v[56:57], v[28:29], v[52:53]
	v_fma_f64 v[28:29], v[52:53], v[28:29], -v[56:57]
	v_fmac_f64_e32 v[28:29], v[52:53], v[26:27]
	v_add_f64 v[26:27], v[56:57], v[28:29]
	v_add_f64 v[58:59], v[50:51], -v[26:27]
	v_add_f64 v[50:51], v[50:51], -v[58:59]
	;; [unrolled: 1-line block ×4, first 2 shown]
	v_add_f64 v[26:27], v[44:45], v[26:27]
	v_add_f64 v[28:29], v[56:57], -v[28:29]
	v_add_f64 v[26:27], v[28:29], v[26:27]
	v_add_f64 v[28:29], v[46:47], v[52:53]
	;; [unrolled: 1-line block ×3, first 2 shown]
	v_add_f64 v[44:45], v[28:29], -v[46:47]
	v_mul_f64 v[26:27], v[54:55], v[26:27]
	v_add_f64 v[44:45], v[52:53], -v[44:45]
	v_add_f64 v[26:27], v[44:45], v[26:27]
	v_add_f64 v[44:45], v[28:29], v[26:27]
	v_add_f64 v[28:29], v[44:45], -v[28:29]
	s_mov_b32 s18, 0xbf559e2b
	v_add_f64 v[26:27], v[26:27], -v[28:29]
	v_mul_f64 v[28:29], v[44:45], v[44:45]
	v_mov_b32_e32 v46, 0x6b47b09a
	v_mov_b32_e32 v47, 0x3fc38538
	s_mov_b32 s19, 0x3fc3ab76
	v_fmac_f64_e32 v[46:47], s[18:19], v[28:29]
	v_mov_b32_e32 v50, 0xd7f4df2e
	v_mov_b32_e32 v51, 0x3fc7474d
	v_fmac_f64_e32 v[50:51], v[28:29], v[46:47]
	v_mov_b32_e32 v46, 0x16291751
	v_mov_b32_e32 v47, 0x3fcc71c0
	;; [unrolled: 3-line block ×5, first 2 shown]
	v_fmac_f64_e32 v[50:51], v[28:29], v[46:47]
	v_cvt_f64_i32_e32 v[46:47], v62
	s_mov_b32 s25, 0x3fe62e42
	v_mul_f64 v[52:53], v[46:47], s[24:25]
	v_fma_f64 v[54:55], v[46:47], s[24:25], -v[52:53]
	s_mov_b32 s27, 0x3c7abc9e
	v_fmac_f64_e32 v[54:55], s[26:27], v[46:47]
	v_add_f64 v[46:47], v[52:53], v[54:55]
	v_add_f64 v[52:53], v[46:47], -v[52:53]
	v_mul_f64 v[28:29], v[44:45], v[28:29]
	v_add_f64 v[52:53], v[54:55], -v[52:53]
	v_ldexp_f64 v[54:55], v[44:45], 1
	v_mul_f64 v[28:29], v[28:29], v[50:51]
	v_add_f64 v[44:45], v[54:55], v[28:29]
	v_add_f64 v[50:51], v[44:45], -v[54:55]
	v_ldexp_f64 v[26:27], v[26:27], 1
	v_add_f64 v[28:29], v[28:29], -v[50:51]
	v_add_f64 v[26:27], v[26:27], v[28:29]
	v_add_f64 v[28:29], v[44:45], v[26:27]
	v_add_f64 v[44:45], v[28:29], -v[44:45]
	v_add_f64 v[26:27], v[26:27], -v[44:45]
	v_add_f64 v[44:45], v[46:47], v[28:29]
	v_add_f64 v[50:51], v[44:45], -v[46:47]
	v_add_f64 v[54:55], v[44:45], -v[50:51]
	;; [unrolled: 1-line block ×4, first 2 shown]
	v_add_f64 v[28:29], v[28:29], v[46:47]
	v_add_f64 v[46:47], v[52:53], v[26:27]
	v_add_f64 v[50:51], v[46:47], -v[52:53]
	v_add_f64 v[28:29], v[46:47], v[28:29]
	v_add_f64 v[54:55], v[46:47], -v[50:51]
	;; [unrolled: 2-line block ×3, first 2 shown]
	v_add_f64 v[26:27], v[26:27], -v[50:51]
	v_add_f64 v[44:45], v[46:47], -v[44:45]
	v_add_f64 v[26:27], v[26:27], v[52:53]
	v_add_f64 v[28:29], v[28:29], -v[44:45]
	s_mov_b32 s18, 0
	v_add_f64 v[26:27], v[26:27], v[28:29]
	s_mov_b32 s19, 0x7ff00000
	v_add_f64 v[26:27], v[46:47], v[26:27]
	v_cmp_eq_f64_e32 vcc, s[18:19], v[22:23]
	v_cndmask_b32_e32 v26, v26, v22, vcc
	v_cndmask_b32_e32 v27, v27, v23, vcc
	v_mov_b32_e32 v28, 0x7ff80000
	v_cmp_ngt_f64_e32 vcc, -1.0, v[22:23]
	v_cndmask_b32_e32 v27, v28, v27, vcc
	v_cmp_nge_f64_e32 vcc, -1.0, v[22:23]
	v_cndmask_b32_e32 v26, 0, v26, vcc
	v_mov_b32_e32 v28, 0xfff00000
	v_cmp_neq_f64_e32 vcc, -1.0, v[22:23]
	v_cndmask_b32_e32 v27, v28, v27, vcc
	v_add_f64 v[22:23], v[24:25], v[26:27]
.LBB68_43:
	s_or_b64 exec, exec, s[20:21]
	v_max_f64 v[44:45], v[6:7], v[6:7]
	v_max_f64 v[24:25], v[22:23], v[22:23]
	v_min_f64 v[26:27], v[24:25], v[44:45]
	v_cmp_u_f64_e32 vcc, v[22:23], v[22:23]
	v_max_f64 v[24:25], v[24:25], v[44:45]
	v_cndmask_b32_e32 v26, v26, v22, vcc
	v_cndmask_b32_e32 v27, v27, v23, vcc
	v_cmp_u_f64_e64 s[18:19], v[6:7], v[6:7]
	v_cndmask_b32_e32 v24, v24, v22, vcc
	v_cndmask_b32_e32 v25, v25, v23, vcc
	v_cndmask_b32_e64 v27, v27, v7, s[18:19]
	v_cndmask_b32_e64 v26, v26, v6, s[18:19]
	;; [unrolled: 1-line block ×4, first 2 shown]
	v_cmp_neq_f64_e32 vcc, v[26:27], v[24:25]
	v_cmp_class_f64_e64 s[20:21], v[26:27], s48
	s_or_b64 s[20:21], vcc, s[20:21]
	s_and_saveexec_b64 s[24:25], s[20:21]
	s_cbranch_execz .LBB68_45
; %bb.44:
	s_mov_b32 s20, 0x652b82fe
	v_add_f64 v[22:23], v[26:27], -v[24:25]
	s_mov_b32 s21, 0x3ff71547
	v_mul_f64 v[26:27], v[22:23], s[20:21]
	v_rndne_f64_e32 v[26:27], v[26:27]
	s_mov_b32 s27, 0xbfe62e42
	s_mov_b32 s26, 0xfefa39ef
	v_fma_f64 v[28:29], s[26:27], v[26:27], v[22:23]
	s_mov_b32 s49, 0xbc7abc9e
	s_mov_b32 s48, 0x3b39803f
	;; [unrolled: 1-line block ×3, first 2 shown]
	v_fmac_f64_e32 v[28:29], s[48:49], v[26:27]
	v_mov_b32_e32 v46, 0xfca7ab0c
	v_mov_b32_e32 v47, 0x3e928af3
	s_mov_b32 s21, 0x3e5ade15
	v_fmac_f64_e32 v[46:47], s[20:21], v[28:29]
	v_mov_b32_e32 v50, 0x623fde64
	v_mov_b32_e32 v51, 0x3ec71dee
	v_fmac_f64_e32 v[50:51], v[28:29], v[46:47]
	v_mov_b32_e32 v46, 0x7c89e6b0
	v_mov_b32_e32 v47, 0x3efa0199
	;; [unrolled: 3-line block ×8, first 2 shown]
	s_mov_b32 s20, 0
	v_fmac_f64_e32 v[46:47], v[28:29], v[50:51]
	s_mov_b32 s21, 0x40900000
	v_fma_f64 v[46:47], v[28:29], v[46:47], 1.0
	v_cmp_nlt_f64_e32 vcc, s[20:21], v[22:23]
	s_mov_b32 s20, 0
	v_fma_f64 v[28:29], v[28:29], v[46:47], 1.0
	v_cvt_i32_f64_e32 v26, v[26:27]
	s_mov_b32 s21, 0xc090cc00
	v_ldexp_f64 v[26:27], v[28:29], v26
	v_mov_b32_e32 v28, 0x7ff00000
	v_cmp_ngt_f64_e64 s[20:21], s[20:21], v[22:23]
	v_cndmask_b32_e32 v27, v28, v27, vcc
	s_and_b64 vcc, s[20:21], vcc
	v_cndmask_b32_e64 v23, 0, v27, s[20:21]
	v_cndmask_b32_e32 v22, 0, v26, vcc
	v_add_f64 v[26:27], v[22:23], 1.0
	v_add_f64 v[28:29], v[26:27], -1.0
	v_add_f64 v[46:47], v[28:29], -v[26:27]
	v_add_f64 v[46:47], v[46:47], 1.0
	v_add_f64 v[28:29], v[22:23], -v[28:29]
	s_mov_b32 s20, 0x55555555
	v_add_f64 v[28:29], v[28:29], v[46:47]
	v_frexp_mant_f64_e32 v[46:47], v[26:27]
	s_mov_b32 s21, 0x3fe55555
	v_frexp_exp_i32_f64_e32 v50, v[26:27]
	v_cmp_gt_f64_e32 vcc, s[20:21], v[46:47]
	v_subbrev_co_u32_e32 v64, vcc, 0, v50, vcc
	v_sub_u32_e32 v46, 0, v64
	v_ldexp_f64 v[26:27], v[26:27], v46
	v_ldexp_f64 v[28:29], v[28:29], v46
	v_add_f64 v[46:47], v[26:27], -1.0
	v_add_f64 v[54:55], v[26:27], 1.0
	v_add_f64 v[50:51], v[46:47], 1.0
	v_add_f64 v[56:57], v[54:55], -1.0
	v_add_f64 v[50:51], v[26:27], -v[50:51]
	v_add_f64 v[26:27], v[26:27], -v[56:57]
	v_add_f64 v[26:27], v[28:29], v[26:27]
	v_add_f64 v[50:51], v[28:29], v[50:51]
	;; [unrolled: 1-line block ×3, first 2 shown]
	v_rcp_f64_e32 v[56:57], v[28:29]
	v_add_f64 v[52:53], v[46:47], v[50:51]
	v_add_f64 v[46:47], v[52:53], -v[46:47]
	v_add_f64 v[46:47], v[50:51], -v[46:47]
	;; [unrolled: 1-line block ×4, first 2 shown]
	v_fma_f64 v[50:51], -v[28:29], v[56:57], 1.0
	v_fmac_f64_e32 v[56:57], v[50:51], v[56:57]
	v_fma_f64 v[50:51], -v[28:29], v[56:57], 1.0
	v_fmac_f64_e32 v[56:57], v[50:51], v[56:57]
	v_mul_f64 v[50:51], v[52:53], v[56:57]
	v_mul_f64 v[54:55], v[28:29], v[50:51]
	v_fma_f64 v[58:59], v[50:51], v[28:29], -v[54:55]
	v_fmac_f64_e32 v[58:59], v[50:51], v[26:27]
	v_add_f64 v[60:61], v[54:55], v[58:59]
	v_add_f64 v[62:63], v[52:53], -v[60:61]
	v_add_f64 v[52:53], v[52:53], -v[62:63]
	;; [unrolled: 1-line block ×4, first 2 shown]
	v_add_f64 v[46:47], v[46:47], v[52:53]
	v_add_f64 v[52:53], v[54:55], -v[58:59]
	v_add_f64 v[46:47], v[52:53], v[46:47]
	v_add_f64 v[52:53], v[62:63], v[46:47]
	v_add_f64 v[54:55], v[62:63], -v[52:53]
	v_add_f64 v[46:47], v[46:47], v[54:55]
	v_mul_f64 v[54:55], v[56:57], v[52:53]
	v_mul_f64 v[58:59], v[28:29], v[54:55]
	v_fma_f64 v[28:29], v[54:55], v[28:29], -v[58:59]
	v_fmac_f64_e32 v[28:29], v[54:55], v[26:27]
	v_add_f64 v[26:27], v[58:59], v[28:29]
	v_add_f64 v[60:61], v[52:53], -v[26:27]
	v_add_f64 v[52:53], v[52:53], -v[60:61]
	;; [unrolled: 1-line block ×4, first 2 shown]
	v_add_f64 v[26:27], v[46:47], v[26:27]
	v_add_f64 v[28:29], v[58:59], -v[28:29]
	v_add_f64 v[26:27], v[28:29], v[26:27]
	v_add_f64 v[28:29], v[50:51], v[54:55]
	;; [unrolled: 1-line block ×3, first 2 shown]
	v_add_f64 v[46:47], v[28:29], -v[50:51]
	v_mul_f64 v[26:27], v[56:57], v[26:27]
	v_add_f64 v[46:47], v[54:55], -v[46:47]
	v_add_f64 v[26:27], v[46:47], v[26:27]
	v_add_f64 v[46:47], v[28:29], v[26:27]
	v_add_f64 v[28:29], v[46:47], -v[28:29]
	s_mov_b32 s20, 0xbf559e2b
	v_add_f64 v[26:27], v[26:27], -v[28:29]
	v_mul_f64 v[28:29], v[46:47], v[46:47]
	v_mov_b32_e32 v50, 0x6b47b09a
	v_mov_b32_e32 v51, 0x3fc38538
	s_mov_b32 s21, 0x3fc3ab76
	v_fmac_f64_e32 v[50:51], s[20:21], v[28:29]
	v_mov_b32_e32 v52, 0xd7f4df2e
	v_mov_b32_e32 v53, 0x3fc7474d
	v_fmac_f64_e32 v[52:53], v[28:29], v[50:51]
	v_mov_b32_e32 v50, 0x16291751
	v_mov_b32_e32 v51, 0x3fcc71c0
	;; [unrolled: 3-line block ×5, first 2 shown]
	v_fmac_f64_e32 v[52:53], v[28:29], v[50:51]
	v_cvt_f64_i32_e32 v[50:51], v64
	s_mov_b32 s27, 0x3fe62e42
	v_mul_f64 v[54:55], v[50:51], s[26:27]
	v_fma_f64 v[56:57], v[50:51], s[26:27], -v[54:55]
	s_mov_b32 s49, 0x3c7abc9e
	v_fmac_f64_e32 v[56:57], s[48:49], v[50:51]
	v_add_f64 v[50:51], v[54:55], v[56:57]
	v_add_f64 v[54:55], v[50:51], -v[54:55]
	v_mul_f64 v[28:29], v[46:47], v[28:29]
	v_add_f64 v[54:55], v[56:57], -v[54:55]
	v_ldexp_f64 v[56:57], v[46:47], 1
	v_mul_f64 v[28:29], v[28:29], v[52:53]
	v_add_f64 v[46:47], v[56:57], v[28:29]
	v_add_f64 v[52:53], v[46:47], -v[56:57]
	v_ldexp_f64 v[26:27], v[26:27], 1
	v_add_f64 v[28:29], v[28:29], -v[52:53]
	v_add_f64 v[26:27], v[26:27], v[28:29]
	v_add_f64 v[28:29], v[46:47], v[26:27]
	v_add_f64 v[46:47], v[28:29], -v[46:47]
	v_add_f64 v[26:27], v[26:27], -v[46:47]
	v_add_f64 v[46:47], v[50:51], v[28:29]
	v_add_f64 v[52:53], v[46:47], -v[50:51]
	v_add_f64 v[56:57], v[46:47], -v[52:53]
	;; [unrolled: 1-line block ×4, first 2 shown]
	v_add_f64 v[28:29], v[28:29], v[50:51]
	v_add_f64 v[50:51], v[54:55], v[26:27]
	v_add_f64 v[52:53], v[50:51], -v[54:55]
	v_add_f64 v[28:29], v[50:51], v[28:29]
	v_add_f64 v[56:57], v[50:51], -v[52:53]
	;; [unrolled: 2-line block ×3, first 2 shown]
	v_add_f64 v[26:27], v[26:27], -v[52:53]
	v_add_f64 v[46:47], v[50:51], -v[46:47]
	v_add_f64 v[26:27], v[26:27], v[54:55]
	v_add_f64 v[28:29], v[28:29], -v[46:47]
	s_mov_b32 s20, 0
	v_add_f64 v[26:27], v[26:27], v[28:29]
	s_mov_b32 s21, 0x7ff00000
	v_add_f64 v[26:27], v[50:51], v[26:27]
	v_cmp_eq_f64_e32 vcc, s[20:21], v[22:23]
	v_cndmask_b32_e32 v26, v26, v22, vcc
	v_cndmask_b32_e32 v27, v27, v23, vcc
	v_mov_b32_e32 v28, 0x7ff80000
	v_cmp_ngt_f64_e32 vcc, -1.0, v[22:23]
	v_cndmask_b32_e32 v27, v28, v27, vcc
	v_cmp_nge_f64_e32 vcc, -1.0, v[22:23]
	v_cndmask_b32_e32 v26, 0, v26, vcc
	v_mov_b32_e32 v28, 0xfff00000
	v_cmp_neq_f64_e32 vcc, -1.0, v[22:23]
	v_cndmask_b32_e32 v27, v28, v27, vcc
	v_add_f64 v[22:23], v[24:25], v[26:27]
.LBB68_45:
	s_or_b64 exec, exec, s[24:25]
	v_max_f64 v[46:47], v[8:9], v[8:9]
	v_max_f64 v[24:25], v[22:23], v[22:23]
	v_min_f64 v[26:27], v[24:25], v[46:47]
	v_cmp_u_f64_e32 vcc, v[22:23], v[22:23]
	v_max_f64 v[24:25], v[24:25], v[46:47]
	v_cndmask_b32_e32 v26, v26, v22, vcc
	v_cndmask_b32_e32 v27, v27, v23, vcc
	v_cmp_u_f64_e64 s[20:21], v[8:9], v[8:9]
	v_cndmask_b32_e32 v24, v24, v22, vcc
	v_cndmask_b32_e32 v25, v25, v23, vcc
	v_cndmask_b32_e64 v27, v27, v9, s[20:21]
	v_cndmask_b32_e64 v26, v26, v8, s[20:21]
	;; [unrolled: 1-line block ×4, first 2 shown]
	s_movk_i32 s24, 0x1f8
	v_cmp_neq_f64_e32 vcc, v[26:27], v[24:25]
	v_cmp_class_f64_e64 s[24:25], v[26:27], s24
	s_or_b64 s[24:25], vcc, s[24:25]
	s_and_saveexec_b64 s[26:27], s[24:25]
	s_cbranch_execz .LBB68_47
; %bb.46:
	s_mov_b32 s24, 0x652b82fe
	v_add_f64 v[22:23], v[26:27], -v[24:25]
	s_mov_b32 s25, 0x3ff71547
	v_mul_f64 v[26:27], v[22:23], s[24:25]
	v_rndne_f64_e32 v[26:27], v[26:27]
	s_mov_b32 s49, 0xbfe62e42
	s_mov_b32 s48, 0xfefa39ef
	v_fma_f64 v[28:29], s[48:49], v[26:27], v[22:23]
	s_mov_b32 s51, 0xbc7abc9e
	s_mov_b32 s50, 0x3b39803f
	;; [unrolled: 1-line block ×3, first 2 shown]
	v_fmac_f64_e32 v[28:29], s[50:51], v[26:27]
	v_mov_b32_e32 v50, 0xfca7ab0c
	v_mov_b32_e32 v51, 0x3e928af3
	s_mov_b32 s25, 0x3e5ade15
	v_fmac_f64_e32 v[50:51], s[24:25], v[28:29]
	v_mov_b32_e32 v52, 0x623fde64
	v_mov_b32_e32 v53, 0x3ec71dee
	v_fmac_f64_e32 v[52:53], v[28:29], v[50:51]
	v_mov_b32_e32 v50, 0x7c89e6b0
	v_mov_b32_e32 v51, 0x3efa0199
	;; [unrolled: 3-line block ×8, first 2 shown]
	s_mov_b32 s24, 0
	v_fmac_f64_e32 v[50:51], v[28:29], v[52:53]
	s_mov_b32 s25, 0x40900000
	v_fma_f64 v[50:51], v[28:29], v[50:51], 1.0
	v_cmp_nlt_f64_e32 vcc, s[24:25], v[22:23]
	s_mov_b32 s24, 0
	v_fma_f64 v[28:29], v[28:29], v[50:51], 1.0
	v_cvt_i32_f64_e32 v26, v[26:27]
	s_mov_b32 s25, 0xc090cc00
	v_ldexp_f64 v[26:27], v[28:29], v26
	v_mov_b32_e32 v28, 0x7ff00000
	v_cmp_ngt_f64_e64 s[24:25], s[24:25], v[22:23]
	v_cndmask_b32_e32 v27, v28, v27, vcc
	s_and_b64 vcc, s[24:25], vcc
	v_cndmask_b32_e64 v23, 0, v27, s[24:25]
	v_cndmask_b32_e32 v22, 0, v26, vcc
	v_add_f64 v[26:27], v[22:23], 1.0
	v_add_f64 v[28:29], v[26:27], -1.0
	v_add_f64 v[50:51], v[28:29], -v[26:27]
	v_add_f64 v[50:51], v[50:51], 1.0
	v_add_f64 v[28:29], v[22:23], -v[28:29]
	s_mov_b32 s24, 0x55555555
	v_add_f64 v[28:29], v[28:29], v[50:51]
	v_frexp_mant_f64_e32 v[50:51], v[26:27]
	s_mov_b32 s25, 0x3fe55555
	v_frexp_exp_i32_f64_e32 v52, v[26:27]
	v_cmp_gt_f64_e32 vcc, s[24:25], v[50:51]
	v_subbrev_co_u32_e32 v66, vcc, 0, v52, vcc
	v_sub_u32_e32 v50, 0, v66
	v_ldexp_f64 v[26:27], v[26:27], v50
	v_ldexp_f64 v[28:29], v[28:29], v50
	v_add_f64 v[50:51], v[26:27], -1.0
	v_add_f64 v[56:57], v[26:27], 1.0
	v_add_f64 v[52:53], v[50:51], 1.0
	v_add_f64 v[58:59], v[56:57], -1.0
	v_add_f64 v[52:53], v[26:27], -v[52:53]
	v_add_f64 v[26:27], v[26:27], -v[58:59]
	v_add_f64 v[26:27], v[28:29], v[26:27]
	v_add_f64 v[52:53], v[28:29], v[52:53]
	;; [unrolled: 1-line block ×3, first 2 shown]
	v_rcp_f64_e32 v[58:59], v[28:29]
	v_add_f64 v[54:55], v[50:51], v[52:53]
	v_add_f64 v[50:51], v[54:55], -v[50:51]
	v_add_f64 v[50:51], v[52:53], -v[50:51]
	;; [unrolled: 1-line block ×4, first 2 shown]
	v_fma_f64 v[52:53], -v[28:29], v[58:59], 1.0
	v_fmac_f64_e32 v[58:59], v[52:53], v[58:59]
	v_fma_f64 v[52:53], -v[28:29], v[58:59], 1.0
	v_fmac_f64_e32 v[58:59], v[52:53], v[58:59]
	v_mul_f64 v[52:53], v[54:55], v[58:59]
	v_mul_f64 v[56:57], v[28:29], v[52:53]
	v_fma_f64 v[60:61], v[52:53], v[28:29], -v[56:57]
	v_fmac_f64_e32 v[60:61], v[52:53], v[26:27]
	v_add_f64 v[62:63], v[56:57], v[60:61]
	v_add_f64 v[64:65], v[54:55], -v[62:63]
	v_add_f64 v[54:55], v[54:55], -v[64:65]
	v_add_f64 v[56:57], v[62:63], -v[56:57]
	v_add_f64 v[54:55], v[54:55], -v[62:63]
	v_add_f64 v[50:51], v[50:51], v[54:55]
	v_add_f64 v[54:55], v[56:57], -v[60:61]
	v_add_f64 v[50:51], v[54:55], v[50:51]
	v_add_f64 v[54:55], v[64:65], v[50:51]
	v_add_f64 v[56:57], v[64:65], -v[54:55]
	v_add_f64 v[50:51], v[50:51], v[56:57]
	v_mul_f64 v[56:57], v[58:59], v[54:55]
	v_mul_f64 v[60:61], v[28:29], v[56:57]
	v_fma_f64 v[28:29], v[56:57], v[28:29], -v[60:61]
	v_fmac_f64_e32 v[28:29], v[56:57], v[26:27]
	v_add_f64 v[26:27], v[60:61], v[28:29]
	v_add_f64 v[62:63], v[54:55], -v[26:27]
	v_add_f64 v[54:55], v[54:55], -v[62:63]
	;; [unrolled: 1-line block ×4, first 2 shown]
	v_add_f64 v[26:27], v[50:51], v[26:27]
	v_add_f64 v[28:29], v[60:61], -v[28:29]
	v_add_f64 v[26:27], v[28:29], v[26:27]
	v_add_f64 v[28:29], v[52:53], v[56:57]
	;; [unrolled: 1-line block ×3, first 2 shown]
	v_add_f64 v[50:51], v[28:29], -v[52:53]
	v_mul_f64 v[26:27], v[58:59], v[26:27]
	v_add_f64 v[50:51], v[56:57], -v[50:51]
	v_add_f64 v[26:27], v[50:51], v[26:27]
	v_add_f64 v[50:51], v[28:29], v[26:27]
	v_add_f64 v[28:29], v[50:51], -v[28:29]
	s_mov_b32 s24, 0xbf559e2b
	v_add_f64 v[26:27], v[26:27], -v[28:29]
	v_mul_f64 v[28:29], v[50:51], v[50:51]
	v_mov_b32_e32 v52, 0x6b47b09a
	v_mov_b32_e32 v53, 0x3fc38538
	s_mov_b32 s25, 0x3fc3ab76
	v_fmac_f64_e32 v[52:53], s[24:25], v[28:29]
	v_mov_b32_e32 v54, 0xd7f4df2e
	v_mov_b32_e32 v55, 0x3fc7474d
	v_fmac_f64_e32 v[54:55], v[28:29], v[52:53]
	v_mov_b32_e32 v52, 0x16291751
	v_mov_b32_e32 v53, 0x3fcc71c0
	;; [unrolled: 3-line block ×5, first 2 shown]
	v_fmac_f64_e32 v[54:55], v[28:29], v[52:53]
	v_cvt_f64_i32_e32 v[52:53], v66
	s_mov_b32 s49, 0x3fe62e42
	v_mul_f64 v[56:57], v[52:53], s[48:49]
	v_fma_f64 v[58:59], v[52:53], s[48:49], -v[56:57]
	s_mov_b32 s51, 0x3c7abc9e
	v_fmac_f64_e32 v[58:59], s[50:51], v[52:53]
	v_add_f64 v[52:53], v[56:57], v[58:59]
	v_add_f64 v[56:57], v[52:53], -v[56:57]
	v_mul_f64 v[28:29], v[50:51], v[28:29]
	v_add_f64 v[56:57], v[58:59], -v[56:57]
	v_ldexp_f64 v[58:59], v[50:51], 1
	v_mul_f64 v[28:29], v[28:29], v[54:55]
	v_add_f64 v[50:51], v[58:59], v[28:29]
	v_add_f64 v[54:55], v[50:51], -v[58:59]
	v_ldexp_f64 v[26:27], v[26:27], 1
	v_add_f64 v[28:29], v[28:29], -v[54:55]
	v_add_f64 v[26:27], v[26:27], v[28:29]
	v_add_f64 v[28:29], v[50:51], v[26:27]
	v_add_f64 v[50:51], v[28:29], -v[50:51]
	v_add_f64 v[26:27], v[26:27], -v[50:51]
	v_add_f64 v[50:51], v[52:53], v[28:29]
	v_add_f64 v[54:55], v[50:51], -v[52:53]
	v_add_f64 v[58:59], v[50:51], -v[54:55]
	;; [unrolled: 1-line block ×4, first 2 shown]
	v_add_f64 v[28:29], v[28:29], v[52:53]
	v_add_f64 v[52:53], v[56:57], v[26:27]
	v_add_f64 v[54:55], v[52:53], -v[56:57]
	v_add_f64 v[28:29], v[52:53], v[28:29]
	v_add_f64 v[58:59], v[52:53], -v[54:55]
	;; [unrolled: 2-line block ×3, first 2 shown]
	v_add_f64 v[26:27], v[26:27], -v[54:55]
	v_add_f64 v[50:51], v[52:53], -v[50:51]
	v_add_f64 v[26:27], v[26:27], v[56:57]
	v_add_f64 v[28:29], v[28:29], -v[50:51]
	s_mov_b32 s24, 0
	v_add_f64 v[26:27], v[26:27], v[28:29]
	s_mov_b32 s25, 0x7ff00000
	v_add_f64 v[26:27], v[52:53], v[26:27]
	v_cmp_eq_f64_e32 vcc, s[24:25], v[22:23]
	v_cndmask_b32_e32 v26, v26, v22, vcc
	v_cndmask_b32_e32 v27, v27, v23, vcc
	v_mov_b32_e32 v28, 0x7ff80000
	v_cmp_ngt_f64_e32 vcc, -1.0, v[22:23]
	v_cndmask_b32_e32 v27, v28, v27, vcc
	v_cmp_nge_f64_e32 vcc, -1.0, v[22:23]
	v_cndmask_b32_e32 v26, 0, v26, vcc
	v_mov_b32_e32 v28, 0xfff00000
	v_cmp_neq_f64_e32 vcc, -1.0, v[22:23]
	v_cndmask_b32_e32 v27, v28, v27, vcc
	v_add_f64 v[22:23], v[24:25], v[26:27]
.LBB68_47:
	s_or_b64 exec, exec, s[26:27]
	v_mbcnt_lo_u32_b32 v24, -1, 0
	v_mbcnt_hi_u32_b32 v53, -1, v24
	v_and_b32_e32 v28, 15, v53
	v_mov_b32_dpp v24, v22 row_shr:1 row_mask:0xf bank_mask:0xf
	v_mov_b32_dpp v25, v23 row_shr:1 row_mask:0xf bank_mask:0xf
	v_cmp_ne_u32_e32 vcc, 0, v28
	v_mov_b32_e32 v26, v22
	v_mov_b32_e32 v27, v23
	s_and_saveexec_b64 s[26:27], vcc
	s_cbranch_execz .LBB68_51
; %bb.48:
	v_max_f64 v[50:51], v[24:25], v[24:25]
	v_max_f64 v[54:55], v[22:23], v[22:23]
	v_min_f64 v[26:27], v[50:51], v[54:55]
	v_cmp_u_f64_e32 vcc, v[24:25], v[24:25]
	v_max_f64 v[50:51], v[50:51], v[54:55]
	v_cndmask_b32_e32 v26, v26, v24, vcc
	v_cndmask_b32_e32 v27, v27, v25, vcc
	v_cmp_u_f64_e64 s[24:25], v[22:23], v[22:23]
	v_cndmask_b32_e32 v29, v50, v24, vcc
	v_cndmask_b32_e32 v50, v51, v25, vcc
	v_cndmask_b32_e64 v27, v27, v23, s[24:25]
	v_cndmask_b32_e64 v26, v26, v22, s[24:25]
	;; [unrolled: 1-line block ×4, first 2 shown]
	s_movk_i32 s24, 0x1f8
	v_cmp_neq_f64_e32 vcc, v[26:27], v[22:23]
	v_cmp_class_f64_e64 s[24:25], v[26:27], s24
	s_or_b64 s[24:25], vcc, s[24:25]
	s_and_saveexec_b64 s[48:49], s[24:25]
	s_cbranch_execz .LBB68_50
; %bb.49:
	s_mov_b32 s24, 0x652b82fe
	v_add_f64 v[24:25], v[26:27], -v[22:23]
	s_mov_b32 s25, 0x3ff71547
	v_mul_f64 v[26:27], v[24:25], s[24:25]
	v_rndne_f64_e32 v[26:27], v[26:27]
	s_mov_b32 s51, 0xbfe62e42
	s_mov_b32 s50, 0xfefa39ef
	v_fma_f64 v[50:51], s[50:51], v[26:27], v[24:25]
	s_mov_b32 s53, 0xbc7abc9e
	s_mov_b32 s52, 0x3b39803f
	;; [unrolled: 1-line block ×3, first 2 shown]
	v_fmac_f64_e32 v[50:51], s[52:53], v[26:27]
	v_mov_b32_e32 v54, 0xfca7ab0c
	v_mov_b32_e32 v55, 0x3e928af3
	s_mov_b32 s25, 0x3e5ade15
	v_fmac_f64_e32 v[54:55], s[24:25], v[50:51]
	v_mov_b32_e32 v56, 0x623fde64
	v_mov_b32_e32 v57, 0x3ec71dee
	v_fmac_f64_e32 v[56:57], v[50:51], v[54:55]
	v_mov_b32_e32 v54, 0x7c89e6b0
	v_mov_b32_e32 v55, 0x3efa0199
	;; [unrolled: 3-line block ×8, first 2 shown]
	s_mov_b32 s24, 0
	v_fmac_f64_e32 v[54:55], v[50:51], v[56:57]
	s_mov_b32 s25, 0x40900000
	v_fma_f64 v[54:55], v[50:51], v[54:55], 1.0
	v_cmp_nlt_f64_e32 vcc, s[24:25], v[24:25]
	s_mov_b32 s24, 0
	v_fma_f64 v[50:51], v[50:51], v[54:55], 1.0
	v_cvt_i32_f64_e32 v26, v[26:27]
	s_mov_b32 s25, 0xc090cc00
	v_ldexp_f64 v[26:27], v[50:51], v26
	v_mov_b32_e32 v29, 0x7ff00000
	v_cmp_ngt_f64_e64 s[24:25], s[24:25], v[24:25]
	v_cndmask_b32_e32 v27, v29, v27, vcc
	s_and_b64 vcc, s[24:25], vcc
	v_cndmask_b32_e64 v25, 0, v27, s[24:25]
	v_cndmask_b32_e32 v24, 0, v26, vcc
	v_add_f64 v[26:27], v[24:25], 1.0
	v_add_f64 v[50:51], v[26:27], -1.0
	v_add_f64 v[54:55], v[50:51], -v[26:27]
	v_add_f64 v[54:55], v[54:55], 1.0
	v_add_f64 v[50:51], v[24:25], -v[50:51]
	s_mov_b32 s24, 0x55555555
	v_add_f64 v[50:51], v[50:51], v[54:55]
	v_frexp_mant_f64_e32 v[54:55], v[26:27]
	s_mov_b32 s25, 0x3fe55555
	v_frexp_exp_i32_f64_e32 v29, v[26:27]
	v_cmp_gt_f64_e32 vcc, s[24:25], v[54:55]
	v_subbrev_co_u32_e32 v29, vcc, 0, v29, vcc
	v_sub_u32_e32 v52, 0, v29
	v_ldexp_f64 v[26:27], v[26:27], v52
	v_add_f64 v[54:55], v[26:27], -1.0
	v_add_f64 v[60:61], v[26:27], 1.0
	v_add_f64 v[56:57], v[54:55], 1.0
	v_add_f64 v[62:63], v[60:61], -1.0
	v_ldexp_f64 v[50:51], v[50:51], v52
	v_add_f64 v[56:57], v[26:27], -v[56:57]
	v_add_f64 v[26:27], v[26:27], -v[62:63]
	v_add_f64 v[26:27], v[50:51], v[26:27]
	v_add_f64 v[56:57], v[50:51], v[56:57]
	;; [unrolled: 1-line block ×3, first 2 shown]
	v_rcp_f64_e32 v[62:63], v[50:51]
	v_add_f64 v[58:59], v[54:55], v[56:57]
	v_add_f64 v[54:55], v[58:59], -v[54:55]
	v_add_f64 v[54:55], v[56:57], -v[54:55]
	;; [unrolled: 1-line block ×4, first 2 shown]
	v_fma_f64 v[56:57], -v[50:51], v[62:63], 1.0
	v_fmac_f64_e32 v[62:63], v[56:57], v[62:63]
	v_fma_f64 v[56:57], -v[50:51], v[62:63], 1.0
	v_fmac_f64_e32 v[62:63], v[56:57], v[62:63]
	v_mul_f64 v[56:57], v[58:59], v[62:63]
	v_mul_f64 v[60:61], v[50:51], v[56:57]
	v_fma_f64 v[64:65], v[56:57], v[50:51], -v[60:61]
	v_fmac_f64_e32 v[64:65], v[56:57], v[26:27]
	v_add_f64 v[66:67], v[60:61], v[64:65]
	v_add_f64 v[68:69], v[58:59], -v[66:67]
	v_add_f64 v[58:59], v[58:59], -v[68:69]
	;; [unrolled: 1-line block ×4, first 2 shown]
	v_add_f64 v[54:55], v[54:55], v[58:59]
	v_add_f64 v[58:59], v[60:61], -v[64:65]
	v_add_f64 v[54:55], v[58:59], v[54:55]
	v_add_f64 v[58:59], v[68:69], v[54:55]
	v_add_f64 v[60:61], v[68:69], -v[58:59]
	v_add_f64 v[54:55], v[54:55], v[60:61]
	v_mul_f64 v[60:61], v[62:63], v[58:59]
	v_mul_f64 v[64:65], v[50:51], v[60:61]
	v_fma_f64 v[50:51], v[60:61], v[50:51], -v[64:65]
	v_fmac_f64_e32 v[50:51], v[60:61], v[26:27]
	v_add_f64 v[26:27], v[64:65], v[50:51]
	v_add_f64 v[66:67], v[58:59], -v[26:27]
	v_add_f64 v[58:59], v[58:59], -v[66:67]
	;; [unrolled: 1-line block ×4, first 2 shown]
	v_add_f64 v[26:27], v[54:55], v[26:27]
	v_add_f64 v[50:51], v[64:65], -v[50:51]
	v_add_f64 v[26:27], v[50:51], v[26:27]
	v_add_f64 v[50:51], v[56:57], v[60:61]
	;; [unrolled: 1-line block ×3, first 2 shown]
	v_add_f64 v[54:55], v[50:51], -v[56:57]
	v_mul_f64 v[26:27], v[62:63], v[26:27]
	v_add_f64 v[54:55], v[60:61], -v[54:55]
	v_add_f64 v[26:27], v[54:55], v[26:27]
	v_add_f64 v[54:55], v[50:51], v[26:27]
	v_add_f64 v[50:51], v[54:55], -v[50:51]
	s_mov_b32 s24, 0xbf559e2b
	v_add_f64 v[26:27], v[26:27], -v[50:51]
	v_mul_f64 v[50:51], v[54:55], v[54:55]
	v_mov_b32_e32 v56, 0x6b47b09a
	v_mov_b32_e32 v57, 0x3fc38538
	s_mov_b32 s25, 0x3fc3ab76
	v_fmac_f64_e32 v[56:57], s[24:25], v[50:51]
	v_mov_b32_e32 v58, 0xd7f4df2e
	v_mov_b32_e32 v59, 0x3fc7474d
	v_fmac_f64_e32 v[58:59], v[50:51], v[56:57]
	v_mov_b32_e32 v56, 0x16291751
	v_mov_b32_e32 v57, 0x3fcc71c0
	;; [unrolled: 3-line block ×5, first 2 shown]
	v_fmac_f64_e32 v[58:59], v[50:51], v[56:57]
	v_cvt_f64_i32_e32 v[56:57], v29
	s_mov_b32 s51, 0x3fe62e42
	v_mul_f64 v[60:61], v[56:57], s[50:51]
	v_fma_f64 v[62:63], v[56:57], s[50:51], -v[60:61]
	s_mov_b32 s53, 0x3c7abc9e
	v_fmac_f64_e32 v[62:63], s[52:53], v[56:57]
	v_add_f64 v[56:57], v[60:61], v[62:63]
	v_add_f64 v[60:61], v[56:57], -v[60:61]
	v_mul_f64 v[50:51], v[54:55], v[50:51]
	v_add_f64 v[60:61], v[62:63], -v[60:61]
	v_ldexp_f64 v[62:63], v[54:55], 1
	v_mul_f64 v[50:51], v[50:51], v[58:59]
	v_add_f64 v[54:55], v[62:63], v[50:51]
	v_add_f64 v[58:59], v[54:55], -v[62:63]
	v_ldexp_f64 v[26:27], v[26:27], 1
	v_add_f64 v[50:51], v[50:51], -v[58:59]
	v_add_f64 v[26:27], v[26:27], v[50:51]
	v_add_f64 v[50:51], v[54:55], v[26:27]
	v_add_f64 v[54:55], v[50:51], -v[54:55]
	v_add_f64 v[26:27], v[26:27], -v[54:55]
	v_add_f64 v[54:55], v[56:57], v[50:51]
	v_add_f64 v[58:59], v[54:55], -v[56:57]
	v_add_f64 v[62:63], v[54:55], -v[58:59]
	;; [unrolled: 1-line block ×4, first 2 shown]
	v_add_f64 v[50:51], v[50:51], v[56:57]
	v_add_f64 v[56:57], v[60:61], v[26:27]
	v_add_f64 v[58:59], v[56:57], -v[60:61]
	v_add_f64 v[50:51], v[56:57], v[50:51]
	v_add_f64 v[62:63], v[56:57], -v[58:59]
	;; [unrolled: 2-line block ×3, first 2 shown]
	v_add_f64 v[26:27], v[26:27], -v[58:59]
	v_add_f64 v[54:55], v[56:57], -v[54:55]
	v_add_f64 v[26:27], v[26:27], v[60:61]
	v_add_f64 v[50:51], v[50:51], -v[54:55]
	s_mov_b32 s24, 0
	v_add_f64 v[26:27], v[26:27], v[50:51]
	s_mov_b32 s25, 0x7ff00000
	v_add_f64 v[26:27], v[56:57], v[26:27]
	v_cmp_eq_f64_e32 vcc, s[24:25], v[24:25]
	v_cndmask_b32_e32 v26, v26, v24, vcc
	v_cndmask_b32_e32 v27, v27, v25, vcc
	v_mov_b32_e32 v29, 0x7ff80000
	v_cmp_ngt_f64_e32 vcc, -1.0, v[24:25]
	v_cndmask_b32_e32 v27, v29, v27, vcc
	v_cmp_nge_f64_e32 vcc, -1.0, v[24:25]
	v_cndmask_b32_e32 v26, 0, v26, vcc
	v_mov_b32_e32 v29, 0xfff00000
	v_cmp_neq_f64_e32 vcc, -1.0, v[24:25]
	v_cndmask_b32_e32 v27, v29, v27, vcc
	v_add_f64 v[24:25], v[22:23], v[26:27]
.LBB68_50:
	s_or_b64 exec, exec, s[48:49]
	v_mov_b32_e32 v26, v24
	v_mov_b32_e32 v27, v25
	v_pk_mov_b32 v[22:23], v[24:25], v[24:25] op_sel:[0,1]
.LBB68_51:
	s_or_b64 exec, exec, s[26:27]
	v_mov_b32_dpp v24, v26 row_shr:2 row_mask:0xf bank_mask:0xf
	v_mov_b32_dpp v25, v27 row_shr:2 row_mask:0xf bank_mask:0xf
	v_cmp_lt_u32_e32 vcc, 1, v28
	s_and_saveexec_b64 s[26:27], vcc
	s_cbranch_execz .LBB68_55
; %bb.52:
	v_max_f64 v[50:51], v[24:25], v[24:25]
	v_max_f64 v[54:55], v[22:23], v[22:23]
	v_min_f64 v[26:27], v[50:51], v[54:55]
	v_cmp_u_f64_e32 vcc, v[24:25], v[24:25]
	v_max_f64 v[50:51], v[50:51], v[54:55]
	v_cndmask_b32_e32 v26, v26, v24, vcc
	v_cndmask_b32_e32 v27, v27, v25, vcc
	v_cmp_u_f64_e64 s[24:25], v[22:23], v[22:23]
	v_cndmask_b32_e32 v29, v50, v24, vcc
	v_cndmask_b32_e32 v50, v51, v25, vcc
	v_cndmask_b32_e64 v27, v27, v23, s[24:25]
	v_cndmask_b32_e64 v26, v26, v22, s[24:25]
	;; [unrolled: 1-line block ×4, first 2 shown]
	s_movk_i32 s24, 0x1f8
	v_cmp_neq_f64_e32 vcc, v[26:27], v[22:23]
	v_cmp_class_f64_e64 s[24:25], v[26:27], s24
	s_or_b64 s[24:25], vcc, s[24:25]
	s_and_saveexec_b64 s[48:49], s[24:25]
	s_cbranch_execz .LBB68_54
; %bb.53:
	s_mov_b32 s24, 0x652b82fe
	v_add_f64 v[24:25], v[26:27], -v[22:23]
	s_mov_b32 s25, 0x3ff71547
	v_mul_f64 v[26:27], v[24:25], s[24:25]
	v_rndne_f64_e32 v[26:27], v[26:27]
	s_mov_b32 s51, 0xbfe62e42
	s_mov_b32 s50, 0xfefa39ef
	v_fma_f64 v[50:51], s[50:51], v[26:27], v[24:25]
	s_mov_b32 s53, 0xbc7abc9e
	s_mov_b32 s52, 0x3b39803f
	;; [unrolled: 1-line block ×3, first 2 shown]
	v_fmac_f64_e32 v[50:51], s[52:53], v[26:27]
	v_mov_b32_e32 v54, 0xfca7ab0c
	v_mov_b32_e32 v55, 0x3e928af3
	s_mov_b32 s25, 0x3e5ade15
	v_fmac_f64_e32 v[54:55], s[24:25], v[50:51]
	v_mov_b32_e32 v56, 0x623fde64
	v_mov_b32_e32 v57, 0x3ec71dee
	v_fmac_f64_e32 v[56:57], v[50:51], v[54:55]
	v_mov_b32_e32 v54, 0x7c89e6b0
	v_mov_b32_e32 v55, 0x3efa0199
	;; [unrolled: 3-line block ×8, first 2 shown]
	s_mov_b32 s24, 0
	v_fmac_f64_e32 v[54:55], v[50:51], v[56:57]
	s_mov_b32 s25, 0x40900000
	v_fma_f64 v[54:55], v[50:51], v[54:55], 1.0
	v_cmp_nlt_f64_e32 vcc, s[24:25], v[24:25]
	s_mov_b32 s24, 0
	v_fma_f64 v[50:51], v[50:51], v[54:55], 1.0
	v_cvt_i32_f64_e32 v26, v[26:27]
	s_mov_b32 s25, 0xc090cc00
	v_ldexp_f64 v[26:27], v[50:51], v26
	v_mov_b32_e32 v29, 0x7ff00000
	v_cmp_ngt_f64_e64 s[24:25], s[24:25], v[24:25]
	v_cndmask_b32_e32 v27, v29, v27, vcc
	s_and_b64 vcc, s[24:25], vcc
	v_cndmask_b32_e64 v25, 0, v27, s[24:25]
	v_cndmask_b32_e32 v24, 0, v26, vcc
	v_add_f64 v[26:27], v[24:25], 1.0
	v_add_f64 v[50:51], v[26:27], -1.0
	v_add_f64 v[54:55], v[50:51], -v[26:27]
	v_add_f64 v[54:55], v[54:55], 1.0
	v_add_f64 v[50:51], v[24:25], -v[50:51]
	s_mov_b32 s24, 0x55555555
	v_add_f64 v[50:51], v[50:51], v[54:55]
	v_frexp_mant_f64_e32 v[54:55], v[26:27]
	s_mov_b32 s25, 0x3fe55555
	v_frexp_exp_i32_f64_e32 v29, v[26:27]
	v_cmp_gt_f64_e32 vcc, s[24:25], v[54:55]
	v_subbrev_co_u32_e32 v29, vcc, 0, v29, vcc
	v_sub_u32_e32 v52, 0, v29
	v_ldexp_f64 v[26:27], v[26:27], v52
	v_add_f64 v[54:55], v[26:27], -1.0
	v_add_f64 v[60:61], v[26:27], 1.0
	v_add_f64 v[56:57], v[54:55], 1.0
	v_add_f64 v[62:63], v[60:61], -1.0
	v_ldexp_f64 v[50:51], v[50:51], v52
	v_add_f64 v[56:57], v[26:27], -v[56:57]
	v_add_f64 v[26:27], v[26:27], -v[62:63]
	v_add_f64 v[26:27], v[50:51], v[26:27]
	v_add_f64 v[56:57], v[50:51], v[56:57]
	;; [unrolled: 1-line block ×3, first 2 shown]
	v_rcp_f64_e32 v[62:63], v[50:51]
	v_add_f64 v[58:59], v[54:55], v[56:57]
	v_add_f64 v[54:55], v[58:59], -v[54:55]
	v_add_f64 v[54:55], v[56:57], -v[54:55]
	v_add_f64 v[56:57], v[50:51], -v[60:61]
	v_add_f64 v[26:27], v[26:27], -v[56:57]
	v_fma_f64 v[56:57], -v[50:51], v[62:63], 1.0
	v_fmac_f64_e32 v[62:63], v[56:57], v[62:63]
	v_fma_f64 v[56:57], -v[50:51], v[62:63], 1.0
	v_fmac_f64_e32 v[62:63], v[56:57], v[62:63]
	v_mul_f64 v[56:57], v[58:59], v[62:63]
	v_mul_f64 v[60:61], v[50:51], v[56:57]
	v_fma_f64 v[64:65], v[56:57], v[50:51], -v[60:61]
	v_fmac_f64_e32 v[64:65], v[56:57], v[26:27]
	v_add_f64 v[66:67], v[60:61], v[64:65]
	v_add_f64 v[68:69], v[58:59], -v[66:67]
	v_add_f64 v[58:59], v[58:59], -v[68:69]
	;; [unrolled: 1-line block ×4, first 2 shown]
	v_add_f64 v[54:55], v[54:55], v[58:59]
	v_add_f64 v[58:59], v[60:61], -v[64:65]
	v_add_f64 v[54:55], v[58:59], v[54:55]
	v_add_f64 v[58:59], v[68:69], v[54:55]
	v_add_f64 v[60:61], v[68:69], -v[58:59]
	v_add_f64 v[54:55], v[54:55], v[60:61]
	v_mul_f64 v[60:61], v[62:63], v[58:59]
	v_mul_f64 v[64:65], v[50:51], v[60:61]
	v_fma_f64 v[50:51], v[60:61], v[50:51], -v[64:65]
	v_fmac_f64_e32 v[50:51], v[60:61], v[26:27]
	v_add_f64 v[26:27], v[64:65], v[50:51]
	v_add_f64 v[66:67], v[58:59], -v[26:27]
	v_add_f64 v[58:59], v[58:59], -v[66:67]
	;; [unrolled: 1-line block ×4, first 2 shown]
	v_add_f64 v[26:27], v[54:55], v[26:27]
	v_add_f64 v[50:51], v[64:65], -v[50:51]
	v_add_f64 v[26:27], v[50:51], v[26:27]
	v_add_f64 v[50:51], v[56:57], v[60:61]
	;; [unrolled: 1-line block ×3, first 2 shown]
	v_add_f64 v[54:55], v[50:51], -v[56:57]
	v_mul_f64 v[26:27], v[62:63], v[26:27]
	v_add_f64 v[54:55], v[60:61], -v[54:55]
	v_add_f64 v[26:27], v[54:55], v[26:27]
	v_add_f64 v[54:55], v[50:51], v[26:27]
	v_add_f64 v[50:51], v[54:55], -v[50:51]
	s_mov_b32 s24, 0xbf559e2b
	v_add_f64 v[26:27], v[26:27], -v[50:51]
	v_mul_f64 v[50:51], v[54:55], v[54:55]
	v_mov_b32_e32 v56, 0x6b47b09a
	v_mov_b32_e32 v57, 0x3fc38538
	s_mov_b32 s25, 0x3fc3ab76
	v_fmac_f64_e32 v[56:57], s[24:25], v[50:51]
	v_mov_b32_e32 v58, 0xd7f4df2e
	v_mov_b32_e32 v59, 0x3fc7474d
	v_fmac_f64_e32 v[58:59], v[50:51], v[56:57]
	v_mov_b32_e32 v56, 0x16291751
	v_mov_b32_e32 v57, 0x3fcc71c0
	v_fmac_f64_e32 v[56:57], v[50:51], v[58:59]
	v_mov_b32_e32 v58, 0x9b27acf1
	v_mov_b32_e32 v59, 0x3fd24924
	v_fmac_f64_e32 v[58:59], v[50:51], v[56:57]
	v_mov_b32_e32 v56, 0x998ef7b6
	v_mov_b32_e32 v57, 0x3fd99999
	v_fmac_f64_e32 v[56:57], v[50:51], v[58:59]
	v_mov_b32_e32 v58, 0x55555780
	v_mov_b32_e32 v59, 0x3fe55555
	v_fmac_f64_e32 v[58:59], v[50:51], v[56:57]
	v_cvt_f64_i32_e32 v[56:57], v29
	s_mov_b32 s51, 0x3fe62e42
	v_mul_f64 v[60:61], v[56:57], s[50:51]
	v_fma_f64 v[62:63], v[56:57], s[50:51], -v[60:61]
	s_mov_b32 s53, 0x3c7abc9e
	v_fmac_f64_e32 v[62:63], s[52:53], v[56:57]
	v_add_f64 v[56:57], v[60:61], v[62:63]
	v_add_f64 v[60:61], v[56:57], -v[60:61]
	v_mul_f64 v[50:51], v[54:55], v[50:51]
	v_add_f64 v[60:61], v[62:63], -v[60:61]
	v_ldexp_f64 v[62:63], v[54:55], 1
	v_mul_f64 v[50:51], v[50:51], v[58:59]
	v_add_f64 v[54:55], v[62:63], v[50:51]
	v_add_f64 v[58:59], v[54:55], -v[62:63]
	v_ldexp_f64 v[26:27], v[26:27], 1
	v_add_f64 v[50:51], v[50:51], -v[58:59]
	v_add_f64 v[26:27], v[26:27], v[50:51]
	v_add_f64 v[50:51], v[54:55], v[26:27]
	v_add_f64 v[54:55], v[50:51], -v[54:55]
	v_add_f64 v[26:27], v[26:27], -v[54:55]
	v_add_f64 v[54:55], v[56:57], v[50:51]
	v_add_f64 v[58:59], v[54:55], -v[56:57]
	v_add_f64 v[62:63], v[54:55], -v[58:59]
	;; [unrolled: 1-line block ×4, first 2 shown]
	v_add_f64 v[50:51], v[50:51], v[56:57]
	v_add_f64 v[56:57], v[60:61], v[26:27]
	v_add_f64 v[58:59], v[56:57], -v[60:61]
	v_add_f64 v[50:51], v[56:57], v[50:51]
	v_add_f64 v[62:63], v[56:57], -v[58:59]
	;; [unrolled: 2-line block ×3, first 2 shown]
	v_add_f64 v[26:27], v[26:27], -v[58:59]
	v_add_f64 v[54:55], v[56:57], -v[54:55]
	v_add_f64 v[26:27], v[26:27], v[60:61]
	v_add_f64 v[50:51], v[50:51], -v[54:55]
	s_mov_b32 s24, 0
	v_add_f64 v[26:27], v[26:27], v[50:51]
	s_mov_b32 s25, 0x7ff00000
	v_add_f64 v[26:27], v[56:57], v[26:27]
	v_cmp_eq_f64_e32 vcc, s[24:25], v[24:25]
	v_cndmask_b32_e32 v26, v26, v24, vcc
	v_cndmask_b32_e32 v27, v27, v25, vcc
	v_mov_b32_e32 v29, 0x7ff80000
	v_cmp_ngt_f64_e32 vcc, -1.0, v[24:25]
	v_cndmask_b32_e32 v27, v29, v27, vcc
	v_cmp_nge_f64_e32 vcc, -1.0, v[24:25]
	v_cndmask_b32_e32 v26, 0, v26, vcc
	v_mov_b32_e32 v29, 0xfff00000
	v_cmp_neq_f64_e32 vcc, -1.0, v[24:25]
	v_cndmask_b32_e32 v27, v29, v27, vcc
	v_add_f64 v[24:25], v[22:23], v[26:27]
.LBB68_54:
	s_or_b64 exec, exec, s[48:49]
	v_pk_mov_b32 v[22:23], v[24:25], v[24:25] op_sel:[0,1]
	v_mov_b32_e32 v26, v24
	v_mov_b32_e32 v27, v25
.LBB68_55:
	s_or_b64 exec, exec, s[26:27]
	v_mov_b32_dpp v24, v26 row_shr:4 row_mask:0xf bank_mask:0xf
	v_mov_b32_dpp v25, v27 row_shr:4 row_mask:0xf bank_mask:0xf
	v_cmp_lt_u32_e32 vcc, 3, v28
	s_and_saveexec_b64 s[26:27], vcc
	s_cbranch_execz .LBB68_59
; %bb.56:
	v_max_f64 v[50:51], v[24:25], v[24:25]
	v_max_f64 v[54:55], v[22:23], v[22:23]
	v_min_f64 v[26:27], v[50:51], v[54:55]
	v_cmp_u_f64_e32 vcc, v[24:25], v[24:25]
	v_max_f64 v[50:51], v[50:51], v[54:55]
	v_cndmask_b32_e32 v26, v26, v24, vcc
	v_cndmask_b32_e32 v27, v27, v25, vcc
	v_cmp_u_f64_e64 s[24:25], v[22:23], v[22:23]
	v_cndmask_b32_e32 v29, v50, v24, vcc
	v_cndmask_b32_e32 v50, v51, v25, vcc
	v_cndmask_b32_e64 v27, v27, v23, s[24:25]
	v_cndmask_b32_e64 v26, v26, v22, s[24:25]
	;; [unrolled: 1-line block ×4, first 2 shown]
	s_movk_i32 s24, 0x1f8
	v_cmp_neq_f64_e32 vcc, v[26:27], v[22:23]
	v_cmp_class_f64_e64 s[24:25], v[26:27], s24
	s_or_b64 s[24:25], vcc, s[24:25]
	s_and_saveexec_b64 s[48:49], s[24:25]
	s_cbranch_execz .LBB68_58
; %bb.57:
	s_mov_b32 s24, 0x652b82fe
	v_add_f64 v[24:25], v[26:27], -v[22:23]
	s_mov_b32 s25, 0x3ff71547
	v_mul_f64 v[26:27], v[24:25], s[24:25]
	v_rndne_f64_e32 v[26:27], v[26:27]
	s_mov_b32 s51, 0xbfe62e42
	s_mov_b32 s50, 0xfefa39ef
	v_fma_f64 v[50:51], s[50:51], v[26:27], v[24:25]
	s_mov_b32 s53, 0xbc7abc9e
	s_mov_b32 s52, 0x3b39803f
	;; [unrolled: 1-line block ×3, first 2 shown]
	v_fmac_f64_e32 v[50:51], s[52:53], v[26:27]
	v_mov_b32_e32 v54, 0xfca7ab0c
	v_mov_b32_e32 v55, 0x3e928af3
	s_mov_b32 s25, 0x3e5ade15
	v_fmac_f64_e32 v[54:55], s[24:25], v[50:51]
	v_mov_b32_e32 v56, 0x623fde64
	v_mov_b32_e32 v57, 0x3ec71dee
	v_fmac_f64_e32 v[56:57], v[50:51], v[54:55]
	v_mov_b32_e32 v54, 0x7c89e6b0
	v_mov_b32_e32 v55, 0x3efa0199
	;; [unrolled: 3-line block ×8, first 2 shown]
	s_mov_b32 s24, 0
	v_fmac_f64_e32 v[54:55], v[50:51], v[56:57]
	s_mov_b32 s25, 0x40900000
	v_fma_f64 v[54:55], v[50:51], v[54:55], 1.0
	v_cmp_nlt_f64_e32 vcc, s[24:25], v[24:25]
	s_mov_b32 s24, 0
	v_fma_f64 v[50:51], v[50:51], v[54:55], 1.0
	v_cvt_i32_f64_e32 v26, v[26:27]
	s_mov_b32 s25, 0xc090cc00
	v_ldexp_f64 v[26:27], v[50:51], v26
	v_mov_b32_e32 v29, 0x7ff00000
	v_cmp_ngt_f64_e64 s[24:25], s[24:25], v[24:25]
	v_cndmask_b32_e32 v27, v29, v27, vcc
	s_and_b64 vcc, s[24:25], vcc
	v_cndmask_b32_e64 v25, 0, v27, s[24:25]
	v_cndmask_b32_e32 v24, 0, v26, vcc
	v_add_f64 v[26:27], v[24:25], 1.0
	v_add_f64 v[50:51], v[26:27], -1.0
	v_add_f64 v[54:55], v[50:51], -v[26:27]
	v_add_f64 v[54:55], v[54:55], 1.0
	v_add_f64 v[50:51], v[24:25], -v[50:51]
	s_mov_b32 s24, 0x55555555
	v_add_f64 v[50:51], v[50:51], v[54:55]
	v_frexp_mant_f64_e32 v[54:55], v[26:27]
	s_mov_b32 s25, 0x3fe55555
	v_frexp_exp_i32_f64_e32 v29, v[26:27]
	v_cmp_gt_f64_e32 vcc, s[24:25], v[54:55]
	v_subbrev_co_u32_e32 v29, vcc, 0, v29, vcc
	v_sub_u32_e32 v52, 0, v29
	v_ldexp_f64 v[26:27], v[26:27], v52
	v_add_f64 v[54:55], v[26:27], -1.0
	v_add_f64 v[60:61], v[26:27], 1.0
	v_add_f64 v[56:57], v[54:55], 1.0
	v_add_f64 v[62:63], v[60:61], -1.0
	v_ldexp_f64 v[50:51], v[50:51], v52
	v_add_f64 v[56:57], v[26:27], -v[56:57]
	v_add_f64 v[26:27], v[26:27], -v[62:63]
	v_add_f64 v[26:27], v[50:51], v[26:27]
	v_add_f64 v[56:57], v[50:51], v[56:57]
	;; [unrolled: 1-line block ×3, first 2 shown]
	v_rcp_f64_e32 v[62:63], v[50:51]
	v_add_f64 v[58:59], v[54:55], v[56:57]
	v_add_f64 v[54:55], v[58:59], -v[54:55]
	v_add_f64 v[54:55], v[56:57], -v[54:55]
	;; [unrolled: 1-line block ×4, first 2 shown]
	v_fma_f64 v[56:57], -v[50:51], v[62:63], 1.0
	v_fmac_f64_e32 v[62:63], v[56:57], v[62:63]
	v_fma_f64 v[56:57], -v[50:51], v[62:63], 1.0
	v_fmac_f64_e32 v[62:63], v[56:57], v[62:63]
	v_mul_f64 v[56:57], v[58:59], v[62:63]
	v_mul_f64 v[60:61], v[50:51], v[56:57]
	v_fma_f64 v[64:65], v[56:57], v[50:51], -v[60:61]
	v_fmac_f64_e32 v[64:65], v[56:57], v[26:27]
	v_add_f64 v[66:67], v[60:61], v[64:65]
	v_add_f64 v[68:69], v[58:59], -v[66:67]
	v_add_f64 v[58:59], v[58:59], -v[68:69]
	;; [unrolled: 1-line block ×4, first 2 shown]
	v_add_f64 v[54:55], v[54:55], v[58:59]
	v_add_f64 v[58:59], v[60:61], -v[64:65]
	v_add_f64 v[54:55], v[58:59], v[54:55]
	v_add_f64 v[58:59], v[68:69], v[54:55]
	v_add_f64 v[60:61], v[68:69], -v[58:59]
	v_add_f64 v[54:55], v[54:55], v[60:61]
	v_mul_f64 v[60:61], v[62:63], v[58:59]
	v_mul_f64 v[64:65], v[50:51], v[60:61]
	v_fma_f64 v[50:51], v[60:61], v[50:51], -v[64:65]
	v_fmac_f64_e32 v[50:51], v[60:61], v[26:27]
	v_add_f64 v[26:27], v[64:65], v[50:51]
	v_add_f64 v[66:67], v[58:59], -v[26:27]
	v_add_f64 v[58:59], v[58:59], -v[66:67]
	;; [unrolled: 1-line block ×4, first 2 shown]
	v_add_f64 v[26:27], v[54:55], v[26:27]
	v_add_f64 v[50:51], v[64:65], -v[50:51]
	v_add_f64 v[26:27], v[50:51], v[26:27]
	v_add_f64 v[50:51], v[56:57], v[60:61]
	;; [unrolled: 1-line block ×3, first 2 shown]
	v_add_f64 v[54:55], v[50:51], -v[56:57]
	v_mul_f64 v[26:27], v[62:63], v[26:27]
	v_add_f64 v[54:55], v[60:61], -v[54:55]
	v_add_f64 v[26:27], v[54:55], v[26:27]
	v_add_f64 v[54:55], v[50:51], v[26:27]
	v_add_f64 v[50:51], v[54:55], -v[50:51]
	s_mov_b32 s24, 0xbf559e2b
	v_add_f64 v[26:27], v[26:27], -v[50:51]
	v_mul_f64 v[50:51], v[54:55], v[54:55]
	v_mov_b32_e32 v56, 0x6b47b09a
	v_mov_b32_e32 v57, 0x3fc38538
	s_mov_b32 s25, 0x3fc3ab76
	v_fmac_f64_e32 v[56:57], s[24:25], v[50:51]
	v_mov_b32_e32 v58, 0xd7f4df2e
	v_mov_b32_e32 v59, 0x3fc7474d
	v_fmac_f64_e32 v[58:59], v[50:51], v[56:57]
	v_mov_b32_e32 v56, 0x16291751
	v_mov_b32_e32 v57, 0x3fcc71c0
	;; [unrolled: 3-line block ×5, first 2 shown]
	v_fmac_f64_e32 v[58:59], v[50:51], v[56:57]
	v_cvt_f64_i32_e32 v[56:57], v29
	s_mov_b32 s51, 0x3fe62e42
	v_mul_f64 v[60:61], v[56:57], s[50:51]
	v_fma_f64 v[62:63], v[56:57], s[50:51], -v[60:61]
	s_mov_b32 s53, 0x3c7abc9e
	v_fmac_f64_e32 v[62:63], s[52:53], v[56:57]
	v_add_f64 v[56:57], v[60:61], v[62:63]
	v_add_f64 v[60:61], v[56:57], -v[60:61]
	v_mul_f64 v[50:51], v[54:55], v[50:51]
	v_add_f64 v[60:61], v[62:63], -v[60:61]
	v_ldexp_f64 v[62:63], v[54:55], 1
	v_mul_f64 v[50:51], v[50:51], v[58:59]
	v_add_f64 v[54:55], v[62:63], v[50:51]
	v_add_f64 v[58:59], v[54:55], -v[62:63]
	v_ldexp_f64 v[26:27], v[26:27], 1
	v_add_f64 v[50:51], v[50:51], -v[58:59]
	v_add_f64 v[26:27], v[26:27], v[50:51]
	v_add_f64 v[50:51], v[54:55], v[26:27]
	v_add_f64 v[54:55], v[50:51], -v[54:55]
	v_add_f64 v[26:27], v[26:27], -v[54:55]
	v_add_f64 v[54:55], v[56:57], v[50:51]
	v_add_f64 v[58:59], v[54:55], -v[56:57]
	v_add_f64 v[62:63], v[54:55], -v[58:59]
	;; [unrolled: 1-line block ×4, first 2 shown]
	v_add_f64 v[50:51], v[50:51], v[56:57]
	v_add_f64 v[56:57], v[60:61], v[26:27]
	v_add_f64 v[58:59], v[56:57], -v[60:61]
	v_add_f64 v[50:51], v[56:57], v[50:51]
	v_add_f64 v[62:63], v[56:57], -v[58:59]
	;; [unrolled: 2-line block ×3, first 2 shown]
	v_add_f64 v[26:27], v[26:27], -v[58:59]
	v_add_f64 v[54:55], v[56:57], -v[54:55]
	v_add_f64 v[26:27], v[26:27], v[60:61]
	v_add_f64 v[50:51], v[50:51], -v[54:55]
	s_mov_b32 s24, 0
	v_add_f64 v[26:27], v[26:27], v[50:51]
	s_mov_b32 s25, 0x7ff00000
	v_add_f64 v[26:27], v[56:57], v[26:27]
	v_cmp_eq_f64_e32 vcc, s[24:25], v[24:25]
	v_cndmask_b32_e32 v26, v26, v24, vcc
	v_cndmask_b32_e32 v27, v27, v25, vcc
	v_mov_b32_e32 v29, 0x7ff80000
	v_cmp_ngt_f64_e32 vcc, -1.0, v[24:25]
	v_cndmask_b32_e32 v27, v29, v27, vcc
	v_cmp_nge_f64_e32 vcc, -1.0, v[24:25]
	v_cndmask_b32_e32 v26, 0, v26, vcc
	v_mov_b32_e32 v29, 0xfff00000
	v_cmp_neq_f64_e32 vcc, -1.0, v[24:25]
	v_cndmask_b32_e32 v27, v29, v27, vcc
	v_add_f64 v[24:25], v[22:23], v[26:27]
.LBB68_58:
	s_or_b64 exec, exec, s[48:49]
	v_pk_mov_b32 v[22:23], v[24:25], v[24:25] op_sel:[0,1]
	v_mov_b32_e32 v26, v24
	v_mov_b32_e32 v27, v25
.LBB68_59:
	s_or_b64 exec, exec, s[26:27]
	v_mov_b32_dpp v24, v26 row_shr:8 row_mask:0xf bank_mask:0xf
	v_mov_b32_dpp v25, v27 row_shr:8 row_mask:0xf bank_mask:0xf
	v_cmp_lt_u32_e32 vcc, 7, v28
	s_and_saveexec_b64 s[26:27], vcc
	s_cbranch_execz .LBB68_63
; %bb.60:
	v_max_f64 v[28:29], v[24:25], v[24:25]
	v_max_f64 v[50:51], v[22:23], v[22:23]
	v_min_f64 v[26:27], v[28:29], v[50:51]
	v_cmp_u_f64_e32 vcc, v[24:25], v[24:25]
	v_max_f64 v[28:29], v[28:29], v[50:51]
	v_cndmask_b32_e32 v26, v26, v24, vcc
	v_cndmask_b32_e32 v27, v27, v25, vcc
	v_cmp_u_f64_e64 s[24:25], v[22:23], v[22:23]
	v_cndmask_b32_e32 v28, v28, v24, vcc
	v_cndmask_b32_e32 v29, v29, v25, vcc
	v_cndmask_b32_e64 v27, v27, v23, s[24:25]
	v_cndmask_b32_e64 v26, v26, v22, s[24:25]
	;; [unrolled: 1-line block ×4, first 2 shown]
	s_movk_i32 s24, 0x1f8
	v_cmp_neq_f64_e32 vcc, v[26:27], v[22:23]
	v_cmp_class_f64_e64 s[24:25], v[26:27], s24
	s_or_b64 s[24:25], vcc, s[24:25]
	s_and_saveexec_b64 s[48:49], s[24:25]
	s_cbranch_execz .LBB68_62
; %bb.61:
	s_mov_b32 s24, 0x652b82fe
	v_add_f64 v[24:25], v[26:27], -v[22:23]
	s_mov_b32 s25, 0x3ff71547
	v_mul_f64 v[26:27], v[24:25], s[24:25]
	v_rndne_f64_e32 v[26:27], v[26:27]
	s_mov_b32 s51, 0xbfe62e42
	s_mov_b32 s50, 0xfefa39ef
	v_fma_f64 v[28:29], s[50:51], v[26:27], v[24:25]
	s_mov_b32 s53, 0xbc7abc9e
	s_mov_b32 s52, 0x3b39803f
	;; [unrolled: 1-line block ×3, first 2 shown]
	v_fmac_f64_e32 v[28:29], s[52:53], v[26:27]
	v_mov_b32_e32 v50, 0xfca7ab0c
	v_mov_b32_e32 v51, 0x3e928af3
	s_mov_b32 s25, 0x3e5ade15
	v_fmac_f64_e32 v[50:51], s[24:25], v[28:29]
	v_mov_b32_e32 v54, 0x623fde64
	v_mov_b32_e32 v55, 0x3ec71dee
	v_fmac_f64_e32 v[54:55], v[28:29], v[50:51]
	v_mov_b32_e32 v50, 0x7c89e6b0
	v_mov_b32_e32 v51, 0x3efa0199
	;; [unrolled: 3-line block ×8, first 2 shown]
	s_mov_b32 s24, 0
	v_fmac_f64_e32 v[50:51], v[28:29], v[54:55]
	s_mov_b32 s25, 0x40900000
	v_fma_f64 v[50:51], v[28:29], v[50:51], 1.0
	v_cmp_nlt_f64_e32 vcc, s[24:25], v[24:25]
	s_mov_b32 s24, 0
	v_fma_f64 v[28:29], v[28:29], v[50:51], 1.0
	v_cvt_i32_f64_e32 v26, v[26:27]
	s_mov_b32 s25, 0xc090cc00
	v_ldexp_f64 v[26:27], v[28:29], v26
	v_mov_b32_e32 v28, 0x7ff00000
	v_cmp_ngt_f64_e64 s[24:25], s[24:25], v[24:25]
	v_cndmask_b32_e32 v27, v28, v27, vcc
	s_and_b64 vcc, s[24:25], vcc
	v_cndmask_b32_e64 v25, 0, v27, s[24:25]
	v_cndmask_b32_e32 v24, 0, v26, vcc
	v_add_f64 v[26:27], v[24:25], 1.0
	v_add_f64 v[28:29], v[26:27], -1.0
	v_add_f64 v[50:51], v[28:29], -v[26:27]
	v_add_f64 v[50:51], v[50:51], 1.0
	v_add_f64 v[28:29], v[24:25], -v[28:29]
	s_mov_b32 s24, 0x55555555
	v_add_f64 v[28:29], v[28:29], v[50:51]
	v_frexp_mant_f64_e32 v[50:51], v[26:27]
	s_mov_b32 s25, 0x3fe55555
	v_frexp_exp_i32_f64_e32 v52, v[26:27]
	v_cmp_gt_f64_e32 vcc, s[24:25], v[50:51]
	v_subbrev_co_u32_e32 v52, vcc, 0, v52, vcc
	v_sub_u32_e32 v50, 0, v52
	v_ldexp_f64 v[26:27], v[26:27], v50
	v_ldexp_f64 v[28:29], v[28:29], v50
	v_add_f64 v[50:51], v[26:27], -1.0
	v_add_f64 v[58:59], v[26:27], 1.0
	v_add_f64 v[54:55], v[50:51], 1.0
	v_add_f64 v[60:61], v[58:59], -1.0
	v_add_f64 v[54:55], v[26:27], -v[54:55]
	v_add_f64 v[26:27], v[26:27], -v[60:61]
	v_add_f64 v[26:27], v[28:29], v[26:27]
	v_add_f64 v[54:55], v[28:29], v[54:55]
	;; [unrolled: 1-line block ×3, first 2 shown]
	v_rcp_f64_e32 v[60:61], v[28:29]
	v_add_f64 v[56:57], v[50:51], v[54:55]
	v_add_f64 v[50:51], v[56:57], -v[50:51]
	v_add_f64 v[50:51], v[54:55], -v[50:51]
	v_add_f64 v[54:55], v[28:29], -v[58:59]
	v_add_f64 v[26:27], v[26:27], -v[54:55]
	v_fma_f64 v[54:55], -v[28:29], v[60:61], 1.0
	v_fmac_f64_e32 v[60:61], v[54:55], v[60:61]
	v_fma_f64 v[54:55], -v[28:29], v[60:61], 1.0
	v_fmac_f64_e32 v[60:61], v[54:55], v[60:61]
	v_mul_f64 v[54:55], v[56:57], v[60:61]
	v_mul_f64 v[58:59], v[28:29], v[54:55]
	v_fma_f64 v[62:63], v[54:55], v[28:29], -v[58:59]
	v_fmac_f64_e32 v[62:63], v[54:55], v[26:27]
	v_add_f64 v[64:65], v[58:59], v[62:63]
	v_add_f64 v[66:67], v[56:57], -v[64:65]
	v_add_f64 v[56:57], v[56:57], -v[66:67]
	;; [unrolled: 1-line block ×4, first 2 shown]
	v_add_f64 v[50:51], v[50:51], v[56:57]
	v_add_f64 v[56:57], v[58:59], -v[62:63]
	v_add_f64 v[50:51], v[56:57], v[50:51]
	v_add_f64 v[56:57], v[66:67], v[50:51]
	v_add_f64 v[58:59], v[66:67], -v[56:57]
	v_add_f64 v[50:51], v[50:51], v[58:59]
	v_mul_f64 v[58:59], v[60:61], v[56:57]
	v_mul_f64 v[62:63], v[28:29], v[58:59]
	v_fma_f64 v[28:29], v[58:59], v[28:29], -v[62:63]
	v_fmac_f64_e32 v[28:29], v[58:59], v[26:27]
	v_add_f64 v[26:27], v[62:63], v[28:29]
	v_add_f64 v[64:65], v[56:57], -v[26:27]
	v_add_f64 v[56:57], v[56:57], -v[64:65]
	;; [unrolled: 1-line block ×4, first 2 shown]
	v_add_f64 v[26:27], v[50:51], v[26:27]
	v_add_f64 v[28:29], v[62:63], -v[28:29]
	v_add_f64 v[26:27], v[28:29], v[26:27]
	v_add_f64 v[28:29], v[54:55], v[58:59]
	;; [unrolled: 1-line block ×3, first 2 shown]
	v_add_f64 v[50:51], v[28:29], -v[54:55]
	v_mul_f64 v[26:27], v[60:61], v[26:27]
	v_add_f64 v[50:51], v[58:59], -v[50:51]
	v_add_f64 v[26:27], v[50:51], v[26:27]
	v_add_f64 v[50:51], v[28:29], v[26:27]
	v_add_f64 v[28:29], v[50:51], -v[28:29]
	s_mov_b32 s24, 0xbf559e2b
	v_add_f64 v[26:27], v[26:27], -v[28:29]
	v_mul_f64 v[28:29], v[50:51], v[50:51]
	v_mov_b32_e32 v54, 0x6b47b09a
	v_mov_b32_e32 v55, 0x3fc38538
	s_mov_b32 s25, 0x3fc3ab76
	v_fmac_f64_e32 v[54:55], s[24:25], v[28:29]
	v_mov_b32_e32 v56, 0xd7f4df2e
	v_mov_b32_e32 v57, 0x3fc7474d
	v_fmac_f64_e32 v[56:57], v[28:29], v[54:55]
	v_mov_b32_e32 v54, 0x16291751
	v_mov_b32_e32 v55, 0x3fcc71c0
	;; [unrolled: 3-line block ×5, first 2 shown]
	v_fmac_f64_e32 v[56:57], v[28:29], v[54:55]
	v_cvt_f64_i32_e32 v[54:55], v52
	s_mov_b32 s51, 0x3fe62e42
	v_mul_f64 v[58:59], v[54:55], s[50:51]
	v_fma_f64 v[60:61], v[54:55], s[50:51], -v[58:59]
	s_mov_b32 s53, 0x3c7abc9e
	v_fmac_f64_e32 v[60:61], s[52:53], v[54:55]
	v_add_f64 v[54:55], v[58:59], v[60:61]
	v_add_f64 v[58:59], v[54:55], -v[58:59]
	v_mul_f64 v[28:29], v[50:51], v[28:29]
	v_add_f64 v[58:59], v[60:61], -v[58:59]
	v_ldexp_f64 v[60:61], v[50:51], 1
	v_mul_f64 v[28:29], v[28:29], v[56:57]
	v_add_f64 v[50:51], v[60:61], v[28:29]
	v_add_f64 v[56:57], v[50:51], -v[60:61]
	v_ldexp_f64 v[26:27], v[26:27], 1
	v_add_f64 v[28:29], v[28:29], -v[56:57]
	v_add_f64 v[26:27], v[26:27], v[28:29]
	v_add_f64 v[28:29], v[50:51], v[26:27]
	v_add_f64 v[50:51], v[28:29], -v[50:51]
	v_add_f64 v[26:27], v[26:27], -v[50:51]
	v_add_f64 v[50:51], v[54:55], v[28:29]
	v_add_f64 v[56:57], v[50:51], -v[54:55]
	v_add_f64 v[60:61], v[50:51], -v[56:57]
	;; [unrolled: 1-line block ×4, first 2 shown]
	v_add_f64 v[28:29], v[28:29], v[54:55]
	v_add_f64 v[54:55], v[58:59], v[26:27]
	v_add_f64 v[56:57], v[54:55], -v[58:59]
	v_add_f64 v[28:29], v[54:55], v[28:29]
	v_add_f64 v[60:61], v[54:55], -v[56:57]
	;; [unrolled: 2-line block ×3, first 2 shown]
	v_add_f64 v[26:27], v[26:27], -v[56:57]
	v_add_f64 v[50:51], v[54:55], -v[50:51]
	v_add_f64 v[26:27], v[26:27], v[58:59]
	v_add_f64 v[28:29], v[28:29], -v[50:51]
	s_mov_b32 s24, 0
	v_add_f64 v[26:27], v[26:27], v[28:29]
	s_mov_b32 s25, 0x7ff00000
	v_add_f64 v[26:27], v[54:55], v[26:27]
	v_cmp_eq_f64_e32 vcc, s[24:25], v[24:25]
	v_cndmask_b32_e32 v26, v26, v24, vcc
	v_cndmask_b32_e32 v27, v27, v25, vcc
	v_mov_b32_e32 v28, 0x7ff80000
	v_cmp_ngt_f64_e32 vcc, -1.0, v[24:25]
	v_cndmask_b32_e32 v27, v28, v27, vcc
	v_cmp_nge_f64_e32 vcc, -1.0, v[24:25]
	v_cndmask_b32_e32 v26, 0, v26, vcc
	v_mov_b32_e32 v28, 0xfff00000
	v_cmp_neq_f64_e32 vcc, -1.0, v[24:25]
	v_cndmask_b32_e32 v27, v28, v27, vcc
	v_add_f64 v[24:25], v[22:23], v[26:27]
.LBB68_62:
	s_or_b64 exec, exec, s[48:49]
	v_pk_mov_b32 v[22:23], v[24:25], v[24:25] op_sel:[0,1]
	v_mov_b32_e32 v26, v24
	v_mov_b32_e32 v27, v25
.LBB68_63:
	s_or_b64 exec, exec, s[26:27]
	v_and_b32_e32 v28, 16, v53
	v_mov_b32_dpp v24, v26 row_bcast:15 row_mask:0xf bank_mask:0xf
	v_mov_b32_dpp v25, v27 row_bcast:15 row_mask:0xf bank_mask:0xf
	v_cmp_ne_u32_e32 vcc, 0, v28
	s_and_saveexec_b64 s[26:27], vcc
	s_cbranch_execz .LBB68_67
; %bb.64:
	v_max_f64 v[28:29], v[24:25], v[24:25]
	v_max_f64 v[50:51], v[22:23], v[22:23]
	v_min_f64 v[26:27], v[28:29], v[50:51]
	v_cmp_u_f64_e32 vcc, v[24:25], v[24:25]
	v_max_f64 v[28:29], v[28:29], v[50:51]
	v_cndmask_b32_e32 v26, v26, v24, vcc
	v_cndmask_b32_e32 v27, v27, v25, vcc
	v_cmp_u_f64_e64 s[24:25], v[22:23], v[22:23]
	v_cndmask_b32_e32 v28, v28, v24, vcc
	v_cndmask_b32_e32 v29, v29, v25, vcc
	v_cndmask_b32_e64 v27, v27, v23, s[24:25]
	v_cndmask_b32_e64 v26, v26, v22, s[24:25]
	;; [unrolled: 1-line block ×4, first 2 shown]
	s_movk_i32 s24, 0x1f8
	v_cmp_neq_f64_e32 vcc, v[26:27], v[22:23]
	v_cmp_class_f64_e64 s[24:25], v[26:27], s24
	s_or_b64 s[24:25], vcc, s[24:25]
	s_and_saveexec_b64 s[48:49], s[24:25]
	s_cbranch_execz .LBB68_66
; %bb.65:
	s_mov_b32 s24, 0x652b82fe
	v_add_f64 v[24:25], v[26:27], -v[22:23]
	s_mov_b32 s25, 0x3ff71547
	v_mul_f64 v[26:27], v[24:25], s[24:25]
	v_rndne_f64_e32 v[26:27], v[26:27]
	s_mov_b32 s51, 0xbfe62e42
	s_mov_b32 s50, 0xfefa39ef
	v_fma_f64 v[28:29], s[50:51], v[26:27], v[24:25]
	s_mov_b32 s53, 0xbc7abc9e
	s_mov_b32 s52, 0x3b39803f
	;; [unrolled: 1-line block ×3, first 2 shown]
	v_fmac_f64_e32 v[28:29], s[52:53], v[26:27]
	v_mov_b32_e32 v50, 0xfca7ab0c
	v_mov_b32_e32 v51, 0x3e928af3
	s_mov_b32 s25, 0x3e5ade15
	v_fmac_f64_e32 v[50:51], s[24:25], v[28:29]
	v_mov_b32_e32 v54, 0x623fde64
	v_mov_b32_e32 v55, 0x3ec71dee
	v_fmac_f64_e32 v[54:55], v[28:29], v[50:51]
	v_mov_b32_e32 v50, 0x7c89e6b0
	v_mov_b32_e32 v51, 0x3efa0199
	v_fmac_f64_e32 v[50:51], v[28:29], v[54:55]
	v_mov_b32_e32 v54, 0x14761f6e
	v_mov_b32_e32 v55, 0x3f2a01a0
	v_fmac_f64_e32 v[54:55], v[28:29], v[50:51]
	v_mov_b32_e32 v50, 0x1852b7b0
	v_mov_b32_e32 v51, 0x3f56c16c
	v_fmac_f64_e32 v[50:51], v[28:29], v[54:55]
	v_mov_b32_e32 v54, 0x11122322
	v_mov_b32_e32 v55, 0x3f811111
	v_fmac_f64_e32 v[54:55], v[28:29], v[50:51]
	v_mov_b32_e32 v50, 0x555502a1
	v_mov_b32_e32 v51, 0x3fa55555
	v_fmac_f64_e32 v[50:51], v[28:29], v[54:55]
	v_mov_b32_e32 v54, 0x55555511
	v_mov_b32_e32 v55, 0x3fc55555
	v_fmac_f64_e32 v[54:55], v[28:29], v[50:51]
	v_mov_b32_e32 v50, 11
	v_mov_b32_e32 v51, 0x3fe00000
	s_mov_b32 s24, 0
	v_fmac_f64_e32 v[50:51], v[28:29], v[54:55]
	s_mov_b32 s25, 0x40900000
	v_fma_f64 v[50:51], v[28:29], v[50:51], 1.0
	v_cmp_nlt_f64_e32 vcc, s[24:25], v[24:25]
	s_mov_b32 s24, 0
	v_fma_f64 v[28:29], v[28:29], v[50:51], 1.0
	v_cvt_i32_f64_e32 v26, v[26:27]
	s_mov_b32 s25, 0xc090cc00
	v_ldexp_f64 v[26:27], v[28:29], v26
	v_mov_b32_e32 v28, 0x7ff00000
	v_cmp_ngt_f64_e64 s[24:25], s[24:25], v[24:25]
	v_cndmask_b32_e32 v27, v28, v27, vcc
	s_and_b64 vcc, s[24:25], vcc
	v_cndmask_b32_e64 v25, 0, v27, s[24:25]
	v_cndmask_b32_e32 v24, 0, v26, vcc
	v_add_f64 v[26:27], v[24:25], 1.0
	v_add_f64 v[28:29], v[26:27], -1.0
	v_add_f64 v[50:51], v[28:29], -v[26:27]
	v_add_f64 v[50:51], v[50:51], 1.0
	v_add_f64 v[28:29], v[24:25], -v[28:29]
	s_mov_b32 s24, 0x55555555
	v_add_f64 v[28:29], v[28:29], v[50:51]
	v_frexp_mant_f64_e32 v[50:51], v[26:27]
	s_mov_b32 s25, 0x3fe55555
	v_frexp_exp_i32_f64_e32 v52, v[26:27]
	v_cmp_gt_f64_e32 vcc, s[24:25], v[50:51]
	v_subbrev_co_u32_e32 v52, vcc, 0, v52, vcc
	v_sub_u32_e32 v50, 0, v52
	v_ldexp_f64 v[26:27], v[26:27], v50
	v_ldexp_f64 v[28:29], v[28:29], v50
	v_add_f64 v[50:51], v[26:27], -1.0
	v_add_f64 v[58:59], v[26:27], 1.0
	v_add_f64 v[54:55], v[50:51], 1.0
	v_add_f64 v[60:61], v[58:59], -1.0
	v_add_f64 v[54:55], v[26:27], -v[54:55]
	v_add_f64 v[26:27], v[26:27], -v[60:61]
	v_add_f64 v[26:27], v[28:29], v[26:27]
	v_add_f64 v[54:55], v[28:29], v[54:55]
	;; [unrolled: 1-line block ×3, first 2 shown]
	v_rcp_f64_e32 v[60:61], v[28:29]
	v_add_f64 v[56:57], v[50:51], v[54:55]
	v_add_f64 v[50:51], v[56:57], -v[50:51]
	v_add_f64 v[50:51], v[54:55], -v[50:51]
	;; [unrolled: 1-line block ×4, first 2 shown]
	v_fma_f64 v[54:55], -v[28:29], v[60:61], 1.0
	v_fmac_f64_e32 v[60:61], v[54:55], v[60:61]
	v_fma_f64 v[54:55], -v[28:29], v[60:61], 1.0
	v_fmac_f64_e32 v[60:61], v[54:55], v[60:61]
	v_mul_f64 v[54:55], v[56:57], v[60:61]
	v_mul_f64 v[58:59], v[28:29], v[54:55]
	v_fma_f64 v[62:63], v[54:55], v[28:29], -v[58:59]
	v_fmac_f64_e32 v[62:63], v[54:55], v[26:27]
	v_add_f64 v[64:65], v[58:59], v[62:63]
	v_add_f64 v[66:67], v[56:57], -v[64:65]
	v_add_f64 v[56:57], v[56:57], -v[66:67]
	;; [unrolled: 1-line block ×4, first 2 shown]
	v_add_f64 v[50:51], v[50:51], v[56:57]
	v_add_f64 v[56:57], v[58:59], -v[62:63]
	v_add_f64 v[50:51], v[56:57], v[50:51]
	v_add_f64 v[56:57], v[66:67], v[50:51]
	v_add_f64 v[58:59], v[66:67], -v[56:57]
	v_add_f64 v[50:51], v[50:51], v[58:59]
	v_mul_f64 v[58:59], v[60:61], v[56:57]
	v_mul_f64 v[62:63], v[28:29], v[58:59]
	v_fma_f64 v[28:29], v[58:59], v[28:29], -v[62:63]
	v_fmac_f64_e32 v[28:29], v[58:59], v[26:27]
	v_add_f64 v[26:27], v[62:63], v[28:29]
	v_add_f64 v[64:65], v[56:57], -v[26:27]
	v_add_f64 v[56:57], v[56:57], -v[64:65]
	;; [unrolled: 1-line block ×4, first 2 shown]
	v_add_f64 v[26:27], v[50:51], v[26:27]
	v_add_f64 v[28:29], v[62:63], -v[28:29]
	v_add_f64 v[26:27], v[28:29], v[26:27]
	v_add_f64 v[28:29], v[54:55], v[58:59]
	;; [unrolled: 1-line block ×3, first 2 shown]
	v_add_f64 v[50:51], v[28:29], -v[54:55]
	v_mul_f64 v[26:27], v[60:61], v[26:27]
	v_add_f64 v[50:51], v[58:59], -v[50:51]
	v_add_f64 v[26:27], v[50:51], v[26:27]
	v_add_f64 v[50:51], v[28:29], v[26:27]
	v_add_f64 v[28:29], v[50:51], -v[28:29]
	s_mov_b32 s24, 0xbf559e2b
	v_add_f64 v[26:27], v[26:27], -v[28:29]
	v_mul_f64 v[28:29], v[50:51], v[50:51]
	v_mov_b32_e32 v54, 0x6b47b09a
	v_mov_b32_e32 v55, 0x3fc38538
	s_mov_b32 s25, 0x3fc3ab76
	v_fmac_f64_e32 v[54:55], s[24:25], v[28:29]
	v_mov_b32_e32 v56, 0xd7f4df2e
	v_mov_b32_e32 v57, 0x3fc7474d
	v_fmac_f64_e32 v[56:57], v[28:29], v[54:55]
	v_mov_b32_e32 v54, 0x16291751
	v_mov_b32_e32 v55, 0x3fcc71c0
	;; [unrolled: 3-line block ×5, first 2 shown]
	v_fmac_f64_e32 v[56:57], v[28:29], v[54:55]
	v_cvt_f64_i32_e32 v[54:55], v52
	s_mov_b32 s51, 0x3fe62e42
	v_mul_f64 v[58:59], v[54:55], s[50:51]
	v_fma_f64 v[60:61], v[54:55], s[50:51], -v[58:59]
	s_mov_b32 s53, 0x3c7abc9e
	v_fmac_f64_e32 v[60:61], s[52:53], v[54:55]
	v_add_f64 v[54:55], v[58:59], v[60:61]
	v_add_f64 v[58:59], v[54:55], -v[58:59]
	v_mul_f64 v[28:29], v[50:51], v[28:29]
	v_add_f64 v[58:59], v[60:61], -v[58:59]
	v_ldexp_f64 v[60:61], v[50:51], 1
	v_mul_f64 v[28:29], v[28:29], v[56:57]
	v_add_f64 v[50:51], v[60:61], v[28:29]
	v_add_f64 v[56:57], v[50:51], -v[60:61]
	v_ldexp_f64 v[26:27], v[26:27], 1
	v_add_f64 v[28:29], v[28:29], -v[56:57]
	v_add_f64 v[26:27], v[26:27], v[28:29]
	v_add_f64 v[28:29], v[50:51], v[26:27]
	v_add_f64 v[50:51], v[28:29], -v[50:51]
	v_add_f64 v[26:27], v[26:27], -v[50:51]
	v_add_f64 v[50:51], v[54:55], v[28:29]
	v_add_f64 v[56:57], v[50:51], -v[54:55]
	v_add_f64 v[60:61], v[50:51], -v[56:57]
	;; [unrolled: 1-line block ×4, first 2 shown]
	v_add_f64 v[28:29], v[28:29], v[54:55]
	v_add_f64 v[54:55], v[58:59], v[26:27]
	v_add_f64 v[56:57], v[54:55], -v[58:59]
	v_add_f64 v[28:29], v[54:55], v[28:29]
	v_add_f64 v[60:61], v[54:55], -v[56:57]
	;; [unrolled: 2-line block ×3, first 2 shown]
	v_add_f64 v[26:27], v[26:27], -v[56:57]
	v_add_f64 v[50:51], v[54:55], -v[50:51]
	v_add_f64 v[26:27], v[26:27], v[58:59]
	v_add_f64 v[28:29], v[28:29], -v[50:51]
	s_mov_b32 s24, 0
	v_add_f64 v[26:27], v[26:27], v[28:29]
	s_mov_b32 s25, 0x7ff00000
	v_add_f64 v[26:27], v[54:55], v[26:27]
	v_cmp_eq_f64_e32 vcc, s[24:25], v[24:25]
	v_cndmask_b32_e32 v26, v26, v24, vcc
	v_cndmask_b32_e32 v27, v27, v25, vcc
	v_mov_b32_e32 v28, 0x7ff80000
	v_cmp_ngt_f64_e32 vcc, -1.0, v[24:25]
	v_cndmask_b32_e32 v27, v28, v27, vcc
	v_cmp_nge_f64_e32 vcc, -1.0, v[24:25]
	v_cndmask_b32_e32 v26, 0, v26, vcc
	v_mov_b32_e32 v28, 0xfff00000
	v_cmp_neq_f64_e32 vcc, -1.0, v[24:25]
	v_cndmask_b32_e32 v27, v28, v27, vcc
	v_add_f64 v[24:25], v[22:23], v[26:27]
.LBB68_66:
	s_or_b64 exec, exec, s[48:49]
	v_mov_b32_e32 v26, v24
	v_mov_b32_e32 v27, v25
	v_pk_mov_b32 v[22:23], v[24:25], v[24:25] op_sel:[0,1]
.LBB68_67:
	s_or_b64 exec, exec, s[26:27]
	v_mov_b32_dpp v24, v26 row_bcast:31 row_mask:0xf bank_mask:0xf
	v_mov_b32_dpp v25, v27 row_bcast:31 row_mask:0xf bank_mask:0xf
	v_cmp_lt_u32_e32 vcc, 31, v53
	s_and_saveexec_b64 s[26:27], vcc
	s_cbranch_execz .LBB68_71
; %bb.68:
	v_max_f64 v[28:29], v[24:25], v[24:25]
	v_max_f64 v[50:51], v[22:23], v[22:23]
	v_min_f64 v[26:27], v[28:29], v[50:51]
	v_cmp_u_f64_e32 vcc, v[24:25], v[24:25]
	v_max_f64 v[28:29], v[28:29], v[50:51]
	v_cndmask_b32_e32 v26, v26, v24, vcc
	v_cndmask_b32_e32 v27, v27, v25, vcc
	v_cmp_u_f64_e64 s[24:25], v[22:23], v[22:23]
	v_cndmask_b32_e32 v28, v28, v24, vcc
	v_cndmask_b32_e32 v29, v29, v25, vcc
	v_cndmask_b32_e64 v27, v27, v23, s[24:25]
	v_cndmask_b32_e64 v26, v26, v22, s[24:25]
	;; [unrolled: 1-line block ×4, first 2 shown]
	s_movk_i32 s24, 0x1f8
	v_cmp_neq_f64_e32 vcc, v[26:27], v[22:23]
	v_cmp_class_f64_e64 s[24:25], v[26:27], s24
	s_or_b64 s[24:25], vcc, s[24:25]
	s_and_saveexec_b64 s[48:49], s[24:25]
	s_cbranch_execz .LBB68_70
; %bb.69:
	s_mov_b32 s24, 0x652b82fe
	v_add_f64 v[24:25], v[26:27], -v[22:23]
	s_mov_b32 s25, 0x3ff71547
	v_mul_f64 v[26:27], v[24:25], s[24:25]
	v_rndne_f64_e32 v[26:27], v[26:27]
	s_mov_b32 s51, 0xbfe62e42
	s_mov_b32 s50, 0xfefa39ef
	v_fma_f64 v[28:29], s[50:51], v[26:27], v[24:25]
	s_mov_b32 s53, 0xbc7abc9e
	s_mov_b32 s52, 0x3b39803f
	;; [unrolled: 1-line block ×3, first 2 shown]
	v_fmac_f64_e32 v[28:29], s[52:53], v[26:27]
	v_mov_b32_e32 v50, 0xfca7ab0c
	v_mov_b32_e32 v51, 0x3e928af3
	s_mov_b32 s25, 0x3e5ade15
	v_fmac_f64_e32 v[50:51], s[24:25], v[28:29]
	v_mov_b32_e32 v54, 0x623fde64
	v_mov_b32_e32 v55, 0x3ec71dee
	v_fmac_f64_e32 v[54:55], v[28:29], v[50:51]
	v_mov_b32_e32 v50, 0x7c89e6b0
	v_mov_b32_e32 v51, 0x3efa0199
	;; [unrolled: 3-line block ×8, first 2 shown]
	s_mov_b32 s24, 0
	v_fmac_f64_e32 v[50:51], v[28:29], v[54:55]
	s_mov_b32 s25, 0x40900000
	v_fma_f64 v[50:51], v[28:29], v[50:51], 1.0
	v_cmp_nlt_f64_e32 vcc, s[24:25], v[24:25]
	s_mov_b32 s24, 0
	v_fma_f64 v[28:29], v[28:29], v[50:51], 1.0
	v_cvt_i32_f64_e32 v26, v[26:27]
	s_mov_b32 s25, 0xc090cc00
	v_ldexp_f64 v[26:27], v[28:29], v26
	v_mov_b32_e32 v28, 0x7ff00000
	v_cmp_ngt_f64_e64 s[24:25], s[24:25], v[24:25]
	v_cndmask_b32_e32 v27, v28, v27, vcc
	s_and_b64 vcc, s[24:25], vcc
	v_cndmask_b32_e64 v25, 0, v27, s[24:25]
	v_cndmask_b32_e32 v24, 0, v26, vcc
	v_add_f64 v[26:27], v[24:25], 1.0
	v_add_f64 v[28:29], v[26:27], -1.0
	v_add_f64 v[50:51], v[28:29], -v[26:27]
	v_add_f64 v[50:51], v[50:51], 1.0
	v_add_f64 v[28:29], v[24:25], -v[28:29]
	s_mov_b32 s24, 0x55555555
	v_add_f64 v[28:29], v[28:29], v[50:51]
	v_frexp_mant_f64_e32 v[50:51], v[26:27]
	s_mov_b32 s25, 0x3fe55555
	v_frexp_exp_i32_f64_e32 v52, v[26:27]
	v_cmp_gt_f64_e32 vcc, s[24:25], v[50:51]
	v_subbrev_co_u32_e32 v52, vcc, 0, v52, vcc
	v_sub_u32_e32 v50, 0, v52
	v_ldexp_f64 v[26:27], v[26:27], v50
	v_ldexp_f64 v[28:29], v[28:29], v50
	v_add_f64 v[50:51], v[26:27], -1.0
	v_add_f64 v[58:59], v[26:27], 1.0
	v_add_f64 v[54:55], v[50:51], 1.0
	v_add_f64 v[60:61], v[58:59], -1.0
	v_add_f64 v[54:55], v[26:27], -v[54:55]
	v_add_f64 v[26:27], v[26:27], -v[60:61]
	v_add_f64 v[26:27], v[28:29], v[26:27]
	v_add_f64 v[54:55], v[28:29], v[54:55]
	;; [unrolled: 1-line block ×3, first 2 shown]
	v_rcp_f64_e32 v[60:61], v[28:29]
	v_add_f64 v[56:57], v[50:51], v[54:55]
	v_add_f64 v[50:51], v[56:57], -v[50:51]
	v_add_f64 v[50:51], v[54:55], -v[50:51]
	;; [unrolled: 1-line block ×4, first 2 shown]
	v_fma_f64 v[54:55], -v[28:29], v[60:61], 1.0
	v_fmac_f64_e32 v[60:61], v[54:55], v[60:61]
	v_fma_f64 v[54:55], -v[28:29], v[60:61], 1.0
	v_fmac_f64_e32 v[60:61], v[54:55], v[60:61]
	v_mul_f64 v[54:55], v[56:57], v[60:61]
	v_mul_f64 v[58:59], v[28:29], v[54:55]
	v_fma_f64 v[62:63], v[54:55], v[28:29], -v[58:59]
	v_fmac_f64_e32 v[62:63], v[54:55], v[26:27]
	v_add_f64 v[64:65], v[58:59], v[62:63]
	v_add_f64 v[66:67], v[56:57], -v[64:65]
	v_add_f64 v[56:57], v[56:57], -v[66:67]
	;; [unrolled: 1-line block ×4, first 2 shown]
	v_add_f64 v[50:51], v[50:51], v[56:57]
	v_add_f64 v[56:57], v[58:59], -v[62:63]
	v_add_f64 v[50:51], v[56:57], v[50:51]
	v_add_f64 v[56:57], v[66:67], v[50:51]
	v_add_f64 v[58:59], v[66:67], -v[56:57]
	v_add_f64 v[50:51], v[50:51], v[58:59]
	v_mul_f64 v[58:59], v[60:61], v[56:57]
	v_mul_f64 v[62:63], v[28:29], v[58:59]
	v_fma_f64 v[28:29], v[58:59], v[28:29], -v[62:63]
	v_fmac_f64_e32 v[28:29], v[58:59], v[26:27]
	v_add_f64 v[26:27], v[62:63], v[28:29]
	v_add_f64 v[64:65], v[56:57], -v[26:27]
	v_add_f64 v[56:57], v[56:57], -v[64:65]
	;; [unrolled: 1-line block ×4, first 2 shown]
	v_add_f64 v[26:27], v[50:51], v[26:27]
	v_add_f64 v[28:29], v[62:63], -v[28:29]
	v_add_f64 v[26:27], v[28:29], v[26:27]
	v_add_f64 v[28:29], v[54:55], v[58:59]
	;; [unrolled: 1-line block ×3, first 2 shown]
	v_add_f64 v[50:51], v[28:29], -v[54:55]
	v_mul_f64 v[26:27], v[60:61], v[26:27]
	v_add_f64 v[50:51], v[58:59], -v[50:51]
	v_add_f64 v[26:27], v[50:51], v[26:27]
	v_add_f64 v[50:51], v[28:29], v[26:27]
	v_add_f64 v[28:29], v[50:51], -v[28:29]
	s_mov_b32 s24, 0xbf559e2b
	v_add_f64 v[26:27], v[26:27], -v[28:29]
	v_mul_f64 v[28:29], v[50:51], v[50:51]
	v_mov_b32_e32 v54, 0x6b47b09a
	v_mov_b32_e32 v55, 0x3fc38538
	s_mov_b32 s25, 0x3fc3ab76
	v_fmac_f64_e32 v[54:55], s[24:25], v[28:29]
	v_mov_b32_e32 v56, 0xd7f4df2e
	v_mov_b32_e32 v57, 0x3fc7474d
	v_fmac_f64_e32 v[56:57], v[28:29], v[54:55]
	v_mov_b32_e32 v54, 0x16291751
	v_mov_b32_e32 v55, 0x3fcc71c0
	;; [unrolled: 3-line block ×5, first 2 shown]
	v_fmac_f64_e32 v[56:57], v[28:29], v[54:55]
	v_cvt_f64_i32_e32 v[54:55], v52
	s_mov_b32 s51, 0x3fe62e42
	v_mul_f64 v[58:59], v[54:55], s[50:51]
	v_fma_f64 v[60:61], v[54:55], s[50:51], -v[58:59]
	s_mov_b32 s53, 0x3c7abc9e
	v_fmac_f64_e32 v[60:61], s[52:53], v[54:55]
	v_add_f64 v[54:55], v[58:59], v[60:61]
	v_add_f64 v[58:59], v[54:55], -v[58:59]
	v_mul_f64 v[28:29], v[50:51], v[28:29]
	v_add_f64 v[58:59], v[60:61], -v[58:59]
	v_ldexp_f64 v[60:61], v[50:51], 1
	v_mul_f64 v[28:29], v[28:29], v[56:57]
	v_add_f64 v[50:51], v[60:61], v[28:29]
	v_add_f64 v[56:57], v[50:51], -v[60:61]
	v_ldexp_f64 v[26:27], v[26:27], 1
	v_add_f64 v[28:29], v[28:29], -v[56:57]
	v_add_f64 v[26:27], v[26:27], v[28:29]
	v_add_f64 v[28:29], v[50:51], v[26:27]
	v_add_f64 v[50:51], v[28:29], -v[50:51]
	v_add_f64 v[26:27], v[26:27], -v[50:51]
	v_add_f64 v[50:51], v[54:55], v[28:29]
	v_add_f64 v[56:57], v[50:51], -v[54:55]
	v_add_f64 v[60:61], v[50:51], -v[56:57]
	;; [unrolled: 1-line block ×4, first 2 shown]
	v_add_f64 v[28:29], v[28:29], v[54:55]
	v_add_f64 v[54:55], v[58:59], v[26:27]
	v_add_f64 v[56:57], v[54:55], -v[58:59]
	v_add_f64 v[28:29], v[54:55], v[28:29]
	v_add_f64 v[60:61], v[54:55], -v[56:57]
	;; [unrolled: 2-line block ×3, first 2 shown]
	v_add_f64 v[26:27], v[26:27], -v[56:57]
	v_add_f64 v[50:51], v[54:55], -v[50:51]
	v_add_f64 v[26:27], v[26:27], v[58:59]
	v_add_f64 v[28:29], v[28:29], -v[50:51]
	s_mov_b32 s24, 0
	v_add_f64 v[26:27], v[26:27], v[28:29]
	s_mov_b32 s25, 0x7ff00000
	v_add_f64 v[26:27], v[54:55], v[26:27]
	v_cmp_eq_f64_e32 vcc, s[24:25], v[24:25]
	v_cndmask_b32_e32 v26, v26, v24, vcc
	v_cndmask_b32_e32 v27, v27, v25, vcc
	v_mov_b32_e32 v28, 0x7ff80000
	v_cmp_ngt_f64_e32 vcc, -1.0, v[24:25]
	v_cndmask_b32_e32 v27, v28, v27, vcc
	v_cmp_nge_f64_e32 vcc, -1.0, v[24:25]
	v_cndmask_b32_e32 v26, 0, v26, vcc
	v_mov_b32_e32 v28, 0xfff00000
	v_cmp_neq_f64_e32 vcc, -1.0, v[24:25]
	v_cndmask_b32_e32 v27, v28, v27, vcc
	v_add_f64 v[24:25], v[22:23], v[26:27]
.LBB68_70:
	s_or_b64 exec, exec, s[48:49]
	v_pk_mov_b32 v[22:23], v[24:25], v[24:25] op_sel:[0,1]
.LBB68_71:
	s_or_b64 exec, exec, s[26:27]
	v_or_b32_e32 v24, 63, v0
	v_lshrrev_b32_e32 v52, 6, v0
	v_cmp_eq_u32_e32 vcc, v24, v0
	s_and_saveexec_b64 s[24:25], vcc
	s_cbranch_execz .LBB68_73
; %bb.72:
	v_lshlrev_b32_e32 v24, 3, v52
	ds_write_b64 v24, v[22:23]
.LBB68_73:
	s_or_b64 exec, exec, s[24:25]
	v_cmp_gt_u32_e32 vcc, 2, v0
	s_waitcnt lgkmcnt(0)
	s_barrier
	s_and_saveexec_b64 s[26:27], vcc
	s_cbranch_execz .LBB68_79
; %bb.74:
	ds_read_b64 v[24:25], v92
	v_and_b32_e32 v28, 1, v53
	v_cmp_eq_u32_e32 vcc, 1, v28
	s_waitcnt lgkmcnt(0)
	v_mov_b32_dpp v26, v24 row_shr:1 row_mask:0xf bank_mask:0xf
	v_mov_b32_dpp v27, v25 row_shr:1 row_mask:0xf bank_mask:0xf
	s_and_saveexec_b64 s[48:49], vcc
	s_cbranch_execz .LBB68_78
; %bb.75:
	v_max_f64 v[50:51], v[26:27], v[26:27]
	v_max_f64 v[54:55], v[24:25], v[24:25]
	v_min_f64 v[28:29], v[50:51], v[54:55]
	v_cmp_u_f64_e32 vcc, v[26:27], v[26:27]
	v_max_f64 v[50:51], v[50:51], v[54:55]
	v_cndmask_b32_e32 v28, v28, v26, vcc
	v_cndmask_b32_e32 v29, v29, v27, vcc
	v_cmp_u_f64_e64 s[24:25], v[24:25], v[24:25]
	v_cndmask_b32_e32 v50, v50, v26, vcc
	v_cndmask_b32_e32 v51, v51, v27, vcc
	v_cndmask_b32_e64 v29, v29, v25, s[24:25]
	v_cndmask_b32_e64 v28, v28, v24, s[24:25]
	;; [unrolled: 1-line block ×4, first 2 shown]
	s_movk_i32 s24, 0x1f8
	v_cmp_neq_f64_e32 vcc, v[28:29], v[24:25]
	v_cmp_class_f64_e64 s[24:25], v[28:29], s24
	s_or_b64 s[24:25], vcc, s[24:25]
	s_and_saveexec_b64 s[50:51], s[24:25]
	s_cbranch_execz .LBB68_77
; %bb.76:
	s_mov_b32 s24, 0x652b82fe
	v_add_f64 v[26:27], v[28:29], -v[24:25]
	s_mov_b32 s25, 0x3ff71547
	v_mul_f64 v[28:29], v[26:27], s[24:25]
	v_rndne_f64_e32 v[28:29], v[28:29]
	s_mov_b32 s53, 0xbfe62e42
	s_mov_b32 s52, 0xfefa39ef
	v_fma_f64 v[50:51], s[52:53], v[28:29], v[26:27]
	s_mov_b32 s55, 0xbc7abc9e
	s_mov_b32 s54, 0x3b39803f
	;; [unrolled: 1-line block ×3, first 2 shown]
	v_fmac_f64_e32 v[50:51], s[54:55], v[28:29]
	v_mov_b32_e32 v54, 0xfca7ab0c
	v_mov_b32_e32 v55, 0x3e928af3
	s_mov_b32 s25, 0x3e5ade15
	v_fmac_f64_e32 v[54:55], s[24:25], v[50:51]
	v_mov_b32_e32 v56, 0x623fde64
	v_mov_b32_e32 v57, 0x3ec71dee
	v_fmac_f64_e32 v[56:57], v[50:51], v[54:55]
	v_mov_b32_e32 v54, 0x7c89e6b0
	v_mov_b32_e32 v55, 0x3efa0199
	;; [unrolled: 3-line block ×8, first 2 shown]
	s_mov_b32 s24, 0
	v_fmac_f64_e32 v[54:55], v[50:51], v[56:57]
	s_mov_b32 s25, 0x40900000
	v_fma_f64 v[54:55], v[50:51], v[54:55], 1.0
	v_cmp_nlt_f64_e32 vcc, s[24:25], v[26:27]
	s_mov_b32 s24, 0
	v_fma_f64 v[50:51], v[50:51], v[54:55], 1.0
	v_cvt_i32_f64_e32 v28, v[28:29]
	s_mov_b32 s25, 0xc090cc00
	v_ldexp_f64 v[28:29], v[50:51], v28
	v_mov_b32_e32 v50, 0x7ff00000
	v_cmp_ngt_f64_e64 s[24:25], s[24:25], v[26:27]
	v_cndmask_b32_e32 v29, v50, v29, vcc
	s_and_b64 vcc, s[24:25], vcc
	v_cndmask_b32_e64 v27, 0, v29, s[24:25]
	v_cndmask_b32_e32 v26, 0, v28, vcc
	v_add_f64 v[28:29], v[26:27], 1.0
	v_add_f64 v[50:51], v[28:29], -1.0
	v_add_f64 v[54:55], v[50:51], -v[28:29]
	v_add_f64 v[54:55], v[54:55], 1.0
	v_add_f64 v[50:51], v[26:27], -v[50:51]
	s_mov_b32 s24, 0x55555555
	v_add_f64 v[50:51], v[50:51], v[54:55]
	v_frexp_mant_f64_e32 v[54:55], v[28:29]
	s_mov_b32 s25, 0x3fe55555
	v_frexp_exp_i32_f64_e32 v56, v[28:29]
	v_cmp_gt_f64_e32 vcc, s[24:25], v[54:55]
	v_subbrev_co_u32_e32 v70, vcc, 0, v56, vcc
	v_sub_u32_e32 v54, 0, v70
	v_ldexp_f64 v[28:29], v[28:29], v54
	v_ldexp_f64 v[50:51], v[50:51], v54
	v_add_f64 v[54:55], v[28:29], -1.0
	v_add_f64 v[60:61], v[28:29], 1.0
	v_add_f64 v[56:57], v[54:55], 1.0
	v_add_f64 v[62:63], v[60:61], -1.0
	v_add_f64 v[56:57], v[28:29], -v[56:57]
	v_add_f64 v[28:29], v[28:29], -v[62:63]
	v_add_f64 v[28:29], v[50:51], v[28:29]
	v_add_f64 v[56:57], v[50:51], v[56:57]
	;; [unrolled: 1-line block ×3, first 2 shown]
	v_rcp_f64_e32 v[62:63], v[50:51]
	v_add_f64 v[58:59], v[54:55], v[56:57]
	v_add_f64 v[54:55], v[58:59], -v[54:55]
	v_add_f64 v[54:55], v[56:57], -v[54:55]
	v_add_f64 v[56:57], v[50:51], -v[60:61]
	v_add_f64 v[28:29], v[28:29], -v[56:57]
	v_fma_f64 v[56:57], -v[50:51], v[62:63], 1.0
	v_fmac_f64_e32 v[62:63], v[56:57], v[62:63]
	v_fma_f64 v[56:57], -v[50:51], v[62:63], 1.0
	v_fmac_f64_e32 v[62:63], v[56:57], v[62:63]
	v_mul_f64 v[56:57], v[58:59], v[62:63]
	v_mul_f64 v[60:61], v[50:51], v[56:57]
	v_fma_f64 v[64:65], v[56:57], v[50:51], -v[60:61]
	v_fmac_f64_e32 v[64:65], v[56:57], v[28:29]
	v_add_f64 v[66:67], v[60:61], v[64:65]
	v_add_f64 v[68:69], v[58:59], -v[66:67]
	v_add_f64 v[58:59], v[58:59], -v[68:69]
	;; [unrolled: 1-line block ×4, first 2 shown]
	v_add_f64 v[54:55], v[54:55], v[58:59]
	v_add_f64 v[58:59], v[60:61], -v[64:65]
	v_add_f64 v[54:55], v[58:59], v[54:55]
	v_add_f64 v[58:59], v[68:69], v[54:55]
	v_add_f64 v[60:61], v[68:69], -v[58:59]
	v_add_f64 v[54:55], v[54:55], v[60:61]
	v_mul_f64 v[60:61], v[62:63], v[58:59]
	v_mul_f64 v[64:65], v[50:51], v[60:61]
	v_fma_f64 v[50:51], v[60:61], v[50:51], -v[64:65]
	v_fmac_f64_e32 v[50:51], v[60:61], v[28:29]
	v_add_f64 v[28:29], v[64:65], v[50:51]
	v_add_f64 v[66:67], v[58:59], -v[28:29]
	v_add_f64 v[58:59], v[58:59], -v[66:67]
	;; [unrolled: 1-line block ×4, first 2 shown]
	v_add_f64 v[28:29], v[54:55], v[28:29]
	v_add_f64 v[50:51], v[64:65], -v[50:51]
	v_add_f64 v[28:29], v[50:51], v[28:29]
	v_add_f64 v[50:51], v[56:57], v[60:61]
	;; [unrolled: 1-line block ×3, first 2 shown]
	v_add_f64 v[54:55], v[50:51], -v[56:57]
	v_mul_f64 v[28:29], v[62:63], v[28:29]
	v_add_f64 v[54:55], v[60:61], -v[54:55]
	v_add_f64 v[28:29], v[54:55], v[28:29]
	v_add_f64 v[54:55], v[50:51], v[28:29]
	v_add_f64 v[50:51], v[54:55], -v[50:51]
	s_mov_b32 s24, 0xbf559e2b
	v_add_f64 v[28:29], v[28:29], -v[50:51]
	v_mul_f64 v[50:51], v[54:55], v[54:55]
	v_mov_b32_e32 v56, 0x6b47b09a
	v_mov_b32_e32 v57, 0x3fc38538
	s_mov_b32 s25, 0x3fc3ab76
	v_fmac_f64_e32 v[56:57], s[24:25], v[50:51]
	v_mov_b32_e32 v58, 0xd7f4df2e
	v_mov_b32_e32 v59, 0x3fc7474d
	v_fmac_f64_e32 v[58:59], v[50:51], v[56:57]
	v_mov_b32_e32 v56, 0x16291751
	v_mov_b32_e32 v57, 0x3fcc71c0
	;; [unrolled: 3-line block ×5, first 2 shown]
	v_fmac_f64_e32 v[58:59], v[50:51], v[56:57]
	v_cvt_f64_i32_e32 v[56:57], v70
	s_mov_b32 s53, 0x3fe62e42
	v_mul_f64 v[60:61], v[56:57], s[52:53]
	v_fma_f64 v[62:63], v[56:57], s[52:53], -v[60:61]
	s_mov_b32 s55, 0x3c7abc9e
	v_fmac_f64_e32 v[62:63], s[54:55], v[56:57]
	v_add_f64 v[56:57], v[60:61], v[62:63]
	v_add_f64 v[60:61], v[56:57], -v[60:61]
	v_mul_f64 v[50:51], v[54:55], v[50:51]
	v_add_f64 v[60:61], v[62:63], -v[60:61]
	v_ldexp_f64 v[62:63], v[54:55], 1
	v_mul_f64 v[50:51], v[50:51], v[58:59]
	v_add_f64 v[54:55], v[62:63], v[50:51]
	v_add_f64 v[58:59], v[54:55], -v[62:63]
	v_ldexp_f64 v[28:29], v[28:29], 1
	v_add_f64 v[50:51], v[50:51], -v[58:59]
	v_add_f64 v[28:29], v[28:29], v[50:51]
	v_add_f64 v[50:51], v[54:55], v[28:29]
	v_add_f64 v[54:55], v[50:51], -v[54:55]
	v_add_f64 v[28:29], v[28:29], -v[54:55]
	v_add_f64 v[54:55], v[56:57], v[50:51]
	v_add_f64 v[58:59], v[54:55], -v[56:57]
	v_add_f64 v[62:63], v[54:55], -v[58:59]
	;; [unrolled: 1-line block ×4, first 2 shown]
	v_add_f64 v[50:51], v[50:51], v[56:57]
	v_add_f64 v[56:57], v[60:61], v[28:29]
	v_add_f64 v[58:59], v[56:57], -v[60:61]
	v_add_f64 v[50:51], v[56:57], v[50:51]
	v_add_f64 v[62:63], v[56:57], -v[58:59]
	;; [unrolled: 2-line block ×3, first 2 shown]
	v_add_f64 v[28:29], v[28:29], -v[58:59]
	v_add_f64 v[54:55], v[56:57], -v[54:55]
	v_add_f64 v[28:29], v[28:29], v[60:61]
	v_add_f64 v[50:51], v[50:51], -v[54:55]
	s_mov_b32 s24, 0
	v_add_f64 v[28:29], v[28:29], v[50:51]
	s_mov_b32 s25, 0x7ff00000
	v_add_f64 v[28:29], v[56:57], v[28:29]
	v_cmp_eq_f64_e32 vcc, s[24:25], v[26:27]
	v_cndmask_b32_e32 v28, v28, v26, vcc
	v_cndmask_b32_e32 v29, v29, v27, vcc
	v_mov_b32_e32 v50, 0x7ff80000
	v_cmp_ngt_f64_e32 vcc, -1.0, v[26:27]
	v_cndmask_b32_e32 v29, v50, v29, vcc
	v_cmp_nge_f64_e32 vcc, -1.0, v[26:27]
	v_cndmask_b32_e32 v28, 0, v28, vcc
	v_mov_b32_e32 v50, 0xfff00000
	v_cmp_neq_f64_e32 vcc, -1.0, v[26:27]
	v_cndmask_b32_e32 v29, v50, v29, vcc
	v_add_f64 v[26:27], v[24:25], v[28:29]
.LBB68_77:
	s_or_b64 exec, exec, s[50:51]
	v_pk_mov_b32 v[24:25], v[26:27], v[26:27] op_sel:[0,1]
.LBB68_78:
	s_or_b64 exec, exec, s[48:49]
	ds_write_b64 v92, v[24:25]
.LBB68_79:
	s_or_b64 exec, exec, s[26:27]
	v_cmp_gt_u32_e32 vcc, 64, v0
	v_cmp_lt_u32_e64 s[24:25], 63, v0
	s_waitcnt lgkmcnt(0)
	s_barrier
	s_waitcnt lgkmcnt(0)
                                        ; implicit-def: $vgpr50_vgpr51
	s_and_saveexec_b64 s[48:49], s[24:25]
	s_cbranch_execz .LBB68_83
; %bb.80:
	v_lshl_add_u32 v24, v52, 3, -8
	ds_read_b64 v[50:51], v24
	v_max_f64 v[24:25], v[22:23], v[22:23]
	v_cmp_u_f64_e64 s[26:27], v[22:23], v[22:23]
	s_waitcnt lgkmcnt(0)
	v_max_f64 v[28:29], v[50:51], v[50:51]
	v_min_f64 v[26:27], v[28:29], v[24:25]
	v_cmp_u_f64_e64 s[24:25], v[50:51], v[50:51]
	v_max_f64 v[24:25], v[28:29], v[24:25]
	v_cndmask_b32_e64 v26, v26, v50, s[24:25]
	v_cndmask_b32_e64 v27, v27, v51, s[24:25]
	;; [unrolled: 1-line block ×8, first 2 shown]
	s_movk_i32 s26, 0x1f8
	v_cmp_neq_f64_e64 s[24:25], v[26:27], v[24:25]
	v_cmp_class_f64_e64 s[26:27], v[26:27], s26
	s_or_b64 s[24:25], s[24:25], s[26:27]
	v_pk_mov_b32 v[22:23], v[50:51], v[50:51] op_sel:[0,1]
	s_and_saveexec_b64 s[50:51], s[24:25]
	s_cbranch_execz .LBB68_82
; %bb.81:
	s_mov_b32 s24, 0x652b82fe
	v_add_f64 v[22:23], v[26:27], -v[24:25]
	s_mov_b32 s25, 0x3ff71547
	v_mul_f64 v[26:27], v[22:23], s[24:25]
	v_rndne_f64_e32 v[26:27], v[26:27]
	s_mov_b32 s53, 0xbfe62e42
	s_mov_b32 s52, 0xfefa39ef
	v_fma_f64 v[28:29], s[52:53], v[26:27], v[22:23]
	s_mov_b32 s55, 0xbc7abc9e
	s_mov_b32 s54, 0x3b39803f
	;; [unrolled: 1-line block ×3, first 2 shown]
	v_fmac_f64_e32 v[28:29], s[54:55], v[26:27]
	v_mov_b32_e32 v54, 0xfca7ab0c
	v_mov_b32_e32 v55, 0x3e928af3
	s_mov_b32 s25, 0x3e5ade15
	v_fmac_f64_e32 v[54:55], s[24:25], v[28:29]
	v_mov_b32_e32 v56, 0x623fde64
	v_mov_b32_e32 v57, 0x3ec71dee
	v_fmac_f64_e32 v[56:57], v[28:29], v[54:55]
	v_mov_b32_e32 v54, 0x7c89e6b0
	v_mov_b32_e32 v55, 0x3efa0199
	;; [unrolled: 3-line block ×8, first 2 shown]
	v_fmac_f64_e32 v[54:55], v[28:29], v[56:57]
	v_fma_f64 v[54:55], v[28:29], v[54:55], 1.0
	s_mov_b32 s24, 0
	s_mov_b32 s26, 0
	v_fma_f64 v[28:29], v[28:29], v[54:55], 1.0
	v_cvt_i32_f64_e32 v26, v[26:27]
	s_mov_b32 s25, 0x40900000
	s_mov_b32 s27, 0xc090cc00
	v_ldexp_f64 v[26:27], v[28:29], v26
	v_mov_b32_e32 v28, 0x7ff00000
	v_cmp_nlt_f64_e64 s[24:25], s[24:25], v[22:23]
	v_cmp_ngt_f64_e64 s[26:27], s[26:27], v[22:23]
	v_cndmask_b32_e64 v27, v28, v27, s[24:25]
	s_and_b64 s[24:25], s[26:27], s[24:25]
	v_cndmask_b32_e64 v23, 0, v27, s[26:27]
	v_cndmask_b32_e64 v22, 0, v26, s[24:25]
	v_add_f64 v[26:27], v[22:23], 1.0
	v_add_f64 v[28:29], v[26:27], -1.0
	v_add_f64 v[54:55], v[28:29], -v[26:27]
	v_add_f64 v[54:55], v[54:55], 1.0
	v_add_f64 v[28:29], v[22:23], -v[28:29]
	s_mov_b32 s24, 0x55555555
	v_add_f64 v[28:29], v[28:29], v[54:55]
	v_frexp_mant_f64_e32 v[54:55], v[26:27]
	s_mov_b32 s25, 0x3fe55555
	v_frexp_exp_i32_f64_e32 v52, v[26:27]
	v_cmp_gt_f64_e64 s[24:25], s[24:25], v[54:55]
	v_subbrev_co_u32_e64 v52, s[24:25], 0, v52, s[24:25]
	v_sub_u32_e32 v54, 0, v52
	v_ldexp_f64 v[26:27], v[26:27], v54
	v_ldexp_f64 v[28:29], v[28:29], v54
	v_add_f64 v[54:55], v[26:27], -1.0
	v_add_f64 v[60:61], v[26:27], 1.0
	v_add_f64 v[56:57], v[54:55], 1.0
	v_add_f64 v[62:63], v[60:61], -1.0
	v_add_f64 v[56:57], v[26:27], -v[56:57]
	v_add_f64 v[26:27], v[26:27], -v[62:63]
	v_add_f64 v[26:27], v[28:29], v[26:27]
	v_add_f64 v[56:57], v[28:29], v[56:57]
	;; [unrolled: 1-line block ×3, first 2 shown]
	v_rcp_f64_e32 v[62:63], v[28:29]
	v_add_f64 v[58:59], v[54:55], v[56:57]
	v_add_f64 v[54:55], v[58:59], -v[54:55]
	v_add_f64 v[54:55], v[56:57], -v[54:55]
	;; [unrolled: 1-line block ×4, first 2 shown]
	v_fma_f64 v[56:57], -v[28:29], v[62:63], 1.0
	v_fmac_f64_e32 v[62:63], v[56:57], v[62:63]
	v_fma_f64 v[56:57], -v[28:29], v[62:63], 1.0
	v_fmac_f64_e32 v[62:63], v[56:57], v[62:63]
	v_mul_f64 v[56:57], v[58:59], v[62:63]
	v_mul_f64 v[60:61], v[28:29], v[56:57]
	v_fma_f64 v[64:65], v[56:57], v[28:29], -v[60:61]
	v_fmac_f64_e32 v[64:65], v[56:57], v[26:27]
	v_add_f64 v[66:67], v[60:61], v[64:65]
	v_add_f64 v[68:69], v[58:59], -v[66:67]
	v_add_f64 v[58:59], v[58:59], -v[68:69]
	;; [unrolled: 1-line block ×4, first 2 shown]
	v_add_f64 v[54:55], v[54:55], v[58:59]
	v_add_f64 v[58:59], v[60:61], -v[64:65]
	v_add_f64 v[54:55], v[58:59], v[54:55]
	v_add_f64 v[58:59], v[68:69], v[54:55]
	v_add_f64 v[60:61], v[68:69], -v[58:59]
	v_add_f64 v[54:55], v[54:55], v[60:61]
	v_mul_f64 v[60:61], v[62:63], v[58:59]
	v_mul_f64 v[64:65], v[28:29], v[60:61]
	v_fma_f64 v[28:29], v[60:61], v[28:29], -v[64:65]
	v_fmac_f64_e32 v[28:29], v[60:61], v[26:27]
	v_add_f64 v[26:27], v[64:65], v[28:29]
	v_add_f64 v[66:67], v[58:59], -v[26:27]
	v_add_f64 v[58:59], v[58:59], -v[66:67]
	;; [unrolled: 1-line block ×4, first 2 shown]
	v_add_f64 v[26:27], v[54:55], v[26:27]
	v_add_f64 v[28:29], v[64:65], -v[28:29]
	v_add_f64 v[26:27], v[28:29], v[26:27]
	v_add_f64 v[28:29], v[56:57], v[60:61]
	;; [unrolled: 1-line block ×3, first 2 shown]
	v_add_f64 v[54:55], v[28:29], -v[56:57]
	v_mul_f64 v[26:27], v[62:63], v[26:27]
	v_add_f64 v[54:55], v[60:61], -v[54:55]
	v_add_f64 v[26:27], v[54:55], v[26:27]
	v_add_f64 v[54:55], v[28:29], v[26:27]
	v_add_f64 v[28:29], v[54:55], -v[28:29]
	s_mov_b32 s24, 0xbf559e2b
	v_add_f64 v[26:27], v[26:27], -v[28:29]
	v_mul_f64 v[28:29], v[54:55], v[54:55]
	v_mov_b32_e32 v56, 0x6b47b09a
	v_mov_b32_e32 v57, 0x3fc38538
	s_mov_b32 s25, 0x3fc3ab76
	v_fmac_f64_e32 v[56:57], s[24:25], v[28:29]
	v_mov_b32_e32 v58, 0xd7f4df2e
	v_mov_b32_e32 v59, 0x3fc7474d
	v_fmac_f64_e32 v[58:59], v[28:29], v[56:57]
	v_mov_b32_e32 v56, 0x16291751
	v_mov_b32_e32 v57, 0x3fcc71c0
	;; [unrolled: 3-line block ×5, first 2 shown]
	v_fmac_f64_e32 v[58:59], v[28:29], v[56:57]
	v_cvt_f64_i32_e32 v[56:57], v52
	s_mov_b32 s53, 0x3fe62e42
	v_mul_f64 v[60:61], v[56:57], s[52:53]
	v_fma_f64 v[62:63], v[56:57], s[52:53], -v[60:61]
	s_mov_b32 s55, 0x3c7abc9e
	v_fmac_f64_e32 v[62:63], s[54:55], v[56:57]
	v_add_f64 v[56:57], v[60:61], v[62:63]
	v_add_f64 v[60:61], v[56:57], -v[60:61]
	v_mul_f64 v[28:29], v[54:55], v[28:29]
	v_add_f64 v[60:61], v[62:63], -v[60:61]
	v_ldexp_f64 v[62:63], v[54:55], 1
	v_mul_f64 v[28:29], v[28:29], v[58:59]
	v_add_f64 v[54:55], v[62:63], v[28:29]
	v_add_f64 v[58:59], v[54:55], -v[62:63]
	v_ldexp_f64 v[26:27], v[26:27], 1
	v_add_f64 v[28:29], v[28:29], -v[58:59]
	v_add_f64 v[26:27], v[26:27], v[28:29]
	v_add_f64 v[28:29], v[54:55], v[26:27]
	v_add_f64 v[54:55], v[28:29], -v[54:55]
	v_add_f64 v[26:27], v[26:27], -v[54:55]
	v_add_f64 v[54:55], v[56:57], v[28:29]
	v_add_f64 v[58:59], v[54:55], -v[56:57]
	v_add_f64 v[62:63], v[54:55], -v[58:59]
	;; [unrolled: 1-line block ×4, first 2 shown]
	v_add_f64 v[28:29], v[28:29], v[56:57]
	v_add_f64 v[56:57], v[60:61], v[26:27]
	v_add_f64 v[58:59], v[56:57], -v[60:61]
	v_add_f64 v[28:29], v[56:57], v[28:29]
	v_add_f64 v[62:63], v[56:57], -v[58:59]
	;; [unrolled: 2-line block ×3, first 2 shown]
	v_add_f64 v[26:27], v[26:27], -v[58:59]
	v_add_f64 v[54:55], v[56:57], -v[54:55]
	v_add_f64 v[26:27], v[26:27], v[60:61]
	v_add_f64 v[28:29], v[28:29], -v[54:55]
	s_mov_b32 s24, 0
	v_add_f64 v[26:27], v[26:27], v[28:29]
	s_mov_b32 s25, 0x7ff00000
	v_add_f64 v[26:27], v[56:57], v[26:27]
	v_cmp_eq_f64_e64 s[24:25], s[24:25], v[22:23]
	v_cndmask_b32_e64 v26, v26, v22, s[24:25]
	v_cndmask_b32_e64 v27, v27, v23, s[24:25]
	v_mov_b32_e32 v28, 0x7ff80000
	v_cmp_ngt_f64_e64 s[24:25], -1.0, v[22:23]
	v_cndmask_b32_e64 v27, v28, v27, s[24:25]
	v_cmp_nge_f64_e64 s[24:25], -1.0, v[22:23]
	v_cndmask_b32_e64 v26, 0, v26, s[24:25]
	v_mov_b32_e32 v28, 0xfff00000
	v_cmp_neq_f64_e64 s[24:25], -1.0, v[22:23]
	v_cndmask_b32_e64 v27, v28, v27, s[24:25]
	v_add_f64 v[22:23], v[24:25], v[26:27]
.LBB68_82:
	s_or_b64 exec, exec, s[50:51]
.LBB68_83:
	s_or_b64 exec, exec, s[48:49]
	v_add_u32_e32 v24, -1, v53
	v_and_b32_e32 v25, 64, v53
	v_cmp_lt_i32_e64 s[24:25], v24, v25
	v_cndmask_b32_e64 v24, v24, v53, s[24:25]
	v_lshlrev_b32_e32 v24, 2, v24
	ds_bpermute_b32 v94, v24, v22
	ds_bpermute_b32 v95, v24, v23
	v_cmp_eq_u32_e64 s[24:25], 0, v53
	s_and_saveexec_b64 s[48:49], vcc
	s_cbranch_execz .LBB68_154
; %bb.84:
	v_mov_b32_e32 v25, 0
	ds_read_b64 v[22:23], v25 offset:8
	s_and_saveexec_b64 s[26:27], s[24:25]
	s_cbranch_execz .LBB68_86
; %bb.85:
	s_add_i32 s50, s77, 64
	s_mov_b32 s51, 0
	s_lshl_b64 s[50:51], s[50:51], 4
	s_add_u32 s50, s34, s50
	s_addc_u32 s51, s35, s51
	v_mov_b32_e32 v24, 1
	v_pk_mov_b32 v[26:27], s[50:51], s[50:51] op_sel:[0,1]
	s_waitcnt lgkmcnt(0)
	;;#ASMSTART
	global_store_dwordx4 v[26:27], v[22:25] off	
s_waitcnt vmcnt(0)
	;;#ASMEND
.LBB68_86:
	s_or_b64 exec, exec, s[26:27]
	v_xad_u32 v52, v53, -1, s77
	v_add_u32_e32 v24, 64, v52
	v_lshlrev_b64 v[26:27], 4, v[24:25]
	v_mov_b32_e32 v24, s35
	v_add_co_u32_e32 v54, vcc, s34, v26
	v_addc_co_u32_e32 v55, vcc, v24, v27, vcc
	;;#ASMSTART
	global_load_dwordx4 v[26:29], v[54:55] off glc	
s_waitcnt vmcnt(0)
	;;#ASMEND
	v_and_b32_e32 v24, 0xff, v27
	v_and_b32_e32 v29, 0xff00, v27
	v_or3_b32 v24, 0, v24, v29
	v_or3_b32 v26, v26, 0, 0
	v_and_b32_e32 v29, 0xff000000, v27
	v_and_b32_e32 v27, 0xff0000, v27
	v_or3_b32 v27, v24, v27, v29
	v_or3_b32 v26, v26, 0, 0
	v_cmp_eq_u16_sdwa s[50:51], v28, v25 src0_sel:BYTE_0 src1_sel:DWORD
	s_and_saveexec_b64 s[26:27], s[50:51]
	s_cbranch_execz .LBB68_90
; %bb.87:
	s_mov_b64 s[50:51], 0
	v_mov_b32_e32 v24, 0
.LBB68_88:                              ; =>This Inner Loop Header: Depth=1
	;;#ASMSTART
	global_load_dwordx4 v[26:29], v[54:55] off glc	
s_waitcnt vmcnt(0)
	;;#ASMEND
	v_cmp_ne_u16_sdwa s[52:53], v28, v24 src0_sel:BYTE_0 src1_sel:DWORD
	s_or_b64 s[50:51], s[52:53], s[50:51]
	s_andn2_b64 exec, exec, s[50:51]
	s_cbranch_execnz .LBB68_88
; %bb.89:
	s_or_b64 exec, exec, s[50:51]
.LBB68_90:
	s_or_b64 exec, exec, s[26:27]
	v_and_b32_e32 v96, 63, v53
	v_mov_b32_e32 v24, 2
	v_cmp_ne_u32_e32 vcc, 63, v96
	v_cmp_eq_u16_sdwa s[26:27], v28, v24 src0_sel:BYTE_0 src1_sel:DWORD
	v_lshlrev_b64 v[24:25], v53, -1
	v_addc_co_u32_e32 v54, vcc, 0, v53, vcc
	v_and_b32_e32 v29, s27, v25
	v_lshlrev_b32_e32 v97, 2, v54
	v_or_b32_e32 v29, 0x80000000, v29
	ds_bpermute_b32 v54, v97, v26
	ds_bpermute_b32 v55, v97, v27
	v_and_b32_e32 v56, s26, v24
	v_ffbl_b32_e32 v29, v29
	v_add_u32_e32 v29, 32, v29
	v_ffbl_b32_e32 v56, v56
	v_min_u32_e32 v29, v56, v29
	v_cmp_lt_u32_e32 vcc, v96, v29
	v_pk_mov_b32 v[86:87], v[26:27], v[26:27] op_sel:[0,1]
	s_and_saveexec_b64 s[50:51], vcc
	s_cbranch_execz .LBB68_94
; %bb.91:
	s_waitcnt lgkmcnt(0)
	v_max_f64 v[58:59], v[54:55], v[54:55]
	v_max_f64 v[60:61], v[26:27], v[26:27]
	v_min_f64 v[56:57], v[58:59], v[60:61]
	v_cmp_u_f64_e32 vcc, v[54:55], v[54:55]
	v_max_f64 v[58:59], v[58:59], v[60:61]
	v_cndmask_b32_e32 v56, v56, v54, vcc
	v_cndmask_b32_e32 v57, v57, v55, vcc
	v_cmp_u_f64_e64 s[26:27], v[26:27], v[26:27]
	v_cndmask_b32_e32 v58, v58, v54, vcc
	v_cndmask_b32_e32 v59, v59, v55, vcc
	v_cndmask_b32_e64 v57, v57, v27, s[26:27]
	v_cndmask_b32_e64 v56, v56, v26, s[26:27]
	;; [unrolled: 1-line block ×4, first 2 shown]
	s_movk_i32 s26, 0x1f8
	v_cmp_neq_f64_e32 vcc, v[56:57], v[26:27]
	v_cmp_class_f64_e64 s[26:27], v[56:57], s26
	s_or_b64 s[26:27], vcc, s[26:27]
	s_and_saveexec_b64 s[52:53], s[26:27]
	s_cbranch_execz .LBB68_93
; %bb.92:
	s_mov_b32 s26, 0x652b82fe
	v_add_f64 v[54:55], v[56:57], -v[26:27]
	s_mov_b32 s27, 0x3ff71547
	v_mul_f64 v[56:57], v[54:55], s[26:27]
	v_rndne_f64_e32 v[56:57], v[56:57]
	s_mov_b32 s55, 0xbfe62e42
	s_mov_b32 s54, 0xfefa39ef
	v_fma_f64 v[58:59], s[54:55], v[56:57], v[54:55]
	s_mov_b32 s57, 0xbc7abc9e
	s_mov_b32 s56, 0x3b39803f
	;; [unrolled: 1-line block ×3, first 2 shown]
	v_fmac_f64_e32 v[58:59], s[56:57], v[56:57]
	v_mov_b32_e32 v60, 0xfca7ab0c
	v_mov_b32_e32 v61, 0x3e928af3
	s_mov_b32 s27, 0x3e5ade15
	v_fmac_f64_e32 v[60:61], s[26:27], v[58:59]
	v_mov_b32_e32 v62, 0x623fde64
	v_mov_b32_e32 v63, 0x3ec71dee
	v_fmac_f64_e32 v[62:63], v[58:59], v[60:61]
	v_mov_b32_e32 v60, 0x7c89e6b0
	v_mov_b32_e32 v61, 0x3efa0199
	;; [unrolled: 3-line block ×8, first 2 shown]
	s_mov_b32 s26, 0
	v_fmac_f64_e32 v[60:61], v[58:59], v[62:63]
	s_mov_b32 s27, 0x40900000
	v_fma_f64 v[60:61], v[58:59], v[60:61], 1.0
	v_cmp_nlt_f64_e32 vcc, s[26:27], v[54:55]
	s_mov_b32 s26, 0
	v_fma_f64 v[58:59], v[58:59], v[60:61], 1.0
	v_cvt_i32_f64_e32 v56, v[56:57]
	s_mov_b32 s27, 0xc090cc00
	v_ldexp_f64 v[56:57], v[58:59], v56
	v_mov_b32_e32 v58, 0x7ff00000
	v_cmp_ngt_f64_e64 s[26:27], s[26:27], v[54:55]
	v_cndmask_b32_e32 v57, v58, v57, vcc
	s_and_b64 vcc, s[26:27], vcc
	v_cndmask_b32_e64 v55, 0, v57, s[26:27]
	v_cndmask_b32_e32 v54, 0, v56, vcc
	v_add_f64 v[56:57], v[54:55], 1.0
	v_add_f64 v[58:59], v[56:57], -1.0
	v_add_f64 v[60:61], v[58:59], -v[56:57]
	v_add_f64 v[60:61], v[60:61], 1.0
	v_add_f64 v[58:59], v[54:55], -v[58:59]
	s_mov_b32 s26, 0x55555555
	v_add_f64 v[58:59], v[58:59], v[60:61]
	v_frexp_mant_f64_e32 v[60:61], v[56:57]
	s_mov_b32 s27, 0x3fe55555
	v_frexp_exp_i32_f64_e32 v62, v[56:57]
	v_cmp_gt_f64_e32 vcc, s[26:27], v[60:61]
	v_subbrev_co_u32_e32 v76, vcc, 0, v62, vcc
	v_sub_u32_e32 v60, 0, v76
	v_ldexp_f64 v[56:57], v[56:57], v60
	v_ldexp_f64 v[58:59], v[58:59], v60
	v_add_f64 v[60:61], v[56:57], -1.0
	v_add_f64 v[66:67], v[56:57], 1.0
	v_add_f64 v[62:63], v[60:61], 1.0
	v_add_f64 v[68:69], v[66:67], -1.0
	v_add_f64 v[62:63], v[56:57], -v[62:63]
	v_add_f64 v[56:57], v[56:57], -v[68:69]
	v_add_f64 v[56:57], v[58:59], v[56:57]
	v_add_f64 v[62:63], v[58:59], v[62:63]
	;; [unrolled: 1-line block ×3, first 2 shown]
	v_rcp_f64_e32 v[68:69], v[58:59]
	v_add_f64 v[64:65], v[60:61], v[62:63]
	v_add_f64 v[60:61], v[64:65], -v[60:61]
	v_add_f64 v[60:61], v[62:63], -v[60:61]
	;; [unrolled: 1-line block ×4, first 2 shown]
	v_fma_f64 v[62:63], -v[58:59], v[68:69], 1.0
	v_fmac_f64_e32 v[68:69], v[62:63], v[68:69]
	v_fma_f64 v[62:63], -v[58:59], v[68:69], 1.0
	v_fmac_f64_e32 v[68:69], v[62:63], v[68:69]
	v_mul_f64 v[62:63], v[64:65], v[68:69]
	v_mul_f64 v[66:67], v[58:59], v[62:63]
	v_fma_f64 v[70:71], v[62:63], v[58:59], -v[66:67]
	v_fmac_f64_e32 v[70:71], v[62:63], v[56:57]
	v_add_f64 v[72:73], v[66:67], v[70:71]
	v_add_f64 v[74:75], v[64:65], -v[72:73]
	v_add_f64 v[64:65], v[64:65], -v[74:75]
	;; [unrolled: 1-line block ×4, first 2 shown]
	v_add_f64 v[60:61], v[60:61], v[64:65]
	v_add_f64 v[64:65], v[66:67], -v[70:71]
	v_add_f64 v[60:61], v[64:65], v[60:61]
	v_add_f64 v[64:65], v[74:75], v[60:61]
	v_add_f64 v[66:67], v[74:75], -v[64:65]
	v_add_f64 v[60:61], v[60:61], v[66:67]
	v_mul_f64 v[66:67], v[68:69], v[64:65]
	v_mul_f64 v[70:71], v[58:59], v[66:67]
	v_fma_f64 v[58:59], v[66:67], v[58:59], -v[70:71]
	v_fmac_f64_e32 v[58:59], v[66:67], v[56:57]
	v_add_f64 v[56:57], v[70:71], v[58:59]
	v_add_f64 v[72:73], v[64:65], -v[56:57]
	v_add_f64 v[64:65], v[64:65], -v[72:73]
	;; [unrolled: 1-line block ×4, first 2 shown]
	v_add_f64 v[56:57], v[60:61], v[56:57]
	v_add_f64 v[58:59], v[70:71], -v[58:59]
	v_add_f64 v[56:57], v[58:59], v[56:57]
	v_add_f64 v[58:59], v[62:63], v[66:67]
	;; [unrolled: 1-line block ×3, first 2 shown]
	v_add_f64 v[60:61], v[58:59], -v[62:63]
	v_mul_f64 v[56:57], v[68:69], v[56:57]
	v_add_f64 v[60:61], v[66:67], -v[60:61]
	v_add_f64 v[56:57], v[60:61], v[56:57]
	v_add_f64 v[60:61], v[58:59], v[56:57]
	v_add_f64 v[58:59], v[60:61], -v[58:59]
	s_mov_b32 s26, 0xbf559e2b
	v_add_f64 v[56:57], v[56:57], -v[58:59]
	v_mul_f64 v[58:59], v[60:61], v[60:61]
	v_mov_b32_e32 v62, 0x6b47b09a
	v_mov_b32_e32 v63, 0x3fc38538
	s_mov_b32 s27, 0x3fc3ab76
	v_fmac_f64_e32 v[62:63], s[26:27], v[58:59]
	v_mov_b32_e32 v64, 0xd7f4df2e
	v_mov_b32_e32 v65, 0x3fc7474d
	v_fmac_f64_e32 v[64:65], v[58:59], v[62:63]
	v_mov_b32_e32 v62, 0x16291751
	v_mov_b32_e32 v63, 0x3fcc71c0
	;; [unrolled: 3-line block ×5, first 2 shown]
	v_fmac_f64_e32 v[64:65], v[58:59], v[62:63]
	v_cvt_f64_i32_e32 v[62:63], v76
	s_mov_b32 s55, 0x3fe62e42
	v_mul_f64 v[66:67], v[62:63], s[54:55]
	v_fma_f64 v[68:69], v[62:63], s[54:55], -v[66:67]
	s_mov_b32 s57, 0x3c7abc9e
	v_fmac_f64_e32 v[68:69], s[56:57], v[62:63]
	v_add_f64 v[62:63], v[66:67], v[68:69]
	v_add_f64 v[66:67], v[62:63], -v[66:67]
	v_mul_f64 v[58:59], v[60:61], v[58:59]
	v_add_f64 v[66:67], v[68:69], -v[66:67]
	v_ldexp_f64 v[68:69], v[60:61], 1
	v_mul_f64 v[58:59], v[58:59], v[64:65]
	v_add_f64 v[60:61], v[68:69], v[58:59]
	v_add_f64 v[64:65], v[60:61], -v[68:69]
	v_ldexp_f64 v[56:57], v[56:57], 1
	v_add_f64 v[58:59], v[58:59], -v[64:65]
	v_add_f64 v[56:57], v[56:57], v[58:59]
	v_add_f64 v[58:59], v[60:61], v[56:57]
	v_add_f64 v[60:61], v[58:59], -v[60:61]
	v_add_f64 v[56:57], v[56:57], -v[60:61]
	v_add_f64 v[60:61], v[62:63], v[58:59]
	v_add_f64 v[64:65], v[60:61], -v[62:63]
	v_add_f64 v[68:69], v[60:61], -v[64:65]
	;; [unrolled: 1-line block ×4, first 2 shown]
	v_add_f64 v[58:59], v[58:59], v[62:63]
	v_add_f64 v[62:63], v[66:67], v[56:57]
	v_add_f64 v[64:65], v[62:63], -v[66:67]
	v_add_f64 v[58:59], v[62:63], v[58:59]
	v_add_f64 v[68:69], v[62:63], -v[64:65]
	;; [unrolled: 2-line block ×3, first 2 shown]
	v_add_f64 v[56:57], v[56:57], -v[64:65]
	v_add_f64 v[60:61], v[62:63], -v[60:61]
	v_add_f64 v[56:57], v[56:57], v[66:67]
	v_add_f64 v[58:59], v[58:59], -v[60:61]
	s_mov_b32 s26, 0
	v_add_f64 v[56:57], v[56:57], v[58:59]
	s_mov_b32 s27, 0x7ff00000
	v_add_f64 v[56:57], v[62:63], v[56:57]
	v_cmp_eq_f64_e32 vcc, s[26:27], v[54:55]
	v_cndmask_b32_e32 v56, v56, v54, vcc
	v_cndmask_b32_e32 v57, v57, v55, vcc
	v_mov_b32_e32 v58, 0x7ff80000
	v_cmp_ngt_f64_e32 vcc, -1.0, v[54:55]
	v_cndmask_b32_e32 v57, v58, v57, vcc
	v_cmp_nge_f64_e32 vcc, -1.0, v[54:55]
	v_cndmask_b32_e32 v56, 0, v56, vcc
	v_mov_b32_e32 v58, 0xfff00000
	v_cmp_neq_f64_e32 vcc, -1.0, v[54:55]
	v_cndmask_b32_e32 v57, v58, v57, vcc
	v_add_f64 v[54:55], v[26:27], v[56:57]
.LBB68_93:
	s_or_b64 exec, exec, s[52:53]
	v_mov_b32_e32 v26, v54
	v_mov_b32_e32 v27, v55
	v_pk_mov_b32 v[86:87], v[54:55], v[54:55] op_sel:[0,1]
.LBB68_94:
	s_or_b64 exec, exec, s[50:51]
	v_cmp_gt_u32_e32 vcc, 62, v96
	s_waitcnt lgkmcnt(1)
	v_cndmask_b32_e64 v54, 0, 1, vcc
	v_lshlrev_b32_e32 v54, 1, v54
	v_add_lshl_u32 v98, v54, v53, 2
	ds_bpermute_b32 v54, v98, v26
	s_waitcnt lgkmcnt(1)
	ds_bpermute_b32 v55, v98, v27
	v_add_u32_e32 v99, 2, v96
	v_cmp_le_u32_e32 vcc, v99, v29
	s_and_saveexec_b64 s[50:51], vcc
	s_cbranch_execz .LBB68_98
; %bb.95:
	s_waitcnt lgkmcnt(0)
	v_max_f64 v[26:27], v[54:55], v[54:55]
	v_max_f64 v[58:59], v[86:87], v[86:87]
	v_min_f64 v[56:57], v[26:27], v[58:59]
	v_cmp_u_f64_e32 vcc, v[54:55], v[54:55]
	v_max_f64 v[26:27], v[26:27], v[58:59]
	v_cndmask_b32_e32 v56, v56, v54, vcc
	v_cndmask_b32_e32 v57, v57, v55, vcc
	v_cmp_u_f64_e64 s[26:27], v[86:87], v[86:87]
	v_cndmask_b32_e32 v26, v26, v54, vcc
	v_cndmask_b32_e32 v27, v27, v55, vcc
	v_cndmask_b32_e64 v57, v57, v87, s[26:27]
	v_cndmask_b32_e64 v56, v56, v86, s[26:27]
	;; [unrolled: 1-line block ×4, first 2 shown]
	s_movk_i32 s26, 0x1f8
	v_cmp_neq_f64_e32 vcc, v[56:57], v[26:27]
	v_cmp_class_f64_e64 s[26:27], v[56:57], s26
	s_or_b64 s[26:27], vcc, s[26:27]
	s_and_saveexec_b64 s[52:53], s[26:27]
	s_cbranch_execz .LBB68_97
; %bb.96:
	s_mov_b32 s26, 0x652b82fe
	v_add_f64 v[54:55], v[56:57], -v[26:27]
	s_mov_b32 s27, 0x3ff71547
	v_mul_f64 v[56:57], v[54:55], s[26:27]
	v_rndne_f64_e32 v[56:57], v[56:57]
	s_mov_b32 s55, 0xbfe62e42
	s_mov_b32 s54, 0xfefa39ef
	v_fma_f64 v[58:59], s[54:55], v[56:57], v[54:55]
	s_mov_b32 s57, 0xbc7abc9e
	s_mov_b32 s56, 0x3b39803f
	;; [unrolled: 1-line block ×3, first 2 shown]
	v_fmac_f64_e32 v[58:59], s[56:57], v[56:57]
	v_mov_b32_e32 v60, 0xfca7ab0c
	v_mov_b32_e32 v61, 0x3e928af3
	s_mov_b32 s27, 0x3e5ade15
	v_fmac_f64_e32 v[60:61], s[26:27], v[58:59]
	v_mov_b32_e32 v62, 0x623fde64
	v_mov_b32_e32 v63, 0x3ec71dee
	v_fmac_f64_e32 v[62:63], v[58:59], v[60:61]
	v_mov_b32_e32 v60, 0x7c89e6b0
	v_mov_b32_e32 v61, 0x3efa0199
	;; [unrolled: 3-line block ×8, first 2 shown]
	s_mov_b32 s26, 0
	v_fmac_f64_e32 v[60:61], v[58:59], v[62:63]
	s_mov_b32 s27, 0x40900000
	v_fma_f64 v[60:61], v[58:59], v[60:61], 1.0
	v_cmp_nlt_f64_e32 vcc, s[26:27], v[54:55]
	s_mov_b32 s26, 0
	v_fma_f64 v[58:59], v[58:59], v[60:61], 1.0
	v_cvt_i32_f64_e32 v56, v[56:57]
	s_mov_b32 s27, 0xc090cc00
	v_ldexp_f64 v[56:57], v[58:59], v56
	v_mov_b32_e32 v58, 0x7ff00000
	v_cmp_ngt_f64_e64 s[26:27], s[26:27], v[54:55]
	v_cndmask_b32_e32 v57, v58, v57, vcc
	s_and_b64 vcc, s[26:27], vcc
	v_cndmask_b32_e64 v55, 0, v57, s[26:27]
	v_cndmask_b32_e32 v54, 0, v56, vcc
	v_add_f64 v[56:57], v[54:55], 1.0
	v_add_f64 v[58:59], v[56:57], -1.0
	v_add_f64 v[60:61], v[58:59], -v[56:57]
	v_add_f64 v[60:61], v[60:61], 1.0
	v_add_f64 v[58:59], v[54:55], -v[58:59]
	s_mov_b32 s26, 0x55555555
	v_add_f64 v[58:59], v[58:59], v[60:61]
	v_frexp_mant_f64_e32 v[60:61], v[56:57]
	s_mov_b32 s27, 0x3fe55555
	v_frexp_exp_i32_f64_e32 v62, v[56:57]
	v_cmp_gt_f64_e32 vcc, s[26:27], v[60:61]
	v_subbrev_co_u32_e32 v76, vcc, 0, v62, vcc
	v_sub_u32_e32 v60, 0, v76
	v_ldexp_f64 v[56:57], v[56:57], v60
	v_ldexp_f64 v[58:59], v[58:59], v60
	v_add_f64 v[60:61], v[56:57], -1.0
	v_add_f64 v[66:67], v[56:57], 1.0
	v_add_f64 v[62:63], v[60:61], 1.0
	v_add_f64 v[68:69], v[66:67], -1.0
	v_add_f64 v[62:63], v[56:57], -v[62:63]
	v_add_f64 v[56:57], v[56:57], -v[68:69]
	v_add_f64 v[56:57], v[58:59], v[56:57]
	v_add_f64 v[62:63], v[58:59], v[62:63]
	;; [unrolled: 1-line block ×3, first 2 shown]
	v_rcp_f64_e32 v[68:69], v[58:59]
	v_add_f64 v[64:65], v[60:61], v[62:63]
	v_add_f64 v[60:61], v[64:65], -v[60:61]
	v_add_f64 v[60:61], v[62:63], -v[60:61]
	;; [unrolled: 1-line block ×4, first 2 shown]
	v_fma_f64 v[62:63], -v[58:59], v[68:69], 1.0
	v_fmac_f64_e32 v[68:69], v[62:63], v[68:69]
	v_fma_f64 v[62:63], -v[58:59], v[68:69], 1.0
	v_fmac_f64_e32 v[68:69], v[62:63], v[68:69]
	v_mul_f64 v[62:63], v[64:65], v[68:69]
	v_mul_f64 v[66:67], v[58:59], v[62:63]
	v_fma_f64 v[70:71], v[62:63], v[58:59], -v[66:67]
	v_fmac_f64_e32 v[70:71], v[62:63], v[56:57]
	v_add_f64 v[72:73], v[66:67], v[70:71]
	v_add_f64 v[74:75], v[64:65], -v[72:73]
	v_add_f64 v[64:65], v[64:65], -v[74:75]
	;; [unrolled: 1-line block ×4, first 2 shown]
	v_add_f64 v[60:61], v[60:61], v[64:65]
	v_add_f64 v[64:65], v[66:67], -v[70:71]
	v_add_f64 v[60:61], v[64:65], v[60:61]
	v_add_f64 v[64:65], v[74:75], v[60:61]
	v_add_f64 v[66:67], v[74:75], -v[64:65]
	v_add_f64 v[60:61], v[60:61], v[66:67]
	v_mul_f64 v[66:67], v[68:69], v[64:65]
	v_mul_f64 v[70:71], v[58:59], v[66:67]
	v_fma_f64 v[58:59], v[66:67], v[58:59], -v[70:71]
	v_fmac_f64_e32 v[58:59], v[66:67], v[56:57]
	v_add_f64 v[56:57], v[70:71], v[58:59]
	v_add_f64 v[72:73], v[64:65], -v[56:57]
	v_add_f64 v[64:65], v[64:65], -v[72:73]
	;; [unrolled: 1-line block ×4, first 2 shown]
	v_add_f64 v[56:57], v[60:61], v[56:57]
	v_add_f64 v[58:59], v[70:71], -v[58:59]
	v_add_f64 v[56:57], v[58:59], v[56:57]
	v_add_f64 v[58:59], v[62:63], v[66:67]
	;; [unrolled: 1-line block ×3, first 2 shown]
	v_add_f64 v[60:61], v[58:59], -v[62:63]
	v_mul_f64 v[56:57], v[68:69], v[56:57]
	v_add_f64 v[60:61], v[66:67], -v[60:61]
	v_add_f64 v[56:57], v[60:61], v[56:57]
	v_add_f64 v[60:61], v[58:59], v[56:57]
	v_add_f64 v[58:59], v[60:61], -v[58:59]
	s_mov_b32 s26, 0xbf559e2b
	v_add_f64 v[56:57], v[56:57], -v[58:59]
	v_mul_f64 v[58:59], v[60:61], v[60:61]
	v_mov_b32_e32 v62, 0x6b47b09a
	v_mov_b32_e32 v63, 0x3fc38538
	s_mov_b32 s27, 0x3fc3ab76
	v_fmac_f64_e32 v[62:63], s[26:27], v[58:59]
	v_mov_b32_e32 v64, 0xd7f4df2e
	v_mov_b32_e32 v65, 0x3fc7474d
	v_fmac_f64_e32 v[64:65], v[58:59], v[62:63]
	v_mov_b32_e32 v62, 0x16291751
	v_mov_b32_e32 v63, 0x3fcc71c0
	;; [unrolled: 3-line block ×5, first 2 shown]
	v_fmac_f64_e32 v[64:65], v[58:59], v[62:63]
	v_cvt_f64_i32_e32 v[62:63], v76
	s_mov_b32 s55, 0x3fe62e42
	v_mul_f64 v[66:67], v[62:63], s[54:55]
	v_fma_f64 v[68:69], v[62:63], s[54:55], -v[66:67]
	s_mov_b32 s57, 0x3c7abc9e
	v_fmac_f64_e32 v[68:69], s[56:57], v[62:63]
	v_add_f64 v[62:63], v[66:67], v[68:69]
	v_add_f64 v[66:67], v[62:63], -v[66:67]
	v_mul_f64 v[58:59], v[60:61], v[58:59]
	v_add_f64 v[66:67], v[68:69], -v[66:67]
	v_ldexp_f64 v[68:69], v[60:61], 1
	v_mul_f64 v[58:59], v[58:59], v[64:65]
	v_add_f64 v[60:61], v[68:69], v[58:59]
	v_add_f64 v[64:65], v[60:61], -v[68:69]
	v_ldexp_f64 v[56:57], v[56:57], 1
	v_add_f64 v[58:59], v[58:59], -v[64:65]
	v_add_f64 v[56:57], v[56:57], v[58:59]
	v_add_f64 v[58:59], v[60:61], v[56:57]
	v_add_f64 v[60:61], v[58:59], -v[60:61]
	v_add_f64 v[56:57], v[56:57], -v[60:61]
	v_add_f64 v[60:61], v[62:63], v[58:59]
	v_add_f64 v[64:65], v[60:61], -v[62:63]
	v_add_f64 v[68:69], v[60:61], -v[64:65]
	;; [unrolled: 1-line block ×4, first 2 shown]
	v_add_f64 v[58:59], v[58:59], v[62:63]
	v_add_f64 v[62:63], v[66:67], v[56:57]
	v_add_f64 v[64:65], v[62:63], -v[66:67]
	v_add_f64 v[58:59], v[62:63], v[58:59]
	v_add_f64 v[68:69], v[62:63], -v[64:65]
	;; [unrolled: 2-line block ×3, first 2 shown]
	v_add_f64 v[56:57], v[56:57], -v[64:65]
	v_add_f64 v[60:61], v[62:63], -v[60:61]
	v_add_f64 v[56:57], v[56:57], v[66:67]
	v_add_f64 v[58:59], v[58:59], -v[60:61]
	s_mov_b32 s26, 0
	v_add_f64 v[56:57], v[56:57], v[58:59]
	s_mov_b32 s27, 0x7ff00000
	v_add_f64 v[56:57], v[62:63], v[56:57]
	v_cmp_eq_f64_e32 vcc, s[26:27], v[54:55]
	v_cndmask_b32_e32 v56, v56, v54, vcc
	v_cndmask_b32_e32 v57, v57, v55, vcc
	v_mov_b32_e32 v58, 0x7ff80000
	v_cmp_ngt_f64_e32 vcc, -1.0, v[54:55]
	v_cndmask_b32_e32 v57, v58, v57, vcc
	v_cmp_nge_f64_e32 vcc, -1.0, v[54:55]
	v_cndmask_b32_e32 v56, 0, v56, vcc
	v_mov_b32_e32 v58, 0xfff00000
	v_cmp_neq_f64_e32 vcc, -1.0, v[54:55]
	v_cndmask_b32_e32 v57, v58, v57, vcc
	v_add_f64 v[54:55], v[26:27], v[56:57]
.LBB68_97:
	s_or_b64 exec, exec, s[52:53]
	v_mov_b32_e32 v26, v54
	v_mov_b32_e32 v27, v55
	v_pk_mov_b32 v[86:87], v[54:55], v[54:55] op_sel:[0,1]
.LBB68_98:
	s_or_b64 exec, exec, s[50:51]
	v_cmp_gt_u32_e32 vcc, 60, v96
	s_waitcnt lgkmcnt(1)
	v_cndmask_b32_e64 v54, 0, 1, vcc
	v_lshlrev_b32_e32 v54, 2, v54
	v_add_lshl_u32 v100, v54, v53, 2
	ds_bpermute_b32 v54, v100, v26
	s_waitcnt lgkmcnt(1)
	ds_bpermute_b32 v55, v100, v27
	v_add_u32_e32 v101, 4, v96
	v_cmp_le_u32_e32 vcc, v101, v29
	s_and_saveexec_b64 s[50:51], vcc
	s_cbranch_execz .LBB68_102
; %bb.99:
	s_waitcnt lgkmcnt(0)
	v_max_f64 v[26:27], v[54:55], v[54:55]
	v_max_f64 v[58:59], v[86:87], v[86:87]
	v_min_f64 v[56:57], v[26:27], v[58:59]
	v_cmp_u_f64_e32 vcc, v[54:55], v[54:55]
	v_max_f64 v[26:27], v[26:27], v[58:59]
	v_cndmask_b32_e32 v56, v56, v54, vcc
	v_cndmask_b32_e32 v57, v57, v55, vcc
	v_cmp_u_f64_e64 s[26:27], v[86:87], v[86:87]
	v_cndmask_b32_e32 v26, v26, v54, vcc
	v_cndmask_b32_e32 v27, v27, v55, vcc
	v_cndmask_b32_e64 v57, v57, v87, s[26:27]
	v_cndmask_b32_e64 v56, v56, v86, s[26:27]
	;; [unrolled: 1-line block ×4, first 2 shown]
	s_movk_i32 s26, 0x1f8
	v_cmp_neq_f64_e32 vcc, v[56:57], v[26:27]
	v_cmp_class_f64_e64 s[26:27], v[56:57], s26
	s_or_b64 s[26:27], vcc, s[26:27]
	s_and_saveexec_b64 s[52:53], s[26:27]
	s_cbranch_execz .LBB68_101
; %bb.100:
	s_mov_b32 s26, 0x652b82fe
	v_add_f64 v[54:55], v[56:57], -v[26:27]
	s_mov_b32 s27, 0x3ff71547
	v_mul_f64 v[56:57], v[54:55], s[26:27]
	v_rndne_f64_e32 v[56:57], v[56:57]
	s_mov_b32 s55, 0xbfe62e42
	s_mov_b32 s54, 0xfefa39ef
	v_fma_f64 v[58:59], s[54:55], v[56:57], v[54:55]
	s_mov_b32 s57, 0xbc7abc9e
	s_mov_b32 s56, 0x3b39803f
	;; [unrolled: 1-line block ×3, first 2 shown]
	v_fmac_f64_e32 v[58:59], s[56:57], v[56:57]
	v_mov_b32_e32 v60, 0xfca7ab0c
	v_mov_b32_e32 v61, 0x3e928af3
	s_mov_b32 s27, 0x3e5ade15
	v_fmac_f64_e32 v[60:61], s[26:27], v[58:59]
	v_mov_b32_e32 v62, 0x623fde64
	v_mov_b32_e32 v63, 0x3ec71dee
	v_fmac_f64_e32 v[62:63], v[58:59], v[60:61]
	v_mov_b32_e32 v60, 0x7c89e6b0
	v_mov_b32_e32 v61, 0x3efa0199
	v_fmac_f64_e32 v[60:61], v[58:59], v[62:63]
	v_mov_b32_e32 v62, 0x14761f6e
	v_mov_b32_e32 v63, 0x3f2a01a0
	v_fmac_f64_e32 v[62:63], v[58:59], v[60:61]
	v_mov_b32_e32 v60, 0x1852b7b0
	v_mov_b32_e32 v61, 0x3f56c16c
	v_fmac_f64_e32 v[60:61], v[58:59], v[62:63]
	v_mov_b32_e32 v62, 0x11122322
	v_mov_b32_e32 v63, 0x3f811111
	v_fmac_f64_e32 v[62:63], v[58:59], v[60:61]
	v_mov_b32_e32 v60, 0x555502a1
	v_mov_b32_e32 v61, 0x3fa55555
	v_fmac_f64_e32 v[60:61], v[58:59], v[62:63]
	v_mov_b32_e32 v62, 0x55555511
	v_mov_b32_e32 v63, 0x3fc55555
	v_fmac_f64_e32 v[62:63], v[58:59], v[60:61]
	v_mov_b32_e32 v60, 11
	v_mov_b32_e32 v61, 0x3fe00000
	s_mov_b32 s26, 0
	v_fmac_f64_e32 v[60:61], v[58:59], v[62:63]
	s_mov_b32 s27, 0x40900000
	v_fma_f64 v[60:61], v[58:59], v[60:61], 1.0
	v_cmp_nlt_f64_e32 vcc, s[26:27], v[54:55]
	s_mov_b32 s26, 0
	v_fma_f64 v[58:59], v[58:59], v[60:61], 1.0
	v_cvt_i32_f64_e32 v56, v[56:57]
	s_mov_b32 s27, 0xc090cc00
	v_ldexp_f64 v[56:57], v[58:59], v56
	v_mov_b32_e32 v58, 0x7ff00000
	v_cmp_ngt_f64_e64 s[26:27], s[26:27], v[54:55]
	v_cndmask_b32_e32 v57, v58, v57, vcc
	s_and_b64 vcc, s[26:27], vcc
	v_cndmask_b32_e64 v55, 0, v57, s[26:27]
	v_cndmask_b32_e32 v54, 0, v56, vcc
	v_add_f64 v[56:57], v[54:55], 1.0
	v_add_f64 v[58:59], v[56:57], -1.0
	v_add_f64 v[60:61], v[58:59], -v[56:57]
	v_add_f64 v[60:61], v[60:61], 1.0
	v_add_f64 v[58:59], v[54:55], -v[58:59]
	s_mov_b32 s26, 0x55555555
	v_add_f64 v[58:59], v[58:59], v[60:61]
	v_frexp_mant_f64_e32 v[60:61], v[56:57]
	s_mov_b32 s27, 0x3fe55555
	v_frexp_exp_i32_f64_e32 v62, v[56:57]
	v_cmp_gt_f64_e32 vcc, s[26:27], v[60:61]
	v_subbrev_co_u32_e32 v76, vcc, 0, v62, vcc
	v_sub_u32_e32 v60, 0, v76
	v_ldexp_f64 v[56:57], v[56:57], v60
	v_ldexp_f64 v[58:59], v[58:59], v60
	v_add_f64 v[60:61], v[56:57], -1.0
	v_add_f64 v[66:67], v[56:57], 1.0
	v_add_f64 v[62:63], v[60:61], 1.0
	v_add_f64 v[68:69], v[66:67], -1.0
	v_add_f64 v[62:63], v[56:57], -v[62:63]
	v_add_f64 v[56:57], v[56:57], -v[68:69]
	v_add_f64 v[56:57], v[58:59], v[56:57]
	v_add_f64 v[62:63], v[58:59], v[62:63]
	;; [unrolled: 1-line block ×3, first 2 shown]
	v_rcp_f64_e32 v[68:69], v[58:59]
	v_add_f64 v[64:65], v[60:61], v[62:63]
	v_add_f64 v[60:61], v[64:65], -v[60:61]
	v_add_f64 v[60:61], v[62:63], -v[60:61]
	;; [unrolled: 1-line block ×4, first 2 shown]
	v_fma_f64 v[62:63], -v[58:59], v[68:69], 1.0
	v_fmac_f64_e32 v[68:69], v[62:63], v[68:69]
	v_fma_f64 v[62:63], -v[58:59], v[68:69], 1.0
	v_fmac_f64_e32 v[68:69], v[62:63], v[68:69]
	v_mul_f64 v[62:63], v[64:65], v[68:69]
	v_mul_f64 v[66:67], v[58:59], v[62:63]
	v_fma_f64 v[70:71], v[62:63], v[58:59], -v[66:67]
	v_fmac_f64_e32 v[70:71], v[62:63], v[56:57]
	v_add_f64 v[72:73], v[66:67], v[70:71]
	v_add_f64 v[74:75], v[64:65], -v[72:73]
	v_add_f64 v[64:65], v[64:65], -v[74:75]
	;; [unrolled: 1-line block ×4, first 2 shown]
	v_add_f64 v[60:61], v[60:61], v[64:65]
	v_add_f64 v[64:65], v[66:67], -v[70:71]
	v_add_f64 v[60:61], v[64:65], v[60:61]
	v_add_f64 v[64:65], v[74:75], v[60:61]
	v_add_f64 v[66:67], v[74:75], -v[64:65]
	v_add_f64 v[60:61], v[60:61], v[66:67]
	v_mul_f64 v[66:67], v[68:69], v[64:65]
	v_mul_f64 v[70:71], v[58:59], v[66:67]
	v_fma_f64 v[58:59], v[66:67], v[58:59], -v[70:71]
	v_fmac_f64_e32 v[58:59], v[66:67], v[56:57]
	v_add_f64 v[56:57], v[70:71], v[58:59]
	v_add_f64 v[72:73], v[64:65], -v[56:57]
	v_add_f64 v[64:65], v[64:65], -v[72:73]
	;; [unrolled: 1-line block ×4, first 2 shown]
	v_add_f64 v[56:57], v[60:61], v[56:57]
	v_add_f64 v[58:59], v[70:71], -v[58:59]
	v_add_f64 v[56:57], v[58:59], v[56:57]
	v_add_f64 v[58:59], v[62:63], v[66:67]
	;; [unrolled: 1-line block ×3, first 2 shown]
	v_add_f64 v[60:61], v[58:59], -v[62:63]
	v_mul_f64 v[56:57], v[68:69], v[56:57]
	v_add_f64 v[60:61], v[66:67], -v[60:61]
	v_add_f64 v[56:57], v[60:61], v[56:57]
	v_add_f64 v[60:61], v[58:59], v[56:57]
	v_add_f64 v[58:59], v[60:61], -v[58:59]
	s_mov_b32 s26, 0xbf559e2b
	v_add_f64 v[56:57], v[56:57], -v[58:59]
	v_mul_f64 v[58:59], v[60:61], v[60:61]
	v_mov_b32_e32 v62, 0x6b47b09a
	v_mov_b32_e32 v63, 0x3fc38538
	s_mov_b32 s27, 0x3fc3ab76
	v_fmac_f64_e32 v[62:63], s[26:27], v[58:59]
	v_mov_b32_e32 v64, 0xd7f4df2e
	v_mov_b32_e32 v65, 0x3fc7474d
	v_fmac_f64_e32 v[64:65], v[58:59], v[62:63]
	v_mov_b32_e32 v62, 0x16291751
	v_mov_b32_e32 v63, 0x3fcc71c0
	v_fmac_f64_e32 v[62:63], v[58:59], v[64:65]
	v_mov_b32_e32 v64, 0x9b27acf1
	v_mov_b32_e32 v65, 0x3fd24924
	v_fmac_f64_e32 v[64:65], v[58:59], v[62:63]
	v_mov_b32_e32 v62, 0x998ef7b6
	v_mov_b32_e32 v63, 0x3fd99999
	v_fmac_f64_e32 v[62:63], v[58:59], v[64:65]
	v_mov_b32_e32 v64, 0x55555780
	v_mov_b32_e32 v65, 0x3fe55555
	v_fmac_f64_e32 v[64:65], v[58:59], v[62:63]
	v_cvt_f64_i32_e32 v[62:63], v76
	s_mov_b32 s55, 0x3fe62e42
	v_mul_f64 v[66:67], v[62:63], s[54:55]
	v_fma_f64 v[68:69], v[62:63], s[54:55], -v[66:67]
	s_mov_b32 s57, 0x3c7abc9e
	v_fmac_f64_e32 v[68:69], s[56:57], v[62:63]
	v_add_f64 v[62:63], v[66:67], v[68:69]
	v_add_f64 v[66:67], v[62:63], -v[66:67]
	v_mul_f64 v[58:59], v[60:61], v[58:59]
	v_add_f64 v[66:67], v[68:69], -v[66:67]
	v_ldexp_f64 v[68:69], v[60:61], 1
	v_mul_f64 v[58:59], v[58:59], v[64:65]
	v_add_f64 v[60:61], v[68:69], v[58:59]
	v_add_f64 v[64:65], v[60:61], -v[68:69]
	v_ldexp_f64 v[56:57], v[56:57], 1
	v_add_f64 v[58:59], v[58:59], -v[64:65]
	v_add_f64 v[56:57], v[56:57], v[58:59]
	v_add_f64 v[58:59], v[60:61], v[56:57]
	v_add_f64 v[60:61], v[58:59], -v[60:61]
	v_add_f64 v[56:57], v[56:57], -v[60:61]
	v_add_f64 v[60:61], v[62:63], v[58:59]
	v_add_f64 v[64:65], v[60:61], -v[62:63]
	v_add_f64 v[68:69], v[60:61], -v[64:65]
	;; [unrolled: 1-line block ×4, first 2 shown]
	v_add_f64 v[58:59], v[58:59], v[62:63]
	v_add_f64 v[62:63], v[66:67], v[56:57]
	v_add_f64 v[64:65], v[62:63], -v[66:67]
	v_add_f64 v[58:59], v[62:63], v[58:59]
	v_add_f64 v[68:69], v[62:63], -v[64:65]
	;; [unrolled: 2-line block ×3, first 2 shown]
	v_add_f64 v[56:57], v[56:57], -v[64:65]
	v_add_f64 v[60:61], v[62:63], -v[60:61]
	v_add_f64 v[56:57], v[56:57], v[66:67]
	v_add_f64 v[58:59], v[58:59], -v[60:61]
	s_mov_b32 s26, 0
	v_add_f64 v[56:57], v[56:57], v[58:59]
	s_mov_b32 s27, 0x7ff00000
	v_add_f64 v[56:57], v[62:63], v[56:57]
	v_cmp_eq_f64_e32 vcc, s[26:27], v[54:55]
	v_cndmask_b32_e32 v56, v56, v54, vcc
	v_cndmask_b32_e32 v57, v57, v55, vcc
	v_mov_b32_e32 v58, 0x7ff80000
	v_cmp_ngt_f64_e32 vcc, -1.0, v[54:55]
	v_cndmask_b32_e32 v57, v58, v57, vcc
	v_cmp_nge_f64_e32 vcc, -1.0, v[54:55]
	v_cndmask_b32_e32 v56, 0, v56, vcc
	v_mov_b32_e32 v58, 0xfff00000
	v_cmp_neq_f64_e32 vcc, -1.0, v[54:55]
	v_cndmask_b32_e32 v57, v58, v57, vcc
	v_add_f64 v[54:55], v[26:27], v[56:57]
.LBB68_101:
	s_or_b64 exec, exec, s[52:53]
	v_mov_b32_e32 v26, v54
	v_mov_b32_e32 v27, v55
	v_pk_mov_b32 v[86:87], v[54:55], v[54:55] op_sel:[0,1]
.LBB68_102:
	s_or_b64 exec, exec, s[50:51]
	v_cmp_gt_u32_e32 vcc, 56, v96
	s_waitcnt lgkmcnt(1)
	v_cndmask_b32_e64 v54, 0, 1, vcc
	v_lshlrev_b32_e32 v54, 3, v54
	v_add_lshl_u32 v102, v54, v53, 2
	ds_bpermute_b32 v54, v102, v26
	s_waitcnt lgkmcnt(1)
	ds_bpermute_b32 v55, v102, v27
	v_add_u32_e32 v103, 8, v96
	v_cmp_le_u32_e32 vcc, v103, v29
	s_and_saveexec_b64 s[50:51], vcc
	s_cbranch_execz .LBB68_106
; %bb.103:
	s_waitcnt lgkmcnt(0)
	v_max_f64 v[26:27], v[54:55], v[54:55]
	v_max_f64 v[58:59], v[86:87], v[86:87]
	v_min_f64 v[56:57], v[26:27], v[58:59]
	v_cmp_u_f64_e32 vcc, v[54:55], v[54:55]
	v_max_f64 v[26:27], v[26:27], v[58:59]
	v_cndmask_b32_e32 v56, v56, v54, vcc
	v_cndmask_b32_e32 v57, v57, v55, vcc
	v_cmp_u_f64_e64 s[26:27], v[86:87], v[86:87]
	v_cndmask_b32_e32 v26, v26, v54, vcc
	v_cndmask_b32_e32 v27, v27, v55, vcc
	v_cndmask_b32_e64 v57, v57, v87, s[26:27]
	v_cndmask_b32_e64 v56, v56, v86, s[26:27]
	;; [unrolled: 1-line block ×4, first 2 shown]
	s_movk_i32 s26, 0x1f8
	v_cmp_neq_f64_e32 vcc, v[56:57], v[26:27]
	v_cmp_class_f64_e64 s[26:27], v[56:57], s26
	s_or_b64 s[26:27], vcc, s[26:27]
	s_and_saveexec_b64 s[52:53], s[26:27]
	s_cbranch_execz .LBB68_105
; %bb.104:
	s_mov_b32 s26, 0x652b82fe
	v_add_f64 v[54:55], v[56:57], -v[26:27]
	s_mov_b32 s27, 0x3ff71547
	v_mul_f64 v[56:57], v[54:55], s[26:27]
	v_rndne_f64_e32 v[56:57], v[56:57]
	s_mov_b32 s55, 0xbfe62e42
	s_mov_b32 s54, 0xfefa39ef
	v_fma_f64 v[58:59], s[54:55], v[56:57], v[54:55]
	s_mov_b32 s57, 0xbc7abc9e
	s_mov_b32 s56, 0x3b39803f
	s_mov_b32 s26, 0x6a5dcb37
	v_fmac_f64_e32 v[58:59], s[56:57], v[56:57]
	v_mov_b32_e32 v60, 0xfca7ab0c
	v_mov_b32_e32 v61, 0x3e928af3
	s_mov_b32 s27, 0x3e5ade15
	v_fmac_f64_e32 v[60:61], s[26:27], v[58:59]
	v_mov_b32_e32 v62, 0x623fde64
	v_mov_b32_e32 v63, 0x3ec71dee
	v_fmac_f64_e32 v[62:63], v[58:59], v[60:61]
	v_mov_b32_e32 v60, 0x7c89e6b0
	v_mov_b32_e32 v61, 0x3efa0199
	;; [unrolled: 3-line block ×8, first 2 shown]
	s_mov_b32 s26, 0
	v_fmac_f64_e32 v[60:61], v[58:59], v[62:63]
	s_mov_b32 s27, 0x40900000
	v_fma_f64 v[60:61], v[58:59], v[60:61], 1.0
	v_cmp_nlt_f64_e32 vcc, s[26:27], v[54:55]
	s_mov_b32 s26, 0
	v_fma_f64 v[58:59], v[58:59], v[60:61], 1.0
	v_cvt_i32_f64_e32 v56, v[56:57]
	s_mov_b32 s27, 0xc090cc00
	v_ldexp_f64 v[56:57], v[58:59], v56
	v_mov_b32_e32 v58, 0x7ff00000
	v_cmp_ngt_f64_e64 s[26:27], s[26:27], v[54:55]
	v_cndmask_b32_e32 v57, v58, v57, vcc
	s_and_b64 vcc, s[26:27], vcc
	v_cndmask_b32_e64 v55, 0, v57, s[26:27]
	v_cndmask_b32_e32 v54, 0, v56, vcc
	v_add_f64 v[56:57], v[54:55], 1.0
	v_add_f64 v[58:59], v[56:57], -1.0
	v_add_f64 v[60:61], v[58:59], -v[56:57]
	v_add_f64 v[60:61], v[60:61], 1.0
	v_add_f64 v[58:59], v[54:55], -v[58:59]
	s_mov_b32 s26, 0x55555555
	v_add_f64 v[58:59], v[58:59], v[60:61]
	v_frexp_mant_f64_e32 v[60:61], v[56:57]
	s_mov_b32 s27, 0x3fe55555
	v_frexp_exp_i32_f64_e32 v62, v[56:57]
	v_cmp_gt_f64_e32 vcc, s[26:27], v[60:61]
	v_subbrev_co_u32_e32 v76, vcc, 0, v62, vcc
	v_sub_u32_e32 v60, 0, v76
	v_ldexp_f64 v[56:57], v[56:57], v60
	v_ldexp_f64 v[58:59], v[58:59], v60
	v_add_f64 v[60:61], v[56:57], -1.0
	v_add_f64 v[66:67], v[56:57], 1.0
	v_add_f64 v[62:63], v[60:61], 1.0
	v_add_f64 v[68:69], v[66:67], -1.0
	v_add_f64 v[62:63], v[56:57], -v[62:63]
	v_add_f64 v[56:57], v[56:57], -v[68:69]
	v_add_f64 v[56:57], v[58:59], v[56:57]
	v_add_f64 v[62:63], v[58:59], v[62:63]
	;; [unrolled: 1-line block ×3, first 2 shown]
	v_rcp_f64_e32 v[68:69], v[58:59]
	v_add_f64 v[64:65], v[60:61], v[62:63]
	v_add_f64 v[60:61], v[64:65], -v[60:61]
	v_add_f64 v[60:61], v[62:63], -v[60:61]
	;; [unrolled: 1-line block ×4, first 2 shown]
	v_fma_f64 v[62:63], -v[58:59], v[68:69], 1.0
	v_fmac_f64_e32 v[68:69], v[62:63], v[68:69]
	v_fma_f64 v[62:63], -v[58:59], v[68:69], 1.0
	v_fmac_f64_e32 v[68:69], v[62:63], v[68:69]
	v_mul_f64 v[62:63], v[64:65], v[68:69]
	v_mul_f64 v[66:67], v[58:59], v[62:63]
	v_fma_f64 v[70:71], v[62:63], v[58:59], -v[66:67]
	v_fmac_f64_e32 v[70:71], v[62:63], v[56:57]
	v_add_f64 v[72:73], v[66:67], v[70:71]
	v_add_f64 v[74:75], v[64:65], -v[72:73]
	v_add_f64 v[64:65], v[64:65], -v[74:75]
	;; [unrolled: 1-line block ×4, first 2 shown]
	v_add_f64 v[60:61], v[60:61], v[64:65]
	v_add_f64 v[64:65], v[66:67], -v[70:71]
	v_add_f64 v[60:61], v[64:65], v[60:61]
	v_add_f64 v[64:65], v[74:75], v[60:61]
	v_add_f64 v[66:67], v[74:75], -v[64:65]
	v_add_f64 v[60:61], v[60:61], v[66:67]
	v_mul_f64 v[66:67], v[68:69], v[64:65]
	v_mul_f64 v[70:71], v[58:59], v[66:67]
	v_fma_f64 v[58:59], v[66:67], v[58:59], -v[70:71]
	v_fmac_f64_e32 v[58:59], v[66:67], v[56:57]
	v_add_f64 v[56:57], v[70:71], v[58:59]
	v_add_f64 v[72:73], v[64:65], -v[56:57]
	v_add_f64 v[64:65], v[64:65], -v[72:73]
	;; [unrolled: 1-line block ×4, first 2 shown]
	v_add_f64 v[56:57], v[60:61], v[56:57]
	v_add_f64 v[58:59], v[70:71], -v[58:59]
	v_add_f64 v[56:57], v[58:59], v[56:57]
	v_add_f64 v[58:59], v[62:63], v[66:67]
	;; [unrolled: 1-line block ×3, first 2 shown]
	v_add_f64 v[60:61], v[58:59], -v[62:63]
	v_mul_f64 v[56:57], v[68:69], v[56:57]
	v_add_f64 v[60:61], v[66:67], -v[60:61]
	v_add_f64 v[56:57], v[60:61], v[56:57]
	v_add_f64 v[60:61], v[58:59], v[56:57]
	v_add_f64 v[58:59], v[60:61], -v[58:59]
	s_mov_b32 s26, 0xbf559e2b
	v_add_f64 v[56:57], v[56:57], -v[58:59]
	v_mul_f64 v[58:59], v[60:61], v[60:61]
	v_mov_b32_e32 v62, 0x6b47b09a
	v_mov_b32_e32 v63, 0x3fc38538
	s_mov_b32 s27, 0x3fc3ab76
	v_fmac_f64_e32 v[62:63], s[26:27], v[58:59]
	v_mov_b32_e32 v64, 0xd7f4df2e
	v_mov_b32_e32 v65, 0x3fc7474d
	v_fmac_f64_e32 v[64:65], v[58:59], v[62:63]
	v_mov_b32_e32 v62, 0x16291751
	v_mov_b32_e32 v63, 0x3fcc71c0
	;; [unrolled: 3-line block ×5, first 2 shown]
	v_fmac_f64_e32 v[64:65], v[58:59], v[62:63]
	v_cvt_f64_i32_e32 v[62:63], v76
	s_mov_b32 s55, 0x3fe62e42
	v_mul_f64 v[66:67], v[62:63], s[54:55]
	v_fma_f64 v[68:69], v[62:63], s[54:55], -v[66:67]
	s_mov_b32 s57, 0x3c7abc9e
	v_fmac_f64_e32 v[68:69], s[56:57], v[62:63]
	v_add_f64 v[62:63], v[66:67], v[68:69]
	v_add_f64 v[66:67], v[62:63], -v[66:67]
	v_mul_f64 v[58:59], v[60:61], v[58:59]
	v_add_f64 v[66:67], v[68:69], -v[66:67]
	v_ldexp_f64 v[68:69], v[60:61], 1
	v_mul_f64 v[58:59], v[58:59], v[64:65]
	v_add_f64 v[60:61], v[68:69], v[58:59]
	v_add_f64 v[64:65], v[60:61], -v[68:69]
	v_ldexp_f64 v[56:57], v[56:57], 1
	v_add_f64 v[58:59], v[58:59], -v[64:65]
	v_add_f64 v[56:57], v[56:57], v[58:59]
	v_add_f64 v[58:59], v[60:61], v[56:57]
	v_add_f64 v[60:61], v[58:59], -v[60:61]
	v_add_f64 v[56:57], v[56:57], -v[60:61]
	v_add_f64 v[60:61], v[62:63], v[58:59]
	v_add_f64 v[64:65], v[60:61], -v[62:63]
	v_add_f64 v[68:69], v[60:61], -v[64:65]
	;; [unrolled: 1-line block ×4, first 2 shown]
	v_add_f64 v[58:59], v[58:59], v[62:63]
	v_add_f64 v[62:63], v[66:67], v[56:57]
	v_add_f64 v[64:65], v[62:63], -v[66:67]
	v_add_f64 v[58:59], v[62:63], v[58:59]
	v_add_f64 v[68:69], v[62:63], -v[64:65]
	;; [unrolled: 2-line block ×3, first 2 shown]
	v_add_f64 v[56:57], v[56:57], -v[64:65]
	v_add_f64 v[60:61], v[62:63], -v[60:61]
	v_add_f64 v[56:57], v[56:57], v[66:67]
	v_add_f64 v[58:59], v[58:59], -v[60:61]
	s_mov_b32 s26, 0
	v_add_f64 v[56:57], v[56:57], v[58:59]
	s_mov_b32 s27, 0x7ff00000
	v_add_f64 v[56:57], v[62:63], v[56:57]
	v_cmp_eq_f64_e32 vcc, s[26:27], v[54:55]
	v_cndmask_b32_e32 v56, v56, v54, vcc
	v_cndmask_b32_e32 v57, v57, v55, vcc
	v_mov_b32_e32 v58, 0x7ff80000
	v_cmp_ngt_f64_e32 vcc, -1.0, v[54:55]
	v_cndmask_b32_e32 v57, v58, v57, vcc
	v_cmp_nge_f64_e32 vcc, -1.0, v[54:55]
	v_cndmask_b32_e32 v56, 0, v56, vcc
	v_mov_b32_e32 v58, 0xfff00000
	v_cmp_neq_f64_e32 vcc, -1.0, v[54:55]
	v_cndmask_b32_e32 v57, v58, v57, vcc
	v_add_f64 v[54:55], v[26:27], v[56:57]
.LBB68_105:
	s_or_b64 exec, exec, s[52:53]
	v_mov_b32_e32 v26, v54
	v_mov_b32_e32 v27, v55
	v_pk_mov_b32 v[86:87], v[54:55], v[54:55] op_sel:[0,1]
.LBB68_106:
	s_or_b64 exec, exec, s[50:51]
	v_cmp_gt_u32_e32 vcc, 48, v96
	s_waitcnt lgkmcnt(1)
	v_cndmask_b32_e64 v54, 0, 1, vcc
	v_lshlrev_b32_e32 v54, 4, v54
	v_add_lshl_u32 v104, v54, v53, 2
	ds_bpermute_b32 v54, v104, v26
	s_waitcnt lgkmcnt(1)
	ds_bpermute_b32 v55, v104, v27
	v_add_u32_e32 v105, 16, v96
	v_cmp_le_u32_e32 vcc, v105, v29
	s_and_saveexec_b64 s[50:51], vcc
	s_cbranch_execz .LBB68_110
; %bb.107:
	s_waitcnt lgkmcnt(0)
	v_max_f64 v[26:27], v[54:55], v[54:55]
	v_max_f64 v[58:59], v[86:87], v[86:87]
	v_min_f64 v[56:57], v[26:27], v[58:59]
	v_cmp_u_f64_e32 vcc, v[54:55], v[54:55]
	v_max_f64 v[26:27], v[26:27], v[58:59]
	v_cndmask_b32_e32 v56, v56, v54, vcc
	v_cndmask_b32_e32 v57, v57, v55, vcc
	v_cmp_u_f64_e64 s[26:27], v[86:87], v[86:87]
	v_cndmask_b32_e32 v26, v26, v54, vcc
	v_cndmask_b32_e32 v27, v27, v55, vcc
	v_cndmask_b32_e64 v57, v57, v87, s[26:27]
	v_cndmask_b32_e64 v56, v56, v86, s[26:27]
	;; [unrolled: 1-line block ×4, first 2 shown]
	s_movk_i32 s26, 0x1f8
	v_cmp_neq_f64_e32 vcc, v[56:57], v[26:27]
	v_cmp_class_f64_e64 s[26:27], v[56:57], s26
	s_or_b64 s[26:27], vcc, s[26:27]
	s_and_saveexec_b64 s[52:53], s[26:27]
	s_cbranch_execz .LBB68_109
; %bb.108:
	s_mov_b32 s26, 0x652b82fe
	v_add_f64 v[54:55], v[56:57], -v[26:27]
	s_mov_b32 s27, 0x3ff71547
	v_mul_f64 v[56:57], v[54:55], s[26:27]
	v_rndne_f64_e32 v[56:57], v[56:57]
	s_mov_b32 s55, 0xbfe62e42
	s_mov_b32 s54, 0xfefa39ef
	v_fma_f64 v[58:59], s[54:55], v[56:57], v[54:55]
	s_mov_b32 s57, 0xbc7abc9e
	s_mov_b32 s56, 0x3b39803f
	;; [unrolled: 1-line block ×3, first 2 shown]
	v_fmac_f64_e32 v[58:59], s[56:57], v[56:57]
	v_mov_b32_e32 v60, 0xfca7ab0c
	v_mov_b32_e32 v61, 0x3e928af3
	s_mov_b32 s27, 0x3e5ade15
	v_fmac_f64_e32 v[60:61], s[26:27], v[58:59]
	v_mov_b32_e32 v62, 0x623fde64
	v_mov_b32_e32 v63, 0x3ec71dee
	v_fmac_f64_e32 v[62:63], v[58:59], v[60:61]
	v_mov_b32_e32 v60, 0x7c89e6b0
	v_mov_b32_e32 v61, 0x3efa0199
	;; [unrolled: 3-line block ×8, first 2 shown]
	s_mov_b32 s26, 0
	v_fmac_f64_e32 v[60:61], v[58:59], v[62:63]
	s_mov_b32 s27, 0x40900000
	v_fma_f64 v[60:61], v[58:59], v[60:61], 1.0
	v_cmp_nlt_f64_e32 vcc, s[26:27], v[54:55]
	s_mov_b32 s26, 0
	v_fma_f64 v[58:59], v[58:59], v[60:61], 1.0
	v_cvt_i32_f64_e32 v56, v[56:57]
	s_mov_b32 s27, 0xc090cc00
	v_ldexp_f64 v[56:57], v[58:59], v56
	v_mov_b32_e32 v58, 0x7ff00000
	v_cmp_ngt_f64_e64 s[26:27], s[26:27], v[54:55]
	v_cndmask_b32_e32 v57, v58, v57, vcc
	s_and_b64 vcc, s[26:27], vcc
	v_cndmask_b32_e64 v55, 0, v57, s[26:27]
	v_cndmask_b32_e32 v54, 0, v56, vcc
	v_add_f64 v[56:57], v[54:55], 1.0
	v_add_f64 v[58:59], v[56:57], -1.0
	v_add_f64 v[60:61], v[58:59], -v[56:57]
	v_add_f64 v[60:61], v[60:61], 1.0
	v_add_f64 v[58:59], v[54:55], -v[58:59]
	s_mov_b32 s26, 0x55555555
	v_add_f64 v[58:59], v[58:59], v[60:61]
	v_frexp_mant_f64_e32 v[60:61], v[56:57]
	s_mov_b32 s27, 0x3fe55555
	v_frexp_exp_i32_f64_e32 v62, v[56:57]
	v_cmp_gt_f64_e32 vcc, s[26:27], v[60:61]
	v_subbrev_co_u32_e32 v76, vcc, 0, v62, vcc
	v_sub_u32_e32 v60, 0, v76
	v_ldexp_f64 v[56:57], v[56:57], v60
	v_ldexp_f64 v[58:59], v[58:59], v60
	v_add_f64 v[60:61], v[56:57], -1.0
	v_add_f64 v[66:67], v[56:57], 1.0
	v_add_f64 v[62:63], v[60:61], 1.0
	v_add_f64 v[68:69], v[66:67], -1.0
	v_add_f64 v[62:63], v[56:57], -v[62:63]
	v_add_f64 v[56:57], v[56:57], -v[68:69]
	v_add_f64 v[56:57], v[58:59], v[56:57]
	v_add_f64 v[62:63], v[58:59], v[62:63]
	;; [unrolled: 1-line block ×3, first 2 shown]
	v_rcp_f64_e32 v[68:69], v[58:59]
	v_add_f64 v[64:65], v[60:61], v[62:63]
	v_add_f64 v[60:61], v[64:65], -v[60:61]
	v_add_f64 v[60:61], v[62:63], -v[60:61]
	v_add_f64 v[62:63], v[58:59], -v[66:67]
	v_add_f64 v[56:57], v[56:57], -v[62:63]
	v_fma_f64 v[62:63], -v[58:59], v[68:69], 1.0
	v_fmac_f64_e32 v[68:69], v[62:63], v[68:69]
	v_fma_f64 v[62:63], -v[58:59], v[68:69], 1.0
	v_fmac_f64_e32 v[68:69], v[62:63], v[68:69]
	v_mul_f64 v[62:63], v[64:65], v[68:69]
	v_mul_f64 v[66:67], v[58:59], v[62:63]
	v_fma_f64 v[70:71], v[62:63], v[58:59], -v[66:67]
	v_fmac_f64_e32 v[70:71], v[62:63], v[56:57]
	v_add_f64 v[72:73], v[66:67], v[70:71]
	v_add_f64 v[74:75], v[64:65], -v[72:73]
	v_add_f64 v[64:65], v[64:65], -v[74:75]
	;; [unrolled: 1-line block ×4, first 2 shown]
	v_add_f64 v[60:61], v[60:61], v[64:65]
	v_add_f64 v[64:65], v[66:67], -v[70:71]
	v_add_f64 v[60:61], v[64:65], v[60:61]
	v_add_f64 v[64:65], v[74:75], v[60:61]
	v_add_f64 v[66:67], v[74:75], -v[64:65]
	v_add_f64 v[60:61], v[60:61], v[66:67]
	v_mul_f64 v[66:67], v[68:69], v[64:65]
	v_mul_f64 v[70:71], v[58:59], v[66:67]
	v_fma_f64 v[58:59], v[66:67], v[58:59], -v[70:71]
	v_fmac_f64_e32 v[58:59], v[66:67], v[56:57]
	v_add_f64 v[56:57], v[70:71], v[58:59]
	v_add_f64 v[72:73], v[64:65], -v[56:57]
	v_add_f64 v[64:65], v[64:65], -v[72:73]
	;; [unrolled: 1-line block ×4, first 2 shown]
	v_add_f64 v[56:57], v[60:61], v[56:57]
	v_add_f64 v[58:59], v[70:71], -v[58:59]
	v_add_f64 v[56:57], v[58:59], v[56:57]
	v_add_f64 v[58:59], v[62:63], v[66:67]
	;; [unrolled: 1-line block ×3, first 2 shown]
	v_add_f64 v[60:61], v[58:59], -v[62:63]
	v_mul_f64 v[56:57], v[68:69], v[56:57]
	v_add_f64 v[60:61], v[66:67], -v[60:61]
	v_add_f64 v[56:57], v[60:61], v[56:57]
	v_add_f64 v[60:61], v[58:59], v[56:57]
	v_add_f64 v[58:59], v[60:61], -v[58:59]
	s_mov_b32 s26, 0xbf559e2b
	v_add_f64 v[56:57], v[56:57], -v[58:59]
	v_mul_f64 v[58:59], v[60:61], v[60:61]
	v_mov_b32_e32 v62, 0x6b47b09a
	v_mov_b32_e32 v63, 0x3fc38538
	s_mov_b32 s27, 0x3fc3ab76
	v_fmac_f64_e32 v[62:63], s[26:27], v[58:59]
	v_mov_b32_e32 v64, 0xd7f4df2e
	v_mov_b32_e32 v65, 0x3fc7474d
	v_fmac_f64_e32 v[64:65], v[58:59], v[62:63]
	v_mov_b32_e32 v62, 0x16291751
	v_mov_b32_e32 v63, 0x3fcc71c0
	v_fmac_f64_e32 v[62:63], v[58:59], v[64:65]
	v_mov_b32_e32 v64, 0x9b27acf1
	v_mov_b32_e32 v65, 0x3fd24924
	v_fmac_f64_e32 v[64:65], v[58:59], v[62:63]
	v_mov_b32_e32 v62, 0x998ef7b6
	v_mov_b32_e32 v63, 0x3fd99999
	v_fmac_f64_e32 v[62:63], v[58:59], v[64:65]
	v_mov_b32_e32 v64, 0x55555780
	v_mov_b32_e32 v65, 0x3fe55555
	v_fmac_f64_e32 v[64:65], v[58:59], v[62:63]
	v_cvt_f64_i32_e32 v[62:63], v76
	s_mov_b32 s55, 0x3fe62e42
	v_mul_f64 v[66:67], v[62:63], s[54:55]
	v_fma_f64 v[68:69], v[62:63], s[54:55], -v[66:67]
	s_mov_b32 s57, 0x3c7abc9e
	v_fmac_f64_e32 v[68:69], s[56:57], v[62:63]
	v_add_f64 v[62:63], v[66:67], v[68:69]
	v_add_f64 v[66:67], v[62:63], -v[66:67]
	v_mul_f64 v[58:59], v[60:61], v[58:59]
	v_add_f64 v[66:67], v[68:69], -v[66:67]
	v_ldexp_f64 v[68:69], v[60:61], 1
	v_mul_f64 v[58:59], v[58:59], v[64:65]
	v_add_f64 v[60:61], v[68:69], v[58:59]
	v_add_f64 v[64:65], v[60:61], -v[68:69]
	v_ldexp_f64 v[56:57], v[56:57], 1
	v_add_f64 v[58:59], v[58:59], -v[64:65]
	v_add_f64 v[56:57], v[56:57], v[58:59]
	v_add_f64 v[58:59], v[60:61], v[56:57]
	v_add_f64 v[60:61], v[58:59], -v[60:61]
	v_add_f64 v[56:57], v[56:57], -v[60:61]
	v_add_f64 v[60:61], v[62:63], v[58:59]
	v_add_f64 v[64:65], v[60:61], -v[62:63]
	v_add_f64 v[68:69], v[60:61], -v[64:65]
	;; [unrolled: 1-line block ×4, first 2 shown]
	v_add_f64 v[58:59], v[58:59], v[62:63]
	v_add_f64 v[62:63], v[66:67], v[56:57]
	v_add_f64 v[64:65], v[62:63], -v[66:67]
	v_add_f64 v[58:59], v[62:63], v[58:59]
	v_add_f64 v[68:69], v[62:63], -v[64:65]
	;; [unrolled: 2-line block ×3, first 2 shown]
	v_add_f64 v[56:57], v[56:57], -v[64:65]
	v_add_f64 v[60:61], v[62:63], -v[60:61]
	v_add_f64 v[56:57], v[56:57], v[66:67]
	v_add_f64 v[58:59], v[58:59], -v[60:61]
	s_mov_b32 s26, 0
	v_add_f64 v[56:57], v[56:57], v[58:59]
	s_mov_b32 s27, 0x7ff00000
	v_add_f64 v[56:57], v[62:63], v[56:57]
	v_cmp_eq_f64_e32 vcc, s[26:27], v[54:55]
	v_cndmask_b32_e32 v56, v56, v54, vcc
	v_cndmask_b32_e32 v57, v57, v55, vcc
	v_mov_b32_e32 v58, 0x7ff80000
	v_cmp_ngt_f64_e32 vcc, -1.0, v[54:55]
	v_cndmask_b32_e32 v57, v58, v57, vcc
	v_cmp_nge_f64_e32 vcc, -1.0, v[54:55]
	v_cndmask_b32_e32 v56, 0, v56, vcc
	v_mov_b32_e32 v58, 0xfff00000
	v_cmp_neq_f64_e32 vcc, -1.0, v[54:55]
	v_cndmask_b32_e32 v57, v58, v57, vcc
	v_add_f64 v[54:55], v[26:27], v[56:57]
.LBB68_109:
	s_or_b64 exec, exec, s[52:53]
	v_mov_b32_e32 v26, v54
	v_mov_b32_e32 v27, v55
	v_pk_mov_b32 v[86:87], v[54:55], v[54:55] op_sel:[0,1]
.LBB68_110:
	s_or_b64 exec, exec, s[50:51]
	v_cmp_gt_u32_e32 vcc, 32, v96
	s_waitcnt lgkmcnt(1)
	v_cndmask_b32_e64 v54, 0, 1, vcc
	v_lshlrev_b32_e32 v54, 5, v54
	v_add_lshl_u32 v106, v54, v53, 2
	ds_bpermute_b32 v54, v106, v26
	s_waitcnt lgkmcnt(1)
	ds_bpermute_b32 v55, v106, v27
	v_add_u32_e32 v107, 32, v96
	v_cmp_le_u32_e32 vcc, v107, v29
	s_and_saveexec_b64 s[50:51], vcc
	s_cbranch_execz .LBB68_114
; %bb.111:
	s_waitcnt lgkmcnt(0)
	v_max_f64 v[26:27], v[54:55], v[54:55]
	v_max_f64 v[58:59], v[86:87], v[86:87]
	v_min_f64 v[56:57], v[26:27], v[58:59]
	v_cmp_u_f64_e32 vcc, v[54:55], v[54:55]
	v_max_f64 v[26:27], v[26:27], v[58:59]
	v_cndmask_b32_e32 v29, v56, v54, vcc
	v_cndmask_b32_e32 v53, v57, v55, vcc
	v_cmp_u_f64_e64 s[26:27], v[86:87], v[86:87]
	v_cndmask_b32_e32 v26, v26, v54, vcc
	v_cndmask_b32_e32 v27, v27, v55, vcc
	v_cndmask_b32_e64 v57, v53, v87, s[26:27]
	v_cndmask_b32_e64 v56, v29, v86, s[26:27]
	;; [unrolled: 1-line block ×4, first 2 shown]
	s_movk_i32 s26, 0x1f8
	v_cmp_neq_f64_e32 vcc, v[56:57], v[26:27]
	v_cmp_class_f64_e64 s[26:27], v[56:57], s26
	s_or_b64 s[26:27], vcc, s[26:27]
	s_and_saveexec_b64 s[52:53], s[26:27]
	s_cbranch_execz .LBB68_113
; %bb.112:
	s_mov_b32 s26, 0x652b82fe
	v_add_f64 v[54:55], v[56:57], -v[26:27]
	s_mov_b32 s27, 0x3ff71547
	v_mul_f64 v[56:57], v[54:55], s[26:27]
	v_rndne_f64_e32 v[56:57], v[56:57]
	s_mov_b32 s55, 0xbfe62e42
	s_mov_b32 s54, 0xfefa39ef
	v_fma_f64 v[58:59], s[54:55], v[56:57], v[54:55]
	s_mov_b32 s57, 0xbc7abc9e
	s_mov_b32 s56, 0x3b39803f
	;; [unrolled: 1-line block ×3, first 2 shown]
	v_fmac_f64_e32 v[58:59], s[56:57], v[56:57]
	v_mov_b32_e32 v60, 0xfca7ab0c
	v_mov_b32_e32 v61, 0x3e928af3
	s_mov_b32 s27, 0x3e5ade15
	v_fmac_f64_e32 v[60:61], s[26:27], v[58:59]
	v_mov_b32_e32 v62, 0x623fde64
	v_mov_b32_e32 v63, 0x3ec71dee
	v_fmac_f64_e32 v[62:63], v[58:59], v[60:61]
	v_mov_b32_e32 v60, 0x7c89e6b0
	v_mov_b32_e32 v61, 0x3efa0199
	;; [unrolled: 3-line block ×8, first 2 shown]
	s_mov_b32 s26, 0
	v_fmac_f64_e32 v[60:61], v[58:59], v[62:63]
	s_mov_b32 s27, 0x40900000
	v_fma_f64 v[60:61], v[58:59], v[60:61], 1.0
	v_cmp_nlt_f64_e32 vcc, s[26:27], v[54:55]
	s_mov_b32 s26, 0
	v_fma_f64 v[58:59], v[58:59], v[60:61], 1.0
	v_cvt_i32_f64_e32 v29, v[56:57]
	s_mov_b32 s27, 0xc090cc00
	v_ldexp_f64 v[56:57], v[58:59], v29
	v_mov_b32_e32 v29, 0x7ff00000
	v_cmp_ngt_f64_e64 s[26:27], s[26:27], v[54:55]
	v_cndmask_b32_e32 v29, v29, v57, vcc
	s_and_b64 vcc, s[26:27], vcc
	v_cndmask_b32_e64 v55, 0, v29, s[26:27]
	v_cndmask_b32_e32 v54, 0, v56, vcc
	v_add_f64 v[56:57], v[54:55], 1.0
	v_add_f64 v[58:59], v[56:57], -1.0
	v_add_f64 v[60:61], v[58:59], -v[56:57]
	v_add_f64 v[60:61], v[60:61], 1.0
	v_add_f64 v[58:59], v[54:55], -v[58:59]
	s_mov_b32 s26, 0x55555555
	v_add_f64 v[58:59], v[58:59], v[60:61]
	v_frexp_mant_f64_e32 v[60:61], v[56:57]
	s_mov_b32 s27, 0x3fe55555
	v_frexp_exp_i32_f64_e32 v29, v[56:57]
	v_cmp_gt_f64_e32 vcc, s[26:27], v[60:61]
	v_subbrev_co_u32_e32 v29, vcc, 0, v29, vcc
	v_sub_u32_e32 v53, 0, v29
	v_ldexp_f64 v[56:57], v[56:57], v53
	v_add_f64 v[60:61], v[56:57], -1.0
	v_add_f64 v[66:67], v[56:57], 1.0
	v_add_f64 v[62:63], v[60:61], 1.0
	v_add_f64 v[68:69], v[66:67], -1.0
	v_ldexp_f64 v[58:59], v[58:59], v53
	v_add_f64 v[62:63], v[56:57], -v[62:63]
	v_add_f64 v[56:57], v[56:57], -v[68:69]
	v_add_f64 v[56:57], v[58:59], v[56:57]
	v_add_f64 v[62:63], v[58:59], v[62:63]
	;; [unrolled: 1-line block ×3, first 2 shown]
	v_rcp_f64_e32 v[68:69], v[58:59]
	v_add_f64 v[64:65], v[60:61], v[62:63]
	v_add_f64 v[60:61], v[64:65], -v[60:61]
	v_add_f64 v[60:61], v[62:63], -v[60:61]
	;; [unrolled: 1-line block ×4, first 2 shown]
	v_fma_f64 v[62:63], -v[58:59], v[68:69], 1.0
	v_fmac_f64_e32 v[68:69], v[62:63], v[68:69]
	v_fma_f64 v[62:63], -v[58:59], v[68:69], 1.0
	v_fmac_f64_e32 v[68:69], v[62:63], v[68:69]
	v_mul_f64 v[62:63], v[64:65], v[68:69]
	v_mul_f64 v[66:67], v[58:59], v[62:63]
	v_fma_f64 v[70:71], v[62:63], v[58:59], -v[66:67]
	v_fmac_f64_e32 v[70:71], v[62:63], v[56:57]
	v_add_f64 v[72:73], v[66:67], v[70:71]
	v_add_f64 v[74:75], v[64:65], -v[72:73]
	v_add_f64 v[64:65], v[64:65], -v[74:75]
	;; [unrolled: 1-line block ×4, first 2 shown]
	v_add_f64 v[60:61], v[60:61], v[64:65]
	v_add_f64 v[64:65], v[66:67], -v[70:71]
	v_add_f64 v[60:61], v[64:65], v[60:61]
	v_add_f64 v[64:65], v[74:75], v[60:61]
	v_add_f64 v[66:67], v[74:75], -v[64:65]
	v_add_f64 v[60:61], v[60:61], v[66:67]
	v_mul_f64 v[66:67], v[68:69], v[64:65]
	v_mul_f64 v[70:71], v[58:59], v[66:67]
	v_fma_f64 v[58:59], v[66:67], v[58:59], -v[70:71]
	v_fmac_f64_e32 v[58:59], v[66:67], v[56:57]
	v_add_f64 v[56:57], v[70:71], v[58:59]
	v_add_f64 v[72:73], v[64:65], -v[56:57]
	v_add_f64 v[64:65], v[64:65], -v[72:73]
	;; [unrolled: 1-line block ×4, first 2 shown]
	v_add_f64 v[56:57], v[60:61], v[56:57]
	v_add_f64 v[58:59], v[70:71], -v[58:59]
	v_add_f64 v[56:57], v[58:59], v[56:57]
	v_add_f64 v[58:59], v[62:63], v[66:67]
	;; [unrolled: 1-line block ×3, first 2 shown]
	v_add_f64 v[60:61], v[58:59], -v[62:63]
	v_mul_f64 v[56:57], v[68:69], v[56:57]
	v_add_f64 v[60:61], v[66:67], -v[60:61]
	v_add_f64 v[56:57], v[60:61], v[56:57]
	v_add_f64 v[60:61], v[58:59], v[56:57]
	v_add_f64 v[58:59], v[60:61], -v[58:59]
	s_mov_b32 s26, 0xbf559e2b
	v_add_f64 v[56:57], v[56:57], -v[58:59]
	v_mul_f64 v[58:59], v[60:61], v[60:61]
	v_mov_b32_e32 v62, 0x6b47b09a
	v_mov_b32_e32 v63, 0x3fc38538
	s_mov_b32 s27, 0x3fc3ab76
	v_fmac_f64_e32 v[62:63], s[26:27], v[58:59]
	v_mov_b32_e32 v64, 0xd7f4df2e
	v_mov_b32_e32 v65, 0x3fc7474d
	v_fmac_f64_e32 v[64:65], v[58:59], v[62:63]
	v_mov_b32_e32 v62, 0x16291751
	v_mov_b32_e32 v63, 0x3fcc71c0
	;; [unrolled: 3-line block ×5, first 2 shown]
	v_fmac_f64_e32 v[64:65], v[58:59], v[62:63]
	v_cvt_f64_i32_e32 v[62:63], v29
	s_mov_b32 s55, 0x3fe62e42
	v_mul_f64 v[66:67], v[62:63], s[54:55]
	v_fma_f64 v[68:69], v[62:63], s[54:55], -v[66:67]
	s_mov_b32 s57, 0x3c7abc9e
	v_fmac_f64_e32 v[68:69], s[56:57], v[62:63]
	v_add_f64 v[62:63], v[66:67], v[68:69]
	v_add_f64 v[66:67], v[62:63], -v[66:67]
	v_mul_f64 v[58:59], v[60:61], v[58:59]
	v_add_f64 v[66:67], v[68:69], -v[66:67]
	v_ldexp_f64 v[68:69], v[60:61], 1
	v_mul_f64 v[58:59], v[58:59], v[64:65]
	v_add_f64 v[60:61], v[68:69], v[58:59]
	v_add_f64 v[64:65], v[60:61], -v[68:69]
	v_ldexp_f64 v[56:57], v[56:57], 1
	v_add_f64 v[58:59], v[58:59], -v[64:65]
	v_add_f64 v[56:57], v[56:57], v[58:59]
	v_add_f64 v[58:59], v[60:61], v[56:57]
	v_add_f64 v[60:61], v[58:59], -v[60:61]
	v_add_f64 v[56:57], v[56:57], -v[60:61]
	v_add_f64 v[60:61], v[62:63], v[58:59]
	v_add_f64 v[64:65], v[60:61], -v[62:63]
	v_add_f64 v[68:69], v[60:61], -v[64:65]
	;; [unrolled: 1-line block ×4, first 2 shown]
	v_add_f64 v[58:59], v[58:59], v[62:63]
	v_add_f64 v[62:63], v[66:67], v[56:57]
	v_add_f64 v[64:65], v[62:63], -v[66:67]
	v_add_f64 v[58:59], v[62:63], v[58:59]
	v_add_f64 v[68:69], v[62:63], -v[64:65]
	v_add_f64 v[62:63], v[60:61], v[58:59]
	v_add_f64 v[66:67], v[66:67], -v[68:69]
	v_add_f64 v[56:57], v[56:57], -v[64:65]
	v_add_f64 v[60:61], v[62:63], -v[60:61]
	v_add_f64 v[56:57], v[56:57], v[66:67]
	v_add_f64 v[58:59], v[58:59], -v[60:61]
	s_mov_b32 s26, 0
	v_add_f64 v[56:57], v[56:57], v[58:59]
	s_mov_b32 s27, 0x7ff00000
	v_add_f64 v[56:57], v[62:63], v[56:57]
	v_cmp_eq_f64_e32 vcc, s[26:27], v[54:55]
	v_cndmask_b32_e32 v29, v56, v54, vcc
	v_cndmask_b32_e32 v53, v57, v55, vcc
	v_mov_b32_e32 v56, 0x7ff80000
	v_cmp_ngt_f64_e32 vcc, -1.0, v[54:55]
	v_cndmask_b32_e32 v53, v56, v53, vcc
	v_cmp_nge_f64_e32 vcc, -1.0, v[54:55]
	v_cndmask_b32_e32 v56, 0, v29, vcc
	v_mov_b32_e32 v29, 0xfff00000
	v_cmp_neq_f64_e32 vcc, -1.0, v[54:55]
	v_cndmask_b32_e32 v57, v29, v53, vcc
	v_add_f64 v[54:55], v[26:27], v[56:57]
.LBB68_113:
	s_or_b64 exec, exec, s[52:53]
	v_pk_mov_b32 v[86:87], v[54:55], v[54:55] op_sel:[0,1]
.LBB68_114:
	s_or_b64 exec, exec, s[50:51]
	s_mov_b32 s50, 0x652b82fe
	s_mov_b32 s52, 0xfefa39ef
	;; [unrolled: 1-line block ×9, first 2 shown]
	v_mov_b32_e32 v53, 0
	s_movk_i32 s78, 0x1f8
	s_mov_b32 s51, 0x3ff71547
	s_mov_b32 s53, 0xbfe62e42
	;; [unrolled: 1-line block ×11, first 2 shown]
	v_mov_b32_e32 v108, 2
	v_mov_b32_e32 v56, 0xfca7ab0c
	;; [unrolled: 1-line block ×34, first 2 shown]
	s_branch .LBB68_116
.LBB68_115:                             ;   in Loop: Header=BB68_116 Depth=1
	s_or_b64 exec, exec, s[72:73]
	v_subrev_u32_e32 v52, 64, v52
.LBB68_116:                             ; =>This Loop Header: Depth=1
                                        ;     Child Loop BB68_119 Depth 2
	v_cmp_ne_u16_sdwa s[26:27], v28, v108 src0_sel:BYTE_0 src1_sel:DWORD
	v_cndmask_b32_e64 v26, 0, 1, s[26:27]
	;;#ASMSTART
	;;#ASMEND
	v_cmp_ne_u32_e32 vcc, 0, v26
	s_cmp_lg_u64 vcc, exec
	s_waitcnt lgkmcnt(0)
	v_pk_mov_b32 v[54:55], v[86:87], v[86:87] op_sel:[0,1]
	s_cbranch_scc1 .LBB68_147
; %bb.117:                              ;   in Loop: Header=BB68_116 Depth=1
	v_lshlrev_b64 v[26:27], 4, v[52:53]
	v_mov_b32_e32 v28, s35
	v_add_co_u32_e32 v86, vcc, s34, v26
	v_addc_co_u32_e32 v87, vcc, v28, v27, vcc
	;;#ASMSTART
	global_load_dwordx4 v[26:29], v[86:87] off glc	
s_waitcnt vmcnt(0)
	;;#ASMEND
	v_and_b32_e32 v29, 0xff, v27
	v_and_b32_e32 v88, 0xff00, v27
	v_or3_b32 v29, 0, v29, v88
	v_or3_b32 v26, v26, 0, 0
	v_and_b32_e32 v88, 0xff000000, v27
	v_and_b32_e32 v27, 0xff0000, v27
	v_or3_b32 v27, v29, v27, v88
	v_or3_b32 v26, v26, 0, 0
	v_cmp_eq_u16_sdwa s[72:73], v28, v53 src0_sel:BYTE_0 src1_sel:DWORD
	s_and_saveexec_b64 s[26:27], s[72:73]
	s_cbranch_execz .LBB68_121
; %bb.118:                              ;   in Loop: Header=BB68_116 Depth=1
	s_mov_b64 s[72:73], 0
.LBB68_119:                             ;   Parent Loop BB68_116 Depth=1
                                        ; =>  This Inner Loop Header: Depth=2
	;;#ASMSTART
	global_load_dwordx4 v[26:29], v[86:87] off glc	
s_waitcnt vmcnt(0)
	;;#ASMEND
	v_cmp_ne_u16_sdwa s[74:75], v28, v53 src0_sel:BYTE_0 src1_sel:DWORD
	s_or_b64 s[72:73], s[74:75], s[72:73]
	s_andn2_b64 exec, exec, s[72:73]
	s_cbranch_execnz .LBB68_119
; %bb.120:                              ;   in Loop: Header=BB68_116 Depth=1
	s_or_b64 exec, exec, s[72:73]
.LBB68_121:                             ;   in Loop: Header=BB68_116 Depth=1
	s_or_b64 exec, exec, s[26:27]
	v_cmp_eq_u16_sdwa s[26:27], v28, v108 src0_sel:BYTE_0 src1_sel:DWORD
	v_and_b32_e32 v29, s27, v25
	v_or_b32_e32 v29, 0x80000000, v29
	ds_bpermute_b32 v88, v97, v26
	ds_bpermute_b32 v89, v97, v27
	v_and_b32_e32 v86, s26, v24
	v_ffbl_b32_e32 v29, v29
	v_add_u32_e32 v29, 32, v29
	v_ffbl_b32_e32 v86, v86
	v_min_u32_e32 v29, v86, v29
	v_cmp_lt_u32_e32 vcc, v96, v29
	v_pk_mov_b32 v[86:87], v[26:27], v[26:27] op_sel:[0,1]
	s_and_saveexec_b64 s[72:73], vcc
	s_cbranch_execz .LBB68_125
; %bb.122:                              ;   in Loop: Header=BB68_116 Depth=1
	s_waitcnt lgkmcnt(0)
	v_max_f64 v[90:91], v[88:89], v[88:89]
	v_max_f64 v[112:113], v[26:27], v[26:27]
	v_min_f64 v[86:87], v[90:91], v[112:113]
	v_cmp_u_f64_e32 vcc, v[88:89], v[88:89]
	v_max_f64 v[90:91], v[90:91], v[112:113]
	v_cndmask_b32_e32 v86, v86, v88, vcc
	v_cndmask_b32_e32 v87, v87, v89, vcc
	v_cmp_u_f64_e64 s[26:27], v[26:27], v[26:27]
	v_cndmask_b32_e32 v90, v90, v88, vcc
	v_cndmask_b32_e32 v91, v91, v89, vcc
	v_cndmask_b32_e64 v87, v87, v27, s[26:27]
	v_cndmask_b32_e64 v86, v86, v26, s[26:27]
	;; [unrolled: 1-line block ×4, first 2 shown]
	v_cmp_neq_f64_e32 vcc, v[86:87], v[26:27]
	v_cmp_class_f64_e64 s[26:27], v[86:87], s78
	s_or_b64 s[26:27], vcc, s[26:27]
	s_and_saveexec_b64 s[74:75], s[26:27]
	s_cbranch_execz .LBB68_124
; %bb.123:                              ;   in Loop: Header=BB68_116 Depth=1
	v_add_f64 v[86:87], v[86:87], -v[26:27]
	v_mul_f64 v[88:89], v[86:87], s[50:51]
	v_rndne_f64_e32 v[88:89], v[88:89]
	v_fma_f64 v[90:91], s[52:53], v[88:89], v[86:87]
	v_fmac_f64_e32 v[90:91], s[54:55], v[88:89]
	v_pk_mov_b32 v[112:113], v[56:57], v[56:57] op_sel:[0,1]
	v_fmac_f64_e32 v[112:113], s[56:57], v[90:91]
	v_pk_mov_b32 v[114:115], v[58:59], v[58:59] op_sel:[0,1]
	;; [unrolled: 2-line block ×9, first 2 shown]
	v_fmac_f64_e32 v[112:113], v[90:91], v[114:115]
	v_fma_f64 v[112:113], v[90:91], v[112:113], 1.0
	v_fma_f64 v[90:91], v[90:91], v[112:113], 1.0
	v_cvt_i32_f64_e32 v88, v[88:89]
	v_ldexp_f64 v[88:89], v[90:91], v88
	v_cmp_nlt_f64_e32 vcc, s[58:59], v[86:87]
	v_cmp_ngt_f64_e64 s[26:27], s[60:61], v[86:87]
	v_cndmask_b32_e32 v89, v109, v89, vcc
	s_and_b64 vcc, s[26:27], vcc
	v_cndmask_b32_e64 v87, 0, v89, s[26:27]
	v_cndmask_b32_e32 v86, 0, v88, vcc
	v_add_f64 v[88:89], v[86:87], 1.0
	v_add_f64 v[90:91], v[88:89], -1.0
	v_add_f64 v[112:113], v[90:91], -v[88:89]
	v_add_f64 v[112:113], v[112:113], 1.0
	v_add_f64 v[90:91], v[86:87], -v[90:91]
	v_add_f64 v[90:91], v[90:91], v[112:113]
	v_frexp_mant_f64_e32 v[112:113], v[88:89]
	v_frexp_exp_i32_f64_e32 v114, v[88:89]
	v_cmp_gt_f64_e32 vcc, s[62:63], v[112:113]
	v_subbrev_co_u32_e32 v128, vcc, 0, v114, vcc
	v_sub_u32_e32 v112, 0, v128
	v_ldexp_f64 v[88:89], v[88:89], v112
	v_ldexp_f64 v[90:91], v[90:91], v112
	v_add_f64 v[112:113], v[88:89], -1.0
	v_add_f64 v[118:119], v[88:89], 1.0
	v_add_f64 v[114:115], v[112:113], 1.0
	v_add_f64 v[120:121], v[118:119], -1.0
	v_add_f64 v[114:115], v[88:89], -v[114:115]
	v_add_f64 v[88:89], v[88:89], -v[120:121]
	v_add_f64 v[88:89], v[90:91], v[88:89]
	v_add_f64 v[114:115], v[90:91], v[114:115]
	;; [unrolled: 1-line block ×3, first 2 shown]
	v_rcp_f64_e32 v[120:121], v[90:91]
	v_add_f64 v[116:117], v[112:113], v[114:115]
	v_add_f64 v[112:113], v[116:117], -v[112:113]
	v_add_f64 v[112:113], v[114:115], -v[112:113]
	;; [unrolled: 1-line block ×4, first 2 shown]
	v_fma_f64 v[114:115], -v[90:91], v[120:121], 1.0
	v_fmac_f64_e32 v[120:121], v[114:115], v[120:121]
	v_fma_f64 v[114:115], -v[90:91], v[120:121], 1.0
	v_fmac_f64_e32 v[120:121], v[114:115], v[120:121]
	v_mul_f64 v[114:115], v[116:117], v[120:121]
	v_mul_f64 v[118:119], v[90:91], v[114:115]
	v_fma_f64 v[122:123], v[114:115], v[90:91], -v[118:119]
	v_fmac_f64_e32 v[122:123], v[114:115], v[88:89]
	v_add_f64 v[124:125], v[118:119], v[122:123]
	v_add_f64 v[126:127], v[116:117], -v[124:125]
	v_add_f64 v[116:117], v[116:117], -v[126:127]
	;; [unrolled: 1-line block ×4, first 2 shown]
	v_add_f64 v[112:113], v[112:113], v[116:117]
	v_add_f64 v[116:117], v[118:119], -v[122:123]
	v_add_f64 v[112:113], v[116:117], v[112:113]
	v_add_f64 v[116:117], v[126:127], v[112:113]
	v_add_f64 v[118:119], v[126:127], -v[116:117]
	v_add_f64 v[112:113], v[112:113], v[118:119]
	v_mul_f64 v[118:119], v[120:121], v[116:117]
	v_mul_f64 v[122:123], v[90:91], v[118:119]
	v_fma_f64 v[90:91], v[118:119], v[90:91], -v[122:123]
	v_fmac_f64_e32 v[90:91], v[118:119], v[88:89]
	v_add_f64 v[88:89], v[122:123], v[90:91]
	v_add_f64 v[124:125], v[116:117], -v[88:89]
	v_add_f64 v[116:117], v[116:117], -v[124:125]
	;; [unrolled: 1-line block ×4, first 2 shown]
	v_add_f64 v[88:89], v[112:113], v[88:89]
	v_add_f64 v[90:91], v[122:123], -v[90:91]
	v_add_f64 v[88:89], v[90:91], v[88:89]
	v_add_f64 v[90:91], v[114:115], v[118:119]
	;; [unrolled: 1-line block ×3, first 2 shown]
	v_add_f64 v[112:113], v[90:91], -v[114:115]
	v_mul_f64 v[88:89], v[120:121], v[88:89]
	v_add_f64 v[112:113], v[118:119], -v[112:113]
	v_add_f64 v[88:89], v[112:113], v[88:89]
	v_add_f64 v[112:113], v[90:91], v[88:89]
	v_add_f64 v[90:91], v[112:113], -v[90:91]
	v_add_f64 v[88:89], v[88:89], -v[90:91]
	v_mul_f64 v[90:91], v[112:113], v[112:113]
	v_pk_mov_b32 v[114:115], v[74:75], v[74:75] op_sel:[0,1]
	v_fmac_f64_e32 v[114:115], s[64:65], v[90:91]
	v_pk_mov_b32 v[116:117], v[76:77], v[76:77] op_sel:[0,1]
	v_fmac_f64_e32 v[116:117], v[90:91], v[114:115]
	;; [unrolled: 2-line block ×6, first 2 shown]
	v_cvt_f64_i32_e32 v[114:115], v128
	s_mov_b32 s66, s52
	v_mul_f64 v[118:119], v[114:115], s[66:67]
	v_fma_f64 v[120:121], v[114:115], s[66:67], -v[118:119]
	s_mov_b32 s68, s54
	v_fmac_f64_e32 v[120:121], s[68:69], v[114:115]
	v_add_f64 v[114:115], v[118:119], v[120:121]
	v_add_f64 v[118:119], v[114:115], -v[118:119]
	v_mul_f64 v[90:91], v[112:113], v[90:91]
	v_add_f64 v[118:119], v[120:121], -v[118:119]
	v_ldexp_f64 v[120:121], v[112:113], 1
	v_mul_f64 v[90:91], v[90:91], v[116:117]
	v_add_f64 v[112:113], v[120:121], v[90:91]
	v_add_f64 v[116:117], v[112:113], -v[120:121]
	v_ldexp_f64 v[88:89], v[88:89], 1
	v_add_f64 v[90:91], v[90:91], -v[116:117]
	v_add_f64 v[88:89], v[88:89], v[90:91]
	v_add_f64 v[90:91], v[112:113], v[88:89]
	v_add_f64 v[112:113], v[90:91], -v[112:113]
	v_add_f64 v[88:89], v[88:89], -v[112:113]
	v_add_f64 v[112:113], v[114:115], v[90:91]
	v_add_f64 v[116:117], v[112:113], -v[114:115]
	v_add_f64 v[120:121], v[112:113], -v[116:117]
	;; [unrolled: 1-line block ×4, first 2 shown]
	v_add_f64 v[90:91], v[90:91], v[114:115]
	v_add_f64 v[114:115], v[118:119], v[88:89]
	v_add_f64 v[116:117], v[114:115], -v[118:119]
	v_add_f64 v[90:91], v[114:115], v[90:91]
	v_add_f64 v[120:121], v[114:115], -v[116:117]
	;; [unrolled: 2-line block ×3, first 2 shown]
	v_add_f64 v[88:89], v[88:89], -v[116:117]
	v_add_f64 v[112:113], v[114:115], -v[112:113]
	v_add_f64 v[88:89], v[88:89], v[118:119]
	v_add_f64 v[90:91], v[90:91], -v[112:113]
	v_add_f64 v[88:89], v[88:89], v[90:91]
	v_add_f64 v[88:89], v[114:115], v[88:89]
	v_cmp_eq_f64_e32 vcc, s[70:71], v[86:87]
	v_cndmask_b32_e32 v88, v88, v86, vcc
	v_cndmask_b32_e32 v89, v89, v87, vcc
	v_cmp_ngt_f64_e32 vcc, -1.0, v[86:87]
	v_cndmask_b32_e32 v89, v110, v89, vcc
	v_cmp_nge_f64_e32 vcc, -1.0, v[86:87]
	v_cndmask_b32_e32 v88, 0, v88, vcc
	v_cmp_neq_f64_e32 vcc, -1.0, v[86:87]
	v_cndmask_b32_e32 v89, v111, v89, vcc
	v_add_f64 v[88:89], v[26:27], v[88:89]
.LBB68_124:                             ;   in Loop: Header=BB68_116 Depth=1
	s_or_b64 exec, exec, s[74:75]
	v_mov_b32_e32 v26, v88
	v_mov_b32_e32 v27, v89
	v_pk_mov_b32 v[86:87], v[88:89], v[88:89] op_sel:[0,1]
.LBB68_125:                             ;   in Loop: Header=BB68_116 Depth=1
	s_or_b64 exec, exec, s[72:73]
	s_waitcnt lgkmcnt(1)
	ds_bpermute_b32 v88, v98, v26
	s_waitcnt lgkmcnt(1)
	ds_bpermute_b32 v89, v98, v27
	v_cmp_le_u32_e32 vcc, v99, v29
	s_and_saveexec_b64 s[72:73], vcc
	s_cbranch_execz .LBB68_129
; %bb.126:                              ;   in Loop: Header=BB68_116 Depth=1
	s_waitcnt lgkmcnt(0)
	v_max_f64 v[26:27], v[88:89], v[88:89]
	v_max_f64 v[112:113], v[86:87], v[86:87]
	v_min_f64 v[90:91], v[26:27], v[112:113]
	v_cmp_u_f64_e32 vcc, v[88:89], v[88:89]
	v_max_f64 v[26:27], v[26:27], v[112:113]
	v_cndmask_b32_e32 v90, v90, v88, vcc
	v_cndmask_b32_e32 v91, v91, v89, vcc
	v_cmp_u_f64_e64 s[26:27], v[86:87], v[86:87]
	v_cndmask_b32_e32 v26, v26, v88, vcc
	v_cndmask_b32_e32 v27, v27, v89, vcc
	v_cndmask_b32_e64 v91, v91, v87, s[26:27]
	v_cndmask_b32_e64 v90, v90, v86, s[26:27]
	;; [unrolled: 1-line block ×4, first 2 shown]
	v_cmp_neq_f64_e32 vcc, v[90:91], v[26:27]
	v_cmp_class_f64_e64 s[26:27], v[90:91], s78
	s_or_b64 s[26:27], vcc, s[26:27]
	s_and_saveexec_b64 s[74:75], s[26:27]
	s_cbranch_execz .LBB68_128
; %bb.127:                              ;   in Loop: Header=BB68_116 Depth=1
	v_add_f64 v[86:87], v[90:91], -v[26:27]
	v_mul_f64 v[88:89], v[86:87], s[50:51]
	v_rndne_f64_e32 v[88:89], v[88:89]
	v_fma_f64 v[90:91], s[52:53], v[88:89], v[86:87]
	v_fmac_f64_e32 v[90:91], s[54:55], v[88:89]
	v_pk_mov_b32 v[112:113], v[56:57], v[56:57] op_sel:[0,1]
	v_fmac_f64_e32 v[112:113], s[56:57], v[90:91]
	v_pk_mov_b32 v[114:115], v[58:59], v[58:59] op_sel:[0,1]
	;; [unrolled: 2-line block ×9, first 2 shown]
	v_fmac_f64_e32 v[112:113], v[90:91], v[114:115]
	v_fma_f64 v[112:113], v[90:91], v[112:113], 1.0
	v_fma_f64 v[90:91], v[90:91], v[112:113], 1.0
	v_cvt_i32_f64_e32 v88, v[88:89]
	v_ldexp_f64 v[88:89], v[90:91], v88
	v_cmp_nlt_f64_e32 vcc, s[58:59], v[86:87]
	v_cmp_ngt_f64_e64 s[26:27], s[60:61], v[86:87]
	v_cndmask_b32_e32 v89, v109, v89, vcc
	s_and_b64 vcc, s[26:27], vcc
	v_cndmask_b32_e64 v87, 0, v89, s[26:27]
	v_cndmask_b32_e32 v86, 0, v88, vcc
	v_add_f64 v[88:89], v[86:87], 1.0
	v_add_f64 v[90:91], v[88:89], -1.0
	v_add_f64 v[112:113], v[90:91], -v[88:89]
	v_add_f64 v[112:113], v[112:113], 1.0
	v_add_f64 v[90:91], v[86:87], -v[90:91]
	v_add_f64 v[90:91], v[90:91], v[112:113]
	v_frexp_mant_f64_e32 v[112:113], v[88:89]
	v_frexp_exp_i32_f64_e32 v114, v[88:89]
	v_cmp_gt_f64_e32 vcc, s[62:63], v[112:113]
	v_subbrev_co_u32_e32 v128, vcc, 0, v114, vcc
	v_sub_u32_e32 v112, 0, v128
	v_ldexp_f64 v[88:89], v[88:89], v112
	v_ldexp_f64 v[90:91], v[90:91], v112
	v_add_f64 v[112:113], v[88:89], -1.0
	v_add_f64 v[118:119], v[88:89], 1.0
	v_add_f64 v[114:115], v[112:113], 1.0
	v_add_f64 v[120:121], v[118:119], -1.0
	v_add_f64 v[114:115], v[88:89], -v[114:115]
	v_add_f64 v[88:89], v[88:89], -v[120:121]
	v_add_f64 v[88:89], v[90:91], v[88:89]
	v_add_f64 v[114:115], v[90:91], v[114:115]
	;; [unrolled: 1-line block ×3, first 2 shown]
	v_rcp_f64_e32 v[120:121], v[90:91]
	v_add_f64 v[116:117], v[112:113], v[114:115]
	v_add_f64 v[112:113], v[116:117], -v[112:113]
	v_add_f64 v[112:113], v[114:115], -v[112:113]
	;; [unrolled: 1-line block ×4, first 2 shown]
	v_fma_f64 v[114:115], -v[90:91], v[120:121], 1.0
	v_fmac_f64_e32 v[120:121], v[114:115], v[120:121]
	v_fma_f64 v[114:115], -v[90:91], v[120:121], 1.0
	v_fmac_f64_e32 v[120:121], v[114:115], v[120:121]
	v_mul_f64 v[114:115], v[116:117], v[120:121]
	v_mul_f64 v[118:119], v[90:91], v[114:115]
	v_fma_f64 v[122:123], v[114:115], v[90:91], -v[118:119]
	v_fmac_f64_e32 v[122:123], v[114:115], v[88:89]
	v_add_f64 v[124:125], v[118:119], v[122:123]
	v_add_f64 v[126:127], v[116:117], -v[124:125]
	v_add_f64 v[116:117], v[116:117], -v[126:127]
	;; [unrolled: 1-line block ×4, first 2 shown]
	v_add_f64 v[112:113], v[112:113], v[116:117]
	v_add_f64 v[116:117], v[118:119], -v[122:123]
	v_add_f64 v[112:113], v[116:117], v[112:113]
	v_add_f64 v[116:117], v[126:127], v[112:113]
	v_add_f64 v[118:119], v[126:127], -v[116:117]
	v_add_f64 v[112:113], v[112:113], v[118:119]
	v_mul_f64 v[118:119], v[120:121], v[116:117]
	v_mul_f64 v[122:123], v[90:91], v[118:119]
	v_fma_f64 v[90:91], v[118:119], v[90:91], -v[122:123]
	v_fmac_f64_e32 v[90:91], v[118:119], v[88:89]
	v_add_f64 v[88:89], v[122:123], v[90:91]
	v_add_f64 v[124:125], v[116:117], -v[88:89]
	v_add_f64 v[116:117], v[116:117], -v[124:125]
	;; [unrolled: 1-line block ×4, first 2 shown]
	v_add_f64 v[88:89], v[112:113], v[88:89]
	v_add_f64 v[90:91], v[122:123], -v[90:91]
	v_add_f64 v[88:89], v[90:91], v[88:89]
	v_add_f64 v[90:91], v[114:115], v[118:119]
	;; [unrolled: 1-line block ×3, first 2 shown]
	v_add_f64 v[112:113], v[90:91], -v[114:115]
	v_mul_f64 v[88:89], v[120:121], v[88:89]
	v_add_f64 v[112:113], v[118:119], -v[112:113]
	v_add_f64 v[88:89], v[112:113], v[88:89]
	v_add_f64 v[112:113], v[90:91], v[88:89]
	v_add_f64 v[90:91], v[112:113], -v[90:91]
	v_add_f64 v[88:89], v[88:89], -v[90:91]
	v_mul_f64 v[90:91], v[112:113], v[112:113]
	v_pk_mov_b32 v[114:115], v[74:75], v[74:75] op_sel:[0,1]
	v_fmac_f64_e32 v[114:115], s[64:65], v[90:91]
	v_pk_mov_b32 v[116:117], v[76:77], v[76:77] op_sel:[0,1]
	v_fmac_f64_e32 v[116:117], v[90:91], v[114:115]
	;; [unrolled: 2-line block ×6, first 2 shown]
	v_cvt_f64_i32_e32 v[114:115], v128
	s_mov_b32 s66, s52
	v_mul_f64 v[118:119], v[114:115], s[66:67]
	v_fma_f64 v[120:121], v[114:115], s[66:67], -v[118:119]
	s_mov_b32 s68, s54
	v_fmac_f64_e32 v[120:121], s[68:69], v[114:115]
	v_add_f64 v[114:115], v[118:119], v[120:121]
	v_add_f64 v[118:119], v[114:115], -v[118:119]
	v_mul_f64 v[90:91], v[112:113], v[90:91]
	v_add_f64 v[118:119], v[120:121], -v[118:119]
	v_ldexp_f64 v[120:121], v[112:113], 1
	v_mul_f64 v[90:91], v[90:91], v[116:117]
	v_add_f64 v[112:113], v[120:121], v[90:91]
	v_add_f64 v[116:117], v[112:113], -v[120:121]
	v_ldexp_f64 v[88:89], v[88:89], 1
	v_add_f64 v[90:91], v[90:91], -v[116:117]
	v_add_f64 v[88:89], v[88:89], v[90:91]
	v_add_f64 v[90:91], v[112:113], v[88:89]
	v_add_f64 v[112:113], v[90:91], -v[112:113]
	v_add_f64 v[88:89], v[88:89], -v[112:113]
	v_add_f64 v[112:113], v[114:115], v[90:91]
	v_add_f64 v[116:117], v[112:113], -v[114:115]
	v_add_f64 v[120:121], v[112:113], -v[116:117]
	;; [unrolled: 1-line block ×4, first 2 shown]
	v_add_f64 v[90:91], v[90:91], v[114:115]
	v_add_f64 v[114:115], v[118:119], v[88:89]
	v_add_f64 v[116:117], v[114:115], -v[118:119]
	v_add_f64 v[90:91], v[114:115], v[90:91]
	v_add_f64 v[120:121], v[114:115], -v[116:117]
	;; [unrolled: 2-line block ×3, first 2 shown]
	v_add_f64 v[88:89], v[88:89], -v[116:117]
	v_add_f64 v[112:113], v[114:115], -v[112:113]
	v_add_f64 v[88:89], v[88:89], v[118:119]
	v_add_f64 v[90:91], v[90:91], -v[112:113]
	v_add_f64 v[88:89], v[88:89], v[90:91]
	v_add_f64 v[88:89], v[114:115], v[88:89]
	v_cmp_eq_f64_e32 vcc, s[70:71], v[86:87]
	v_cndmask_b32_e32 v88, v88, v86, vcc
	v_cndmask_b32_e32 v89, v89, v87, vcc
	v_cmp_ngt_f64_e32 vcc, -1.0, v[86:87]
	v_cndmask_b32_e32 v89, v110, v89, vcc
	v_cmp_nge_f64_e32 vcc, -1.0, v[86:87]
	v_cndmask_b32_e32 v88, 0, v88, vcc
	v_cmp_neq_f64_e32 vcc, -1.0, v[86:87]
	v_cndmask_b32_e32 v89, v111, v89, vcc
	v_add_f64 v[88:89], v[26:27], v[88:89]
.LBB68_128:                             ;   in Loop: Header=BB68_116 Depth=1
	s_or_b64 exec, exec, s[74:75]
	v_mov_b32_e32 v26, v88
	v_mov_b32_e32 v27, v89
	v_pk_mov_b32 v[86:87], v[88:89], v[88:89] op_sel:[0,1]
.LBB68_129:                             ;   in Loop: Header=BB68_116 Depth=1
	s_or_b64 exec, exec, s[72:73]
	s_waitcnt lgkmcnt(1)
	ds_bpermute_b32 v88, v100, v26
	s_waitcnt lgkmcnt(1)
	ds_bpermute_b32 v89, v100, v27
	v_cmp_le_u32_e32 vcc, v101, v29
	s_and_saveexec_b64 s[72:73], vcc
	s_cbranch_execz .LBB68_133
; %bb.130:                              ;   in Loop: Header=BB68_116 Depth=1
	s_waitcnt lgkmcnt(0)
	v_max_f64 v[26:27], v[88:89], v[88:89]
	v_max_f64 v[112:113], v[86:87], v[86:87]
	v_min_f64 v[90:91], v[26:27], v[112:113]
	v_cmp_u_f64_e32 vcc, v[88:89], v[88:89]
	v_max_f64 v[26:27], v[26:27], v[112:113]
	v_cndmask_b32_e32 v90, v90, v88, vcc
	v_cndmask_b32_e32 v91, v91, v89, vcc
	v_cmp_u_f64_e64 s[26:27], v[86:87], v[86:87]
	v_cndmask_b32_e32 v26, v26, v88, vcc
	v_cndmask_b32_e32 v27, v27, v89, vcc
	v_cndmask_b32_e64 v91, v91, v87, s[26:27]
	v_cndmask_b32_e64 v90, v90, v86, s[26:27]
	;; [unrolled: 1-line block ×4, first 2 shown]
	v_cmp_neq_f64_e32 vcc, v[90:91], v[26:27]
	v_cmp_class_f64_e64 s[26:27], v[90:91], s78
	s_or_b64 s[26:27], vcc, s[26:27]
	s_and_saveexec_b64 s[74:75], s[26:27]
	s_cbranch_execz .LBB68_132
; %bb.131:                              ;   in Loop: Header=BB68_116 Depth=1
	v_add_f64 v[86:87], v[90:91], -v[26:27]
	v_mul_f64 v[88:89], v[86:87], s[50:51]
	v_rndne_f64_e32 v[88:89], v[88:89]
	v_fma_f64 v[90:91], s[52:53], v[88:89], v[86:87]
	v_fmac_f64_e32 v[90:91], s[54:55], v[88:89]
	v_pk_mov_b32 v[112:113], v[56:57], v[56:57] op_sel:[0,1]
	v_fmac_f64_e32 v[112:113], s[56:57], v[90:91]
	v_pk_mov_b32 v[114:115], v[58:59], v[58:59] op_sel:[0,1]
	;; [unrolled: 2-line block ×9, first 2 shown]
	v_fmac_f64_e32 v[112:113], v[90:91], v[114:115]
	v_fma_f64 v[112:113], v[90:91], v[112:113], 1.0
	v_fma_f64 v[90:91], v[90:91], v[112:113], 1.0
	v_cvt_i32_f64_e32 v88, v[88:89]
	v_ldexp_f64 v[88:89], v[90:91], v88
	v_cmp_nlt_f64_e32 vcc, s[58:59], v[86:87]
	v_cmp_ngt_f64_e64 s[26:27], s[60:61], v[86:87]
	v_cndmask_b32_e32 v89, v109, v89, vcc
	s_and_b64 vcc, s[26:27], vcc
	v_cndmask_b32_e64 v87, 0, v89, s[26:27]
	v_cndmask_b32_e32 v86, 0, v88, vcc
	v_add_f64 v[88:89], v[86:87], 1.0
	v_add_f64 v[90:91], v[88:89], -1.0
	v_add_f64 v[112:113], v[90:91], -v[88:89]
	v_add_f64 v[112:113], v[112:113], 1.0
	v_add_f64 v[90:91], v[86:87], -v[90:91]
	v_add_f64 v[90:91], v[90:91], v[112:113]
	v_frexp_mant_f64_e32 v[112:113], v[88:89]
	v_frexp_exp_i32_f64_e32 v114, v[88:89]
	v_cmp_gt_f64_e32 vcc, s[62:63], v[112:113]
	v_subbrev_co_u32_e32 v128, vcc, 0, v114, vcc
	v_sub_u32_e32 v112, 0, v128
	v_ldexp_f64 v[88:89], v[88:89], v112
	v_ldexp_f64 v[90:91], v[90:91], v112
	v_add_f64 v[112:113], v[88:89], -1.0
	v_add_f64 v[118:119], v[88:89], 1.0
	v_add_f64 v[114:115], v[112:113], 1.0
	v_add_f64 v[120:121], v[118:119], -1.0
	v_add_f64 v[114:115], v[88:89], -v[114:115]
	v_add_f64 v[88:89], v[88:89], -v[120:121]
	v_add_f64 v[88:89], v[90:91], v[88:89]
	v_add_f64 v[114:115], v[90:91], v[114:115]
	;; [unrolled: 1-line block ×3, first 2 shown]
	v_rcp_f64_e32 v[120:121], v[90:91]
	v_add_f64 v[116:117], v[112:113], v[114:115]
	v_add_f64 v[112:113], v[116:117], -v[112:113]
	v_add_f64 v[112:113], v[114:115], -v[112:113]
	;; [unrolled: 1-line block ×4, first 2 shown]
	v_fma_f64 v[114:115], -v[90:91], v[120:121], 1.0
	v_fmac_f64_e32 v[120:121], v[114:115], v[120:121]
	v_fma_f64 v[114:115], -v[90:91], v[120:121], 1.0
	v_fmac_f64_e32 v[120:121], v[114:115], v[120:121]
	v_mul_f64 v[114:115], v[116:117], v[120:121]
	v_mul_f64 v[118:119], v[90:91], v[114:115]
	v_fma_f64 v[122:123], v[114:115], v[90:91], -v[118:119]
	v_fmac_f64_e32 v[122:123], v[114:115], v[88:89]
	v_add_f64 v[124:125], v[118:119], v[122:123]
	v_add_f64 v[126:127], v[116:117], -v[124:125]
	v_add_f64 v[116:117], v[116:117], -v[126:127]
	;; [unrolled: 1-line block ×4, first 2 shown]
	v_add_f64 v[112:113], v[112:113], v[116:117]
	v_add_f64 v[116:117], v[118:119], -v[122:123]
	v_add_f64 v[112:113], v[116:117], v[112:113]
	v_add_f64 v[116:117], v[126:127], v[112:113]
	v_add_f64 v[118:119], v[126:127], -v[116:117]
	v_add_f64 v[112:113], v[112:113], v[118:119]
	v_mul_f64 v[118:119], v[120:121], v[116:117]
	v_mul_f64 v[122:123], v[90:91], v[118:119]
	v_fma_f64 v[90:91], v[118:119], v[90:91], -v[122:123]
	v_fmac_f64_e32 v[90:91], v[118:119], v[88:89]
	v_add_f64 v[88:89], v[122:123], v[90:91]
	v_add_f64 v[124:125], v[116:117], -v[88:89]
	v_add_f64 v[116:117], v[116:117], -v[124:125]
	;; [unrolled: 1-line block ×4, first 2 shown]
	v_add_f64 v[88:89], v[112:113], v[88:89]
	v_add_f64 v[90:91], v[122:123], -v[90:91]
	v_add_f64 v[88:89], v[90:91], v[88:89]
	v_add_f64 v[90:91], v[114:115], v[118:119]
	;; [unrolled: 1-line block ×3, first 2 shown]
	v_add_f64 v[112:113], v[90:91], -v[114:115]
	v_mul_f64 v[88:89], v[120:121], v[88:89]
	v_add_f64 v[112:113], v[118:119], -v[112:113]
	v_add_f64 v[88:89], v[112:113], v[88:89]
	v_add_f64 v[112:113], v[90:91], v[88:89]
	v_add_f64 v[90:91], v[112:113], -v[90:91]
	v_add_f64 v[88:89], v[88:89], -v[90:91]
	v_mul_f64 v[90:91], v[112:113], v[112:113]
	v_pk_mov_b32 v[114:115], v[74:75], v[74:75] op_sel:[0,1]
	v_fmac_f64_e32 v[114:115], s[64:65], v[90:91]
	v_pk_mov_b32 v[116:117], v[76:77], v[76:77] op_sel:[0,1]
	v_fmac_f64_e32 v[116:117], v[90:91], v[114:115]
	;; [unrolled: 2-line block ×6, first 2 shown]
	v_cvt_f64_i32_e32 v[114:115], v128
	s_mov_b32 s66, s52
	v_mul_f64 v[118:119], v[114:115], s[66:67]
	v_fma_f64 v[120:121], v[114:115], s[66:67], -v[118:119]
	s_mov_b32 s68, s54
	v_fmac_f64_e32 v[120:121], s[68:69], v[114:115]
	v_add_f64 v[114:115], v[118:119], v[120:121]
	v_add_f64 v[118:119], v[114:115], -v[118:119]
	v_mul_f64 v[90:91], v[112:113], v[90:91]
	v_add_f64 v[118:119], v[120:121], -v[118:119]
	v_ldexp_f64 v[120:121], v[112:113], 1
	v_mul_f64 v[90:91], v[90:91], v[116:117]
	v_add_f64 v[112:113], v[120:121], v[90:91]
	v_add_f64 v[116:117], v[112:113], -v[120:121]
	v_ldexp_f64 v[88:89], v[88:89], 1
	v_add_f64 v[90:91], v[90:91], -v[116:117]
	v_add_f64 v[88:89], v[88:89], v[90:91]
	v_add_f64 v[90:91], v[112:113], v[88:89]
	v_add_f64 v[112:113], v[90:91], -v[112:113]
	v_add_f64 v[88:89], v[88:89], -v[112:113]
	v_add_f64 v[112:113], v[114:115], v[90:91]
	v_add_f64 v[116:117], v[112:113], -v[114:115]
	v_add_f64 v[120:121], v[112:113], -v[116:117]
	;; [unrolled: 1-line block ×4, first 2 shown]
	v_add_f64 v[90:91], v[90:91], v[114:115]
	v_add_f64 v[114:115], v[118:119], v[88:89]
	v_add_f64 v[116:117], v[114:115], -v[118:119]
	v_add_f64 v[90:91], v[114:115], v[90:91]
	v_add_f64 v[120:121], v[114:115], -v[116:117]
	v_add_f64 v[114:115], v[112:113], v[90:91]
	v_add_f64 v[118:119], v[118:119], -v[120:121]
	v_add_f64 v[88:89], v[88:89], -v[116:117]
	v_add_f64 v[112:113], v[114:115], -v[112:113]
	v_add_f64 v[88:89], v[88:89], v[118:119]
	v_add_f64 v[90:91], v[90:91], -v[112:113]
	v_add_f64 v[88:89], v[88:89], v[90:91]
	v_add_f64 v[88:89], v[114:115], v[88:89]
	v_cmp_eq_f64_e32 vcc, s[70:71], v[86:87]
	v_cndmask_b32_e32 v88, v88, v86, vcc
	v_cndmask_b32_e32 v89, v89, v87, vcc
	v_cmp_ngt_f64_e32 vcc, -1.0, v[86:87]
	v_cndmask_b32_e32 v89, v110, v89, vcc
	v_cmp_nge_f64_e32 vcc, -1.0, v[86:87]
	v_cndmask_b32_e32 v88, 0, v88, vcc
	v_cmp_neq_f64_e32 vcc, -1.0, v[86:87]
	v_cndmask_b32_e32 v89, v111, v89, vcc
	v_add_f64 v[88:89], v[26:27], v[88:89]
.LBB68_132:                             ;   in Loop: Header=BB68_116 Depth=1
	s_or_b64 exec, exec, s[74:75]
	v_mov_b32_e32 v26, v88
	v_mov_b32_e32 v27, v89
	v_pk_mov_b32 v[86:87], v[88:89], v[88:89] op_sel:[0,1]
.LBB68_133:                             ;   in Loop: Header=BB68_116 Depth=1
	s_or_b64 exec, exec, s[72:73]
	s_waitcnt lgkmcnt(1)
	ds_bpermute_b32 v88, v102, v26
	s_waitcnt lgkmcnt(1)
	ds_bpermute_b32 v89, v102, v27
	v_cmp_le_u32_e32 vcc, v103, v29
	s_and_saveexec_b64 s[72:73], vcc
	s_cbranch_execz .LBB68_137
; %bb.134:                              ;   in Loop: Header=BB68_116 Depth=1
	s_waitcnt lgkmcnt(0)
	v_max_f64 v[26:27], v[88:89], v[88:89]
	v_max_f64 v[112:113], v[86:87], v[86:87]
	v_min_f64 v[90:91], v[26:27], v[112:113]
	v_cmp_u_f64_e32 vcc, v[88:89], v[88:89]
	v_max_f64 v[26:27], v[26:27], v[112:113]
	v_cndmask_b32_e32 v90, v90, v88, vcc
	v_cndmask_b32_e32 v91, v91, v89, vcc
	v_cmp_u_f64_e64 s[26:27], v[86:87], v[86:87]
	v_cndmask_b32_e32 v26, v26, v88, vcc
	v_cndmask_b32_e32 v27, v27, v89, vcc
	v_cndmask_b32_e64 v91, v91, v87, s[26:27]
	v_cndmask_b32_e64 v90, v90, v86, s[26:27]
	;; [unrolled: 1-line block ×4, first 2 shown]
	v_cmp_neq_f64_e32 vcc, v[90:91], v[26:27]
	v_cmp_class_f64_e64 s[26:27], v[90:91], s78
	s_or_b64 s[26:27], vcc, s[26:27]
	s_and_saveexec_b64 s[74:75], s[26:27]
	s_cbranch_execz .LBB68_136
; %bb.135:                              ;   in Loop: Header=BB68_116 Depth=1
	v_add_f64 v[86:87], v[90:91], -v[26:27]
	v_mul_f64 v[88:89], v[86:87], s[50:51]
	v_rndne_f64_e32 v[88:89], v[88:89]
	v_fma_f64 v[90:91], s[52:53], v[88:89], v[86:87]
	v_fmac_f64_e32 v[90:91], s[54:55], v[88:89]
	v_pk_mov_b32 v[112:113], v[56:57], v[56:57] op_sel:[0,1]
	v_fmac_f64_e32 v[112:113], s[56:57], v[90:91]
	v_pk_mov_b32 v[114:115], v[58:59], v[58:59] op_sel:[0,1]
	;; [unrolled: 2-line block ×9, first 2 shown]
	v_fmac_f64_e32 v[112:113], v[90:91], v[114:115]
	v_fma_f64 v[112:113], v[90:91], v[112:113], 1.0
	v_fma_f64 v[90:91], v[90:91], v[112:113], 1.0
	v_cvt_i32_f64_e32 v88, v[88:89]
	v_ldexp_f64 v[88:89], v[90:91], v88
	v_cmp_nlt_f64_e32 vcc, s[58:59], v[86:87]
	v_cmp_ngt_f64_e64 s[26:27], s[60:61], v[86:87]
	v_cndmask_b32_e32 v89, v109, v89, vcc
	s_and_b64 vcc, s[26:27], vcc
	v_cndmask_b32_e64 v87, 0, v89, s[26:27]
	v_cndmask_b32_e32 v86, 0, v88, vcc
	v_add_f64 v[88:89], v[86:87], 1.0
	v_add_f64 v[90:91], v[88:89], -1.0
	v_add_f64 v[112:113], v[90:91], -v[88:89]
	v_add_f64 v[112:113], v[112:113], 1.0
	v_add_f64 v[90:91], v[86:87], -v[90:91]
	v_add_f64 v[90:91], v[90:91], v[112:113]
	v_frexp_mant_f64_e32 v[112:113], v[88:89]
	v_frexp_exp_i32_f64_e32 v114, v[88:89]
	v_cmp_gt_f64_e32 vcc, s[62:63], v[112:113]
	v_subbrev_co_u32_e32 v128, vcc, 0, v114, vcc
	v_sub_u32_e32 v112, 0, v128
	v_ldexp_f64 v[88:89], v[88:89], v112
	v_ldexp_f64 v[90:91], v[90:91], v112
	v_add_f64 v[112:113], v[88:89], -1.0
	v_add_f64 v[118:119], v[88:89], 1.0
	v_add_f64 v[114:115], v[112:113], 1.0
	v_add_f64 v[120:121], v[118:119], -1.0
	v_add_f64 v[114:115], v[88:89], -v[114:115]
	v_add_f64 v[88:89], v[88:89], -v[120:121]
	v_add_f64 v[88:89], v[90:91], v[88:89]
	v_add_f64 v[114:115], v[90:91], v[114:115]
	;; [unrolled: 1-line block ×3, first 2 shown]
	v_rcp_f64_e32 v[120:121], v[90:91]
	v_add_f64 v[116:117], v[112:113], v[114:115]
	v_add_f64 v[112:113], v[116:117], -v[112:113]
	v_add_f64 v[112:113], v[114:115], -v[112:113]
	;; [unrolled: 1-line block ×4, first 2 shown]
	v_fma_f64 v[114:115], -v[90:91], v[120:121], 1.0
	v_fmac_f64_e32 v[120:121], v[114:115], v[120:121]
	v_fma_f64 v[114:115], -v[90:91], v[120:121], 1.0
	v_fmac_f64_e32 v[120:121], v[114:115], v[120:121]
	v_mul_f64 v[114:115], v[116:117], v[120:121]
	v_mul_f64 v[118:119], v[90:91], v[114:115]
	v_fma_f64 v[122:123], v[114:115], v[90:91], -v[118:119]
	v_fmac_f64_e32 v[122:123], v[114:115], v[88:89]
	v_add_f64 v[124:125], v[118:119], v[122:123]
	v_add_f64 v[126:127], v[116:117], -v[124:125]
	v_add_f64 v[116:117], v[116:117], -v[126:127]
	;; [unrolled: 1-line block ×4, first 2 shown]
	v_add_f64 v[112:113], v[112:113], v[116:117]
	v_add_f64 v[116:117], v[118:119], -v[122:123]
	v_add_f64 v[112:113], v[116:117], v[112:113]
	v_add_f64 v[116:117], v[126:127], v[112:113]
	v_add_f64 v[118:119], v[126:127], -v[116:117]
	v_add_f64 v[112:113], v[112:113], v[118:119]
	v_mul_f64 v[118:119], v[120:121], v[116:117]
	v_mul_f64 v[122:123], v[90:91], v[118:119]
	v_fma_f64 v[90:91], v[118:119], v[90:91], -v[122:123]
	v_fmac_f64_e32 v[90:91], v[118:119], v[88:89]
	v_add_f64 v[88:89], v[122:123], v[90:91]
	v_add_f64 v[124:125], v[116:117], -v[88:89]
	v_add_f64 v[116:117], v[116:117], -v[124:125]
	;; [unrolled: 1-line block ×4, first 2 shown]
	v_add_f64 v[88:89], v[112:113], v[88:89]
	v_add_f64 v[90:91], v[122:123], -v[90:91]
	v_add_f64 v[88:89], v[90:91], v[88:89]
	v_add_f64 v[90:91], v[114:115], v[118:119]
	;; [unrolled: 1-line block ×3, first 2 shown]
	v_add_f64 v[112:113], v[90:91], -v[114:115]
	v_mul_f64 v[88:89], v[120:121], v[88:89]
	v_add_f64 v[112:113], v[118:119], -v[112:113]
	v_add_f64 v[88:89], v[112:113], v[88:89]
	v_add_f64 v[112:113], v[90:91], v[88:89]
	v_add_f64 v[90:91], v[112:113], -v[90:91]
	v_add_f64 v[88:89], v[88:89], -v[90:91]
	v_mul_f64 v[90:91], v[112:113], v[112:113]
	v_pk_mov_b32 v[114:115], v[74:75], v[74:75] op_sel:[0,1]
	v_fmac_f64_e32 v[114:115], s[64:65], v[90:91]
	v_pk_mov_b32 v[116:117], v[76:77], v[76:77] op_sel:[0,1]
	v_fmac_f64_e32 v[116:117], v[90:91], v[114:115]
	;; [unrolled: 2-line block ×6, first 2 shown]
	v_cvt_f64_i32_e32 v[114:115], v128
	s_mov_b32 s66, s52
	v_mul_f64 v[118:119], v[114:115], s[66:67]
	v_fma_f64 v[120:121], v[114:115], s[66:67], -v[118:119]
	s_mov_b32 s68, s54
	v_fmac_f64_e32 v[120:121], s[68:69], v[114:115]
	v_add_f64 v[114:115], v[118:119], v[120:121]
	v_add_f64 v[118:119], v[114:115], -v[118:119]
	v_mul_f64 v[90:91], v[112:113], v[90:91]
	v_add_f64 v[118:119], v[120:121], -v[118:119]
	v_ldexp_f64 v[120:121], v[112:113], 1
	v_mul_f64 v[90:91], v[90:91], v[116:117]
	v_add_f64 v[112:113], v[120:121], v[90:91]
	v_add_f64 v[116:117], v[112:113], -v[120:121]
	v_ldexp_f64 v[88:89], v[88:89], 1
	v_add_f64 v[90:91], v[90:91], -v[116:117]
	v_add_f64 v[88:89], v[88:89], v[90:91]
	v_add_f64 v[90:91], v[112:113], v[88:89]
	v_add_f64 v[112:113], v[90:91], -v[112:113]
	v_add_f64 v[88:89], v[88:89], -v[112:113]
	v_add_f64 v[112:113], v[114:115], v[90:91]
	v_add_f64 v[116:117], v[112:113], -v[114:115]
	v_add_f64 v[120:121], v[112:113], -v[116:117]
	;; [unrolled: 1-line block ×4, first 2 shown]
	v_add_f64 v[90:91], v[90:91], v[114:115]
	v_add_f64 v[114:115], v[118:119], v[88:89]
	v_add_f64 v[116:117], v[114:115], -v[118:119]
	v_add_f64 v[90:91], v[114:115], v[90:91]
	v_add_f64 v[120:121], v[114:115], -v[116:117]
	;; [unrolled: 2-line block ×3, first 2 shown]
	v_add_f64 v[88:89], v[88:89], -v[116:117]
	v_add_f64 v[112:113], v[114:115], -v[112:113]
	v_add_f64 v[88:89], v[88:89], v[118:119]
	v_add_f64 v[90:91], v[90:91], -v[112:113]
	v_add_f64 v[88:89], v[88:89], v[90:91]
	v_add_f64 v[88:89], v[114:115], v[88:89]
	v_cmp_eq_f64_e32 vcc, s[70:71], v[86:87]
	v_cndmask_b32_e32 v88, v88, v86, vcc
	v_cndmask_b32_e32 v89, v89, v87, vcc
	v_cmp_ngt_f64_e32 vcc, -1.0, v[86:87]
	v_cndmask_b32_e32 v89, v110, v89, vcc
	v_cmp_nge_f64_e32 vcc, -1.0, v[86:87]
	v_cndmask_b32_e32 v88, 0, v88, vcc
	v_cmp_neq_f64_e32 vcc, -1.0, v[86:87]
	v_cndmask_b32_e32 v89, v111, v89, vcc
	v_add_f64 v[88:89], v[26:27], v[88:89]
.LBB68_136:                             ;   in Loop: Header=BB68_116 Depth=1
	s_or_b64 exec, exec, s[74:75]
	v_mov_b32_e32 v26, v88
	v_mov_b32_e32 v27, v89
	v_pk_mov_b32 v[86:87], v[88:89], v[88:89] op_sel:[0,1]
.LBB68_137:                             ;   in Loop: Header=BB68_116 Depth=1
	s_or_b64 exec, exec, s[72:73]
	s_waitcnt lgkmcnt(1)
	ds_bpermute_b32 v88, v104, v26
	s_waitcnt lgkmcnt(1)
	ds_bpermute_b32 v89, v104, v27
	v_cmp_le_u32_e32 vcc, v105, v29
	s_and_saveexec_b64 s[72:73], vcc
	s_cbranch_execz .LBB68_141
; %bb.138:                              ;   in Loop: Header=BB68_116 Depth=1
	s_waitcnt lgkmcnt(0)
	v_max_f64 v[26:27], v[88:89], v[88:89]
	v_max_f64 v[112:113], v[86:87], v[86:87]
	v_min_f64 v[90:91], v[26:27], v[112:113]
	v_cmp_u_f64_e32 vcc, v[88:89], v[88:89]
	v_max_f64 v[26:27], v[26:27], v[112:113]
	v_cndmask_b32_e32 v90, v90, v88, vcc
	v_cndmask_b32_e32 v91, v91, v89, vcc
	v_cmp_u_f64_e64 s[26:27], v[86:87], v[86:87]
	v_cndmask_b32_e32 v26, v26, v88, vcc
	v_cndmask_b32_e32 v27, v27, v89, vcc
	v_cndmask_b32_e64 v91, v91, v87, s[26:27]
	v_cndmask_b32_e64 v90, v90, v86, s[26:27]
	;; [unrolled: 1-line block ×4, first 2 shown]
	v_cmp_neq_f64_e32 vcc, v[90:91], v[26:27]
	v_cmp_class_f64_e64 s[26:27], v[90:91], s78
	s_or_b64 s[26:27], vcc, s[26:27]
	s_and_saveexec_b64 s[74:75], s[26:27]
	s_cbranch_execz .LBB68_140
; %bb.139:                              ;   in Loop: Header=BB68_116 Depth=1
	v_add_f64 v[86:87], v[90:91], -v[26:27]
	v_mul_f64 v[88:89], v[86:87], s[50:51]
	v_rndne_f64_e32 v[88:89], v[88:89]
	v_fma_f64 v[90:91], s[52:53], v[88:89], v[86:87]
	v_fmac_f64_e32 v[90:91], s[54:55], v[88:89]
	v_pk_mov_b32 v[112:113], v[56:57], v[56:57] op_sel:[0,1]
	v_fmac_f64_e32 v[112:113], s[56:57], v[90:91]
	v_pk_mov_b32 v[114:115], v[58:59], v[58:59] op_sel:[0,1]
	;; [unrolled: 2-line block ×9, first 2 shown]
	v_fmac_f64_e32 v[112:113], v[90:91], v[114:115]
	v_fma_f64 v[112:113], v[90:91], v[112:113], 1.0
	v_fma_f64 v[90:91], v[90:91], v[112:113], 1.0
	v_cvt_i32_f64_e32 v88, v[88:89]
	v_ldexp_f64 v[88:89], v[90:91], v88
	v_cmp_nlt_f64_e32 vcc, s[58:59], v[86:87]
	v_cmp_ngt_f64_e64 s[26:27], s[60:61], v[86:87]
	v_cndmask_b32_e32 v89, v109, v89, vcc
	s_and_b64 vcc, s[26:27], vcc
	v_cndmask_b32_e64 v87, 0, v89, s[26:27]
	v_cndmask_b32_e32 v86, 0, v88, vcc
	v_add_f64 v[88:89], v[86:87], 1.0
	v_add_f64 v[90:91], v[88:89], -1.0
	v_add_f64 v[112:113], v[90:91], -v[88:89]
	v_add_f64 v[112:113], v[112:113], 1.0
	v_add_f64 v[90:91], v[86:87], -v[90:91]
	v_add_f64 v[90:91], v[90:91], v[112:113]
	v_frexp_mant_f64_e32 v[112:113], v[88:89]
	v_frexp_exp_i32_f64_e32 v114, v[88:89]
	v_cmp_gt_f64_e32 vcc, s[62:63], v[112:113]
	v_subbrev_co_u32_e32 v128, vcc, 0, v114, vcc
	v_sub_u32_e32 v112, 0, v128
	v_ldexp_f64 v[88:89], v[88:89], v112
	v_ldexp_f64 v[90:91], v[90:91], v112
	v_add_f64 v[112:113], v[88:89], -1.0
	v_add_f64 v[118:119], v[88:89], 1.0
	v_add_f64 v[114:115], v[112:113], 1.0
	v_add_f64 v[120:121], v[118:119], -1.0
	v_add_f64 v[114:115], v[88:89], -v[114:115]
	v_add_f64 v[88:89], v[88:89], -v[120:121]
	v_add_f64 v[88:89], v[90:91], v[88:89]
	v_add_f64 v[114:115], v[90:91], v[114:115]
	v_add_f64 v[90:91], v[118:119], v[88:89]
	v_rcp_f64_e32 v[120:121], v[90:91]
	v_add_f64 v[116:117], v[112:113], v[114:115]
	v_add_f64 v[112:113], v[116:117], -v[112:113]
	v_add_f64 v[112:113], v[114:115], -v[112:113]
	;; [unrolled: 1-line block ×4, first 2 shown]
	v_fma_f64 v[114:115], -v[90:91], v[120:121], 1.0
	v_fmac_f64_e32 v[120:121], v[114:115], v[120:121]
	v_fma_f64 v[114:115], -v[90:91], v[120:121], 1.0
	v_fmac_f64_e32 v[120:121], v[114:115], v[120:121]
	v_mul_f64 v[114:115], v[116:117], v[120:121]
	v_mul_f64 v[118:119], v[90:91], v[114:115]
	v_fma_f64 v[122:123], v[114:115], v[90:91], -v[118:119]
	v_fmac_f64_e32 v[122:123], v[114:115], v[88:89]
	v_add_f64 v[124:125], v[118:119], v[122:123]
	v_add_f64 v[126:127], v[116:117], -v[124:125]
	v_add_f64 v[116:117], v[116:117], -v[126:127]
	;; [unrolled: 1-line block ×4, first 2 shown]
	v_add_f64 v[112:113], v[112:113], v[116:117]
	v_add_f64 v[116:117], v[118:119], -v[122:123]
	v_add_f64 v[112:113], v[116:117], v[112:113]
	v_add_f64 v[116:117], v[126:127], v[112:113]
	v_add_f64 v[118:119], v[126:127], -v[116:117]
	v_add_f64 v[112:113], v[112:113], v[118:119]
	v_mul_f64 v[118:119], v[120:121], v[116:117]
	v_mul_f64 v[122:123], v[90:91], v[118:119]
	v_fma_f64 v[90:91], v[118:119], v[90:91], -v[122:123]
	v_fmac_f64_e32 v[90:91], v[118:119], v[88:89]
	v_add_f64 v[88:89], v[122:123], v[90:91]
	v_add_f64 v[124:125], v[116:117], -v[88:89]
	v_add_f64 v[116:117], v[116:117], -v[124:125]
	;; [unrolled: 1-line block ×4, first 2 shown]
	v_add_f64 v[88:89], v[112:113], v[88:89]
	v_add_f64 v[90:91], v[122:123], -v[90:91]
	v_add_f64 v[88:89], v[90:91], v[88:89]
	v_add_f64 v[90:91], v[114:115], v[118:119]
	;; [unrolled: 1-line block ×3, first 2 shown]
	v_add_f64 v[112:113], v[90:91], -v[114:115]
	v_mul_f64 v[88:89], v[120:121], v[88:89]
	v_add_f64 v[112:113], v[118:119], -v[112:113]
	v_add_f64 v[88:89], v[112:113], v[88:89]
	v_add_f64 v[112:113], v[90:91], v[88:89]
	v_add_f64 v[90:91], v[112:113], -v[90:91]
	v_add_f64 v[88:89], v[88:89], -v[90:91]
	v_mul_f64 v[90:91], v[112:113], v[112:113]
	v_pk_mov_b32 v[114:115], v[74:75], v[74:75] op_sel:[0,1]
	v_fmac_f64_e32 v[114:115], s[64:65], v[90:91]
	v_pk_mov_b32 v[116:117], v[76:77], v[76:77] op_sel:[0,1]
	v_fmac_f64_e32 v[116:117], v[90:91], v[114:115]
	;; [unrolled: 2-line block ×6, first 2 shown]
	v_cvt_f64_i32_e32 v[114:115], v128
	s_mov_b32 s66, s52
	v_mul_f64 v[118:119], v[114:115], s[66:67]
	v_fma_f64 v[120:121], v[114:115], s[66:67], -v[118:119]
	s_mov_b32 s68, s54
	v_fmac_f64_e32 v[120:121], s[68:69], v[114:115]
	v_add_f64 v[114:115], v[118:119], v[120:121]
	v_add_f64 v[118:119], v[114:115], -v[118:119]
	v_mul_f64 v[90:91], v[112:113], v[90:91]
	v_add_f64 v[118:119], v[120:121], -v[118:119]
	v_ldexp_f64 v[120:121], v[112:113], 1
	v_mul_f64 v[90:91], v[90:91], v[116:117]
	v_add_f64 v[112:113], v[120:121], v[90:91]
	v_add_f64 v[116:117], v[112:113], -v[120:121]
	v_ldexp_f64 v[88:89], v[88:89], 1
	v_add_f64 v[90:91], v[90:91], -v[116:117]
	v_add_f64 v[88:89], v[88:89], v[90:91]
	v_add_f64 v[90:91], v[112:113], v[88:89]
	v_add_f64 v[112:113], v[90:91], -v[112:113]
	v_add_f64 v[88:89], v[88:89], -v[112:113]
	v_add_f64 v[112:113], v[114:115], v[90:91]
	v_add_f64 v[116:117], v[112:113], -v[114:115]
	v_add_f64 v[120:121], v[112:113], -v[116:117]
	;; [unrolled: 1-line block ×4, first 2 shown]
	v_add_f64 v[90:91], v[90:91], v[114:115]
	v_add_f64 v[114:115], v[118:119], v[88:89]
	v_add_f64 v[116:117], v[114:115], -v[118:119]
	v_add_f64 v[90:91], v[114:115], v[90:91]
	v_add_f64 v[120:121], v[114:115], -v[116:117]
	;; [unrolled: 2-line block ×3, first 2 shown]
	v_add_f64 v[88:89], v[88:89], -v[116:117]
	v_add_f64 v[112:113], v[114:115], -v[112:113]
	v_add_f64 v[88:89], v[88:89], v[118:119]
	v_add_f64 v[90:91], v[90:91], -v[112:113]
	v_add_f64 v[88:89], v[88:89], v[90:91]
	v_add_f64 v[88:89], v[114:115], v[88:89]
	v_cmp_eq_f64_e32 vcc, s[70:71], v[86:87]
	v_cndmask_b32_e32 v88, v88, v86, vcc
	v_cndmask_b32_e32 v89, v89, v87, vcc
	v_cmp_ngt_f64_e32 vcc, -1.0, v[86:87]
	v_cndmask_b32_e32 v89, v110, v89, vcc
	v_cmp_nge_f64_e32 vcc, -1.0, v[86:87]
	v_cndmask_b32_e32 v88, 0, v88, vcc
	v_cmp_neq_f64_e32 vcc, -1.0, v[86:87]
	v_cndmask_b32_e32 v89, v111, v89, vcc
	v_add_f64 v[88:89], v[26:27], v[88:89]
.LBB68_140:                             ;   in Loop: Header=BB68_116 Depth=1
	s_or_b64 exec, exec, s[74:75]
	v_mov_b32_e32 v26, v88
	v_mov_b32_e32 v27, v89
	v_pk_mov_b32 v[86:87], v[88:89], v[88:89] op_sel:[0,1]
.LBB68_141:                             ;   in Loop: Header=BB68_116 Depth=1
	s_or_b64 exec, exec, s[72:73]
	s_waitcnt lgkmcnt(1)
	ds_bpermute_b32 v88, v106, v26
	s_waitcnt lgkmcnt(1)
	ds_bpermute_b32 v89, v106, v27
	v_cmp_le_u32_e32 vcc, v107, v29
	s_and_saveexec_b64 s[72:73], vcc
	s_cbranch_execz .LBB68_145
; %bb.142:                              ;   in Loop: Header=BB68_116 Depth=1
	s_waitcnt lgkmcnt(0)
	v_max_f64 v[26:27], v[88:89], v[88:89]
	v_max_f64 v[112:113], v[86:87], v[86:87]
	v_min_f64 v[90:91], v[26:27], v[112:113]
	v_cmp_u_f64_e32 vcc, v[88:89], v[88:89]
	v_max_f64 v[26:27], v[26:27], v[112:113]
	v_cndmask_b32_e32 v29, v90, v88, vcc
	v_cndmask_b32_e32 v90, v91, v89, vcc
	v_cmp_u_f64_e64 s[26:27], v[86:87], v[86:87]
	v_cndmask_b32_e32 v26, v26, v88, vcc
	v_cndmask_b32_e32 v27, v27, v89, vcc
	v_cndmask_b32_e64 v91, v90, v87, s[26:27]
	v_cndmask_b32_e64 v90, v29, v86, s[26:27]
	;; [unrolled: 1-line block ×4, first 2 shown]
	v_cmp_neq_f64_e32 vcc, v[90:91], v[26:27]
	v_cmp_class_f64_e64 s[26:27], v[90:91], s78
	s_or_b64 s[26:27], vcc, s[26:27]
	s_and_saveexec_b64 s[74:75], s[26:27]
	s_cbranch_execz .LBB68_144
; %bb.143:                              ;   in Loop: Header=BB68_116 Depth=1
	v_add_f64 v[86:87], v[90:91], -v[26:27]
	v_mul_f64 v[88:89], v[86:87], s[50:51]
	v_rndne_f64_e32 v[88:89], v[88:89]
	v_fma_f64 v[90:91], s[52:53], v[88:89], v[86:87]
	v_fmac_f64_e32 v[90:91], s[54:55], v[88:89]
	v_pk_mov_b32 v[112:113], v[56:57], v[56:57] op_sel:[0,1]
	v_fmac_f64_e32 v[112:113], s[56:57], v[90:91]
	v_pk_mov_b32 v[114:115], v[58:59], v[58:59] op_sel:[0,1]
	;; [unrolled: 2-line block ×9, first 2 shown]
	v_fmac_f64_e32 v[112:113], v[90:91], v[114:115]
	v_fma_f64 v[112:113], v[90:91], v[112:113], 1.0
	v_fma_f64 v[90:91], v[90:91], v[112:113], 1.0
	v_cvt_i32_f64_e32 v29, v[88:89]
	v_ldexp_f64 v[88:89], v[90:91], v29
	v_cmp_nlt_f64_e32 vcc, s[58:59], v[86:87]
	v_cmp_ngt_f64_e64 s[26:27], s[60:61], v[86:87]
	v_cndmask_b32_e32 v29, v109, v89, vcc
	s_and_b64 vcc, s[26:27], vcc
	v_cndmask_b32_e64 v87, 0, v29, s[26:27]
	v_cndmask_b32_e32 v86, 0, v88, vcc
	v_add_f64 v[88:89], v[86:87], 1.0
	v_add_f64 v[90:91], v[88:89], -1.0
	v_add_f64 v[112:113], v[90:91], -v[88:89]
	v_add_f64 v[112:113], v[112:113], 1.0
	v_add_f64 v[90:91], v[86:87], -v[90:91]
	v_add_f64 v[90:91], v[90:91], v[112:113]
	v_frexp_mant_f64_e32 v[112:113], v[88:89]
	v_frexp_exp_i32_f64_e32 v29, v[88:89]
	v_cmp_gt_f64_e32 vcc, s[62:63], v[112:113]
	v_subbrev_co_u32_e32 v29, vcc, 0, v29, vcc
	v_sub_u32_e32 v112, 0, v29
	v_ldexp_f64 v[88:89], v[88:89], v112
	v_ldexp_f64 v[90:91], v[90:91], v112
	v_add_f64 v[112:113], v[88:89], -1.0
	v_add_f64 v[118:119], v[88:89], 1.0
	v_add_f64 v[114:115], v[112:113], 1.0
	v_add_f64 v[120:121], v[118:119], -1.0
	v_add_f64 v[114:115], v[88:89], -v[114:115]
	v_add_f64 v[88:89], v[88:89], -v[120:121]
	v_add_f64 v[88:89], v[90:91], v[88:89]
	v_add_f64 v[114:115], v[90:91], v[114:115]
	;; [unrolled: 1-line block ×3, first 2 shown]
	v_rcp_f64_e32 v[120:121], v[90:91]
	v_add_f64 v[116:117], v[112:113], v[114:115]
	v_add_f64 v[112:113], v[116:117], -v[112:113]
	v_add_f64 v[112:113], v[114:115], -v[112:113]
	;; [unrolled: 1-line block ×4, first 2 shown]
	v_fma_f64 v[114:115], -v[90:91], v[120:121], 1.0
	v_fmac_f64_e32 v[120:121], v[114:115], v[120:121]
	v_fma_f64 v[114:115], -v[90:91], v[120:121], 1.0
	v_fmac_f64_e32 v[120:121], v[114:115], v[120:121]
	v_mul_f64 v[114:115], v[116:117], v[120:121]
	v_mul_f64 v[118:119], v[90:91], v[114:115]
	v_fma_f64 v[122:123], v[114:115], v[90:91], -v[118:119]
	v_fmac_f64_e32 v[122:123], v[114:115], v[88:89]
	v_add_f64 v[124:125], v[118:119], v[122:123]
	v_add_f64 v[126:127], v[116:117], -v[124:125]
	v_add_f64 v[116:117], v[116:117], -v[126:127]
	;; [unrolled: 1-line block ×4, first 2 shown]
	v_add_f64 v[112:113], v[112:113], v[116:117]
	v_add_f64 v[116:117], v[118:119], -v[122:123]
	v_add_f64 v[112:113], v[116:117], v[112:113]
	v_add_f64 v[116:117], v[126:127], v[112:113]
	v_add_f64 v[118:119], v[126:127], -v[116:117]
	v_add_f64 v[112:113], v[112:113], v[118:119]
	v_mul_f64 v[118:119], v[120:121], v[116:117]
	v_mul_f64 v[122:123], v[90:91], v[118:119]
	v_fma_f64 v[90:91], v[118:119], v[90:91], -v[122:123]
	v_fmac_f64_e32 v[90:91], v[118:119], v[88:89]
	v_add_f64 v[88:89], v[122:123], v[90:91]
	v_add_f64 v[124:125], v[116:117], -v[88:89]
	v_add_f64 v[116:117], v[116:117], -v[124:125]
	;; [unrolled: 1-line block ×4, first 2 shown]
	v_add_f64 v[88:89], v[112:113], v[88:89]
	v_add_f64 v[90:91], v[122:123], -v[90:91]
	v_add_f64 v[88:89], v[90:91], v[88:89]
	v_add_f64 v[90:91], v[114:115], v[118:119]
	;; [unrolled: 1-line block ×3, first 2 shown]
	v_add_f64 v[112:113], v[90:91], -v[114:115]
	v_mul_f64 v[88:89], v[120:121], v[88:89]
	v_add_f64 v[112:113], v[118:119], -v[112:113]
	v_add_f64 v[88:89], v[112:113], v[88:89]
	v_add_f64 v[112:113], v[90:91], v[88:89]
	v_add_f64 v[90:91], v[112:113], -v[90:91]
	v_add_f64 v[88:89], v[88:89], -v[90:91]
	v_mul_f64 v[90:91], v[112:113], v[112:113]
	v_pk_mov_b32 v[114:115], v[74:75], v[74:75] op_sel:[0,1]
	v_fmac_f64_e32 v[114:115], s[64:65], v[90:91]
	v_pk_mov_b32 v[116:117], v[76:77], v[76:77] op_sel:[0,1]
	v_fmac_f64_e32 v[116:117], v[90:91], v[114:115]
	;; [unrolled: 2-line block ×6, first 2 shown]
	v_cvt_f64_i32_e32 v[114:115], v29
	s_mov_b32 s66, s52
	v_mul_f64 v[118:119], v[114:115], s[66:67]
	v_fma_f64 v[120:121], v[114:115], s[66:67], -v[118:119]
	s_mov_b32 s68, s54
	v_fmac_f64_e32 v[120:121], s[68:69], v[114:115]
	v_add_f64 v[114:115], v[118:119], v[120:121]
	v_add_f64 v[118:119], v[114:115], -v[118:119]
	v_mul_f64 v[90:91], v[112:113], v[90:91]
	v_add_f64 v[118:119], v[120:121], -v[118:119]
	v_ldexp_f64 v[120:121], v[112:113], 1
	v_mul_f64 v[90:91], v[90:91], v[116:117]
	v_add_f64 v[112:113], v[120:121], v[90:91]
	v_add_f64 v[116:117], v[112:113], -v[120:121]
	v_ldexp_f64 v[88:89], v[88:89], 1
	v_add_f64 v[90:91], v[90:91], -v[116:117]
	v_add_f64 v[88:89], v[88:89], v[90:91]
	v_add_f64 v[90:91], v[112:113], v[88:89]
	v_add_f64 v[112:113], v[90:91], -v[112:113]
	v_add_f64 v[88:89], v[88:89], -v[112:113]
	v_add_f64 v[112:113], v[114:115], v[90:91]
	v_add_f64 v[116:117], v[112:113], -v[114:115]
	v_add_f64 v[120:121], v[112:113], -v[116:117]
	;; [unrolled: 1-line block ×4, first 2 shown]
	v_add_f64 v[90:91], v[90:91], v[114:115]
	v_add_f64 v[114:115], v[118:119], v[88:89]
	v_add_f64 v[116:117], v[114:115], -v[118:119]
	v_add_f64 v[90:91], v[114:115], v[90:91]
	v_add_f64 v[120:121], v[114:115], -v[116:117]
	;; [unrolled: 2-line block ×3, first 2 shown]
	v_add_f64 v[88:89], v[88:89], -v[116:117]
	v_add_f64 v[112:113], v[114:115], -v[112:113]
	v_add_f64 v[88:89], v[88:89], v[118:119]
	v_add_f64 v[90:91], v[90:91], -v[112:113]
	v_add_f64 v[88:89], v[88:89], v[90:91]
	v_add_f64 v[88:89], v[114:115], v[88:89]
	v_cmp_eq_f64_e32 vcc, s[70:71], v[86:87]
	v_cndmask_b32_e32 v29, v88, v86, vcc
	v_cndmask_b32_e32 v88, v89, v87, vcc
	v_cmp_ngt_f64_e32 vcc, -1.0, v[86:87]
	v_cndmask_b32_e32 v89, v110, v88, vcc
	v_cmp_nge_f64_e32 vcc, -1.0, v[86:87]
	v_cndmask_b32_e32 v88, 0, v29, vcc
	v_cmp_neq_f64_e32 vcc, -1.0, v[86:87]
	v_cndmask_b32_e32 v89, v111, v89, vcc
	v_add_f64 v[88:89], v[26:27], v[88:89]
.LBB68_144:                             ;   in Loop: Header=BB68_116 Depth=1
	s_or_b64 exec, exec, s[74:75]
	v_pk_mov_b32 v[86:87], v[88:89], v[88:89] op_sel:[0,1]
.LBB68_145:                             ;   in Loop: Header=BB68_116 Depth=1
	s_or_b64 exec, exec, s[72:73]
	v_max_f64 v[26:27], v[54:55], v[54:55]
	v_max_f64 v[90:91], v[86:87], v[86:87]
	s_waitcnt lgkmcnt(0)
	v_min_f64 v[88:89], v[90:91], v[26:27]
	v_cmp_u_f64_e32 vcc, v[86:87], v[86:87]
	v_max_f64 v[26:27], v[90:91], v[26:27]
	v_cndmask_b32_e32 v29, v88, v86, vcc
	v_cndmask_b32_e32 v88, v89, v87, vcc
	v_cmp_u_f64_e64 s[26:27], v[54:55], v[54:55]
	v_cndmask_b32_e32 v26, v26, v86, vcc
	v_cndmask_b32_e32 v27, v27, v87, vcc
	v_cndmask_b32_e64 v89, v88, v55, s[26:27]
	v_cndmask_b32_e64 v88, v29, v54, s[26:27]
	;; [unrolled: 1-line block ×4, first 2 shown]
	v_cmp_neq_f64_e32 vcc, v[88:89], v[26:27]
	v_cmp_class_f64_e64 s[26:27], v[88:89], s78
	s_or_b64 s[26:27], vcc, s[26:27]
	s_and_saveexec_b64 s[72:73], s[26:27]
	s_xor_b64 s[72:73], exec, s[72:73]
	s_cbranch_execz .LBB68_115
; %bb.146:                              ;   in Loop: Header=BB68_116 Depth=1
	v_add_f64 v[86:87], v[88:89], -v[26:27]
	v_mul_f64 v[88:89], v[86:87], s[50:51]
	v_rndne_f64_e32 v[88:89], v[88:89]
	v_fma_f64 v[90:91], s[52:53], v[88:89], v[86:87]
	v_fmac_f64_e32 v[90:91], s[54:55], v[88:89]
	v_pk_mov_b32 v[112:113], v[56:57], v[56:57] op_sel:[0,1]
	v_fmac_f64_e32 v[112:113], s[56:57], v[90:91]
	v_pk_mov_b32 v[114:115], v[58:59], v[58:59] op_sel:[0,1]
	;; [unrolled: 2-line block ×9, first 2 shown]
	v_fmac_f64_e32 v[112:113], v[90:91], v[114:115]
	v_fma_f64 v[112:113], v[90:91], v[112:113], 1.0
	v_fma_f64 v[90:91], v[90:91], v[112:113], 1.0
	v_cvt_i32_f64_e32 v29, v[88:89]
	v_ldexp_f64 v[88:89], v[90:91], v29
	v_cmp_nlt_f64_e32 vcc, s[58:59], v[86:87]
	v_cmp_ngt_f64_e64 s[26:27], s[60:61], v[86:87]
	v_cndmask_b32_e32 v29, v109, v89, vcc
	s_and_b64 vcc, s[26:27], vcc
	v_cndmask_b32_e64 v87, 0, v29, s[26:27]
	v_cndmask_b32_e32 v86, 0, v88, vcc
	v_add_f64 v[88:89], v[86:87], 1.0
	v_add_f64 v[90:91], v[88:89], -1.0
	v_add_f64 v[112:113], v[90:91], -v[88:89]
	v_add_f64 v[112:113], v[112:113], 1.0
	v_add_f64 v[90:91], v[86:87], -v[90:91]
	v_add_f64 v[90:91], v[90:91], v[112:113]
	v_frexp_mant_f64_e32 v[112:113], v[88:89]
	v_frexp_exp_i32_f64_e32 v29, v[88:89]
	v_cmp_gt_f64_e32 vcc, s[62:63], v[112:113]
	v_subbrev_co_u32_e32 v29, vcc, 0, v29, vcc
	v_sub_u32_e32 v112, 0, v29
	v_ldexp_f64 v[88:89], v[88:89], v112
	v_ldexp_f64 v[90:91], v[90:91], v112
	v_add_f64 v[112:113], v[88:89], -1.0
	v_add_f64 v[118:119], v[88:89], 1.0
	v_add_f64 v[114:115], v[112:113], 1.0
	v_add_f64 v[120:121], v[118:119], -1.0
	v_add_f64 v[114:115], v[88:89], -v[114:115]
	v_add_f64 v[88:89], v[88:89], -v[120:121]
	v_add_f64 v[88:89], v[90:91], v[88:89]
	v_add_f64 v[114:115], v[90:91], v[114:115]
	;; [unrolled: 1-line block ×3, first 2 shown]
	v_rcp_f64_e32 v[120:121], v[90:91]
	v_add_f64 v[116:117], v[112:113], v[114:115]
	v_add_f64 v[112:113], v[116:117], -v[112:113]
	v_add_f64 v[112:113], v[114:115], -v[112:113]
	;; [unrolled: 1-line block ×4, first 2 shown]
	v_fma_f64 v[114:115], -v[90:91], v[120:121], 1.0
	v_fmac_f64_e32 v[120:121], v[114:115], v[120:121]
	v_fma_f64 v[114:115], -v[90:91], v[120:121], 1.0
	v_fmac_f64_e32 v[120:121], v[114:115], v[120:121]
	v_mul_f64 v[114:115], v[116:117], v[120:121]
	v_mul_f64 v[118:119], v[90:91], v[114:115]
	v_fma_f64 v[122:123], v[114:115], v[90:91], -v[118:119]
	v_fmac_f64_e32 v[122:123], v[114:115], v[88:89]
	v_add_f64 v[124:125], v[118:119], v[122:123]
	v_add_f64 v[126:127], v[116:117], -v[124:125]
	v_add_f64 v[116:117], v[116:117], -v[126:127]
	;; [unrolled: 1-line block ×4, first 2 shown]
	v_add_f64 v[112:113], v[112:113], v[116:117]
	v_add_f64 v[116:117], v[118:119], -v[122:123]
	v_add_f64 v[112:113], v[116:117], v[112:113]
	v_add_f64 v[116:117], v[126:127], v[112:113]
	v_add_f64 v[118:119], v[126:127], -v[116:117]
	v_add_f64 v[112:113], v[112:113], v[118:119]
	v_mul_f64 v[118:119], v[120:121], v[116:117]
	v_mul_f64 v[122:123], v[90:91], v[118:119]
	v_fma_f64 v[90:91], v[118:119], v[90:91], -v[122:123]
	v_fmac_f64_e32 v[90:91], v[118:119], v[88:89]
	v_add_f64 v[88:89], v[122:123], v[90:91]
	v_add_f64 v[124:125], v[116:117], -v[88:89]
	v_add_f64 v[116:117], v[116:117], -v[124:125]
	;; [unrolled: 1-line block ×4, first 2 shown]
	v_add_f64 v[88:89], v[112:113], v[88:89]
	v_add_f64 v[90:91], v[122:123], -v[90:91]
	v_add_f64 v[88:89], v[90:91], v[88:89]
	v_add_f64 v[90:91], v[114:115], v[118:119]
	;; [unrolled: 1-line block ×3, first 2 shown]
	v_add_f64 v[112:113], v[90:91], -v[114:115]
	v_mul_f64 v[88:89], v[120:121], v[88:89]
	v_add_f64 v[112:113], v[118:119], -v[112:113]
	v_add_f64 v[88:89], v[112:113], v[88:89]
	v_add_f64 v[112:113], v[90:91], v[88:89]
	v_add_f64 v[90:91], v[112:113], -v[90:91]
	v_add_f64 v[88:89], v[88:89], -v[90:91]
	v_mul_f64 v[90:91], v[112:113], v[112:113]
	v_pk_mov_b32 v[114:115], v[74:75], v[74:75] op_sel:[0,1]
	v_fmac_f64_e32 v[114:115], s[64:65], v[90:91]
	v_pk_mov_b32 v[116:117], v[76:77], v[76:77] op_sel:[0,1]
	v_fmac_f64_e32 v[116:117], v[90:91], v[114:115]
	;; [unrolled: 2-line block ×6, first 2 shown]
	v_cvt_f64_i32_e32 v[114:115], v29
	s_mov_b32 s66, s52
	v_mul_f64 v[118:119], v[114:115], s[66:67]
	v_fma_f64 v[120:121], v[114:115], s[66:67], -v[118:119]
	s_mov_b32 s68, s54
	v_fmac_f64_e32 v[120:121], s[68:69], v[114:115]
	v_add_f64 v[114:115], v[118:119], v[120:121]
	v_add_f64 v[118:119], v[114:115], -v[118:119]
	v_mul_f64 v[90:91], v[112:113], v[90:91]
	v_add_f64 v[118:119], v[120:121], -v[118:119]
	v_ldexp_f64 v[120:121], v[112:113], 1
	v_mul_f64 v[90:91], v[90:91], v[116:117]
	v_add_f64 v[112:113], v[120:121], v[90:91]
	v_add_f64 v[116:117], v[112:113], -v[120:121]
	v_ldexp_f64 v[88:89], v[88:89], 1
	v_add_f64 v[90:91], v[90:91], -v[116:117]
	v_add_f64 v[88:89], v[88:89], v[90:91]
	v_add_f64 v[90:91], v[112:113], v[88:89]
	v_add_f64 v[112:113], v[90:91], -v[112:113]
	v_add_f64 v[88:89], v[88:89], -v[112:113]
	v_add_f64 v[112:113], v[114:115], v[90:91]
	v_add_f64 v[116:117], v[112:113], -v[114:115]
	v_add_f64 v[120:121], v[112:113], -v[116:117]
	;; [unrolled: 1-line block ×4, first 2 shown]
	v_add_f64 v[90:91], v[90:91], v[114:115]
	v_add_f64 v[114:115], v[118:119], v[88:89]
	v_add_f64 v[116:117], v[114:115], -v[118:119]
	v_add_f64 v[90:91], v[114:115], v[90:91]
	v_add_f64 v[120:121], v[114:115], -v[116:117]
	;; [unrolled: 2-line block ×3, first 2 shown]
	v_add_f64 v[88:89], v[88:89], -v[116:117]
	v_add_f64 v[112:113], v[114:115], -v[112:113]
	v_add_f64 v[88:89], v[88:89], v[118:119]
	v_add_f64 v[90:91], v[90:91], -v[112:113]
	v_add_f64 v[88:89], v[88:89], v[90:91]
	v_add_f64 v[88:89], v[114:115], v[88:89]
	v_cmp_eq_f64_e32 vcc, s[70:71], v[86:87]
	v_cndmask_b32_e32 v29, v88, v86, vcc
	v_cndmask_b32_e32 v88, v89, v87, vcc
	v_cmp_ngt_f64_e32 vcc, -1.0, v[86:87]
	v_cndmask_b32_e32 v89, v110, v88, vcc
	v_cmp_nge_f64_e32 vcc, -1.0, v[86:87]
	v_cndmask_b32_e32 v88, 0, v29, vcc
	v_cmp_neq_f64_e32 vcc, -1.0, v[86:87]
	v_cndmask_b32_e32 v89, v111, v89, vcc
	v_add_f64 v[86:87], v[26:27], v[88:89]
	s_branch .LBB68_115
.LBB68_147:                             ;   in Loop: Header=BB68_116 Depth=1
                                        ; implicit-def: $vgpr86_vgpr87
                                        ; implicit-def: $vgpr28
	s_cbranch_execz .LBB68_116
; %bb.148:
	s_and_saveexec_b64 s[50:51], s[24:25]
	s_cbranch_execz .LBB68_152
; %bb.149:
	v_max_f64 v[24:25], v[22:23], v[22:23]
	v_max_f64 v[28:29], v[54:55], v[54:55]
	v_min_f64 v[26:27], v[28:29], v[24:25]
	v_cmp_u_f64_e32 vcc, v[54:55], v[54:55]
	v_max_f64 v[24:25], v[28:29], v[24:25]
	v_cndmask_b32_e32 v26, v26, v54, vcc
	v_cndmask_b32_e32 v27, v27, v55, vcc
	v_cmp_u_f64_e64 s[26:27], v[22:23], v[22:23]
	v_cndmask_b32_e32 v24, v24, v54, vcc
	v_cndmask_b32_e32 v25, v25, v55, vcc
	v_cndmask_b32_e64 v27, v27, v23, s[26:27]
	v_cndmask_b32_e64 v26, v26, v22, s[26:27]
	;; [unrolled: 1-line block ×4, first 2 shown]
	s_movk_i32 s26, 0x1f8
	v_cmp_neq_f64_e32 vcc, v[26:27], v[24:25]
	v_cmp_class_f64_e64 s[26:27], v[26:27], s26
	s_or_b64 s[26:27], vcc, s[26:27]
	v_pk_mov_b32 v[22:23], v[54:55], v[54:55] op_sel:[0,1]
	s_and_saveexec_b64 s[52:53], s[26:27]
	s_cbranch_execz .LBB68_151
; %bb.150:
	s_mov_b32 s26, 0x652b82fe
	v_add_f64 v[22:23], v[26:27], -v[24:25]
	s_mov_b32 s27, 0x3ff71547
	v_mul_f64 v[26:27], v[22:23], s[26:27]
	v_rndne_f64_e32 v[26:27], v[26:27]
	s_mov_b32 s55, 0xbfe62e42
	s_mov_b32 s54, 0xfefa39ef
	v_fma_f64 v[28:29], s[54:55], v[26:27], v[22:23]
	s_mov_b32 s57, 0xbc7abc9e
	s_mov_b32 s56, 0x3b39803f
	;; [unrolled: 1-line block ×3, first 2 shown]
	v_fmac_f64_e32 v[28:29], s[56:57], v[26:27]
	v_mov_b32_e32 v52, 0xfca7ab0c
	v_mov_b32_e32 v53, 0x3e928af3
	s_mov_b32 s27, 0x3e5ade15
	v_fmac_f64_e32 v[52:53], s[26:27], v[28:29]
	v_mov_b32_e32 v56, 0x623fde64
	v_mov_b32_e32 v57, 0x3ec71dee
	v_fmac_f64_e32 v[56:57], v[28:29], v[52:53]
	v_mov_b32_e32 v52, 0x7c89e6b0
	v_mov_b32_e32 v53, 0x3efa0199
	;; [unrolled: 3-line block ×8, first 2 shown]
	s_mov_b32 s26, 0
	v_fmac_f64_e32 v[52:53], v[28:29], v[56:57]
	s_mov_b32 s27, 0x40900000
	v_fma_f64 v[52:53], v[28:29], v[52:53], 1.0
	v_cmp_nlt_f64_e32 vcc, s[26:27], v[22:23]
	s_mov_b32 s26, 0
	v_fma_f64 v[28:29], v[28:29], v[52:53], 1.0
	v_cvt_i32_f64_e32 v26, v[26:27]
	s_mov_b32 s27, 0xc090cc00
	v_ldexp_f64 v[26:27], v[28:29], v26
	v_mov_b32_e32 v28, 0x7ff00000
	v_cmp_ngt_f64_e64 s[26:27], s[26:27], v[22:23]
	v_cndmask_b32_e32 v27, v28, v27, vcc
	s_and_b64 vcc, s[26:27], vcc
	v_cndmask_b32_e64 v23, 0, v27, s[26:27]
	v_cndmask_b32_e32 v22, 0, v26, vcc
	v_add_f64 v[26:27], v[22:23], 1.0
	v_add_f64 v[28:29], v[26:27], -1.0
	v_add_f64 v[52:53], v[28:29], -v[26:27]
	v_add_f64 v[52:53], v[52:53], 1.0
	v_add_f64 v[28:29], v[22:23], -v[28:29]
	s_mov_b32 s26, 0x55555555
	v_add_f64 v[28:29], v[28:29], v[52:53]
	v_frexp_mant_f64_e32 v[52:53], v[26:27]
	s_mov_b32 s27, 0x3fe55555
	v_frexp_exp_i32_f64_e32 v56, v[26:27]
	v_cmp_gt_f64_e32 vcc, s[26:27], v[52:53]
	v_subbrev_co_u32_e32 v70, vcc, 0, v56, vcc
	v_sub_u32_e32 v52, 0, v70
	v_ldexp_f64 v[26:27], v[26:27], v52
	v_ldexp_f64 v[28:29], v[28:29], v52
	v_add_f64 v[52:53], v[26:27], -1.0
	v_add_f64 v[60:61], v[26:27], 1.0
	v_add_f64 v[56:57], v[52:53], 1.0
	v_add_f64 v[62:63], v[60:61], -1.0
	v_add_f64 v[56:57], v[26:27], -v[56:57]
	v_add_f64 v[26:27], v[26:27], -v[62:63]
	v_add_f64 v[26:27], v[28:29], v[26:27]
	v_add_f64 v[56:57], v[28:29], v[56:57]
	;; [unrolled: 1-line block ×3, first 2 shown]
	v_rcp_f64_e32 v[62:63], v[28:29]
	v_add_f64 v[58:59], v[52:53], v[56:57]
	v_add_f64 v[52:53], v[58:59], -v[52:53]
	v_add_f64 v[52:53], v[56:57], -v[52:53]
	;; [unrolled: 1-line block ×4, first 2 shown]
	v_fma_f64 v[56:57], -v[28:29], v[62:63], 1.0
	v_fmac_f64_e32 v[62:63], v[56:57], v[62:63]
	v_fma_f64 v[56:57], -v[28:29], v[62:63], 1.0
	v_fmac_f64_e32 v[62:63], v[56:57], v[62:63]
	v_mul_f64 v[56:57], v[58:59], v[62:63]
	v_mul_f64 v[60:61], v[28:29], v[56:57]
	v_fma_f64 v[64:65], v[56:57], v[28:29], -v[60:61]
	v_fmac_f64_e32 v[64:65], v[56:57], v[26:27]
	v_add_f64 v[66:67], v[60:61], v[64:65]
	v_add_f64 v[68:69], v[58:59], -v[66:67]
	v_add_f64 v[58:59], v[58:59], -v[68:69]
	;; [unrolled: 1-line block ×4, first 2 shown]
	v_add_f64 v[52:53], v[52:53], v[58:59]
	v_add_f64 v[58:59], v[60:61], -v[64:65]
	v_add_f64 v[52:53], v[58:59], v[52:53]
	v_add_f64 v[58:59], v[68:69], v[52:53]
	v_add_f64 v[60:61], v[68:69], -v[58:59]
	v_add_f64 v[52:53], v[52:53], v[60:61]
	v_mul_f64 v[60:61], v[62:63], v[58:59]
	v_mul_f64 v[64:65], v[28:29], v[60:61]
	v_fma_f64 v[28:29], v[60:61], v[28:29], -v[64:65]
	v_fmac_f64_e32 v[28:29], v[60:61], v[26:27]
	v_add_f64 v[26:27], v[64:65], v[28:29]
	v_add_f64 v[66:67], v[58:59], -v[26:27]
	v_add_f64 v[58:59], v[58:59], -v[66:67]
	;; [unrolled: 1-line block ×4, first 2 shown]
	v_add_f64 v[26:27], v[52:53], v[26:27]
	v_add_f64 v[28:29], v[64:65], -v[28:29]
	v_add_f64 v[26:27], v[28:29], v[26:27]
	v_add_f64 v[28:29], v[56:57], v[60:61]
	;; [unrolled: 1-line block ×3, first 2 shown]
	v_add_f64 v[52:53], v[28:29], -v[56:57]
	v_mul_f64 v[26:27], v[62:63], v[26:27]
	v_add_f64 v[52:53], v[60:61], -v[52:53]
	v_add_f64 v[26:27], v[52:53], v[26:27]
	v_add_f64 v[52:53], v[28:29], v[26:27]
	v_add_f64 v[28:29], v[52:53], -v[28:29]
	s_mov_b32 s26, 0xbf559e2b
	v_add_f64 v[26:27], v[26:27], -v[28:29]
	v_mul_f64 v[28:29], v[52:53], v[52:53]
	v_mov_b32_e32 v56, 0x6b47b09a
	v_mov_b32_e32 v57, 0x3fc38538
	s_mov_b32 s27, 0x3fc3ab76
	v_fmac_f64_e32 v[56:57], s[26:27], v[28:29]
	v_mov_b32_e32 v58, 0xd7f4df2e
	v_mov_b32_e32 v59, 0x3fc7474d
	v_fmac_f64_e32 v[58:59], v[28:29], v[56:57]
	v_mov_b32_e32 v56, 0x16291751
	v_mov_b32_e32 v57, 0x3fcc71c0
	;; [unrolled: 3-line block ×5, first 2 shown]
	v_fmac_f64_e32 v[58:59], v[28:29], v[56:57]
	v_cvt_f64_i32_e32 v[56:57], v70
	s_mov_b32 s55, 0x3fe62e42
	v_mul_f64 v[60:61], v[56:57], s[54:55]
	v_fma_f64 v[62:63], v[56:57], s[54:55], -v[60:61]
	s_mov_b32 s57, 0x3c7abc9e
	v_fmac_f64_e32 v[62:63], s[56:57], v[56:57]
	v_add_f64 v[56:57], v[60:61], v[62:63]
	v_add_f64 v[60:61], v[56:57], -v[60:61]
	v_mul_f64 v[28:29], v[52:53], v[28:29]
	v_add_f64 v[60:61], v[62:63], -v[60:61]
	v_ldexp_f64 v[62:63], v[52:53], 1
	v_mul_f64 v[28:29], v[28:29], v[58:59]
	v_add_f64 v[52:53], v[62:63], v[28:29]
	v_add_f64 v[58:59], v[52:53], -v[62:63]
	v_ldexp_f64 v[26:27], v[26:27], 1
	v_add_f64 v[28:29], v[28:29], -v[58:59]
	v_add_f64 v[26:27], v[26:27], v[28:29]
	v_add_f64 v[28:29], v[52:53], v[26:27]
	v_add_f64 v[52:53], v[28:29], -v[52:53]
	v_add_f64 v[26:27], v[26:27], -v[52:53]
	v_add_f64 v[52:53], v[56:57], v[28:29]
	v_add_f64 v[58:59], v[52:53], -v[56:57]
	v_add_f64 v[62:63], v[52:53], -v[58:59]
	;; [unrolled: 1-line block ×4, first 2 shown]
	v_add_f64 v[28:29], v[28:29], v[56:57]
	v_add_f64 v[56:57], v[60:61], v[26:27]
	v_add_f64 v[58:59], v[56:57], -v[60:61]
	v_add_f64 v[28:29], v[56:57], v[28:29]
	v_add_f64 v[62:63], v[56:57], -v[58:59]
	;; [unrolled: 2-line block ×3, first 2 shown]
	v_add_f64 v[26:27], v[26:27], -v[58:59]
	v_add_f64 v[52:53], v[56:57], -v[52:53]
	v_add_f64 v[26:27], v[26:27], v[60:61]
	v_add_f64 v[28:29], v[28:29], -v[52:53]
	s_mov_b32 s26, 0
	v_add_f64 v[26:27], v[26:27], v[28:29]
	s_mov_b32 s27, 0x7ff00000
	v_add_f64 v[26:27], v[56:57], v[26:27]
	v_cmp_eq_f64_e32 vcc, s[26:27], v[22:23]
	v_cndmask_b32_e32 v26, v26, v22, vcc
	v_cndmask_b32_e32 v27, v27, v23, vcc
	v_mov_b32_e32 v28, 0x7ff80000
	v_cmp_ngt_f64_e32 vcc, -1.0, v[22:23]
	v_cndmask_b32_e32 v27, v28, v27, vcc
	v_cmp_nge_f64_e32 vcc, -1.0, v[22:23]
	v_cndmask_b32_e32 v26, 0, v26, vcc
	v_mov_b32_e32 v28, 0xfff00000
	v_cmp_neq_f64_e32 vcc, -1.0, v[22:23]
	v_cndmask_b32_e32 v27, v28, v27, vcc
	v_add_f64 v[22:23], v[24:25], v[26:27]
.LBB68_151:
	s_or_b64 exec, exec, s[52:53]
	s_add_i32 s26, s77, 64
	s_mov_b32 s27, 0
	s_lshl_b64 s[26:27], s[26:27], 4
	s_add_u32 s26, s34, s26
	s_addc_u32 s27, s35, s27
	v_mov_b32_e32 v24, 2
	v_mov_b32_e32 v25, 0
	v_pk_mov_b32 v[26:27], s[26:27], s[26:27] op_sel:[0,1]
	;;#ASMSTART
	global_store_dwordx4 v[26:27], v[22:25] off	
s_waitcnt vmcnt(0)
	;;#ASMEND
.LBB68_152:
	s_or_b64 exec, exec, s[50:51]
	s_and_b64 exec, exec, s[2:3]
	s_cbranch_execz .LBB68_154
; %bb.153:
	v_mov_b32_e32 v22, 0
	ds_write_b64 v22, v[54:55] offset:8
.LBB68_154:
	s_or_b64 exec, exec, s[48:49]
	v_mov_b32_e32 v22, 0
	s_waitcnt lgkmcnt(0)
	s_barrier
	ds_read_b64 v[22:23], v22 offset:8
	v_pk_mov_b32 v[26:27], v[2:3], v[2:3] op_sel:[0,1]
	s_and_saveexec_b64 s[26:27], s[0:1]
	s_cbranch_execz .LBB68_158
; %bb.155:
	v_cndmask_b32_e64 v27, v95, v51, s[24:25]
	v_cndmask_b32_e64 v26, v94, v50, s[24:25]
	v_max_f64 v[24:25], v[26:27], v[26:27]
	v_min_f64 v[28:29], v[24:25], v[48:49]
	v_cmp_u_f64_e32 vcc, v[26:27], v[26:27]
	v_max_f64 v[24:25], v[24:25], v[48:49]
	v_cndmask_b32_e32 v28, v28, v26, vcc
	v_cndmask_b32_e32 v29, v29, v27, vcc
	;; [unrolled: 1-line block ×4, first 2 shown]
	v_cndmask_b32_e64 v29, v29, v3, s[22:23]
	v_cndmask_b32_e64 v28, v28, v2, s[22:23]
	;; [unrolled: 1-line block ×4, first 2 shown]
	s_movk_i32 s22, 0x1f8
	v_cmp_neq_f64_e32 vcc, v[28:29], v[24:25]
	v_cmp_class_f64_e64 s[22:23], v[28:29], s22
	s_or_b64 s[22:23], vcc, s[22:23]
	s_and_saveexec_b64 s[24:25], s[22:23]
	s_cbranch_execz .LBB68_157
; %bb.156:
	s_mov_b32 s22, 0x652b82fe
	v_add_f64 v[26:27], v[28:29], -v[24:25]
	s_mov_b32 s23, 0x3ff71547
	v_mul_f64 v[28:29], v[26:27], s[22:23]
	v_rndne_f64_e32 v[28:29], v[28:29]
	s_mov_b32 s49, 0xbfe62e42
	s_mov_b32 s48, 0xfefa39ef
	v_fma_f64 v[48:49], s[48:49], v[28:29], v[26:27]
	s_mov_b32 s51, 0xbc7abc9e
	s_mov_b32 s50, 0x3b39803f
	;; [unrolled: 1-line block ×3, first 2 shown]
	v_fmac_f64_e32 v[48:49], s[50:51], v[28:29]
	v_mov_b32_e32 v50, 0xfca7ab0c
	v_mov_b32_e32 v51, 0x3e928af3
	s_mov_b32 s23, 0x3e5ade15
	v_fmac_f64_e32 v[50:51], s[22:23], v[48:49]
	v_mov_b32_e32 v52, 0x623fde64
	v_mov_b32_e32 v53, 0x3ec71dee
	v_fmac_f64_e32 v[52:53], v[48:49], v[50:51]
	v_mov_b32_e32 v50, 0x7c89e6b0
	v_mov_b32_e32 v51, 0x3efa0199
	;; [unrolled: 3-line block ×8, first 2 shown]
	s_mov_b32 s22, 0
	v_fmac_f64_e32 v[50:51], v[48:49], v[52:53]
	s_mov_b32 s23, 0x40900000
	v_fma_f64 v[50:51], v[48:49], v[50:51], 1.0
	v_cmp_nlt_f64_e32 vcc, s[22:23], v[26:27]
	s_mov_b32 s22, 0
	v_fma_f64 v[48:49], v[48:49], v[50:51], 1.0
	v_cvt_i32_f64_e32 v28, v[28:29]
	s_mov_b32 s23, 0xc090cc00
	v_ldexp_f64 v[28:29], v[48:49], v28
	v_mov_b32_e32 v48, 0x7ff00000
	v_cmp_ngt_f64_e64 s[22:23], s[22:23], v[26:27]
	v_cndmask_b32_e32 v29, v48, v29, vcc
	s_and_b64 vcc, s[22:23], vcc
	v_cndmask_b32_e64 v27, 0, v29, s[22:23]
	v_cndmask_b32_e32 v26, 0, v28, vcc
	v_add_f64 v[28:29], v[26:27], 1.0
	v_add_f64 v[48:49], v[28:29], -1.0
	v_add_f64 v[50:51], v[48:49], -v[28:29]
	v_add_f64 v[50:51], v[50:51], 1.0
	v_add_f64 v[48:49], v[26:27], -v[48:49]
	s_mov_b32 s22, 0x55555555
	v_add_f64 v[48:49], v[48:49], v[50:51]
	v_frexp_mant_f64_e32 v[50:51], v[28:29]
	s_mov_b32 s23, 0x3fe55555
	v_frexp_exp_i32_f64_e32 v52, v[28:29]
	v_cmp_gt_f64_e32 vcc, s[22:23], v[50:51]
	v_subbrev_co_u32_e32 v66, vcc, 0, v52, vcc
	v_sub_u32_e32 v50, 0, v66
	v_ldexp_f64 v[28:29], v[28:29], v50
	v_ldexp_f64 v[48:49], v[48:49], v50
	v_add_f64 v[50:51], v[28:29], -1.0
	v_add_f64 v[56:57], v[28:29], 1.0
	v_add_f64 v[52:53], v[50:51], 1.0
	v_add_f64 v[58:59], v[56:57], -1.0
	v_add_f64 v[52:53], v[28:29], -v[52:53]
	v_add_f64 v[28:29], v[28:29], -v[58:59]
	v_add_f64 v[28:29], v[48:49], v[28:29]
	v_add_f64 v[52:53], v[48:49], v[52:53]
	;; [unrolled: 1-line block ×3, first 2 shown]
	v_rcp_f64_e32 v[58:59], v[48:49]
	v_add_f64 v[54:55], v[50:51], v[52:53]
	v_add_f64 v[50:51], v[54:55], -v[50:51]
	v_add_f64 v[50:51], v[52:53], -v[50:51]
	;; [unrolled: 1-line block ×4, first 2 shown]
	v_fma_f64 v[52:53], -v[48:49], v[58:59], 1.0
	v_fmac_f64_e32 v[58:59], v[52:53], v[58:59]
	v_fma_f64 v[52:53], -v[48:49], v[58:59], 1.0
	v_fmac_f64_e32 v[58:59], v[52:53], v[58:59]
	v_mul_f64 v[52:53], v[54:55], v[58:59]
	v_mul_f64 v[56:57], v[48:49], v[52:53]
	v_fma_f64 v[60:61], v[52:53], v[48:49], -v[56:57]
	v_fmac_f64_e32 v[60:61], v[52:53], v[28:29]
	v_add_f64 v[62:63], v[56:57], v[60:61]
	v_add_f64 v[64:65], v[54:55], -v[62:63]
	v_add_f64 v[54:55], v[54:55], -v[64:65]
	;; [unrolled: 1-line block ×4, first 2 shown]
	v_add_f64 v[50:51], v[50:51], v[54:55]
	v_add_f64 v[54:55], v[56:57], -v[60:61]
	v_add_f64 v[50:51], v[54:55], v[50:51]
	v_add_f64 v[54:55], v[64:65], v[50:51]
	v_add_f64 v[56:57], v[64:65], -v[54:55]
	v_add_f64 v[50:51], v[50:51], v[56:57]
	v_mul_f64 v[56:57], v[58:59], v[54:55]
	v_mul_f64 v[60:61], v[48:49], v[56:57]
	v_fma_f64 v[48:49], v[56:57], v[48:49], -v[60:61]
	v_fmac_f64_e32 v[48:49], v[56:57], v[28:29]
	v_add_f64 v[28:29], v[60:61], v[48:49]
	v_add_f64 v[62:63], v[54:55], -v[28:29]
	v_add_f64 v[54:55], v[54:55], -v[62:63]
	;; [unrolled: 1-line block ×4, first 2 shown]
	v_add_f64 v[28:29], v[50:51], v[28:29]
	v_add_f64 v[48:49], v[60:61], -v[48:49]
	v_add_f64 v[28:29], v[48:49], v[28:29]
	v_add_f64 v[48:49], v[52:53], v[56:57]
	;; [unrolled: 1-line block ×3, first 2 shown]
	v_add_f64 v[50:51], v[48:49], -v[52:53]
	v_mul_f64 v[28:29], v[58:59], v[28:29]
	v_add_f64 v[50:51], v[56:57], -v[50:51]
	v_add_f64 v[28:29], v[50:51], v[28:29]
	v_add_f64 v[50:51], v[48:49], v[28:29]
	v_add_f64 v[48:49], v[50:51], -v[48:49]
	s_mov_b32 s22, 0xbf559e2b
	v_add_f64 v[28:29], v[28:29], -v[48:49]
	v_mul_f64 v[48:49], v[50:51], v[50:51]
	v_mov_b32_e32 v52, 0x6b47b09a
	v_mov_b32_e32 v53, 0x3fc38538
	s_mov_b32 s23, 0x3fc3ab76
	v_fmac_f64_e32 v[52:53], s[22:23], v[48:49]
	v_mov_b32_e32 v54, 0xd7f4df2e
	v_mov_b32_e32 v55, 0x3fc7474d
	v_fmac_f64_e32 v[54:55], v[48:49], v[52:53]
	v_mov_b32_e32 v52, 0x16291751
	v_mov_b32_e32 v53, 0x3fcc71c0
	;; [unrolled: 3-line block ×5, first 2 shown]
	v_fmac_f64_e32 v[54:55], v[48:49], v[52:53]
	v_cvt_f64_i32_e32 v[52:53], v66
	s_mov_b32 s49, 0x3fe62e42
	v_mul_f64 v[56:57], v[52:53], s[48:49]
	v_fma_f64 v[58:59], v[52:53], s[48:49], -v[56:57]
	s_mov_b32 s51, 0x3c7abc9e
	v_fmac_f64_e32 v[58:59], s[50:51], v[52:53]
	v_add_f64 v[52:53], v[56:57], v[58:59]
	v_add_f64 v[56:57], v[52:53], -v[56:57]
	v_mul_f64 v[48:49], v[50:51], v[48:49]
	v_add_f64 v[56:57], v[58:59], -v[56:57]
	v_ldexp_f64 v[58:59], v[50:51], 1
	v_mul_f64 v[48:49], v[48:49], v[54:55]
	v_add_f64 v[50:51], v[58:59], v[48:49]
	v_add_f64 v[54:55], v[50:51], -v[58:59]
	v_ldexp_f64 v[28:29], v[28:29], 1
	v_add_f64 v[48:49], v[48:49], -v[54:55]
	v_add_f64 v[28:29], v[28:29], v[48:49]
	v_add_f64 v[48:49], v[50:51], v[28:29]
	v_add_f64 v[50:51], v[48:49], -v[50:51]
	v_add_f64 v[28:29], v[28:29], -v[50:51]
	v_add_f64 v[50:51], v[52:53], v[48:49]
	v_add_f64 v[54:55], v[50:51], -v[52:53]
	v_add_f64 v[58:59], v[50:51], -v[54:55]
	v_add_f64 v[52:53], v[52:53], -v[58:59]
	v_add_f64 v[48:49], v[48:49], -v[54:55]
	v_add_f64 v[48:49], v[48:49], v[52:53]
	v_add_f64 v[52:53], v[56:57], v[28:29]
	v_add_f64 v[54:55], v[52:53], -v[56:57]
	v_add_f64 v[48:49], v[52:53], v[48:49]
	v_add_f64 v[58:59], v[52:53], -v[54:55]
	;; [unrolled: 2-line block ×3, first 2 shown]
	v_add_f64 v[28:29], v[28:29], -v[54:55]
	v_add_f64 v[50:51], v[52:53], -v[50:51]
	v_add_f64 v[28:29], v[28:29], v[56:57]
	v_add_f64 v[48:49], v[48:49], -v[50:51]
	s_mov_b32 s22, 0
	v_add_f64 v[28:29], v[28:29], v[48:49]
	s_mov_b32 s23, 0x7ff00000
	v_add_f64 v[28:29], v[52:53], v[28:29]
	v_cmp_eq_f64_e32 vcc, s[22:23], v[26:27]
	v_cndmask_b32_e32 v28, v28, v26, vcc
	v_cndmask_b32_e32 v29, v29, v27, vcc
	v_mov_b32_e32 v48, 0x7ff80000
	v_cmp_ngt_f64_e32 vcc, -1.0, v[26:27]
	v_cndmask_b32_e32 v29, v48, v29, vcc
	v_cmp_nge_f64_e32 vcc, -1.0, v[26:27]
	v_cndmask_b32_e32 v28, 0, v28, vcc
	v_mov_b32_e32 v48, 0xfff00000
	v_cmp_neq_f64_e32 vcc, -1.0, v[26:27]
	v_cndmask_b32_e32 v29, v48, v29, vcc
	v_add_f64 v[26:27], v[24:25], v[28:29]
.LBB68_157:
	s_or_b64 exec, exec, s[24:25]
.LBB68_158:
	s_or_b64 exec, exec, s[26:27]
	v_max_f64 v[24:25], v[26:27], v[26:27]
	s_waitcnt lgkmcnt(0)
	v_max_f64 v[48:49], v[22:23], v[22:23]
	v_min_f64 v[28:29], v[48:49], v[24:25]
	v_cmp_u_f64_e32 vcc, v[22:23], v[22:23]
	v_max_f64 v[24:25], v[48:49], v[24:25]
	v_cndmask_b32_e32 v28, v28, v22, vcc
	v_cndmask_b32_e32 v29, v29, v23, vcc
	v_cmp_u_f64_e64 s[22:23], v[26:27], v[26:27]
	v_cndmask_b32_e32 v24, v24, v22, vcc
	v_cndmask_b32_e32 v25, v25, v23, vcc
	v_cndmask_b32_e64 v29, v29, v27, s[22:23]
	v_cndmask_b32_e64 v28, v28, v26, s[22:23]
	;; [unrolled: 1-line block ×4, first 2 shown]
	s_movk_i32 s50, 0x1f8
	v_cmp_neq_f64_e32 vcc, v[28:29], v[24:25]
	v_cmp_class_f64_e64 s[22:23], v[28:29], s50
	s_or_b64 s[22:23], vcc, s[22:23]
	s_and_saveexec_b64 s[24:25], s[22:23]
	s_cbranch_execz .LBB68_160
; %bb.159:
	s_mov_b32 s22, 0x652b82fe
	v_add_f64 v[22:23], v[28:29], -v[24:25]
	s_mov_b32 s23, 0x3ff71547
	v_mul_f64 v[26:27], v[22:23], s[22:23]
	v_rndne_f64_e32 v[26:27], v[26:27]
	s_mov_b32 s27, 0xbfe62e42
	s_mov_b32 s26, 0xfefa39ef
	v_fma_f64 v[28:29], s[26:27], v[26:27], v[22:23]
	s_mov_b32 s49, 0xbc7abc9e
	s_mov_b32 s48, 0x3b39803f
	s_mov_b32 s22, 0x6a5dcb37
	v_fmac_f64_e32 v[28:29], s[48:49], v[26:27]
	v_mov_b32_e32 v48, 0xfca7ab0c
	v_mov_b32_e32 v49, 0x3e928af3
	s_mov_b32 s23, 0x3e5ade15
	v_fmac_f64_e32 v[48:49], s[22:23], v[28:29]
	v_mov_b32_e32 v50, 0x623fde64
	v_mov_b32_e32 v51, 0x3ec71dee
	v_fmac_f64_e32 v[50:51], v[28:29], v[48:49]
	v_mov_b32_e32 v48, 0x7c89e6b0
	v_mov_b32_e32 v49, 0x3efa0199
	;; [unrolled: 3-line block ×8, first 2 shown]
	s_mov_b32 s22, 0
	v_fmac_f64_e32 v[48:49], v[28:29], v[50:51]
	s_mov_b32 s23, 0x40900000
	v_fma_f64 v[48:49], v[28:29], v[48:49], 1.0
	v_cmp_nlt_f64_e32 vcc, s[22:23], v[22:23]
	s_mov_b32 s22, 0
	v_fma_f64 v[28:29], v[28:29], v[48:49], 1.0
	v_cvt_i32_f64_e32 v26, v[26:27]
	s_mov_b32 s23, 0xc090cc00
	v_ldexp_f64 v[26:27], v[28:29], v26
	v_mov_b32_e32 v28, 0x7ff00000
	v_cmp_ngt_f64_e64 s[22:23], s[22:23], v[22:23]
	v_cndmask_b32_e32 v27, v28, v27, vcc
	s_and_b64 vcc, s[22:23], vcc
	v_cndmask_b32_e64 v23, 0, v27, s[22:23]
	v_cndmask_b32_e32 v22, 0, v26, vcc
	v_add_f64 v[26:27], v[22:23], 1.0
	v_add_f64 v[28:29], v[26:27], -1.0
	v_add_f64 v[48:49], v[28:29], -v[26:27]
	v_add_f64 v[48:49], v[48:49], 1.0
	v_add_f64 v[28:29], v[22:23], -v[28:29]
	s_mov_b32 s22, 0x55555555
	v_add_f64 v[28:29], v[28:29], v[48:49]
	v_frexp_mant_f64_e32 v[48:49], v[26:27]
	s_mov_b32 s23, 0x3fe55555
	v_frexp_exp_i32_f64_e32 v50, v[26:27]
	v_cmp_gt_f64_e32 vcc, s[22:23], v[48:49]
	v_subbrev_co_u32_e32 v64, vcc, 0, v50, vcc
	v_sub_u32_e32 v48, 0, v64
	v_ldexp_f64 v[26:27], v[26:27], v48
	v_ldexp_f64 v[28:29], v[28:29], v48
	v_add_f64 v[48:49], v[26:27], -1.0
	v_add_f64 v[54:55], v[26:27], 1.0
	v_add_f64 v[50:51], v[48:49], 1.0
	v_add_f64 v[56:57], v[54:55], -1.0
	v_add_f64 v[50:51], v[26:27], -v[50:51]
	v_add_f64 v[26:27], v[26:27], -v[56:57]
	v_add_f64 v[26:27], v[28:29], v[26:27]
	v_add_f64 v[50:51], v[28:29], v[50:51]
	;; [unrolled: 1-line block ×3, first 2 shown]
	v_rcp_f64_e32 v[56:57], v[28:29]
	v_add_f64 v[52:53], v[48:49], v[50:51]
	v_add_f64 v[48:49], v[52:53], -v[48:49]
	v_add_f64 v[48:49], v[50:51], -v[48:49]
	;; [unrolled: 1-line block ×4, first 2 shown]
	v_fma_f64 v[50:51], -v[28:29], v[56:57], 1.0
	v_fmac_f64_e32 v[56:57], v[50:51], v[56:57]
	v_fma_f64 v[50:51], -v[28:29], v[56:57], 1.0
	v_fmac_f64_e32 v[56:57], v[50:51], v[56:57]
	v_mul_f64 v[50:51], v[52:53], v[56:57]
	v_mul_f64 v[54:55], v[28:29], v[50:51]
	v_fma_f64 v[58:59], v[50:51], v[28:29], -v[54:55]
	v_fmac_f64_e32 v[58:59], v[50:51], v[26:27]
	v_add_f64 v[60:61], v[54:55], v[58:59]
	v_add_f64 v[62:63], v[52:53], -v[60:61]
	v_add_f64 v[52:53], v[52:53], -v[62:63]
	;; [unrolled: 1-line block ×4, first 2 shown]
	v_add_f64 v[48:49], v[48:49], v[52:53]
	v_add_f64 v[52:53], v[54:55], -v[58:59]
	v_add_f64 v[48:49], v[52:53], v[48:49]
	v_add_f64 v[52:53], v[62:63], v[48:49]
	v_add_f64 v[54:55], v[62:63], -v[52:53]
	v_add_f64 v[48:49], v[48:49], v[54:55]
	v_mul_f64 v[54:55], v[56:57], v[52:53]
	v_mul_f64 v[58:59], v[28:29], v[54:55]
	v_fma_f64 v[28:29], v[54:55], v[28:29], -v[58:59]
	v_fmac_f64_e32 v[28:29], v[54:55], v[26:27]
	v_add_f64 v[26:27], v[58:59], v[28:29]
	v_add_f64 v[60:61], v[52:53], -v[26:27]
	v_add_f64 v[52:53], v[52:53], -v[60:61]
	;; [unrolled: 1-line block ×4, first 2 shown]
	v_add_f64 v[26:27], v[48:49], v[26:27]
	v_add_f64 v[28:29], v[58:59], -v[28:29]
	v_add_f64 v[26:27], v[28:29], v[26:27]
	v_add_f64 v[28:29], v[50:51], v[54:55]
	;; [unrolled: 1-line block ×3, first 2 shown]
	v_add_f64 v[48:49], v[28:29], -v[50:51]
	v_mul_f64 v[26:27], v[56:57], v[26:27]
	v_add_f64 v[48:49], v[54:55], -v[48:49]
	v_add_f64 v[26:27], v[48:49], v[26:27]
	v_add_f64 v[48:49], v[28:29], v[26:27]
	v_add_f64 v[28:29], v[48:49], -v[28:29]
	s_mov_b32 s22, 0xbf559e2b
	v_add_f64 v[26:27], v[26:27], -v[28:29]
	v_mul_f64 v[28:29], v[48:49], v[48:49]
	v_mov_b32_e32 v50, 0x6b47b09a
	v_mov_b32_e32 v51, 0x3fc38538
	s_mov_b32 s23, 0x3fc3ab76
	v_fmac_f64_e32 v[50:51], s[22:23], v[28:29]
	v_mov_b32_e32 v52, 0xd7f4df2e
	v_mov_b32_e32 v53, 0x3fc7474d
	v_fmac_f64_e32 v[52:53], v[28:29], v[50:51]
	v_mov_b32_e32 v50, 0x16291751
	v_mov_b32_e32 v51, 0x3fcc71c0
	;; [unrolled: 3-line block ×5, first 2 shown]
	v_fmac_f64_e32 v[52:53], v[28:29], v[50:51]
	v_cvt_f64_i32_e32 v[50:51], v64
	s_mov_b32 s27, 0x3fe62e42
	v_mul_f64 v[54:55], v[50:51], s[26:27]
	v_fma_f64 v[56:57], v[50:51], s[26:27], -v[54:55]
	s_mov_b32 s49, 0x3c7abc9e
	v_fmac_f64_e32 v[56:57], s[48:49], v[50:51]
	v_add_f64 v[50:51], v[54:55], v[56:57]
	v_add_f64 v[54:55], v[50:51], -v[54:55]
	v_mul_f64 v[28:29], v[48:49], v[28:29]
	v_add_f64 v[54:55], v[56:57], -v[54:55]
	v_ldexp_f64 v[56:57], v[48:49], 1
	v_mul_f64 v[28:29], v[28:29], v[52:53]
	v_add_f64 v[48:49], v[56:57], v[28:29]
	v_add_f64 v[52:53], v[48:49], -v[56:57]
	v_ldexp_f64 v[26:27], v[26:27], 1
	v_add_f64 v[28:29], v[28:29], -v[52:53]
	v_add_f64 v[26:27], v[26:27], v[28:29]
	v_add_f64 v[28:29], v[48:49], v[26:27]
	v_add_f64 v[48:49], v[28:29], -v[48:49]
	v_add_f64 v[26:27], v[26:27], -v[48:49]
	v_add_f64 v[48:49], v[50:51], v[28:29]
	v_add_f64 v[52:53], v[48:49], -v[50:51]
	v_add_f64 v[56:57], v[48:49], -v[52:53]
	;; [unrolled: 1-line block ×4, first 2 shown]
	v_add_f64 v[28:29], v[28:29], v[50:51]
	v_add_f64 v[50:51], v[54:55], v[26:27]
	v_add_f64 v[52:53], v[50:51], -v[54:55]
	v_add_f64 v[28:29], v[50:51], v[28:29]
	v_add_f64 v[56:57], v[50:51], -v[52:53]
	;; [unrolled: 2-line block ×3, first 2 shown]
	v_add_f64 v[26:27], v[26:27], -v[52:53]
	v_add_f64 v[48:49], v[50:51], -v[48:49]
	v_add_f64 v[26:27], v[26:27], v[54:55]
	v_add_f64 v[28:29], v[28:29], -v[48:49]
	s_mov_b32 s22, 0
	v_add_f64 v[26:27], v[26:27], v[28:29]
	s_mov_b32 s23, 0x7ff00000
	v_add_f64 v[26:27], v[50:51], v[26:27]
	v_cmp_eq_f64_e32 vcc, s[22:23], v[22:23]
	v_cndmask_b32_e32 v26, v26, v22, vcc
	v_cndmask_b32_e32 v27, v27, v23, vcc
	v_mov_b32_e32 v28, 0x7ff80000
	v_cmp_ngt_f64_e32 vcc, -1.0, v[22:23]
	v_cndmask_b32_e32 v27, v28, v27, vcc
	v_cmp_nge_f64_e32 vcc, -1.0, v[22:23]
	v_cndmask_b32_e32 v26, 0, v26, vcc
	v_mov_b32_e32 v28, 0xfff00000
	v_cmp_neq_f64_e32 vcc, -1.0, v[22:23]
	v_cndmask_b32_e32 v27, v28, v27, vcc
	v_add_f64 v[22:23], v[24:25], v[26:27]
.LBB68_160:
	s_or_b64 exec, exec, s[24:25]
	v_max_f64 v[24:25], v[22:23], v[22:23]
	v_min_f64 v[26:27], v[24:25], v[42:43]
	v_cmp_u_f64_e32 vcc, v[22:23], v[22:23]
	v_max_f64 v[24:25], v[24:25], v[42:43]
	v_cndmask_b32_e32 v26, v26, v22, vcc
	v_cndmask_b32_e32 v27, v27, v23, vcc
	;; [unrolled: 1-line block ×4, first 2 shown]
	v_cndmask_b32_e64 v29, v27, v5, s[4:5]
	v_cndmask_b32_e64 v28, v26, v4, s[4:5]
	v_cndmask_b32_e64 v27, v25, v5, s[4:5]
	v_cndmask_b32_e64 v26, v24, v4, s[4:5]
	v_cmp_neq_f64_e32 vcc, v[28:29], v[26:27]
	v_cmp_class_f64_e64 s[4:5], v[28:29], s50
	s_or_b64 s[4:5], vcc, s[4:5]
	v_pk_mov_b32 v[24:25], v[22:23], v[22:23] op_sel:[0,1]
	s_and_saveexec_b64 s[22:23], s[4:5]
	s_cbranch_execz .LBB68_162
; %bb.161:
	s_mov_b32 s4, 0x652b82fe
	v_add_f64 v[24:25], v[28:29], -v[26:27]
	s_mov_b32 s5, 0x3ff71547
	v_mul_f64 v[28:29], v[24:25], s[4:5]
	v_rndne_f64_e32 v[28:29], v[28:29]
	s_mov_b32 s25, 0xbfe62e42
	s_mov_b32 s24, 0xfefa39ef
	v_fma_f64 v[48:49], s[24:25], v[28:29], v[24:25]
	s_mov_b32 s27, 0xbc7abc9e
	s_mov_b32 s26, 0x3b39803f
	;; [unrolled: 1-line block ×3, first 2 shown]
	v_fmac_f64_e32 v[48:49], s[26:27], v[28:29]
	v_mov_b32_e32 v50, 0xfca7ab0c
	v_mov_b32_e32 v51, 0x3e928af3
	s_mov_b32 s5, 0x3e5ade15
	v_fmac_f64_e32 v[50:51], s[4:5], v[48:49]
	v_mov_b32_e32 v52, 0x623fde64
	v_mov_b32_e32 v53, 0x3ec71dee
	v_fmac_f64_e32 v[52:53], v[48:49], v[50:51]
	v_mov_b32_e32 v50, 0x7c89e6b0
	v_mov_b32_e32 v51, 0x3efa0199
	;; [unrolled: 3-line block ×8, first 2 shown]
	s_mov_b32 s4, 0
	v_fmac_f64_e32 v[50:51], v[48:49], v[52:53]
	s_mov_b32 s5, 0x40900000
	v_fma_f64 v[50:51], v[48:49], v[50:51], 1.0
	v_cmp_nlt_f64_e32 vcc, s[4:5], v[24:25]
	s_mov_b32 s4, 0
	v_fma_f64 v[48:49], v[48:49], v[50:51], 1.0
	v_cvt_i32_f64_e32 v28, v[28:29]
	s_mov_b32 s5, 0xc090cc00
	v_ldexp_f64 v[28:29], v[48:49], v28
	v_mov_b32_e32 v48, 0x7ff00000
	v_cmp_ngt_f64_e64 s[4:5], s[4:5], v[24:25]
	v_cndmask_b32_e32 v29, v48, v29, vcc
	s_and_b64 vcc, s[4:5], vcc
	v_cndmask_b32_e64 v25, 0, v29, s[4:5]
	v_cndmask_b32_e32 v24, 0, v28, vcc
	v_add_f64 v[28:29], v[24:25], 1.0
	v_add_f64 v[48:49], v[28:29], -1.0
	v_add_f64 v[50:51], v[48:49], -v[28:29]
	v_add_f64 v[50:51], v[50:51], 1.0
	v_add_f64 v[48:49], v[24:25], -v[48:49]
	s_mov_b32 s4, 0x55555555
	v_add_f64 v[48:49], v[48:49], v[50:51]
	v_frexp_mant_f64_e32 v[50:51], v[28:29]
	s_mov_b32 s5, 0x3fe55555
	v_frexp_exp_i32_f64_e32 v52, v[28:29]
	v_cmp_gt_f64_e32 vcc, s[4:5], v[50:51]
	v_subbrev_co_u32_e32 v66, vcc, 0, v52, vcc
	v_sub_u32_e32 v50, 0, v66
	v_ldexp_f64 v[28:29], v[28:29], v50
	v_ldexp_f64 v[48:49], v[48:49], v50
	v_add_f64 v[50:51], v[28:29], -1.0
	v_add_f64 v[56:57], v[28:29], 1.0
	v_add_f64 v[52:53], v[50:51], 1.0
	v_add_f64 v[58:59], v[56:57], -1.0
	v_add_f64 v[52:53], v[28:29], -v[52:53]
	v_add_f64 v[28:29], v[28:29], -v[58:59]
	v_add_f64 v[28:29], v[48:49], v[28:29]
	v_add_f64 v[52:53], v[48:49], v[52:53]
	;; [unrolled: 1-line block ×3, first 2 shown]
	v_rcp_f64_e32 v[58:59], v[48:49]
	v_add_f64 v[54:55], v[50:51], v[52:53]
	v_add_f64 v[50:51], v[54:55], -v[50:51]
	v_add_f64 v[50:51], v[52:53], -v[50:51]
	;; [unrolled: 1-line block ×4, first 2 shown]
	v_fma_f64 v[52:53], -v[48:49], v[58:59], 1.0
	v_fmac_f64_e32 v[58:59], v[52:53], v[58:59]
	v_fma_f64 v[52:53], -v[48:49], v[58:59], 1.0
	v_fmac_f64_e32 v[58:59], v[52:53], v[58:59]
	v_mul_f64 v[52:53], v[54:55], v[58:59]
	v_mul_f64 v[56:57], v[48:49], v[52:53]
	v_fma_f64 v[60:61], v[52:53], v[48:49], -v[56:57]
	v_fmac_f64_e32 v[60:61], v[52:53], v[28:29]
	v_add_f64 v[62:63], v[56:57], v[60:61]
	v_add_f64 v[64:65], v[54:55], -v[62:63]
	v_add_f64 v[54:55], v[54:55], -v[64:65]
	;; [unrolled: 1-line block ×4, first 2 shown]
	v_add_f64 v[50:51], v[50:51], v[54:55]
	v_add_f64 v[54:55], v[56:57], -v[60:61]
	v_add_f64 v[50:51], v[54:55], v[50:51]
	v_add_f64 v[54:55], v[64:65], v[50:51]
	v_add_f64 v[56:57], v[64:65], -v[54:55]
	v_add_f64 v[50:51], v[50:51], v[56:57]
	v_mul_f64 v[56:57], v[58:59], v[54:55]
	v_mul_f64 v[60:61], v[48:49], v[56:57]
	v_fma_f64 v[48:49], v[56:57], v[48:49], -v[60:61]
	v_fmac_f64_e32 v[48:49], v[56:57], v[28:29]
	v_add_f64 v[28:29], v[60:61], v[48:49]
	v_add_f64 v[62:63], v[54:55], -v[28:29]
	v_add_f64 v[54:55], v[54:55], -v[62:63]
	;; [unrolled: 1-line block ×4, first 2 shown]
	v_add_f64 v[28:29], v[50:51], v[28:29]
	v_add_f64 v[48:49], v[60:61], -v[48:49]
	v_add_f64 v[28:29], v[48:49], v[28:29]
	v_add_f64 v[48:49], v[52:53], v[56:57]
	;; [unrolled: 1-line block ×3, first 2 shown]
	v_add_f64 v[50:51], v[48:49], -v[52:53]
	v_mul_f64 v[28:29], v[58:59], v[28:29]
	v_add_f64 v[50:51], v[56:57], -v[50:51]
	v_add_f64 v[28:29], v[50:51], v[28:29]
	v_add_f64 v[50:51], v[48:49], v[28:29]
	v_add_f64 v[48:49], v[50:51], -v[48:49]
	s_mov_b32 s4, 0xbf559e2b
	v_add_f64 v[28:29], v[28:29], -v[48:49]
	v_mul_f64 v[48:49], v[50:51], v[50:51]
	v_mov_b32_e32 v52, 0x6b47b09a
	v_mov_b32_e32 v53, 0x3fc38538
	s_mov_b32 s5, 0x3fc3ab76
	v_fmac_f64_e32 v[52:53], s[4:5], v[48:49]
	v_mov_b32_e32 v54, 0xd7f4df2e
	v_mov_b32_e32 v55, 0x3fc7474d
	v_fmac_f64_e32 v[54:55], v[48:49], v[52:53]
	v_mov_b32_e32 v52, 0x16291751
	v_mov_b32_e32 v53, 0x3fcc71c0
	;; [unrolled: 3-line block ×5, first 2 shown]
	v_fmac_f64_e32 v[54:55], v[48:49], v[52:53]
	v_cvt_f64_i32_e32 v[52:53], v66
	s_mov_b32 s25, 0x3fe62e42
	v_mul_f64 v[56:57], v[52:53], s[24:25]
	v_fma_f64 v[58:59], v[52:53], s[24:25], -v[56:57]
	s_mov_b32 s27, 0x3c7abc9e
	v_fmac_f64_e32 v[58:59], s[26:27], v[52:53]
	v_add_f64 v[52:53], v[56:57], v[58:59]
	v_add_f64 v[56:57], v[52:53], -v[56:57]
	v_mul_f64 v[48:49], v[50:51], v[48:49]
	v_add_f64 v[56:57], v[58:59], -v[56:57]
	v_ldexp_f64 v[58:59], v[50:51], 1
	v_mul_f64 v[48:49], v[48:49], v[54:55]
	v_add_f64 v[50:51], v[58:59], v[48:49]
	v_add_f64 v[54:55], v[50:51], -v[58:59]
	v_ldexp_f64 v[28:29], v[28:29], 1
	v_add_f64 v[48:49], v[48:49], -v[54:55]
	v_add_f64 v[28:29], v[28:29], v[48:49]
	v_add_f64 v[48:49], v[50:51], v[28:29]
	v_add_f64 v[50:51], v[48:49], -v[50:51]
	v_add_f64 v[28:29], v[28:29], -v[50:51]
	v_add_f64 v[50:51], v[52:53], v[48:49]
	v_add_f64 v[54:55], v[50:51], -v[52:53]
	v_add_f64 v[58:59], v[50:51], -v[54:55]
	;; [unrolled: 1-line block ×4, first 2 shown]
	v_add_f64 v[48:49], v[48:49], v[52:53]
	v_add_f64 v[52:53], v[56:57], v[28:29]
	v_add_f64 v[54:55], v[52:53], -v[56:57]
	v_add_f64 v[48:49], v[52:53], v[48:49]
	v_add_f64 v[58:59], v[52:53], -v[54:55]
	;; [unrolled: 2-line block ×3, first 2 shown]
	v_add_f64 v[28:29], v[28:29], -v[54:55]
	v_add_f64 v[50:51], v[52:53], -v[50:51]
	v_add_f64 v[28:29], v[28:29], v[56:57]
	v_add_f64 v[48:49], v[48:49], -v[50:51]
	s_mov_b32 s4, 0
	v_add_f64 v[28:29], v[28:29], v[48:49]
	s_mov_b32 s5, 0x7ff00000
	v_add_f64 v[28:29], v[52:53], v[28:29]
	v_cmp_eq_f64_e32 vcc, s[4:5], v[24:25]
	v_cndmask_b32_e32 v28, v28, v24, vcc
	v_cndmask_b32_e32 v29, v29, v25, vcc
	v_mov_b32_e32 v48, 0x7ff80000
	v_cmp_ngt_f64_e32 vcc, -1.0, v[24:25]
	v_cndmask_b32_e32 v29, v48, v29, vcc
	v_cmp_nge_f64_e32 vcc, -1.0, v[24:25]
	v_cndmask_b32_e32 v28, 0, v28, vcc
	v_mov_b32_e32 v48, 0xfff00000
	v_cmp_neq_f64_e32 vcc, -1.0, v[24:25]
	v_cndmask_b32_e32 v29, v48, v29, vcc
	v_add_f64 v[24:25], v[26:27], v[28:29]
.LBB68_162:
	s_or_b64 exec, exec, s[22:23]
	v_max_f64 v[26:27], v[24:25], v[24:25]
	v_min_f64 v[28:29], v[26:27], v[30:31]
	v_cmp_u_f64_e32 vcc, v[24:25], v[24:25]
	v_max_f64 v[26:27], v[26:27], v[30:31]
	v_cndmask_b32_e32 v28, v28, v24, vcc
	v_cndmask_b32_e32 v29, v29, v25, vcc
	;; [unrolled: 1-line block ×4, first 2 shown]
	v_cndmask_b32_e64 v49, v29, v19, s[6:7]
	v_cndmask_b32_e64 v48, v28, v18, s[6:7]
	v_cndmask_b32_e64 v29, v27, v19, s[6:7]
	v_cndmask_b32_e64 v28, v26, v18, s[6:7]
	s_movk_i32 s26, 0x1f8
	v_cmp_neq_f64_e32 vcc, v[48:49], v[28:29]
	v_cmp_class_f64_e64 s[4:5], v[48:49], s26
	s_or_b64 s[4:5], vcc, s[4:5]
	v_pk_mov_b32 v[26:27], v[24:25], v[24:25] op_sel:[0,1]
	s_and_saveexec_b64 s[6:7], s[4:5]
	s_cbranch_execz .LBB68_164
; %bb.163:
	s_mov_b32 s4, 0x652b82fe
	v_add_f64 v[26:27], v[48:49], -v[28:29]
	s_mov_b32 s5, 0x3ff71547
	v_mul_f64 v[30:31], v[26:27], s[4:5]
	v_rndne_f64_e32 v[30:31], v[30:31]
	s_mov_b32 s23, 0xbfe62e42
	s_mov_b32 s22, 0xfefa39ef
	v_fma_f64 v[48:49], s[22:23], v[30:31], v[26:27]
	s_mov_b32 s25, 0xbc7abc9e
	s_mov_b32 s24, 0x3b39803f
	;; [unrolled: 1-line block ×3, first 2 shown]
	v_fmac_f64_e32 v[48:49], s[24:25], v[30:31]
	v_mov_b32_e32 v50, 0xfca7ab0c
	v_mov_b32_e32 v51, 0x3e928af3
	s_mov_b32 s5, 0x3e5ade15
	v_fmac_f64_e32 v[50:51], s[4:5], v[48:49]
	v_mov_b32_e32 v52, 0x623fde64
	v_mov_b32_e32 v53, 0x3ec71dee
	v_fmac_f64_e32 v[52:53], v[48:49], v[50:51]
	v_mov_b32_e32 v50, 0x7c89e6b0
	v_mov_b32_e32 v51, 0x3efa0199
	;; [unrolled: 3-line block ×8, first 2 shown]
	s_mov_b32 s4, 0
	v_fmac_f64_e32 v[50:51], v[48:49], v[52:53]
	s_mov_b32 s5, 0x40900000
	v_fma_f64 v[50:51], v[48:49], v[50:51], 1.0
	v_cmp_nlt_f64_e32 vcc, s[4:5], v[26:27]
	s_mov_b32 s4, 0
	v_fma_f64 v[48:49], v[48:49], v[50:51], 1.0
	v_cvt_i32_f64_e32 v30, v[30:31]
	s_mov_b32 s5, 0xc090cc00
	v_ldexp_f64 v[30:31], v[48:49], v30
	v_mov_b32_e32 v48, 0x7ff00000
	v_cmp_ngt_f64_e64 s[4:5], s[4:5], v[26:27]
	v_cndmask_b32_e32 v31, v48, v31, vcc
	s_and_b64 vcc, s[4:5], vcc
	v_cndmask_b32_e64 v27, 0, v31, s[4:5]
	v_cndmask_b32_e32 v26, 0, v30, vcc
	v_add_f64 v[30:31], v[26:27], 1.0
	v_add_f64 v[48:49], v[30:31], -1.0
	v_add_f64 v[50:51], v[48:49], -v[30:31]
	v_add_f64 v[50:51], v[50:51], 1.0
	v_add_f64 v[48:49], v[26:27], -v[48:49]
	s_mov_b32 s4, 0x55555555
	v_add_f64 v[48:49], v[48:49], v[50:51]
	v_frexp_mant_f64_e32 v[50:51], v[30:31]
	s_mov_b32 s5, 0x3fe55555
	v_frexp_exp_i32_f64_e32 v52, v[30:31]
	v_cmp_gt_f64_e32 vcc, s[4:5], v[50:51]
	v_subbrev_co_u32_e32 v66, vcc, 0, v52, vcc
	v_sub_u32_e32 v50, 0, v66
	v_ldexp_f64 v[30:31], v[30:31], v50
	v_ldexp_f64 v[48:49], v[48:49], v50
	v_add_f64 v[50:51], v[30:31], -1.0
	v_add_f64 v[56:57], v[30:31], 1.0
	v_add_f64 v[52:53], v[50:51], 1.0
	v_add_f64 v[58:59], v[56:57], -1.0
	v_add_f64 v[52:53], v[30:31], -v[52:53]
	v_add_f64 v[30:31], v[30:31], -v[58:59]
	v_add_f64 v[30:31], v[48:49], v[30:31]
	v_add_f64 v[52:53], v[48:49], v[52:53]
	;; [unrolled: 1-line block ×3, first 2 shown]
	v_rcp_f64_e32 v[58:59], v[48:49]
	v_add_f64 v[54:55], v[50:51], v[52:53]
	v_add_f64 v[50:51], v[54:55], -v[50:51]
	v_add_f64 v[50:51], v[52:53], -v[50:51]
	;; [unrolled: 1-line block ×4, first 2 shown]
	v_fma_f64 v[52:53], -v[48:49], v[58:59], 1.0
	v_fmac_f64_e32 v[58:59], v[52:53], v[58:59]
	v_fma_f64 v[52:53], -v[48:49], v[58:59], 1.0
	v_fmac_f64_e32 v[58:59], v[52:53], v[58:59]
	v_mul_f64 v[52:53], v[54:55], v[58:59]
	v_mul_f64 v[56:57], v[48:49], v[52:53]
	v_fma_f64 v[60:61], v[52:53], v[48:49], -v[56:57]
	v_fmac_f64_e32 v[60:61], v[52:53], v[30:31]
	v_add_f64 v[62:63], v[56:57], v[60:61]
	v_add_f64 v[64:65], v[54:55], -v[62:63]
	v_add_f64 v[54:55], v[54:55], -v[64:65]
	;; [unrolled: 1-line block ×4, first 2 shown]
	v_add_f64 v[50:51], v[50:51], v[54:55]
	v_add_f64 v[54:55], v[56:57], -v[60:61]
	v_add_f64 v[50:51], v[54:55], v[50:51]
	v_add_f64 v[54:55], v[64:65], v[50:51]
	v_add_f64 v[56:57], v[64:65], -v[54:55]
	v_add_f64 v[50:51], v[50:51], v[56:57]
	v_mul_f64 v[56:57], v[58:59], v[54:55]
	v_mul_f64 v[60:61], v[48:49], v[56:57]
	v_fma_f64 v[48:49], v[56:57], v[48:49], -v[60:61]
	v_fmac_f64_e32 v[48:49], v[56:57], v[30:31]
	v_add_f64 v[30:31], v[60:61], v[48:49]
	v_add_f64 v[62:63], v[54:55], -v[30:31]
	v_add_f64 v[54:55], v[54:55], -v[62:63]
	;; [unrolled: 1-line block ×4, first 2 shown]
	v_add_f64 v[30:31], v[50:51], v[30:31]
	v_add_f64 v[48:49], v[60:61], -v[48:49]
	v_add_f64 v[30:31], v[48:49], v[30:31]
	v_add_f64 v[48:49], v[52:53], v[56:57]
	;; [unrolled: 1-line block ×3, first 2 shown]
	v_add_f64 v[50:51], v[48:49], -v[52:53]
	v_mul_f64 v[30:31], v[58:59], v[30:31]
	v_add_f64 v[50:51], v[56:57], -v[50:51]
	v_add_f64 v[30:31], v[50:51], v[30:31]
	v_add_f64 v[50:51], v[48:49], v[30:31]
	v_add_f64 v[48:49], v[50:51], -v[48:49]
	s_mov_b32 s4, 0xbf559e2b
	v_add_f64 v[30:31], v[30:31], -v[48:49]
	v_mul_f64 v[48:49], v[50:51], v[50:51]
	v_mov_b32_e32 v52, 0x6b47b09a
	v_mov_b32_e32 v53, 0x3fc38538
	s_mov_b32 s5, 0x3fc3ab76
	v_fmac_f64_e32 v[52:53], s[4:5], v[48:49]
	v_mov_b32_e32 v54, 0xd7f4df2e
	v_mov_b32_e32 v55, 0x3fc7474d
	v_fmac_f64_e32 v[54:55], v[48:49], v[52:53]
	v_mov_b32_e32 v52, 0x16291751
	v_mov_b32_e32 v53, 0x3fcc71c0
	;; [unrolled: 3-line block ×5, first 2 shown]
	v_fmac_f64_e32 v[54:55], v[48:49], v[52:53]
	v_cvt_f64_i32_e32 v[52:53], v66
	s_mov_b32 s23, 0x3fe62e42
	v_mul_f64 v[56:57], v[52:53], s[22:23]
	v_fma_f64 v[58:59], v[52:53], s[22:23], -v[56:57]
	s_mov_b32 s25, 0x3c7abc9e
	v_fmac_f64_e32 v[58:59], s[24:25], v[52:53]
	v_add_f64 v[52:53], v[56:57], v[58:59]
	v_add_f64 v[56:57], v[52:53], -v[56:57]
	v_mul_f64 v[48:49], v[50:51], v[48:49]
	v_add_f64 v[56:57], v[58:59], -v[56:57]
	v_ldexp_f64 v[58:59], v[50:51], 1
	v_mul_f64 v[48:49], v[48:49], v[54:55]
	v_add_f64 v[50:51], v[58:59], v[48:49]
	v_add_f64 v[54:55], v[50:51], -v[58:59]
	v_ldexp_f64 v[30:31], v[30:31], 1
	v_add_f64 v[48:49], v[48:49], -v[54:55]
	v_add_f64 v[30:31], v[30:31], v[48:49]
	v_add_f64 v[48:49], v[50:51], v[30:31]
	v_add_f64 v[50:51], v[48:49], -v[50:51]
	v_add_f64 v[30:31], v[30:31], -v[50:51]
	v_add_f64 v[50:51], v[52:53], v[48:49]
	v_add_f64 v[54:55], v[50:51], -v[52:53]
	v_add_f64 v[58:59], v[50:51], -v[54:55]
	;; [unrolled: 1-line block ×4, first 2 shown]
	v_add_f64 v[48:49], v[48:49], v[52:53]
	v_add_f64 v[52:53], v[56:57], v[30:31]
	v_add_f64 v[54:55], v[52:53], -v[56:57]
	v_add_f64 v[48:49], v[52:53], v[48:49]
	v_add_f64 v[58:59], v[52:53], -v[54:55]
	;; [unrolled: 2-line block ×3, first 2 shown]
	v_add_f64 v[30:31], v[30:31], -v[54:55]
	v_add_f64 v[50:51], v[52:53], -v[50:51]
	v_add_f64 v[30:31], v[30:31], v[56:57]
	v_add_f64 v[48:49], v[48:49], -v[50:51]
	s_mov_b32 s4, 0
	v_add_f64 v[30:31], v[30:31], v[48:49]
	s_mov_b32 s5, 0x7ff00000
	v_add_f64 v[30:31], v[52:53], v[30:31]
	v_cmp_eq_f64_e32 vcc, s[4:5], v[26:27]
	v_cndmask_b32_e32 v30, v30, v26, vcc
	v_cndmask_b32_e32 v31, v31, v27, vcc
	v_mov_b32_e32 v48, 0x7ff80000
	v_cmp_ngt_f64_e32 vcc, -1.0, v[26:27]
	v_cndmask_b32_e32 v31, v48, v31, vcc
	v_cmp_nge_f64_e32 vcc, -1.0, v[26:27]
	v_cndmask_b32_e32 v30, 0, v30, vcc
	v_mov_b32_e32 v48, 0xfff00000
	v_cmp_neq_f64_e32 vcc, -1.0, v[26:27]
	v_cndmask_b32_e32 v31, v48, v31, vcc
	v_add_f64 v[26:27], v[28:29], v[30:31]
.LBB68_164:
	s_or_b64 exec, exec, s[6:7]
	v_max_f64 v[28:29], v[26:27], v[26:27]
	v_min_f64 v[30:31], v[28:29], v[32:33]
	v_cmp_u_f64_e32 vcc, v[26:27], v[26:27]
	v_max_f64 v[28:29], v[28:29], v[32:33]
	v_cndmask_b32_e32 v30, v30, v26, vcc
	v_cndmask_b32_e32 v31, v31, v27, vcc
	;; [unrolled: 1-line block ×4, first 2 shown]
	v_cndmask_b32_e64 v49, v31, v21, s[8:9]
	v_cndmask_b32_e64 v48, v30, v20, s[8:9]
	;; [unrolled: 1-line block ×4, first 2 shown]
	v_cmp_neq_f64_e32 vcc, v[48:49], v[30:31]
	v_cmp_class_f64_e64 s[4:5], v[48:49], s26
	s_or_b64 s[4:5], vcc, s[4:5]
	v_pk_mov_b32 v[28:29], v[26:27], v[26:27] op_sel:[0,1]
	s_and_saveexec_b64 s[6:7], s[4:5]
	s_cbranch_execz .LBB68_166
; %bb.165:
	s_mov_b32 s4, 0x652b82fe
	v_add_f64 v[28:29], v[48:49], -v[30:31]
	s_mov_b32 s5, 0x3ff71547
	v_mul_f64 v[32:33], v[28:29], s[4:5]
	v_rndne_f64_e32 v[32:33], v[32:33]
	s_mov_b32 s9, 0xbfe62e42
	s_mov_b32 s8, 0xfefa39ef
	v_fma_f64 v[48:49], s[8:9], v[32:33], v[28:29]
	s_mov_b32 s23, 0xbc7abc9e
	s_mov_b32 s22, 0x3b39803f
	;; [unrolled: 1-line block ×3, first 2 shown]
	v_fmac_f64_e32 v[48:49], s[22:23], v[32:33]
	v_mov_b32_e32 v50, 0xfca7ab0c
	v_mov_b32_e32 v51, 0x3e928af3
	s_mov_b32 s5, 0x3e5ade15
	v_fmac_f64_e32 v[50:51], s[4:5], v[48:49]
	v_mov_b32_e32 v52, 0x623fde64
	v_mov_b32_e32 v53, 0x3ec71dee
	v_fmac_f64_e32 v[52:53], v[48:49], v[50:51]
	v_mov_b32_e32 v50, 0x7c89e6b0
	v_mov_b32_e32 v51, 0x3efa0199
	;; [unrolled: 3-line block ×8, first 2 shown]
	s_mov_b32 s4, 0
	v_fmac_f64_e32 v[50:51], v[48:49], v[52:53]
	s_mov_b32 s5, 0x40900000
	v_fma_f64 v[50:51], v[48:49], v[50:51], 1.0
	v_cmp_nlt_f64_e32 vcc, s[4:5], v[28:29]
	s_mov_b32 s4, 0
	v_fma_f64 v[48:49], v[48:49], v[50:51], 1.0
	v_cvt_i32_f64_e32 v32, v[32:33]
	s_mov_b32 s5, 0xc090cc00
	v_ldexp_f64 v[32:33], v[48:49], v32
	v_mov_b32_e32 v48, 0x7ff00000
	v_cmp_ngt_f64_e64 s[4:5], s[4:5], v[28:29]
	v_cndmask_b32_e32 v33, v48, v33, vcc
	s_and_b64 vcc, s[4:5], vcc
	v_cndmask_b32_e64 v29, 0, v33, s[4:5]
	v_cndmask_b32_e32 v28, 0, v32, vcc
	v_add_f64 v[32:33], v[28:29], 1.0
	v_add_f64 v[48:49], v[32:33], -1.0
	v_add_f64 v[50:51], v[48:49], -v[32:33]
	v_add_f64 v[50:51], v[50:51], 1.0
	v_add_f64 v[48:49], v[28:29], -v[48:49]
	s_mov_b32 s4, 0x55555555
	v_add_f64 v[48:49], v[48:49], v[50:51]
	v_frexp_mant_f64_e32 v[50:51], v[32:33]
	s_mov_b32 s5, 0x3fe55555
	v_frexp_exp_i32_f64_e32 v52, v[32:33]
	v_cmp_gt_f64_e32 vcc, s[4:5], v[50:51]
	v_subbrev_co_u32_e32 v66, vcc, 0, v52, vcc
	v_sub_u32_e32 v50, 0, v66
	v_ldexp_f64 v[32:33], v[32:33], v50
	v_ldexp_f64 v[48:49], v[48:49], v50
	v_add_f64 v[50:51], v[32:33], -1.0
	v_add_f64 v[56:57], v[32:33], 1.0
	v_add_f64 v[52:53], v[50:51], 1.0
	v_add_f64 v[58:59], v[56:57], -1.0
	v_add_f64 v[52:53], v[32:33], -v[52:53]
	v_add_f64 v[32:33], v[32:33], -v[58:59]
	v_add_f64 v[32:33], v[48:49], v[32:33]
	v_add_f64 v[52:53], v[48:49], v[52:53]
	;; [unrolled: 1-line block ×3, first 2 shown]
	v_rcp_f64_e32 v[58:59], v[48:49]
	v_add_f64 v[54:55], v[50:51], v[52:53]
	v_add_f64 v[50:51], v[54:55], -v[50:51]
	v_add_f64 v[50:51], v[52:53], -v[50:51]
	;; [unrolled: 1-line block ×4, first 2 shown]
	v_fma_f64 v[52:53], -v[48:49], v[58:59], 1.0
	v_fmac_f64_e32 v[58:59], v[52:53], v[58:59]
	v_fma_f64 v[52:53], -v[48:49], v[58:59], 1.0
	v_fmac_f64_e32 v[58:59], v[52:53], v[58:59]
	v_mul_f64 v[52:53], v[54:55], v[58:59]
	v_mul_f64 v[56:57], v[48:49], v[52:53]
	v_fma_f64 v[60:61], v[52:53], v[48:49], -v[56:57]
	v_fmac_f64_e32 v[60:61], v[52:53], v[32:33]
	v_add_f64 v[62:63], v[56:57], v[60:61]
	v_add_f64 v[64:65], v[54:55], -v[62:63]
	v_add_f64 v[54:55], v[54:55], -v[64:65]
	;; [unrolled: 1-line block ×4, first 2 shown]
	v_add_f64 v[50:51], v[50:51], v[54:55]
	v_add_f64 v[54:55], v[56:57], -v[60:61]
	v_add_f64 v[50:51], v[54:55], v[50:51]
	v_add_f64 v[54:55], v[64:65], v[50:51]
	v_add_f64 v[56:57], v[64:65], -v[54:55]
	v_add_f64 v[50:51], v[50:51], v[56:57]
	v_mul_f64 v[56:57], v[58:59], v[54:55]
	v_mul_f64 v[60:61], v[48:49], v[56:57]
	v_fma_f64 v[48:49], v[56:57], v[48:49], -v[60:61]
	v_fmac_f64_e32 v[48:49], v[56:57], v[32:33]
	v_add_f64 v[32:33], v[60:61], v[48:49]
	v_add_f64 v[62:63], v[54:55], -v[32:33]
	v_add_f64 v[54:55], v[54:55], -v[62:63]
	;; [unrolled: 1-line block ×4, first 2 shown]
	v_add_f64 v[32:33], v[50:51], v[32:33]
	v_add_f64 v[48:49], v[60:61], -v[48:49]
	v_add_f64 v[32:33], v[48:49], v[32:33]
	v_add_f64 v[48:49], v[52:53], v[56:57]
	;; [unrolled: 1-line block ×3, first 2 shown]
	v_add_f64 v[50:51], v[48:49], -v[52:53]
	v_mul_f64 v[32:33], v[58:59], v[32:33]
	v_add_f64 v[50:51], v[56:57], -v[50:51]
	v_add_f64 v[32:33], v[50:51], v[32:33]
	v_add_f64 v[50:51], v[48:49], v[32:33]
	v_add_f64 v[48:49], v[50:51], -v[48:49]
	s_mov_b32 s4, 0xbf559e2b
	v_add_f64 v[32:33], v[32:33], -v[48:49]
	v_mul_f64 v[48:49], v[50:51], v[50:51]
	v_mov_b32_e32 v52, 0x6b47b09a
	v_mov_b32_e32 v53, 0x3fc38538
	s_mov_b32 s5, 0x3fc3ab76
	v_fmac_f64_e32 v[52:53], s[4:5], v[48:49]
	v_mov_b32_e32 v54, 0xd7f4df2e
	v_mov_b32_e32 v55, 0x3fc7474d
	v_fmac_f64_e32 v[54:55], v[48:49], v[52:53]
	v_mov_b32_e32 v52, 0x16291751
	v_mov_b32_e32 v53, 0x3fcc71c0
	;; [unrolled: 3-line block ×5, first 2 shown]
	v_fmac_f64_e32 v[54:55], v[48:49], v[52:53]
	v_cvt_f64_i32_e32 v[52:53], v66
	s_mov_b32 s9, 0x3fe62e42
	v_mul_f64 v[56:57], v[52:53], s[8:9]
	v_fma_f64 v[58:59], v[52:53], s[8:9], -v[56:57]
	s_mov_b32 s23, 0x3c7abc9e
	v_fmac_f64_e32 v[58:59], s[22:23], v[52:53]
	v_add_f64 v[52:53], v[56:57], v[58:59]
	v_add_f64 v[56:57], v[52:53], -v[56:57]
	v_mul_f64 v[48:49], v[50:51], v[48:49]
	v_add_f64 v[56:57], v[58:59], -v[56:57]
	v_ldexp_f64 v[58:59], v[50:51], 1
	v_mul_f64 v[48:49], v[48:49], v[54:55]
	v_add_f64 v[50:51], v[58:59], v[48:49]
	v_add_f64 v[54:55], v[50:51], -v[58:59]
	v_ldexp_f64 v[32:33], v[32:33], 1
	v_add_f64 v[48:49], v[48:49], -v[54:55]
	v_add_f64 v[32:33], v[32:33], v[48:49]
	v_add_f64 v[48:49], v[50:51], v[32:33]
	v_add_f64 v[50:51], v[48:49], -v[50:51]
	v_add_f64 v[32:33], v[32:33], -v[50:51]
	v_add_f64 v[50:51], v[52:53], v[48:49]
	v_add_f64 v[54:55], v[50:51], -v[52:53]
	v_add_f64 v[58:59], v[50:51], -v[54:55]
	v_add_f64 v[52:53], v[52:53], -v[58:59]
	v_add_f64 v[48:49], v[48:49], -v[54:55]
	v_add_f64 v[48:49], v[48:49], v[52:53]
	v_add_f64 v[52:53], v[56:57], v[32:33]
	v_add_f64 v[54:55], v[52:53], -v[56:57]
	v_add_f64 v[48:49], v[52:53], v[48:49]
	v_add_f64 v[58:59], v[52:53], -v[54:55]
	;; [unrolled: 2-line block ×3, first 2 shown]
	v_add_f64 v[32:33], v[32:33], -v[54:55]
	v_add_f64 v[50:51], v[52:53], -v[50:51]
	v_add_f64 v[32:33], v[32:33], v[56:57]
	v_add_f64 v[48:49], v[48:49], -v[50:51]
	s_mov_b32 s4, 0
	v_add_f64 v[32:33], v[32:33], v[48:49]
	s_mov_b32 s5, 0x7ff00000
	v_add_f64 v[32:33], v[52:53], v[32:33]
	v_cmp_eq_f64_e32 vcc, s[4:5], v[28:29]
	v_cndmask_b32_e32 v32, v32, v28, vcc
	v_cndmask_b32_e32 v33, v33, v29, vcc
	v_mov_b32_e32 v48, 0x7ff80000
	v_cmp_ngt_f64_e32 vcc, -1.0, v[28:29]
	v_cndmask_b32_e32 v33, v48, v33, vcc
	v_cmp_nge_f64_e32 vcc, -1.0, v[28:29]
	v_cndmask_b32_e32 v32, 0, v32, vcc
	v_mov_b32_e32 v48, 0xfff00000
	v_cmp_neq_f64_e32 vcc, -1.0, v[28:29]
	v_cndmask_b32_e32 v33, v48, v33, vcc
	v_add_f64 v[28:29], v[30:31], v[32:33]
.LBB68_166:
	s_or_b64 exec, exec, s[6:7]
	v_max_f64 v[30:31], v[28:29], v[28:29]
	v_min_f64 v[32:33], v[30:31], v[34:35]
	v_cmp_u_f64_e32 vcc, v[28:29], v[28:29]
	v_max_f64 v[30:31], v[30:31], v[34:35]
	v_cndmask_b32_e32 v32, v32, v28, vcc
	v_cndmask_b32_e32 v33, v33, v29, vcc
	;; [unrolled: 1-line block ×4, first 2 shown]
	v_cndmask_b32_e64 v49, v33, v15, s[10:11]
	v_cndmask_b32_e64 v48, v32, v14, s[10:11]
	;; [unrolled: 1-line block ×4, first 2 shown]
	s_movk_i32 s22, 0x1f8
	v_cmp_neq_f64_e32 vcc, v[48:49], v[32:33]
	v_cmp_class_f64_e64 s[4:5], v[48:49], s22
	s_or_b64 s[4:5], vcc, s[4:5]
	v_pk_mov_b32 v[30:31], v[28:29], v[28:29] op_sel:[0,1]
	s_and_saveexec_b64 s[6:7], s[4:5]
	s_cbranch_execz .LBB68_168
; %bb.167:
	s_mov_b32 s4, 0x652b82fe
	v_add_f64 v[30:31], v[48:49], -v[32:33]
	s_mov_b32 s5, 0x3ff71547
	v_mul_f64 v[34:35], v[30:31], s[4:5]
	v_rndne_f64_e32 v[34:35], v[34:35]
	s_mov_b32 s9, 0xbfe62e42
	s_mov_b32 s8, 0xfefa39ef
	v_fma_f64 v[48:49], s[8:9], v[34:35], v[30:31]
	s_mov_b32 s11, 0xbc7abc9e
	s_mov_b32 s10, 0x3b39803f
	;; [unrolled: 1-line block ×3, first 2 shown]
	v_fmac_f64_e32 v[48:49], s[10:11], v[34:35]
	v_mov_b32_e32 v50, 0xfca7ab0c
	v_mov_b32_e32 v51, 0x3e928af3
	s_mov_b32 s5, 0x3e5ade15
	v_fmac_f64_e32 v[50:51], s[4:5], v[48:49]
	v_mov_b32_e32 v52, 0x623fde64
	v_mov_b32_e32 v53, 0x3ec71dee
	v_fmac_f64_e32 v[52:53], v[48:49], v[50:51]
	v_mov_b32_e32 v50, 0x7c89e6b0
	v_mov_b32_e32 v51, 0x3efa0199
	;; [unrolled: 3-line block ×8, first 2 shown]
	s_mov_b32 s4, 0
	v_fmac_f64_e32 v[50:51], v[48:49], v[52:53]
	s_mov_b32 s5, 0x40900000
	v_fma_f64 v[50:51], v[48:49], v[50:51], 1.0
	v_cmp_nlt_f64_e32 vcc, s[4:5], v[30:31]
	s_mov_b32 s4, 0
	v_fma_f64 v[48:49], v[48:49], v[50:51], 1.0
	v_cvt_i32_f64_e32 v34, v[34:35]
	s_mov_b32 s5, 0xc090cc00
	v_ldexp_f64 v[34:35], v[48:49], v34
	v_mov_b32_e32 v48, 0x7ff00000
	v_cmp_ngt_f64_e64 s[4:5], s[4:5], v[30:31]
	v_cndmask_b32_e32 v35, v48, v35, vcc
	s_and_b64 vcc, s[4:5], vcc
	v_cndmask_b32_e64 v31, 0, v35, s[4:5]
	v_cndmask_b32_e32 v30, 0, v34, vcc
	v_add_f64 v[34:35], v[30:31], 1.0
	v_add_f64 v[48:49], v[34:35], -1.0
	v_add_f64 v[50:51], v[48:49], -v[34:35]
	v_add_f64 v[50:51], v[50:51], 1.0
	v_add_f64 v[48:49], v[30:31], -v[48:49]
	s_mov_b32 s4, 0x55555555
	v_add_f64 v[48:49], v[48:49], v[50:51]
	v_frexp_mant_f64_e32 v[50:51], v[34:35]
	s_mov_b32 s5, 0x3fe55555
	v_frexp_exp_i32_f64_e32 v52, v[34:35]
	v_cmp_gt_f64_e32 vcc, s[4:5], v[50:51]
	v_subbrev_co_u32_e32 v66, vcc, 0, v52, vcc
	v_sub_u32_e32 v50, 0, v66
	v_ldexp_f64 v[34:35], v[34:35], v50
	v_ldexp_f64 v[48:49], v[48:49], v50
	v_add_f64 v[50:51], v[34:35], -1.0
	v_add_f64 v[56:57], v[34:35], 1.0
	v_add_f64 v[52:53], v[50:51], 1.0
	v_add_f64 v[58:59], v[56:57], -1.0
	v_add_f64 v[52:53], v[34:35], -v[52:53]
	v_add_f64 v[34:35], v[34:35], -v[58:59]
	v_add_f64 v[34:35], v[48:49], v[34:35]
	v_add_f64 v[52:53], v[48:49], v[52:53]
	;; [unrolled: 1-line block ×3, first 2 shown]
	v_rcp_f64_e32 v[58:59], v[48:49]
	v_add_f64 v[54:55], v[50:51], v[52:53]
	v_add_f64 v[50:51], v[54:55], -v[50:51]
	v_add_f64 v[50:51], v[52:53], -v[50:51]
	;; [unrolled: 1-line block ×4, first 2 shown]
	v_fma_f64 v[52:53], -v[48:49], v[58:59], 1.0
	v_fmac_f64_e32 v[58:59], v[52:53], v[58:59]
	v_fma_f64 v[52:53], -v[48:49], v[58:59], 1.0
	v_fmac_f64_e32 v[58:59], v[52:53], v[58:59]
	v_mul_f64 v[52:53], v[54:55], v[58:59]
	v_mul_f64 v[56:57], v[48:49], v[52:53]
	v_fma_f64 v[60:61], v[52:53], v[48:49], -v[56:57]
	v_fmac_f64_e32 v[60:61], v[52:53], v[34:35]
	v_add_f64 v[62:63], v[56:57], v[60:61]
	v_add_f64 v[64:65], v[54:55], -v[62:63]
	v_add_f64 v[54:55], v[54:55], -v[64:65]
	v_add_f64 v[56:57], v[62:63], -v[56:57]
	v_add_f64 v[54:55], v[54:55], -v[62:63]
	v_add_f64 v[50:51], v[50:51], v[54:55]
	v_add_f64 v[54:55], v[56:57], -v[60:61]
	v_add_f64 v[50:51], v[54:55], v[50:51]
	v_add_f64 v[54:55], v[64:65], v[50:51]
	v_add_f64 v[56:57], v[64:65], -v[54:55]
	v_add_f64 v[50:51], v[50:51], v[56:57]
	v_mul_f64 v[56:57], v[58:59], v[54:55]
	v_mul_f64 v[60:61], v[48:49], v[56:57]
	v_fma_f64 v[48:49], v[56:57], v[48:49], -v[60:61]
	v_fmac_f64_e32 v[48:49], v[56:57], v[34:35]
	v_add_f64 v[34:35], v[60:61], v[48:49]
	v_add_f64 v[62:63], v[54:55], -v[34:35]
	v_add_f64 v[54:55], v[54:55], -v[62:63]
	;; [unrolled: 1-line block ×4, first 2 shown]
	v_add_f64 v[34:35], v[50:51], v[34:35]
	v_add_f64 v[48:49], v[60:61], -v[48:49]
	v_add_f64 v[34:35], v[48:49], v[34:35]
	v_add_f64 v[48:49], v[52:53], v[56:57]
	;; [unrolled: 1-line block ×3, first 2 shown]
	v_add_f64 v[50:51], v[48:49], -v[52:53]
	v_mul_f64 v[34:35], v[58:59], v[34:35]
	v_add_f64 v[50:51], v[56:57], -v[50:51]
	v_add_f64 v[34:35], v[50:51], v[34:35]
	v_add_f64 v[50:51], v[48:49], v[34:35]
	v_add_f64 v[48:49], v[50:51], -v[48:49]
	s_mov_b32 s4, 0xbf559e2b
	v_add_f64 v[34:35], v[34:35], -v[48:49]
	v_mul_f64 v[48:49], v[50:51], v[50:51]
	v_mov_b32_e32 v52, 0x6b47b09a
	v_mov_b32_e32 v53, 0x3fc38538
	s_mov_b32 s5, 0x3fc3ab76
	v_fmac_f64_e32 v[52:53], s[4:5], v[48:49]
	v_mov_b32_e32 v54, 0xd7f4df2e
	v_mov_b32_e32 v55, 0x3fc7474d
	v_fmac_f64_e32 v[54:55], v[48:49], v[52:53]
	v_mov_b32_e32 v52, 0x16291751
	v_mov_b32_e32 v53, 0x3fcc71c0
	;; [unrolled: 3-line block ×5, first 2 shown]
	v_fmac_f64_e32 v[54:55], v[48:49], v[52:53]
	v_cvt_f64_i32_e32 v[52:53], v66
	s_mov_b32 s9, 0x3fe62e42
	v_mul_f64 v[56:57], v[52:53], s[8:9]
	v_fma_f64 v[58:59], v[52:53], s[8:9], -v[56:57]
	s_mov_b32 s11, 0x3c7abc9e
	v_fmac_f64_e32 v[58:59], s[10:11], v[52:53]
	v_add_f64 v[52:53], v[56:57], v[58:59]
	v_add_f64 v[56:57], v[52:53], -v[56:57]
	v_mul_f64 v[48:49], v[50:51], v[48:49]
	v_add_f64 v[56:57], v[58:59], -v[56:57]
	v_ldexp_f64 v[58:59], v[50:51], 1
	v_mul_f64 v[48:49], v[48:49], v[54:55]
	v_add_f64 v[50:51], v[58:59], v[48:49]
	v_add_f64 v[54:55], v[50:51], -v[58:59]
	v_ldexp_f64 v[34:35], v[34:35], 1
	v_add_f64 v[48:49], v[48:49], -v[54:55]
	v_add_f64 v[34:35], v[34:35], v[48:49]
	v_add_f64 v[48:49], v[50:51], v[34:35]
	v_add_f64 v[50:51], v[48:49], -v[50:51]
	v_add_f64 v[34:35], v[34:35], -v[50:51]
	v_add_f64 v[50:51], v[52:53], v[48:49]
	v_add_f64 v[54:55], v[50:51], -v[52:53]
	v_add_f64 v[58:59], v[50:51], -v[54:55]
	v_add_f64 v[52:53], v[52:53], -v[58:59]
	v_add_f64 v[48:49], v[48:49], -v[54:55]
	v_add_f64 v[48:49], v[48:49], v[52:53]
	v_add_f64 v[52:53], v[56:57], v[34:35]
	v_add_f64 v[54:55], v[52:53], -v[56:57]
	v_add_f64 v[48:49], v[52:53], v[48:49]
	v_add_f64 v[58:59], v[52:53], -v[54:55]
	v_add_f64 v[52:53], v[50:51], v[48:49]
	v_add_f64 v[56:57], v[56:57], -v[58:59]
	v_add_f64 v[34:35], v[34:35], -v[54:55]
	v_add_f64 v[50:51], v[52:53], -v[50:51]
	v_add_f64 v[34:35], v[34:35], v[56:57]
	v_add_f64 v[48:49], v[48:49], -v[50:51]
	s_mov_b32 s4, 0
	v_add_f64 v[34:35], v[34:35], v[48:49]
	s_mov_b32 s5, 0x7ff00000
	v_add_f64 v[34:35], v[52:53], v[34:35]
	v_cmp_eq_f64_e32 vcc, s[4:5], v[30:31]
	v_cndmask_b32_e32 v34, v34, v30, vcc
	v_cndmask_b32_e32 v35, v35, v31, vcc
	v_mov_b32_e32 v48, 0x7ff80000
	v_cmp_ngt_f64_e32 vcc, -1.0, v[30:31]
	v_cndmask_b32_e32 v35, v48, v35, vcc
	v_cmp_nge_f64_e32 vcc, -1.0, v[30:31]
	v_cndmask_b32_e32 v34, 0, v34, vcc
	v_mov_b32_e32 v48, 0xfff00000
	v_cmp_neq_f64_e32 vcc, -1.0, v[30:31]
	v_cndmask_b32_e32 v35, v48, v35, vcc
	v_add_f64 v[30:31], v[32:33], v[34:35]
.LBB68_168:
	s_or_b64 exec, exec, s[6:7]
	v_max_f64 v[32:33], v[30:31], v[30:31]
	v_min_f64 v[34:35], v[32:33], v[36:37]
	v_cmp_u_f64_e32 vcc, v[30:31], v[30:31]
	v_max_f64 v[32:33], v[32:33], v[36:37]
	v_cndmask_b32_e32 v34, v34, v30, vcc
	v_cndmask_b32_e32 v35, v35, v31, vcc
	v_cndmask_b32_e32 v32, v32, v30, vcc
	v_cndmask_b32_e32 v33, v33, v31, vcc
	v_cndmask_b32_e64 v49, v35, v17, s[12:13]
	v_cndmask_b32_e64 v48, v34, v16, s[12:13]
	;; [unrolled: 1-line block ×4, first 2 shown]
	v_cmp_neq_f64_e32 vcc, v[48:49], v[34:35]
	v_cmp_class_f64_e64 s[4:5], v[48:49], s22
	s_or_b64 s[4:5], vcc, s[4:5]
	v_pk_mov_b32 v[32:33], v[30:31], v[30:31] op_sel:[0,1]
	s_and_saveexec_b64 s[6:7], s[4:5]
	s_cbranch_execz .LBB68_170
; %bb.169:
	s_mov_b32 s4, 0x652b82fe
	v_add_f64 v[32:33], v[48:49], -v[34:35]
	s_mov_b32 s5, 0x3ff71547
	v_mul_f64 v[36:37], v[32:33], s[4:5]
	v_rndne_f64_e32 v[36:37], v[36:37]
	s_mov_b32 s9, 0xbfe62e42
	s_mov_b32 s8, 0xfefa39ef
	v_fma_f64 v[48:49], s[8:9], v[36:37], v[32:33]
	s_mov_b32 s11, 0xbc7abc9e
	s_mov_b32 s10, 0x3b39803f
	;; [unrolled: 1-line block ×3, first 2 shown]
	v_fmac_f64_e32 v[48:49], s[10:11], v[36:37]
	v_mov_b32_e32 v50, 0xfca7ab0c
	v_mov_b32_e32 v51, 0x3e928af3
	s_mov_b32 s5, 0x3e5ade15
	v_fmac_f64_e32 v[50:51], s[4:5], v[48:49]
	v_mov_b32_e32 v52, 0x623fde64
	v_mov_b32_e32 v53, 0x3ec71dee
	v_fmac_f64_e32 v[52:53], v[48:49], v[50:51]
	v_mov_b32_e32 v50, 0x7c89e6b0
	v_mov_b32_e32 v51, 0x3efa0199
	;; [unrolled: 3-line block ×8, first 2 shown]
	s_mov_b32 s4, 0
	v_fmac_f64_e32 v[50:51], v[48:49], v[52:53]
	s_mov_b32 s5, 0x40900000
	v_fma_f64 v[50:51], v[48:49], v[50:51], 1.0
	v_cmp_nlt_f64_e32 vcc, s[4:5], v[32:33]
	s_mov_b32 s4, 0
	v_fma_f64 v[48:49], v[48:49], v[50:51], 1.0
	v_cvt_i32_f64_e32 v36, v[36:37]
	s_mov_b32 s5, 0xc090cc00
	v_ldexp_f64 v[36:37], v[48:49], v36
	v_mov_b32_e32 v48, 0x7ff00000
	v_cmp_ngt_f64_e64 s[4:5], s[4:5], v[32:33]
	v_cndmask_b32_e32 v37, v48, v37, vcc
	s_and_b64 vcc, s[4:5], vcc
	v_cndmask_b32_e64 v33, 0, v37, s[4:5]
	v_cndmask_b32_e32 v32, 0, v36, vcc
	v_add_f64 v[36:37], v[32:33], 1.0
	v_add_f64 v[48:49], v[36:37], -1.0
	v_add_f64 v[50:51], v[48:49], -v[36:37]
	v_add_f64 v[50:51], v[50:51], 1.0
	v_add_f64 v[48:49], v[32:33], -v[48:49]
	s_mov_b32 s4, 0x55555555
	v_add_f64 v[48:49], v[48:49], v[50:51]
	v_frexp_mant_f64_e32 v[50:51], v[36:37]
	s_mov_b32 s5, 0x3fe55555
	v_frexp_exp_i32_f64_e32 v52, v[36:37]
	v_cmp_gt_f64_e32 vcc, s[4:5], v[50:51]
	v_subbrev_co_u32_e32 v66, vcc, 0, v52, vcc
	v_sub_u32_e32 v50, 0, v66
	v_ldexp_f64 v[36:37], v[36:37], v50
	v_ldexp_f64 v[48:49], v[48:49], v50
	v_add_f64 v[50:51], v[36:37], -1.0
	v_add_f64 v[56:57], v[36:37], 1.0
	v_add_f64 v[52:53], v[50:51], 1.0
	v_add_f64 v[58:59], v[56:57], -1.0
	v_add_f64 v[52:53], v[36:37], -v[52:53]
	v_add_f64 v[36:37], v[36:37], -v[58:59]
	v_add_f64 v[36:37], v[48:49], v[36:37]
	v_add_f64 v[52:53], v[48:49], v[52:53]
	;; [unrolled: 1-line block ×3, first 2 shown]
	v_rcp_f64_e32 v[58:59], v[48:49]
	v_add_f64 v[54:55], v[50:51], v[52:53]
	v_add_f64 v[50:51], v[54:55], -v[50:51]
	v_add_f64 v[50:51], v[52:53], -v[50:51]
	;; [unrolled: 1-line block ×4, first 2 shown]
	v_fma_f64 v[52:53], -v[48:49], v[58:59], 1.0
	v_fmac_f64_e32 v[58:59], v[52:53], v[58:59]
	v_fma_f64 v[52:53], -v[48:49], v[58:59], 1.0
	v_fmac_f64_e32 v[58:59], v[52:53], v[58:59]
	v_mul_f64 v[52:53], v[54:55], v[58:59]
	v_mul_f64 v[56:57], v[48:49], v[52:53]
	v_fma_f64 v[60:61], v[52:53], v[48:49], -v[56:57]
	v_fmac_f64_e32 v[60:61], v[52:53], v[36:37]
	v_add_f64 v[62:63], v[56:57], v[60:61]
	v_add_f64 v[64:65], v[54:55], -v[62:63]
	v_add_f64 v[54:55], v[54:55], -v[64:65]
	;; [unrolled: 1-line block ×4, first 2 shown]
	v_add_f64 v[50:51], v[50:51], v[54:55]
	v_add_f64 v[54:55], v[56:57], -v[60:61]
	v_add_f64 v[50:51], v[54:55], v[50:51]
	v_add_f64 v[54:55], v[64:65], v[50:51]
	v_add_f64 v[56:57], v[64:65], -v[54:55]
	v_add_f64 v[50:51], v[50:51], v[56:57]
	v_mul_f64 v[56:57], v[58:59], v[54:55]
	v_mul_f64 v[60:61], v[48:49], v[56:57]
	v_fma_f64 v[48:49], v[56:57], v[48:49], -v[60:61]
	v_fmac_f64_e32 v[48:49], v[56:57], v[36:37]
	v_add_f64 v[36:37], v[60:61], v[48:49]
	v_add_f64 v[62:63], v[54:55], -v[36:37]
	v_add_f64 v[54:55], v[54:55], -v[62:63]
	;; [unrolled: 1-line block ×4, first 2 shown]
	v_add_f64 v[36:37], v[50:51], v[36:37]
	v_add_f64 v[48:49], v[60:61], -v[48:49]
	v_add_f64 v[36:37], v[48:49], v[36:37]
	v_add_f64 v[48:49], v[52:53], v[56:57]
	;; [unrolled: 1-line block ×3, first 2 shown]
	v_add_f64 v[50:51], v[48:49], -v[52:53]
	v_mul_f64 v[36:37], v[58:59], v[36:37]
	v_add_f64 v[50:51], v[56:57], -v[50:51]
	v_add_f64 v[36:37], v[50:51], v[36:37]
	v_add_f64 v[50:51], v[48:49], v[36:37]
	v_add_f64 v[48:49], v[50:51], -v[48:49]
	s_mov_b32 s4, 0xbf559e2b
	v_add_f64 v[36:37], v[36:37], -v[48:49]
	v_mul_f64 v[48:49], v[50:51], v[50:51]
	v_mov_b32_e32 v52, 0x6b47b09a
	v_mov_b32_e32 v53, 0x3fc38538
	s_mov_b32 s5, 0x3fc3ab76
	v_fmac_f64_e32 v[52:53], s[4:5], v[48:49]
	v_mov_b32_e32 v54, 0xd7f4df2e
	v_mov_b32_e32 v55, 0x3fc7474d
	v_fmac_f64_e32 v[54:55], v[48:49], v[52:53]
	v_mov_b32_e32 v52, 0x16291751
	v_mov_b32_e32 v53, 0x3fcc71c0
	;; [unrolled: 3-line block ×5, first 2 shown]
	v_fmac_f64_e32 v[54:55], v[48:49], v[52:53]
	v_cvt_f64_i32_e32 v[52:53], v66
	s_mov_b32 s9, 0x3fe62e42
	v_mul_f64 v[56:57], v[52:53], s[8:9]
	v_fma_f64 v[58:59], v[52:53], s[8:9], -v[56:57]
	s_mov_b32 s11, 0x3c7abc9e
	v_fmac_f64_e32 v[58:59], s[10:11], v[52:53]
	v_add_f64 v[52:53], v[56:57], v[58:59]
	v_add_f64 v[56:57], v[52:53], -v[56:57]
	v_mul_f64 v[48:49], v[50:51], v[48:49]
	v_add_f64 v[56:57], v[58:59], -v[56:57]
	v_ldexp_f64 v[58:59], v[50:51], 1
	v_mul_f64 v[48:49], v[48:49], v[54:55]
	v_add_f64 v[50:51], v[58:59], v[48:49]
	v_add_f64 v[54:55], v[50:51], -v[58:59]
	v_ldexp_f64 v[36:37], v[36:37], 1
	v_add_f64 v[48:49], v[48:49], -v[54:55]
	v_add_f64 v[36:37], v[36:37], v[48:49]
	v_add_f64 v[48:49], v[50:51], v[36:37]
	v_add_f64 v[50:51], v[48:49], -v[50:51]
	v_add_f64 v[36:37], v[36:37], -v[50:51]
	v_add_f64 v[50:51], v[52:53], v[48:49]
	v_add_f64 v[54:55], v[50:51], -v[52:53]
	v_add_f64 v[58:59], v[50:51], -v[54:55]
	;; [unrolled: 1-line block ×4, first 2 shown]
	v_add_f64 v[48:49], v[48:49], v[52:53]
	v_add_f64 v[52:53], v[56:57], v[36:37]
	v_add_f64 v[54:55], v[52:53], -v[56:57]
	v_add_f64 v[48:49], v[52:53], v[48:49]
	v_add_f64 v[58:59], v[52:53], -v[54:55]
	;; [unrolled: 2-line block ×3, first 2 shown]
	v_add_f64 v[36:37], v[36:37], -v[54:55]
	v_add_f64 v[50:51], v[52:53], -v[50:51]
	v_add_f64 v[36:37], v[36:37], v[56:57]
	v_add_f64 v[48:49], v[48:49], -v[50:51]
	s_mov_b32 s4, 0
	v_add_f64 v[36:37], v[36:37], v[48:49]
	s_mov_b32 s5, 0x7ff00000
	v_add_f64 v[36:37], v[52:53], v[36:37]
	v_cmp_eq_f64_e32 vcc, s[4:5], v[32:33]
	v_cndmask_b32_e32 v36, v36, v32, vcc
	v_cndmask_b32_e32 v37, v37, v33, vcc
	v_mov_b32_e32 v48, 0x7ff80000
	v_cmp_ngt_f64_e32 vcc, -1.0, v[32:33]
	v_cndmask_b32_e32 v37, v48, v37, vcc
	v_cmp_nge_f64_e32 vcc, -1.0, v[32:33]
	v_cndmask_b32_e32 v36, 0, v36, vcc
	v_mov_b32_e32 v48, 0xfff00000
	v_cmp_neq_f64_e32 vcc, -1.0, v[32:33]
	v_cndmask_b32_e32 v37, v48, v37, vcc
	v_add_f64 v[32:33], v[34:35], v[36:37]
.LBB68_170:
	s_or_b64 exec, exec, s[6:7]
	v_max_f64 v[34:35], v[32:33], v[32:33]
	v_min_f64 v[36:37], v[34:35], v[38:39]
	v_cmp_u_f64_e32 vcc, v[32:33], v[32:33]
	v_max_f64 v[34:35], v[34:35], v[38:39]
	v_cndmask_b32_e32 v36, v36, v32, vcc
	v_cndmask_b32_e32 v37, v37, v33, vcc
	;; [unrolled: 1-line block ×4, first 2 shown]
	v_cndmask_b32_e64 v49, v37, v11, s[14:15]
	v_cndmask_b32_e64 v48, v36, v10, s[14:15]
	;; [unrolled: 1-line block ×4, first 2 shown]
	s_movk_i32 s12, 0x1f8
	v_cmp_neq_f64_e32 vcc, v[48:49], v[36:37]
	v_cmp_class_f64_e64 s[4:5], v[48:49], s12
	s_or_b64 s[4:5], vcc, s[4:5]
	v_pk_mov_b32 v[34:35], v[32:33], v[32:33] op_sel:[0,1]
	s_and_saveexec_b64 s[6:7], s[4:5]
	s_cbranch_execz .LBB68_172
; %bb.171:
	s_mov_b32 s4, 0x652b82fe
	v_add_f64 v[34:35], v[48:49], -v[36:37]
	s_mov_b32 s5, 0x3ff71547
	v_mul_f64 v[38:39], v[34:35], s[4:5]
	v_rndne_f64_e32 v[38:39], v[38:39]
	s_mov_b32 s9, 0xbfe62e42
	s_mov_b32 s8, 0xfefa39ef
	v_fma_f64 v[48:49], s[8:9], v[38:39], v[34:35]
	s_mov_b32 s11, 0xbc7abc9e
	s_mov_b32 s10, 0x3b39803f
	;; [unrolled: 1-line block ×3, first 2 shown]
	v_fmac_f64_e32 v[48:49], s[10:11], v[38:39]
	v_mov_b32_e32 v50, 0xfca7ab0c
	v_mov_b32_e32 v51, 0x3e928af3
	s_mov_b32 s5, 0x3e5ade15
	v_fmac_f64_e32 v[50:51], s[4:5], v[48:49]
	v_mov_b32_e32 v52, 0x623fde64
	v_mov_b32_e32 v53, 0x3ec71dee
	v_fmac_f64_e32 v[52:53], v[48:49], v[50:51]
	v_mov_b32_e32 v50, 0x7c89e6b0
	v_mov_b32_e32 v51, 0x3efa0199
	;; [unrolled: 3-line block ×8, first 2 shown]
	s_mov_b32 s4, 0
	v_fmac_f64_e32 v[50:51], v[48:49], v[52:53]
	s_mov_b32 s5, 0x40900000
	v_fma_f64 v[50:51], v[48:49], v[50:51], 1.0
	v_cmp_nlt_f64_e32 vcc, s[4:5], v[34:35]
	s_mov_b32 s4, 0
	v_fma_f64 v[48:49], v[48:49], v[50:51], 1.0
	v_cvt_i32_f64_e32 v38, v[38:39]
	s_mov_b32 s5, 0xc090cc00
	v_ldexp_f64 v[38:39], v[48:49], v38
	v_mov_b32_e32 v48, 0x7ff00000
	v_cmp_ngt_f64_e64 s[4:5], s[4:5], v[34:35]
	v_cndmask_b32_e32 v39, v48, v39, vcc
	s_and_b64 vcc, s[4:5], vcc
	v_cndmask_b32_e64 v35, 0, v39, s[4:5]
	v_cndmask_b32_e32 v34, 0, v38, vcc
	v_add_f64 v[38:39], v[34:35], 1.0
	v_add_f64 v[48:49], v[38:39], -1.0
	v_add_f64 v[50:51], v[48:49], -v[38:39]
	v_add_f64 v[50:51], v[50:51], 1.0
	v_add_f64 v[48:49], v[34:35], -v[48:49]
	s_mov_b32 s4, 0x55555555
	v_add_f64 v[48:49], v[48:49], v[50:51]
	v_frexp_mant_f64_e32 v[50:51], v[38:39]
	s_mov_b32 s5, 0x3fe55555
	v_frexp_exp_i32_f64_e32 v52, v[38:39]
	v_cmp_gt_f64_e32 vcc, s[4:5], v[50:51]
	v_subbrev_co_u32_e32 v66, vcc, 0, v52, vcc
	v_sub_u32_e32 v50, 0, v66
	v_ldexp_f64 v[38:39], v[38:39], v50
	v_ldexp_f64 v[48:49], v[48:49], v50
	v_add_f64 v[50:51], v[38:39], -1.0
	v_add_f64 v[56:57], v[38:39], 1.0
	v_add_f64 v[52:53], v[50:51], 1.0
	v_add_f64 v[58:59], v[56:57], -1.0
	v_add_f64 v[52:53], v[38:39], -v[52:53]
	v_add_f64 v[38:39], v[38:39], -v[58:59]
	v_add_f64 v[38:39], v[48:49], v[38:39]
	v_add_f64 v[52:53], v[48:49], v[52:53]
	v_add_f64 v[48:49], v[56:57], v[38:39]
	v_rcp_f64_e32 v[58:59], v[48:49]
	v_add_f64 v[54:55], v[50:51], v[52:53]
	v_add_f64 v[50:51], v[54:55], -v[50:51]
	v_add_f64 v[50:51], v[52:53], -v[50:51]
	;; [unrolled: 1-line block ×4, first 2 shown]
	v_fma_f64 v[52:53], -v[48:49], v[58:59], 1.0
	v_fmac_f64_e32 v[58:59], v[52:53], v[58:59]
	v_fma_f64 v[52:53], -v[48:49], v[58:59], 1.0
	v_fmac_f64_e32 v[58:59], v[52:53], v[58:59]
	v_mul_f64 v[52:53], v[54:55], v[58:59]
	v_mul_f64 v[56:57], v[48:49], v[52:53]
	v_fma_f64 v[60:61], v[52:53], v[48:49], -v[56:57]
	v_fmac_f64_e32 v[60:61], v[52:53], v[38:39]
	v_add_f64 v[62:63], v[56:57], v[60:61]
	v_add_f64 v[64:65], v[54:55], -v[62:63]
	v_add_f64 v[54:55], v[54:55], -v[64:65]
	;; [unrolled: 1-line block ×4, first 2 shown]
	v_add_f64 v[50:51], v[50:51], v[54:55]
	v_add_f64 v[54:55], v[56:57], -v[60:61]
	v_add_f64 v[50:51], v[54:55], v[50:51]
	v_add_f64 v[54:55], v[64:65], v[50:51]
	v_add_f64 v[56:57], v[64:65], -v[54:55]
	v_add_f64 v[50:51], v[50:51], v[56:57]
	v_mul_f64 v[56:57], v[58:59], v[54:55]
	v_mul_f64 v[60:61], v[48:49], v[56:57]
	v_fma_f64 v[48:49], v[56:57], v[48:49], -v[60:61]
	v_fmac_f64_e32 v[48:49], v[56:57], v[38:39]
	v_add_f64 v[38:39], v[60:61], v[48:49]
	v_add_f64 v[62:63], v[54:55], -v[38:39]
	v_add_f64 v[54:55], v[54:55], -v[62:63]
	;; [unrolled: 1-line block ×4, first 2 shown]
	v_add_f64 v[38:39], v[50:51], v[38:39]
	v_add_f64 v[48:49], v[60:61], -v[48:49]
	v_add_f64 v[38:39], v[48:49], v[38:39]
	v_add_f64 v[48:49], v[52:53], v[56:57]
	;; [unrolled: 1-line block ×3, first 2 shown]
	v_add_f64 v[50:51], v[48:49], -v[52:53]
	v_mul_f64 v[38:39], v[58:59], v[38:39]
	v_add_f64 v[50:51], v[56:57], -v[50:51]
	v_add_f64 v[38:39], v[50:51], v[38:39]
	v_add_f64 v[50:51], v[48:49], v[38:39]
	v_add_f64 v[48:49], v[50:51], -v[48:49]
	s_mov_b32 s4, 0xbf559e2b
	v_add_f64 v[38:39], v[38:39], -v[48:49]
	v_mul_f64 v[48:49], v[50:51], v[50:51]
	v_mov_b32_e32 v52, 0x6b47b09a
	v_mov_b32_e32 v53, 0x3fc38538
	s_mov_b32 s5, 0x3fc3ab76
	v_fmac_f64_e32 v[52:53], s[4:5], v[48:49]
	v_mov_b32_e32 v54, 0xd7f4df2e
	v_mov_b32_e32 v55, 0x3fc7474d
	v_fmac_f64_e32 v[54:55], v[48:49], v[52:53]
	v_mov_b32_e32 v52, 0x16291751
	v_mov_b32_e32 v53, 0x3fcc71c0
	;; [unrolled: 3-line block ×5, first 2 shown]
	v_fmac_f64_e32 v[54:55], v[48:49], v[52:53]
	v_cvt_f64_i32_e32 v[52:53], v66
	s_mov_b32 s9, 0x3fe62e42
	v_mul_f64 v[56:57], v[52:53], s[8:9]
	v_fma_f64 v[58:59], v[52:53], s[8:9], -v[56:57]
	s_mov_b32 s11, 0x3c7abc9e
	v_fmac_f64_e32 v[58:59], s[10:11], v[52:53]
	v_add_f64 v[52:53], v[56:57], v[58:59]
	v_add_f64 v[56:57], v[52:53], -v[56:57]
	v_mul_f64 v[48:49], v[50:51], v[48:49]
	v_add_f64 v[56:57], v[58:59], -v[56:57]
	v_ldexp_f64 v[58:59], v[50:51], 1
	v_mul_f64 v[48:49], v[48:49], v[54:55]
	v_add_f64 v[50:51], v[58:59], v[48:49]
	v_add_f64 v[54:55], v[50:51], -v[58:59]
	v_ldexp_f64 v[38:39], v[38:39], 1
	v_add_f64 v[48:49], v[48:49], -v[54:55]
	v_add_f64 v[38:39], v[38:39], v[48:49]
	v_add_f64 v[48:49], v[50:51], v[38:39]
	v_add_f64 v[50:51], v[48:49], -v[50:51]
	v_add_f64 v[38:39], v[38:39], -v[50:51]
	v_add_f64 v[50:51], v[52:53], v[48:49]
	v_add_f64 v[54:55], v[50:51], -v[52:53]
	v_add_f64 v[58:59], v[50:51], -v[54:55]
	;; [unrolled: 1-line block ×4, first 2 shown]
	v_add_f64 v[48:49], v[48:49], v[52:53]
	v_add_f64 v[52:53], v[56:57], v[38:39]
	v_add_f64 v[54:55], v[52:53], -v[56:57]
	v_add_f64 v[48:49], v[52:53], v[48:49]
	v_add_f64 v[58:59], v[52:53], -v[54:55]
	;; [unrolled: 2-line block ×3, first 2 shown]
	v_add_f64 v[38:39], v[38:39], -v[54:55]
	v_add_f64 v[50:51], v[52:53], -v[50:51]
	v_add_f64 v[38:39], v[38:39], v[56:57]
	v_add_f64 v[48:49], v[48:49], -v[50:51]
	s_mov_b32 s4, 0
	v_add_f64 v[38:39], v[38:39], v[48:49]
	s_mov_b32 s5, 0x7ff00000
	v_add_f64 v[38:39], v[52:53], v[38:39]
	v_cmp_eq_f64_e32 vcc, s[4:5], v[34:35]
	v_cndmask_b32_e32 v38, v38, v34, vcc
	v_cndmask_b32_e32 v39, v39, v35, vcc
	v_mov_b32_e32 v48, 0x7ff80000
	v_cmp_ngt_f64_e32 vcc, -1.0, v[34:35]
	v_cndmask_b32_e32 v39, v48, v39, vcc
	v_cmp_nge_f64_e32 vcc, -1.0, v[34:35]
	v_cndmask_b32_e32 v38, 0, v38, vcc
	v_mov_b32_e32 v48, 0xfff00000
	v_cmp_neq_f64_e32 vcc, -1.0, v[34:35]
	v_cndmask_b32_e32 v39, v48, v39, vcc
	v_add_f64 v[34:35], v[36:37], v[38:39]
.LBB68_172:
	s_or_b64 exec, exec, s[6:7]
	v_max_f64 v[36:37], v[34:35], v[34:35]
	v_min_f64 v[38:39], v[36:37], v[40:41]
	v_cmp_u_f64_e32 vcc, v[34:35], v[34:35]
	v_max_f64 v[36:37], v[36:37], v[40:41]
	v_cndmask_b32_e32 v38, v38, v34, vcc
	v_cndmask_b32_e32 v39, v39, v35, vcc
	;; [unrolled: 1-line block ×4, first 2 shown]
	v_cndmask_b32_e64 v49, v39, v13, s[16:17]
	v_cndmask_b32_e64 v48, v38, v12, s[16:17]
	;; [unrolled: 1-line block ×4, first 2 shown]
	v_cmp_neq_f64_e32 vcc, v[48:49], v[38:39]
	v_cmp_class_f64_e64 s[4:5], v[48:49], s12
	s_or_b64 s[4:5], vcc, s[4:5]
	v_pk_mov_b32 v[36:37], v[34:35], v[34:35] op_sel:[0,1]
	s_and_saveexec_b64 s[6:7], s[4:5]
	s_cbranch_execz .LBB68_174
; %bb.173:
	s_mov_b32 s4, 0x652b82fe
	v_add_f64 v[36:37], v[48:49], -v[38:39]
	s_mov_b32 s5, 0x3ff71547
	v_mul_f64 v[40:41], v[36:37], s[4:5]
	v_rndne_f64_e32 v[40:41], v[40:41]
	s_mov_b32 s9, 0xbfe62e42
	s_mov_b32 s8, 0xfefa39ef
	v_fma_f64 v[48:49], s[8:9], v[40:41], v[36:37]
	s_mov_b32 s11, 0xbc7abc9e
	s_mov_b32 s10, 0x3b39803f
	;; [unrolled: 1-line block ×3, first 2 shown]
	v_fmac_f64_e32 v[48:49], s[10:11], v[40:41]
	v_mov_b32_e32 v50, 0xfca7ab0c
	v_mov_b32_e32 v51, 0x3e928af3
	s_mov_b32 s5, 0x3e5ade15
	v_fmac_f64_e32 v[50:51], s[4:5], v[48:49]
	v_mov_b32_e32 v52, 0x623fde64
	v_mov_b32_e32 v53, 0x3ec71dee
	v_fmac_f64_e32 v[52:53], v[48:49], v[50:51]
	v_mov_b32_e32 v50, 0x7c89e6b0
	v_mov_b32_e32 v51, 0x3efa0199
	;; [unrolled: 3-line block ×8, first 2 shown]
	s_mov_b32 s4, 0
	v_fmac_f64_e32 v[50:51], v[48:49], v[52:53]
	s_mov_b32 s5, 0x40900000
	v_fma_f64 v[50:51], v[48:49], v[50:51], 1.0
	v_cmp_nlt_f64_e32 vcc, s[4:5], v[36:37]
	s_mov_b32 s4, 0
	v_fma_f64 v[48:49], v[48:49], v[50:51], 1.0
	v_cvt_i32_f64_e32 v40, v[40:41]
	s_mov_b32 s5, 0xc090cc00
	v_ldexp_f64 v[40:41], v[48:49], v40
	v_mov_b32_e32 v48, 0x7ff00000
	v_cmp_ngt_f64_e64 s[4:5], s[4:5], v[36:37]
	v_cndmask_b32_e32 v41, v48, v41, vcc
	s_and_b64 vcc, s[4:5], vcc
	v_cndmask_b32_e64 v37, 0, v41, s[4:5]
	v_cndmask_b32_e32 v36, 0, v40, vcc
	v_add_f64 v[40:41], v[36:37], 1.0
	v_add_f64 v[48:49], v[40:41], -1.0
	v_add_f64 v[50:51], v[48:49], -v[40:41]
	v_add_f64 v[50:51], v[50:51], 1.0
	v_add_f64 v[48:49], v[36:37], -v[48:49]
	s_mov_b32 s4, 0x55555555
	v_add_f64 v[48:49], v[48:49], v[50:51]
	v_frexp_mant_f64_e32 v[50:51], v[40:41]
	s_mov_b32 s5, 0x3fe55555
	v_frexp_exp_i32_f64_e32 v52, v[40:41]
	v_cmp_gt_f64_e32 vcc, s[4:5], v[50:51]
	v_subbrev_co_u32_e32 v66, vcc, 0, v52, vcc
	v_sub_u32_e32 v50, 0, v66
	v_ldexp_f64 v[40:41], v[40:41], v50
	v_ldexp_f64 v[48:49], v[48:49], v50
	v_add_f64 v[50:51], v[40:41], -1.0
	v_add_f64 v[56:57], v[40:41], 1.0
	v_add_f64 v[52:53], v[50:51], 1.0
	v_add_f64 v[58:59], v[56:57], -1.0
	v_add_f64 v[52:53], v[40:41], -v[52:53]
	v_add_f64 v[40:41], v[40:41], -v[58:59]
	v_add_f64 v[40:41], v[48:49], v[40:41]
	v_add_f64 v[52:53], v[48:49], v[52:53]
	v_add_f64 v[48:49], v[56:57], v[40:41]
	v_rcp_f64_e32 v[58:59], v[48:49]
	v_add_f64 v[54:55], v[50:51], v[52:53]
	v_add_f64 v[50:51], v[54:55], -v[50:51]
	v_add_f64 v[50:51], v[52:53], -v[50:51]
	v_add_f64 v[52:53], v[48:49], -v[56:57]
	v_add_f64 v[40:41], v[40:41], -v[52:53]
	v_fma_f64 v[52:53], -v[48:49], v[58:59], 1.0
	v_fmac_f64_e32 v[58:59], v[52:53], v[58:59]
	v_fma_f64 v[52:53], -v[48:49], v[58:59], 1.0
	v_fmac_f64_e32 v[58:59], v[52:53], v[58:59]
	v_mul_f64 v[52:53], v[54:55], v[58:59]
	v_mul_f64 v[56:57], v[48:49], v[52:53]
	v_fma_f64 v[60:61], v[52:53], v[48:49], -v[56:57]
	v_fmac_f64_e32 v[60:61], v[52:53], v[40:41]
	v_add_f64 v[62:63], v[56:57], v[60:61]
	v_add_f64 v[64:65], v[54:55], -v[62:63]
	v_add_f64 v[54:55], v[54:55], -v[64:65]
	;; [unrolled: 1-line block ×4, first 2 shown]
	v_add_f64 v[50:51], v[50:51], v[54:55]
	v_add_f64 v[54:55], v[56:57], -v[60:61]
	v_add_f64 v[50:51], v[54:55], v[50:51]
	v_add_f64 v[54:55], v[64:65], v[50:51]
	v_add_f64 v[56:57], v[64:65], -v[54:55]
	v_add_f64 v[50:51], v[50:51], v[56:57]
	v_mul_f64 v[56:57], v[58:59], v[54:55]
	v_mul_f64 v[60:61], v[48:49], v[56:57]
	v_fma_f64 v[48:49], v[56:57], v[48:49], -v[60:61]
	v_fmac_f64_e32 v[48:49], v[56:57], v[40:41]
	v_add_f64 v[40:41], v[60:61], v[48:49]
	v_add_f64 v[62:63], v[54:55], -v[40:41]
	v_add_f64 v[54:55], v[54:55], -v[62:63]
	;; [unrolled: 1-line block ×4, first 2 shown]
	v_add_f64 v[40:41], v[50:51], v[40:41]
	v_add_f64 v[48:49], v[60:61], -v[48:49]
	v_add_f64 v[40:41], v[48:49], v[40:41]
	v_add_f64 v[48:49], v[52:53], v[56:57]
	;; [unrolled: 1-line block ×3, first 2 shown]
	v_add_f64 v[50:51], v[48:49], -v[52:53]
	v_mul_f64 v[40:41], v[58:59], v[40:41]
	v_add_f64 v[50:51], v[56:57], -v[50:51]
	v_add_f64 v[40:41], v[50:51], v[40:41]
	v_add_f64 v[50:51], v[48:49], v[40:41]
	v_add_f64 v[48:49], v[50:51], -v[48:49]
	s_mov_b32 s4, 0xbf559e2b
	v_add_f64 v[40:41], v[40:41], -v[48:49]
	v_mul_f64 v[48:49], v[50:51], v[50:51]
	v_mov_b32_e32 v52, 0x6b47b09a
	v_mov_b32_e32 v53, 0x3fc38538
	s_mov_b32 s5, 0x3fc3ab76
	v_fmac_f64_e32 v[52:53], s[4:5], v[48:49]
	v_mov_b32_e32 v54, 0xd7f4df2e
	v_mov_b32_e32 v55, 0x3fc7474d
	v_fmac_f64_e32 v[54:55], v[48:49], v[52:53]
	v_mov_b32_e32 v52, 0x16291751
	v_mov_b32_e32 v53, 0x3fcc71c0
	;; [unrolled: 3-line block ×5, first 2 shown]
	v_fmac_f64_e32 v[54:55], v[48:49], v[52:53]
	v_cvt_f64_i32_e32 v[52:53], v66
	s_mov_b32 s9, 0x3fe62e42
	v_mul_f64 v[56:57], v[52:53], s[8:9]
	v_fma_f64 v[58:59], v[52:53], s[8:9], -v[56:57]
	s_mov_b32 s11, 0x3c7abc9e
	v_fmac_f64_e32 v[58:59], s[10:11], v[52:53]
	v_add_f64 v[52:53], v[56:57], v[58:59]
	v_add_f64 v[56:57], v[52:53], -v[56:57]
	v_mul_f64 v[48:49], v[50:51], v[48:49]
	v_add_f64 v[56:57], v[58:59], -v[56:57]
	v_ldexp_f64 v[58:59], v[50:51], 1
	v_mul_f64 v[48:49], v[48:49], v[54:55]
	v_add_f64 v[50:51], v[58:59], v[48:49]
	v_add_f64 v[54:55], v[50:51], -v[58:59]
	v_ldexp_f64 v[40:41], v[40:41], 1
	v_add_f64 v[48:49], v[48:49], -v[54:55]
	v_add_f64 v[40:41], v[40:41], v[48:49]
	v_add_f64 v[48:49], v[50:51], v[40:41]
	v_add_f64 v[50:51], v[48:49], -v[50:51]
	v_add_f64 v[40:41], v[40:41], -v[50:51]
	v_add_f64 v[50:51], v[52:53], v[48:49]
	v_add_f64 v[54:55], v[50:51], -v[52:53]
	v_add_f64 v[58:59], v[50:51], -v[54:55]
	;; [unrolled: 1-line block ×4, first 2 shown]
	v_add_f64 v[48:49], v[48:49], v[52:53]
	v_add_f64 v[52:53], v[56:57], v[40:41]
	v_add_f64 v[54:55], v[52:53], -v[56:57]
	v_add_f64 v[48:49], v[52:53], v[48:49]
	v_add_f64 v[58:59], v[52:53], -v[54:55]
	;; [unrolled: 2-line block ×3, first 2 shown]
	v_add_f64 v[40:41], v[40:41], -v[54:55]
	v_add_f64 v[50:51], v[52:53], -v[50:51]
	v_add_f64 v[40:41], v[40:41], v[56:57]
	v_add_f64 v[48:49], v[48:49], -v[50:51]
	s_mov_b32 s4, 0
	v_add_f64 v[40:41], v[40:41], v[48:49]
	s_mov_b32 s5, 0x7ff00000
	v_add_f64 v[40:41], v[52:53], v[40:41]
	v_cmp_eq_f64_e32 vcc, s[4:5], v[36:37]
	v_cndmask_b32_e32 v40, v40, v36, vcc
	v_cndmask_b32_e32 v41, v41, v37, vcc
	v_mov_b32_e32 v48, 0x7ff80000
	v_cmp_ngt_f64_e32 vcc, -1.0, v[36:37]
	v_cndmask_b32_e32 v41, v48, v41, vcc
	v_cmp_nge_f64_e32 vcc, -1.0, v[36:37]
	v_cndmask_b32_e32 v40, 0, v40, vcc
	v_mov_b32_e32 v48, 0xfff00000
	v_cmp_neq_f64_e32 vcc, -1.0, v[36:37]
	v_cndmask_b32_e32 v41, v48, v41, vcc
	v_add_f64 v[36:37], v[38:39], v[40:41]
.LBB68_174:
	s_or_b64 exec, exec, s[6:7]
	v_max_f64 v[38:39], v[36:37], v[36:37]
	v_min_f64 v[40:41], v[38:39], v[44:45]
	v_cmp_u_f64_e32 vcc, v[36:37], v[36:37]
	v_max_f64 v[38:39], v[38:39], v[44:45]
	v_cndmask_b32_e32 v40, v40, v36, vcc
	v_cndmask_b32_e32 v41, v41, v37, vcc
	;; [unrolled: 1-line block ×4, first 2 shown]
	v_cndmask_b32_e64 v49, v41, v7, s[18:19]
	v_cndmask_b32_e64 v48, v40, v6, s[18:19]
	v_cndmask_b32_e64 v41, v39, v7, s[18:19]
	v_cndmask_b32_e64 v40, v38, v6, s[18:19]
	v_cmp_neq_f64_e32 vcc, v[48:49], v[40:41]
	v_cmp_class_f64_e64 s[4:5], v[48:49], s12
	s_or_b64 s[4:5], vcc, s[4:5]
	v_pk_mov_b32 v[38:39], v[36:37], v[36:37] op_sel:[0,1]
	s_and_saveexec_b64 s[6:7], s[4:5]
	s_cbranch_execz .LBB68_176
; %bb.175:
	s_mov_b32 s4, 0x652b82fe
	v_add_f64 v[38:39], v[48:49], -v[40:41]
	s_mov_b32 s5, 0x3ff71547
	v_mul_f64 v[44:45], v[38:39], s[4:5]
	v_rndne_f64_e32 v[44:45], v[44:45]
	s_mov_b32 s9, 0xbfe62e42
	s_mov_b32 s8, 0xfefa39ef
	v_fma_f64 v[48:49], s[8:9], v[44:45], v[38:39]
	s_mov_b32 s11, 0xbc7abc9e
	s_mov_b32 s10, 0x3b39803f
	;; [unrolled: 1-line block ×3, first 2 shown]
	v_fmac_f64_e32 v[48:49], s[10:11], v[44:45]
	v_mov_b32_e32 v50, 0xfca7ab0c
	v_mov_b32_e32 v51, 0x3e928af3
	s_mov_b32 s5, 0x3e5ade15
	v_fmac_f64_e32 v[50:51], s[4:5], v[48:49]
	v_mov_b32_e32 v52, 0x623fde64
	v_mov_b32_e32 v53, 0x3ec71dee
	v_fmac_f64_e32 v[52:53], v[48:49], v[50:51]
	v_mov_b32_e32 v50, 0x7c89e6b0
	v_mov_b32_e32 v51, 0x3efa0199
	;; [unrolled: 3-line block ×8, first 2 shown]
	s_mov_b32 s4, 0
	v_fmac_f64_e32 v[50:51], v[48:49], v[52:53]
	s_mov_b32 s5, 0x40900000
	v_fma_f64 v[50:51], v[48:49], v[50:51], 1.0
	v_cmp_nlt_f64_e32 vcc, s[4:5], v[38:39]
	s_mov_b32 s4, 0
	v_fma_f64 v[48:49], v[48:49], v[50:51], 1.0
	v_cvt_i32_f64_e32 v44, v[44:45]
	s_mov_b32 s5, 0xc090cc00
	v_ldexp_f64 v[44:45], v[48:49], v44
	v_mov_b32_e32 v48, 0x7ff00000
	v_cmp_ngt_f64_e64 s[4:5], s[4:5], v[38:39]
	v_cndmask_b32_e32 v45, v48, v45, vcc
	s_and_b64 vcc, s[4:5], vcc
	v_cndmask_b32_e64 v39, 0, v45, s[4:5]
	v_cndmask_b32_e32 v38, 0, v44, vcc
	v_add_f64 v[44:45], v[38:39], 1.0
	v_add_f64 v[48:49], v[44:45], -1.0
	v_add_f64 v[50:51], v[48:49], -v[44:45]
	v_add_f64 v[50:51], v[50:51], 1.0
	v_add_f64 v[48:49], v[38:39], -v[48:49]
	s_mov_b32 s4, 0x55555555
	v_add_f64 v[48:49], v[48:49], v[50:51]
	v_frexp_mant_f64_e32 v[50:51], v[44:45]
	s_mov_b32 s5, 0x3fe55555
	v_frexp_exp_i32_f64_e32 v52, v[44:45]
	v_cmp_gt_f64_e32 vcc, s[4:5], v[50:51]
	v_subbrev_co_u32_e32 v66, vcc, 0, v52, vcc
	v_sub_u32_e32 v50, 0, v66
	v_ldexp_f64 v[44:45], v[44:45], v50
	v_ldexp_f64 v[48:49], v[48:49], v50
	v_add_f64 v[50:51], v[44:45], -1.0
	v_add_f64 v[56:57], v[44:45], 1.0
	v_add_f64 v[52:53], v[50:51], 1.0
	v_add_f64 v[58:59], v[56:57], -1.0
	v_add_f64 v[52:53], v[44:45], -v[52:53]
	v_add_f64 v[44:45], v[44:45], -v[58:59]
	v_add_f64 v[44:45], v[48:49], v[44:45]
	v_add_f64 v[52:53], v[48:49], v[52:53]
	;; [unrolled: 1-line block ×3, first 2 shown]
	v_rcp_f64_e32 v[58:59], v[48:49]
	v_add_f64 v[54:55], v[50:51], v[52:53]
	v_add_f64 v[50:51], v[54:55], -v[50:51]
	v_add_f64 v[50:51], v[52:53], -v[50:51]
	;; [unrolled: 1-line block ×4, first 2 shown]
	v_fma_f64 v[52:53], -v[48:49], v[58:59], 1.0
	v_fmac_f64_e32 v[58:59], v[52:53], v[58:59]
	v_fma_f64 v[52:53], -v[48:49], v[58:59], 1.0
	v_fmac_f64_e32 v[58:59], v[52:53], v[58:59]
	v_mul_f64 v[52:53], v[54:55], v[58:59]
	v_mul_f64 v[56:57], v[48:49], v[52:53]
	v_fma_f64 v[60:61], v[52:53], v[48:49], -v[56:57]
	v_fmac_f64_e32 v[60:61], v[52:53], v[44:45]
	v_add_f64 v[62:63], v[56:57], v[60:61]
	v_add_f64 v[64:65], v[54:55], -v[62:63]
	v_add_f64 v[54:55], v[54:55], -v[64:65]
	;; [unrolled: 1-line block ×4, first 2 shown]
	v_add_f64 v[50:51], v[50:51], v[54:55]
	v_add_f64 v[54:55], v[56:57], -v[60:61]
	v_add_f64 v[50:51], v[54:55], v[50:51]
	v_add_f64 v[54:55], v[64:65], v[50:51]
	v_add_f64 v[56:57], v[64:65], -v[54:55]
	v_add_f64 v[50:51], v[50:51], v[56:57]
	v_mul_f64 v[56:57], v[58:59], v[54:55]
	v_mul_f64 v[60:61], v[48:49], v[56:57]
	v_fma_f64 v[48:49], v[56:57], v[48:49], -v[60:61]
	v_fmac_f64_e32 v[48:49], v[56:57], v[44:45]
	v_add_f64 v[44:45], v[60:61], v[48:49]
	v_add_f64 v[62:63], v[54:55], -v[44:45]
	v_add_f64 v[54:55], v[54:55], -v[62:63]
	;; [unrolled: 1-line block ×4, first 2 shown]
	v_add_f64 v[44:45], v[50:51], v[44:45]
	v_add_f64 v[48:49], v[60:61], -v[48:49]
	v_add_f64 v[44:45], v[48:49], v[44:45]
	v_add_f64 v[48:49], v[52:53], v[56:57]
	;; [unrolled: 1-line block ×3, first 2 shown]
	v_add_f64 v[50:51], v[48:49], -v[52:53]
	v_mul_f64 v[44:45], v[58:59], v[44:45]
	v_add_f64 v[50:51], v[56:57], -v[50:51]
	v_add_f64 v[44:45], v[50:51], v[44:45]
	v_add_f64 v[50:51], v[48:49], v[44:45]
	v_add_f64 v[48:49], v[50:51], -v[48:49]
	s_mov_b32 s4, 0xbf559e2b
	v_add_f64 v[44:45], v[44:45], -v[48:49]
	v_mul_f64 v[48:49], v[50:51], v[50:51]
	v_mov_b32_e32 v52, 0x6b47b09a
	v_mov_b32_e32 v53, 0x3fc38538
	s_mov_b32 s5, 0x3fc3ab76
	v_fmac_f64_e32 v[52:53], s[4:5], v[48:49]
	v_mov_b32_e32 v54, 0xd7f4df2e
	v_mov_b32_e32 v55, 0x3fc7474d
	v_fmac_f64_e32 v[54:55], v[48:49], v[52:53]
	v_mov_b32_e32 v52, 0x16291751
	v_mov_b32_e32 v53, 0x3fcc71c0
	;; [unrolled: 3-line block ×5, first 2 shown]
	v_fmac_f64_e32 v[54:55], v[48:49], v[52:53]
	v_cvt_f64_i32_e32 v[52:53], v66
	s_mov_b32 s9, 0x3fe62e42
	v_mul_f64 v[56:57], v[52:53], s[8:9]
	v_fma_f64 v[58:59], v[52:53], s[8:9], -v[56:57]
	s_mov_b32 s11, 0x3c7abc9e
	v_fmac_f64_e32 v[58:59], s[10:11], v[52:53]
	v_add_f64 v[52:53], v[56:57], v[58:59]
	v_add_f64 v[56:57], v[52:53], -v[56:57]
	v_mul_f64 v[48:49], v[50:51], v[48:49]
	v_add_f64 v[56:57], v[58:59], -v[56:57]
	v_ldexp_f64 v[58:59], v[50:51], 1
	v_mul_f64 v[48:49], v[48:49], v[54:55]
	v_add_f64 v[50:51], v[58:59], v[48:49]
	v_add_f64 v[54:55], v[50:51], -v[58:59]
	v_ldexp_f64 v[44:45], v[44:45], 1
	v_add_f64 v[48:49], v[48:49], -v[54:55]
	v_add_f64 v[44:45], v[44:45], v[48:49]
	v_add_f64 v[48:49], v[50:51], v[44:45]
	v_add_f64 v[50:51], v[48:49], -v[50:51]
	v_add_f64 v[44:45], v[44:45], -v[50:51]
	v_add_f64 v[50:51], v[52:53], v[48:49]
	v_add_f64 v[54:55], v[50:51], -v[52:53]
	v_add_f64 v[58:59], v[50:51], -v[54:55]
	;; [unrolled: 1-line block ×4, first 2 shown]
	v_add_f64 v[48:49], v[48:49], v[52:53]
	v_add_f64 v[52:53], v[56:57], v[44:45]
	v_add_f64 v[54:55], v[52:53], -v[56:57]
	v_add_f64 v[48:49], v[52:53], v[48:49]
	v_add_f64 v[58:59], v[52:53], -v[54:55]
	;; [unrolled: 2-line block ×3, first 2 shown]
	v_add_f64 v[44:45], v[44:45], -v[54:55]
	v_add_f64 v[50:51], v[52:53], -v[50:51]
	v_add_f64 v[44:45], v[44:45], v[56:57]
	v_add_f64 v[48:49], v[48:49], -v[50:51]
	s_mov_b32 s4, 0
	v_add_f64 v[44:45], v[44:45], v[48:49]
	s_mov_b32 s5, 0x7ff00000
	v_add_f64 v[44:45], v[52:53], v[44:45]
	v_cmp_eq_f64_e32 vcc, s[4:5], v[38:39]
	v_cndmask_b32_e32 v44, v44, v38, vcc
	v_cndmask_b32_e32 v45, v45, v39, vcc
	v_mov_b32_e32 v48, 0x7ff80000
	v_cmp_ngt_f64_e32 vcc, -1.0, v[38:39]
	v_cndmask_b32_e32 v45, v48, v45, vcc
	v_cmp_nge_f64_e32 vcc, -1.0, v[38:39]
	v_cndmask_b32_e32 v44, 0, v44, vcc
	v_mov_b32_e32 v48, 0xfff00000
	v_cmp_neq_f64_e32 vcc, -1.0, v[38:39]
	v_cndmask_b32_e32 v45, v48, v45, vcc
	v_add_f64 v[38:39], v[40:41], v[44:45]
.LBB68_176:
	s_or_b64 exec, exec, s[6:7]
	v_max_f64 v[40:41], v[38:39], v[38:39]
	v_min_f64 v[44:45], v[40:41], v[46:47]
	v_cmp_u_f64_e32 vcc, v[38:39], v[38:39]
	v_max_f64 v[40:41], v[40:41], v[46:47]
	v_cndmask_b32_e32 v44, v44, v38, vcc
	v_cndmask_b32_e32 v45, v45, v39, vcc
	;; [unrolled: 1-line block ×4, first 2 shown]
	v_cndmask_b32_e64 v49, v45, v9, s[20:21]
	v_cndmask_b32_e64 v48, v44, v8, s[20:21]
	v_cndmask_b32_e64 v45, v41, v9, s[20:21]
	v_cndmask_b32_e64 v44, v40, v8, s[20:21]
	v_cmp_neq_f64_e32 vcc, v[48:49], v[44:45]
	v_cmp_class_f64_e64 s[4:5], v[48:49], s12
	s_or_b64 s[4:5], vcc, s[4:5]
	v_pk_mov_b32 v[40:41], v[38:39], v[38:39] op_sel:[0,1]
	s_and_saveexec_b64 s[6:7], s[4:5]
	s_cbranch_execz .LBB68_178
; %bb.177:
	s_mov_b32 s4, 0x652b82fe
	v_add_f64 v[40:41], v[48:49], -v[44:45]
	s_mov_b32 s5, 0x3ff71547
	v_mul_f64 v[46:47], v[40:41], s[4:5]
	v_rndne_f64_e32 v[46:47], v[46:47]
	s_mov_b32 s9, 0xbfe62e42
	s_mov_b32 s8, 0xfefa39ef
	v_fma_f64 v[48:49], s[8:9], v[46:47], v[40:41]
	s_mov_b32 s11, 0xbc7abc9e
	s_mov_b32 s10, 0x3b39803f
	;; [unrolled: 1-line block ×3, first 2 shown]
	v_fmac_f64_e32 v[48:49], s[10:11], v[46:47]
	v_mov_b32_e32 v50, 0xfca7ab0c
	v_mov_b32_e32 v51, 0x3e928af3
	s_mov_b32 s5, 0x3e5ade15
	v_fmac_f64_e32 v[50:51], s[4:5], v[48:49]
	v_mov_b32_e32 v52, 0x623fde64
	v_mov_b32_e32 v53, 0x3ec71dee
	v_fmac_f64_e32 v[52:53], v[48:49], v[50:51]
	v_mov_b32_e32 v50, 0x7c89e6b0
	v_mov_b32_e32 v51, 0x3efa0199
	;; [unrolled: 3-line block ×8, first 2 shown]
	s_mov_b32 s4, 0
	v_fmac_f64_e32 v[50:51], v[48:49], v[52:53]
	s_mov_b32 s5, 0x40900000
	v_fma_f64 v[50:51], v[48:49], v[50:51], 1.0
	v_cmp_nlt_f64_e32 vcc, s[4:5], v[40:41]
	s_mov_b32 s4, 0
	v_fma_f64 v[48:49], v[48:49], v[50:51], 1.0
	v_cvt_i32_f64_e32 v46, v[46:47]
	s_mov_b32 s5, 0xc090cc00
	v_ldexp_f64 v[46:47], v[48:49], v46
	v_mov_b32_e32 v48, 0x7ff00000
	v_cmp_ngt_f64_e64 s[4:5], s[4:5], v[40:41]
	v_cndmask_b32_e32 v47, v48, v47, vcc
	s_and_b64 vcc, s[4:5], vcc
	v_cndmask_b32_e64 v41, 0, v47, s[4:5]
	v_cndmask_b32_e32 v40, 0, v46, vcc
	v_add_f64 v[46:47], v[40:41], 1.0
	v_add_f64 v[48:49], v[46:47], -1.0
	v_add_f64 v[50:51], v[48:49], -v[46:47]
	v_add_f64 v[50:51], v[50:51], 1.0
	v_add_f64 v[48:49], v[40:41], -v[48:49]
	s_mov_b32 s4, 0x55555555
	v_add_f64 v[48:49], v[48:49], v[50:51]
	v_frexp_mant_f64_e32 v[50:51], v[46:47]
	s_mov_b32 s5, 0x3fe55555
	v_frexp_exp_i32_f64_e32 v52, v[46:47]
	v_cmp_gt_f64_e32 vcc, s[4:5], v[50:51]
	v_subbrev_co_u32_e32 v66, vcc, 0, v52, vcc
	v_sub_u32_e32 v50, 0, v66
	v_ldexp_f64 v[46:47], v[46:47], v50
	v_ldexp_f64 v[48:49], v[48:49], v50
	v_add_f64 v[50:51], v[46:47], -1.0
	v_add_f64 v[56:57], v[46:47], 1.0
	v_add_f64 v[52:53], v[50:51], 1.0
	v_add_f64 v[58:59], v[56:57], -1.0
	v_add_f64 v[52:53], v[46:47], -v[52:53]
	v_add_f64 v[46:47], v[46:47], -v[58:59]
	v_add_f64 v[46:47], v[48:49], v[46:47]
	v_add_f64 v[52:53], v[48:49], v[52:53]
	;; [unrolled: 1-line block ×3, first 2 shown]
	v_rcp_f64_e32 v[58:59], v[48:49]
	v_add_f64 v[54:55], v[50:51], v[52:53]
	v_add_f64 v[50:51], v[54:55], -v[50:51]
	v_add_f64 v[50:51], v[52:53], -v[50:51]
	;; [unrolled: 1-line block ×4, first 2 shown]
	v_fma_f64 v[52:53], -v[48:49], v[58:59], 1.0
	v_fmac_f64_e32 v[58:59], v[52:53], v[58:59]
	v_fma_f64 v[52:53], -v[48:49], v[58:59], 1.0
	v_fmac_f64_e32 v[58:59], v[52:53], v[58:59]
	v_mul_f64 v[52:53], v[54:55], v[58:59]
	v_mul_f64 v[56:57], v[48:49], v[52:53]
	v_fma_f64 v[60:61], v[52:53], v[48:49], -v[56:57]
	v_fmac_f64_e32 v[60:61], v[52:53], v[46:47]
	v_add_f64 v[62:63], v[56:57], v[60:61]
	v_add_f64 v[64:65], v[54:55], -v[62:63]
	v_add_f64 v[54:55], v[54:55], -v[64:65]
	;; [unrolled: 1-line block ×4, first 2 shown]
	v_add_f64 v[50:51], v[50:51], v[54:55]
	v_add_f64 v[54:55], v[56:57], -v[60:61]
	v_add_f64 v[50:51], v[54:55], v[50:51]
	v_add_f64 v[54:55], v[64:65], v[50:51]
	v_add_f64 v[56:57], v[64:65], -v[54:55]
	v_add_f64 v[50:51], v[50:51], v[56:57]
	v_mul_f64 v[56:57], v[58:59], v[54:55]
	v_mul_f64 v[60:61], v[48:49], v[56:57]
	v_fma_f64 v[48:49], v[56:57], v[48:49], -v[60:61]
	v_fmac_f64_e32 v[48:49], v[56:57], v[46:47]
	v_add_f64 v[46:47], v[60:61], v[48:49]
	v_add_f64 v[62:63], v[54:55], -v[46:47]
	v_add_f64 v[54:55], v[54:55], -v[62:63]
	;; [unrolled: 1-line block ×4, first 2 shown]
	v_add_f64 v[46:47], v[50:51], v[46:47]
	v_add_f64 v[48:49], v[60:61], -v[48:49]
	v_add_f64 v[46:47], v[48:49], v[46:47]
	v_add_f64 v[48:49], v[52:53], v[56:57]
	;; [unrolled: 1-line block ×3, first 2 shown]
	v_add_f64 v[50:51], v[48:49], -v[52:53]
	v_mul_f64 v[46:47], v[58:59], v[46:47]
	v_add_f64 v[50:51], v[56:57], -v[50:51]
	v_add_f64 v[46:47], v[50:51], v[46:47]
	v_add_f64 v[50:51], v[48:49], v[46:47]
	v_add_f64 v[48:49], v[50:51], -v[48:49]
	s_mov_b32 s4, 0xbf559e2b
	v_add_f64 v[46:47], v[46:47], -v[48:49]
	v_mul_f64 v[48:49], v[50:51], v[50:51]
	v_mov_b32_e32 v52, 0x6b47b09a
	v_mov_b32_e32 v53, 0x3fc38538
	s_mov_b32 s5, 0x3fc3ab76
	v_fmac_f64_e32 v[52:53], s[4:5], v[48:49]
	v_mov_b32_e32 v54, 0xd7f4df2e
	v_mov_b32_e32 v55, 0x3fc7474d
	v_fmac_f64_e32 v[54:55], v[48:49], v[52:53]
	v_mov_b32_e32 v52, 0x16291751
	v_mov_b32_e32 v53, 0x3fcc71c0
	v_fmac_f64_e32 v[52:53], v[48:49], v[54:55]
	v_mov_b32_e32 v54, 0x9b27acf1
	v_mov_b32_e32 v55, 0x3fd24924
	v_fmac_f64_e32 v[54:55], v[48:49], v[52:53]
	v_mov_b32_e32 v52, 0x998ef7b6
	v_mov_b32_e32 v53, 0x3fd99999
	v_fmac_f64_e32 v[52:53], v[48:49], v[54:55]
	v_mov_b32_e32 v54, 0x55555780
	v_mov_b32_e32 v55, 0x3fe55555
	v_fmac_f64_e32 v[54:55], v[48:49], v[52:53]
	v_cvt_f64_i32_e32 v[52:53], v66
	s_mov_b32 s9, 0x3fe62e42
	v_mul_f64 v[56:57], v[52:53], s[8:9]
	v_fma_f64 v[58:59], v[52:53], s[8:9], -v[56:57]
	s_mov_b32 s11, 0x3c7abc9e
	v_fmac_f64_e32 v[58:59], s[10:11], v[52:53]
	v_add_f64 v[52:53], v[56:57], v[58:59]
	v_add_f64 v[56:57], v[52:53], -v[56:57]
	v_mul_f64 v[48:49], v[50:51], v[48:49]
	v_add_f64 v[56:57], v[58:59], -v[56:57]
	v_ldexp_f64 v[58:59], v[50:51], 1
	v_mul_f64 v[48:49], v[48:49], v[54:55]
	v_add_f64 v[50:51], v[58:59], v[48:49]
	v_add_f64 v[54:55], v[50:51], -v[58:59]
	v_ldexp_f64 v[46:47], v[46:47], 1
	v_add_f64 v[48:49], v[48:49], -v[54:55]
	v_add_f64 v[46:47], v[46:47], v[48:49]
	v_add_f64 v[48:49], v[50:51], v[46:47]
	v_add_f64 v[50:51], v[48:49], -v[50:51]
	v_add_f64 v[46:47], v[46:47], -v[50:51]
	v_add_f64 v[50:51], v[52:53], v[48:49]
	v_add_f64 v[54:55], v[50:51], -v[52:53]
	v_add_f64 v[58:59], v[50:51], -v[54:55]
	;; [unrolled: 1-line block ×4, first 2 shown]
	v_add_f64 v[48:49], v[48:49], v[52:53]
	v_add_f64 v[52:53], v[56:57], v[46:47]
	v_add_f64 v[54:55], v[52:53], -v[56:57]
	v_add_f64 v[48:49], v[52:53], v[48:49]
	v_add_f64 v[58:59], v[52:53], -v[54:55]
	;; [unrolled: 2-line block ×3, first 2 shown]
	v_add_f64 v[46:47], v[46:47], -v[54:55]
	v_add_f64 v[50:51], v[52:53], -v[50:51]
	v_add_f64 v[46:47], v[46:47], v[56:57]
	v_add_f64 v[48:49], v[48:49], -v[50:51]
	s_mov_b32 s4, 0
	v_add_f64 v[46:47], v[46:47], v[48:49]
	s_mov_b32 s5, 0x7ff00000
	v_add_f64 v[46:47], v[52:53], v[46:47]
	v_cmp_eq_f64_e32 vcc, s[4:5], v[40:41]
	v_cndmask_b32_e32 v46, v46, v40, vcc
	v_cndmask_b32_e32 v47, v47, v41, vcc
	v_mov_b32_e32 v48, 0x7ff80000
	v_cmp_ngt_f64_e32 vcc, -1.0, v[40:41]
	v_cndmask_b32_e32 v47, v48, v47, vcc
	v_cmp_nge_f64_e32 vcc, -1.0, v[40:41]
	v_cndmask_b32_e32 v46, 0, v46, vcc
	v_mov_b32_e32 v48, 0xfff00000
	v_cmp_neq_f64_e32 vcc, -1.0, v[40:41]
	v_cndmask_b32_e32 v47, v48, v47, vcc
	v_add_f64 v[40:41], v[44:45], v[46:47]
.LBB68_178:
	s_or_b64 exec, exec, s[6:7]
	s_branch .LBB68_263
.LBB68_179:
                                        ; implicit-def: $vgpr40_vgpr41
                                        ; implicit-def: $vgpr36_vgpr37
                                        ; implicit-def: $vgpr32_vgpr33
                                        ; implicit-def: $vgpr28_vgpr29
                                        ; implicit-def: $vgpr24_vgpr25
	s_cbranch_execz .LBB68_263
; %bb.180:
	s_cmp_lg_u64 s[40:41], 0
	s_cselect_b64 s[4:5], -1, 0
	s_and_b64 s[2:3], s[2:3], s[4:5]
	s_and_saveexec_b64 s[4:5], s[2:3]
	s_cbranch_execz .LBB68_184
; %bb.181:
	v_mov_b32_e32 v22, 0
	global_load_dwordx2 v[22:23], v22, s[36:37]
	v_max_f64 v[24:25], v[2:3], v[2:3]
	s_movk_i32 s2, 0x1f8
	s_waitcnt vmcnt(0)
	v_max_f64 v[26:27], v[22:23], v[22:23]
	v_min_f64 v[28:29], v[26:27], v[24:25]
	v_max_f64 v[24:25], v[26:27], v[24:25]
	v_cmp_u_f64_e32 vcc, v[22:23], v[22:23]
	v_cndmask_b32_e32 v26, v28, v22, vcc
	v_cndmask_b32_e32 v27, v29, v23, vcc
	;; [unrolled: 1-line block ×4, first 2 shown]
	v_cmp_u_f64_e32 vcc, v[2:3], v[2:3]
	v_cndmask_b32_e32 v25, v27, v3, vcc
	v_cndmask_b32_e32 v24, v26, v2, vcc
	;; [unrolled: 1-line block ×4, first 2 shown]
	v_cmp_neq_f64_e32 vcc, v[24:25], v[2:3]
	v_cmp_class_f64_e64 s[2:3], v[24:25], s2
	s_or_b64 s[2:3], vcc, s[2:3]
	s_and_saveexec_b64 s[6:7], s[2:3]
	s_cbranch_execz .LBB68_183
; %bb.182:
	s_mov_b32 s2, 0x652b82fe
	v_add_f64 v[22:23], v[24:25], -v[2:3]
	s_mov_b32 s3, 0x3ff71547
	v_mul_f64 v[24:25], v[22:23], s[2:3]
	v_rndne_f64_e32 v[24:25], v[24:25]
	s_mov_b32 s9, 0xbfe62e42
	s_mov_b32 s8, 0xfefa39ef
	v_fma_f64 v[26:27], s[8:9], v[24:25], v[22:23]
	s_mov_b32 s11, 0xbc7abc9e
	s_mov_b32 s10, 0x3b39803f
	;; [unrolled: 1-line block ×3, first 2 shown]
	v_fmac_f64_e32 v[26:27], s[10:11], v[24:25]
	v_mov_b32_e32 v28, 0xfca7ab0c
	v_mov_b32_e32 v29, 0x3e928af3
	s_mov_b32 s3, 0x3e5ade15
	v_fmac_f64_e32 v[28:29], s[2:3], v[26:27]
	v_mov_b32_e32 v30, 0x623fde64
	v_mov_b32_e32 v31, 0x3ec71dee
	v_fmac_f64_e32 v[30:31], v[26:27], v[28:29]
	v_mov_b32_e32 v28, 0x7c89e6b0
	v_mov_b32_e32 v29, 0x3efa0199
	;; [unrolled: 3-line block ×8, first 2 shown]
	s_mov_b32 s2, 0
	v_fmac_f64_e32 v[28:29], v[26:27], v[30:31]
	s_mov_b32 s3, 0x40900000
	v_fma_f64 v[28:29], v[26:27], v[28:29], 1.0
	v_cmp_nlt_f64_e32 vcc, s[2:3], v[22:23]
	s_mov_b32 s2, 0
	v_fma_f64 v[26:27], v[26:27], v[28:29], 1.0
	v_cvt_i32_f64_e32 v24, v[24:25]
	s_mov_b32 s3, 0xc090cc00
	v_ldexp_f64 v[24:25], v[26:27], v24
	v_mov_b32_e32 v26, 0x7ff00000
	v_cmp_ngt_f64_e64 s[2:3], s[2:3], v[22:23]
	v_cndmask_b32_e32 v25, v26, v25, vcc
	s_and_b64 vcc, s[2:3], vcc
	v_cndmask_b32_e64 v23, 0, v25, s[2:3]
	v_cndmask_b32_e32 v22, 0, v24, vcc
	v_add_f64 v[24:25], v[22:23], 1.0
	v_add_f64 v[26:27], v[24:25], -1.0
	v_add_f64 v[28:29], v[26:27], -v[24:25]
	v_add_f64 v[28:29], v[28:29], 1.0
	v_add_f64 v[26:27], v[22:23], -v[26:27]
	s_mov_b32 s2, 0x55555555
	v_add_f64 v[26:27], v[26:27], v[28:29]
	v_frexp_mant_f64_e32 v[28:29], v[24:25]
	s_mov_b32 s3, 0x3fe55555
	v_frexp_exp_i32_f64_e32 v30, v[24:25]
	v_cmp_gt_f64_e32 vcc, s[2:3], v[28:29]
	v_subbrev_co_u32_e32 v46, vcc, 0, v30, vcc
	v_sub_u32_e32 v28, 0, v46
	v_ldexp_f64 v[24:25], v[24:25], v28
	v_ldexp_f64 v[26:27], v[26:27], v28
	v_add_f64 v[28:29], v[24:25], -1.0
	v_add_f64 v[34:35], v[24:25], 1.0
	v_add_f64 v[30:31], v[28:29], 1.0
	v_add_f64 v[36:37], v[34:35], -1.0
	v_add_f64 v[30:31], v[24:25], -v[30:31]
	v_add_f64 v[24:25], v[24:25], -v[36:37]
	v_add_f64 v[24:25], v[26:27], v[24:25]
	v_add_f64 v[30:31], v[26:27], v[30:31]
	;; [unrolled: 1-line block ×3, first 2 shown]
	v_rcp_f64_e32 v[36:37], v[26:27]
	v_add_f64 v[32:33], v[28:29], v[30:31]
	v_add_f64 v[28:29], v[32:33], -v[28:29]
	v_add_f64 v[28:29], v[30:31], -v[28:29]
	;; [unrolled: 1-line block ×4, first 2 shown]
	v_fma_f64 v[30:31], -v[26:27], v[36:37], 1.0
	v_fmac_f64_e32 v[36:37], v[30:31], v[36:37]
	v_fma_f64 v[30:31], -v[26:27], v[36:37], 1.0
	v_fmac_f64_e32 v[36:37], v[30:31], v[36:37]
	v_mul_f64 v[30:31], v[32:33], v[36:37]
	v_mul_f64 v[34:35], v[26:27], v[30:31]
	v_fma_f64 v[38:39], v[30:31], v[26:27], -v[34:35]
	v_fmac_f64_e32 v[38:39], v[30:31], v[24:25]
	v_add_f64 v[40:41], v[34:35], v[38:39]
	v_add_f64 v[44:45], v[32:33], -v[40:41]
	v_add_f64 v[32:33], v[32:33], -v[44:45]
	;; [unrolled: 1-line block ×4, first 2 shown]
	v_add_f64 v[28:29], v[28:29], v[32:33]
	v_add_f64 v[32:33], v[34:35], -v[38:39]
	v_add_f64 v[28:29], v[32:33], v[28:29]
	v_add_f64 v[32:33], v[44:45], v[28:29]
	v_add_f64 v[34:35], v[44:45], -v[32:33]
	v_add_f64 v[28:29], v[28:29], v[34:35]
	v_mul_f64 v[34:35], v[36:37], v[32:33]
	v_mul_f64 v[38:39], v[26:27], v[34:35]
	v_fma_f64 v[26:27], v[34:35], v[26:27], -v[38:39]
	v_fmac_f64_e32 v[26:27], v[34:35], v[24:25]
	v_add_f64 v[24:25], v[38:39], v[26:27]
	v_add_f64 v[40:41], v[32:33], -v[24:25]
	v_add_f64 v[32:33], v[32:33], -v[40:41]
	v_add_f64 v[38:39], v[24:25], -v[38:39]
	v_add_f64 v[24:25], v[32:33], -v[24:25]
	v_add_f64 v[24:25], v[28:29], v[24:25]
	v_add_f64 v[26:27], v[38:39], -v[26:27]
	v_add_f64 v[24:25], v[26:27], v[24:25]
	v_add_f64 v[26:27], v[30:31], v[34:35]
	v_add_f64 v[24:25], v[40:41], v[24:25]
	v_add_f64 v[28:29], v[26:27], -v[30:31]
	v_mul_f64 v[24:25], v[36:37], v[24:25]
	v_add_f64 v[28:29], v[34:35], -v[28:29]
	v_add_f64 v[24:25], v[28:29], v[24:25]
	v_add_f64 v[28:29], v[26:27], v[24:25]
	v_add_f64 v[26:27], v[28:29], -v[26:27]
	s_mov_b32 s2, 0xbf559e2b
	v_add_f64 v[24:25], v[24:25], -v[26:27]
	v_mul_f64 v[26:27], v[28:29], v[28:29]
	v_mov_b32_e32 v30, 0x6b47b09a
	v_mov_b32_e32 v31, 0x3fc38538
	s_mov_b32 s3, 0x3fc3ab76
	v_fmac_f64_e32 v[30:31], s[2:3], v[26:27]
	v_mov_b32_e32 v32, 0xd7f4df2e
	v_mov_b32_e32 v33, 0x3fc7474d
	v_fmac_f64_e32 v[32:33], v[26:27], v[30:31]
	v_mov_b32_e32 v30, 0x16291751
	v_mov_b32_e32 v31, 0x3fcc71c0
	;; [unrolled: 3-line block ×5, first 2 shown]
	v_fmac_f64_e32 v[32:33], v[26:27], v[30:31]
	v_cvt_f64_i32_e32 v[30:31], v46
	s_mov_b32 s9, 0x3fe62e42
	v_mul_f64 v[34:35], v[30:31], s[8:9]
	v_fma_f64 v[36:37], v[30:31], s[8:9], -v[34:35]
	s_mov_b32 s11, 0x3c7abc9e
	v_fmac_f64_e32 v[36:37], s[10:11], v[30:31]
	v_add_f64 v[30:31], v[34:35], v[36:37]
	v_add_f64 v[34:35], v[30:31], -v[34:35]
	v_mul_f64 v[26:27], v[28:29], v[26:27]
	v_add_f64 v[34:35], v[36:37], -v[34:35]
	v_ldexp_f64 v[36:37], v[28:29], 1
	v_mul_f64 v[26:27], v[26:27], v[32:33]
	v_add_f64 v[28:29], v[36:37], v[26:27]
	v_add_f64 v[32:33], v[28:29], -v[36:37]
	v_ldexp_f64 v[24:25], v[24:25], 1
	v_add_f64 v[26:27], v[26:27], -v[32:33]
	v_add_f64 v[24:25], v[24:25], v[26:27]
	v_add_f64 v[26:27], v[28:29], v[24:25]
	v_add_f64 v[28:29], v[26:27], -v[28:29]
	v_add_f64 v[24:25], v[24:25], -v[28:29]
	v_add_f64 v[28:29], v[30:31], v[26:27]
	v_add_f64 v[32:33], v[28:29], -v[30:31]
	v_add_f64 v[36:37], v[28:29], -v[32:33]
	;; [unrolled: 1-line block ×4, first 2 shown]
	v_add_f64 v[26:27], v[26:27], v[30:31]
	v_add_f64 v[30:31], v[34:35], v[24:25]
	v_add_f64 v[32:33], v[30:31], -v[34:35]
	v_add_f64 v[26:27], v[30:31], v[26:27]
	v_add_f64 v[36:37], v[30:31], -v[32:33]
	;; [unrolled: 2-line block ×3, first 2 shown]
	v_add_f64 v[24:25], v[24:25], -v[32:33]
	v_add_f64 v[28:29], v[30:31], -v[28:29]
	v_add_f64 v[24:25], v[24:25], v[34:35]
	v_add_f64 v[26:27], v[26:27], -v[28:29]
	s_mov_b32 s2, 0
	v_add_f64 v[24:25], v[24:25], v[26:27]
	s_mov_b32 s3, 0x7ff00000
	v_add_f64 v[24:25], v[30:31], v[24:25]
	v_cmp_eq_f64_e32 vcc, s[2:3], v[22:23]
	v_cndmask_b32_e32 v24, v24, v22, vcc
	v_cndmask_b32_e32 v25, v25, v23, vcc
	v_mov_b32_e32 v26, 0x7ff80000
	v_cmp_ngt_f64_e32 vcc, -1.0, v[22:23]
	v_cndmask_b32_e32 v25, v26, v25, vcc
	v_cmp_nge_f64_e32 vcc, -1.0, v[22:23]
	v_cndmask_b32_e32 v24, 0, v24, vcc
	v_mov_b32_e32 v26, 0xfff00000
	v_cmp_neq_f64_e32 vcc, -1.0, v[22:23]
	v_cndmask_b32_e32 v25, v26, v25, vcc
	v_add_f64 v[22:23], v[2:3], v[24:25]
.LBB68_183:
	s_or_b64 exec, exec, s[6:7]
	v_pk_mov_b32 v[2:3], v[22:23], v[22:23] op_sel:[0,1]
.LBB68_184:
	s_or_b64 exec, exec, s[4:5]
	v_max_f64 v[24:25], v[2:3], v[2:3]
	v_min_f64 v[26:27], v[24:25], v[42:43]
	v_cmp_u_f64_e64 s[18:19], v[2:3], v[2:3]
	v_cndmask_b32_e64 v22, v26, v2, s[18:19]
	v_cndmask_b32_e64 v23, v27, v3, s[18:19]
	v_cmp_u_f64_e32 vcc, v[4:5], v[4:5]
	v_max_f64 v[44:45], v[24:25], v[42:43]
	v_cndmask_b32_e32 v29, v23, v5, vcc
	v_cndmask_b32_e32 v28, v22, v4, vcc
	v_cndmask_b32_e64 v22, v44, v2, s[18:19]
	v_cndmask_b32_e64 v23, v45, v3, s[18:19]
	v_cndmask_b32_e32 v23, v23, v5, vcc
	v_cndmask_b32_e32 v22, v22, v4, vcc
	s_movk_i32 s12, 0x1f8
	v_cmp_neq_f64_e64 s[2:3], v[28:29], v[22:23]
	v_cmp_class_f64_e64 s[4:5], v[28:29], s12
	s_or_b64 s[2:3], s[2:3], s[4:5]
	v_pk_mov_b32 v[46:47], v[2:3], v[2:3] op_sel:[0,1]
	s_and_saveexec_b64 s[6:7], s[2:3]
	s_cbranch_execz .LBB68_186
; %bb.185:
	s_mov_b32 s2, 0x652b82fe
	v_add_f64 v[28:29], v[28:29], -v[22:23]
	s_mov_b32 s3, 0x3ff71547
	v_mul_f64 v[30:31], v[28:29], s[2:3]
	v_rndne_f64_e32 v[30:31], v[30:31]
	s_mov_b32 s9, 0xbfe62e42
	s_mov_b32 s8, 0xfefa39ef
	v_fma_f64 v[32:33], s[8:9], v[30:31], v[28:29]
	s_mov_b32 s11, 0xbc7abc9e
	s_mov_b32 s10, 0x3b39803f
	;; [unrolled: 1-line block ×3, first 2 shown]
	v_fmac_f64_e32 v[32:33], s[10:11], v[30:31]
	v_mov_b32_e32 v34, 0xfca7ab0c
	v_mov_b32_e32 v35, 0x3e928af3
	s_mov_b32 s3, 0x3e5ade15
	v_fmac_f64_e32 v[34:35], s[2:3], v[32:33]
	v_mov_b32_e32 v36, 0x623fde64
	v_mov_b32_e32 v37, 0x3ec71dee
	v_fmac_f64_e32 v[36:37], v[32:33], v[34:35]
	v_mov_b32_e32 v34, 0x7c89e6b0
	v_mov_b32_e32 v35, 0x3efa0199
	;; [unrolled: 3-line block ×8, first 2 shown]
	v_fmac_f64_e32 v[34:35], v[32:33], v[36:37]
	v_fma_f64 v[34:35], v[32:33], v[34:35], 1.0
	s_mov_b32 s2, 0
	s_mov_b32 s4, 0
	v_fma_f64 v[32:33], v[32:33], v[34:35], 1.0
	v_cvt_i32_f64_e32 v30, v[30:31]
	s_mov_b32 s3, 0x40900000
	s_mov_b32 s5, 0xc090cc00
	v_ldexp_f64 v[30:31], v[32:33], v30
	v_mov_b32_e32 v32, 0x7ff00000
	v_cmp_nlt_f64_e64 s[2:3], s[2:3], v[28:29]
	v_cmp_ngt_f64_e64 s[4:5], s[4:5], v[28:29]
	v_cndmask_b32_e64 v31, v32, v31, s[2:3]
	s_and_b64 s[2:3], s[4:5], s[2:3]
	v_cndmask_b32_e64 v29, 0, v31, s[4:5]
	v_cndmask_b32_e64 v28, 0, v30, s[2:3]
	v_add_f64 v[30:31], v[28:29], 1.0
	v_add_f64 v[32:33], v[30:31], -1.0
	v_add_f64 v[34:35], v[32:33], -v[30:31]
	v_add_f64 v[34:35], v[34:35], 1.0
	v_add_f64 v[32:33], v[28:29], -v[32:33]
	s_mov_b32 s2, 0x55555555
	v_add_f64 v[32:33], v[32:33], v[34:35]
	v_frexp_mant_f64_e32 v[34:35], v[30:31]
	s_mov_b32 s3, 0x3fe55555
	v_frexp_exp_i32_f64_e32 v36, v[30:31]
	v_cmp_gt_f64_e64 s[2:3], s[2:3], v[34:35]
	v_subbrev_co_u32_e64 v54, s[2:3], 0, v36, s[2:3]
	v_sub_u32_e32 v34, 0, v54
	v_ldexp_f64 v[30:31], v[30:31], v34
	v_ldexp_f64 v[32:33], v[32:33], v34
	v_add_f64 v[34:35], v[30:31], -1.0
	v_add_f64 v[40:41], v[30:31], 1.0
	v_add_f64 v[36:37], v[34:35], 1.0
	v_add_f64 v[46:47], v[40:41], -1.0
	v_add_f64 v[36:37], v[30:31], -v[36:37]
	v_add_f64 v[30:31], v[30:31], -v[46:47]
	v_add_f64 v[30:31], v[32:33], v[30:31]
	v_add_f64 v[36:37], v[32:33], v[36:37]
	;; [unrolled: 1-line block ×3, first 2 shown]
	v_rcp_f64_e32 v[46:47], v[32:33]
	v_add_f64 v[38:39], v[34:35], v[36:37]
	v_add_f64 v[34:35], v[38:39], -v[34:35]
	v_add_f64 v[34:35], v[36:37], -v[34:35]
	;; [unrolled: 1-line block ×4, first 2 shown]
	v_fma_f64 v[36:37], -v[32:33], v[46:47], 1.0
	v_fmac_f64_e32 v[46:47], v[36:37], v[46:47]
	v_fma_f64 v[36:37], -v[32:33], v[46:47], 1.0
	v_fmac_f64_e32 v[46:47], v[36:37], v[46:47]
	v_mul_f64 v[36:37], v[38:39], v[46:47]
	v_mul_f64 v[40:41], v[32:33], v[36:37]
	v_fma_f64 v[48:49], v[36:37], v[32:33], -v[40:41]
	v_fmac_f64_e32 v[48:49], v[36:37], v[30:31]
	v_add_f64 v[50:51], v[40:41], v[48:49]
	v_add_f64 v[52:53], v[38:39], -v[50:51]
	v_add_f64 v[38:39], v[38:39], -v[52:53]
	;; [unrolled: 1-line block ×4, first 2 shown]
	v_add_f64 v[34:35], v[34:35], v[38:39]
	v_add_f64 v[38:39], v[40:41], -v[48:49]
	v_add_f64 v[34:35], v[38:39], v[34:35]
	v_add_f64 v[38:39], v[52:53], v[34:35]
	v_add_f64 v[40:41], v[52:53], -v[38:39]
	v_add_f64 v[34:35], v[34:35], v[40:41]
	v_mul_f64 v[40:41], v[46:47], v[38:39]
	v_mul_f64 v[48:49], v[32:33], v[40:41]
	v_fma_f64 v[32:33], v[40:41], v[32:33], -v[48:49]
	v_fmac_f64_e32 v[32:33], v[40:41], v[30:31]
	v_add_f64 v[30:31], v[48:49], v[32:33]
	v_add_f64 v[50:51], v[38:39], -v[30:31]
	v_add_f64 v[38:39], v[38:39], -v[50:51]
	;; [unrolled: 1-line block ×4, first 2 shown]
	v_add_f64 v[30:31], v[34:35], v[30:31]
	v_add_f64 v[32:33], v[48:49], -v[32:33]
	v_add_f64 v[30:31], v[32:33], v[30:31]
	v_add_f64 v[32:33], v[36:37], v[40:41]
	;; [unrolled: 1-line block ×3, first 2 shown]
	v_add_f64 v[34:35], v[32:33], -v[36:37]
	v_mul_f64 v[30:31], v[46:47], v[30:31]
	v_add_f64 v[34:35], v[40:41], -v[34:35]
	v_add_f64 v[30:31], v[34:35], v[30:31]
	v_add_f64 v[34:35], v[32:33], v[30:31]
	v_add_f64 v[32:33], v[34:35], -v[32:33]
	s_mov_b32 s2, 0xbf559e2b
	v_add_f64 v[30:31], v[30:31], -v[32:33]
	v_mul_f64 v[32:33], v[34:35], v[34:35]
	v_mov_b32_e32 v36, 0x6b47b09a
	v_mov_b32_e32 v37, 0x3fc38538
	s_mov_b32 s3, 0x3fc3ab76
	v_fmac_f64_e32 v[36:37], s[2:3], v[32:33]
	v_mov_b32_e32 v38, 0xd7f4df2e
	v_mov_b32_e32 v39, 0x3fc7474d
	v_fmac_f64_e32 v[38:39], v[32:33], v[36:37]
	v_mov_b32_e32 v36, 0x16291751
	v_mov_b32_e32 v37, 0x3fcc71c0
	v_fmac_f64_e32 v[36:37], v[32:33], v[38:39]
	v_mov_b32_e32 v38, 0x9b27acf1
	v_mov_b32_e32 v39, 0x3fd24924
	v_fmac_f64_e32 v[38:39], v[32:33], v[36:37]
	v_mov_b32_e32 v36, 0x998ef7b6
	v_mov_b32_e32 v37, 0x3fd99999
	v_fmac_f64_e32 v[36:37], v[32:33], v[38:39]
	v_mov_b32_e32 v38, 0x55555780
	v_mov_b32_e32 v39, 0x3fe55555
	v_fmac_f64_e32 v[38:39], v[32:33], v[36:37]
	v_cvt_f64_i32_e32 v[36:37], v54
	s_mov_b32 s9, 0x3fe62e42
	v_mul_f64 v[40:41], v[36:37], s[8:9]
	v_fma_f64 v[46:47], v[36:37], s[8:9], -v[40:41]
	s_mov_b32 s11, 0x3c7abc9e
	v_fmac_f64_e32 v[46:47], s[10:11], v[36:37]
	v_add_f64 v[36:37], v[40:41], v[46:47]
	v_add_f64 v[40:41], v[36:37], -v[40:41]
	v_mul_f64 v[32:33], v[34:35], v[32:33]
	v_add_f64 v[40:41], v[46:47], -v[40:41]
	v_ldexp_f64 v[46:47], v[34:35], 1
	v_mul_f64 v[32:33], v[32:33], v[38:39]
	v_add_f64 v[34:35], v[46:47], v[32:33]
	v_add_f64 v[38:39], v[34:35], -v[46:47]
	v_ldexp_f64 v[30:31], v[30:31], 1
	v_add_f64 v[32:33], v[32:33], -v[38:39]
	v_add_f64 v[30:31], v[30:31], v[32:33]
	v_add_f64 v[32:33], v[34:35], v[30:31]
	v_add_f64 v[34:35], v[32:33], -v[34:35]
	v_add_f64 v[30:31], v[30:31], -v[34:35]
	v_add_f64 v[34:35], v[36:37], v[32:33]
	v_add_f64 v[38:39], v[34:35], -v[36:37]
	v_add_f64 v[46:47], v[34:35], -v[38:39]
	;; [unrolled: 1-line block ×4, first 2 shown]
	v_add_f64 v[32:33], v[32:33], v[36:37]
	v_add_f64 v[36:37], v[40:41], v[30:31]
	v_add_f64 v[38:39], v[36:37], -v[40:41]
	v_add_f64 v[32:33], v[36:37], v[32:33]
	v_add_f64 v[46:47], v[36:37], -v[38:39]
	;; [unrolled: 2-line block ×3, first 2 shown]
	v_add_f64 v[30:31], v[30:31], -v[38:39]
	v_add_f64 v[34:35], v[36:37], -v[34:35]
	v_add_f64 v[30:31], v[30:31], v[40:41]
	v_add_f64 v[32:33], v[32:33], -v[34:35]
	s_mov_b32 s2, 0
	v_add_f64 v[30:31], v[30:31], v[32:33]
	s_mov_b32 s3, 0x7ff00000
	v_add_f64 v[30:31], v[36:37], v[30:31]
	v_cmp_eq_f64_e64 s[2:3], s[2:3], v[28:29]
	v_cndmask_b32_e64 v30, v30, v28, s[2:3]
	v_cndmask_b32_e64 v31, v31, v29, s[2:3]
	v_mov_b32_e32 v32, 0x7ff80000
	v_cmp_ngt_f64_e64 s[2:3], -1.0, v[28:29]
	v_cndmask_b32_e64 v31, v32, v31, s[2:3]
	v_cmp_nge_f64_e64 s[2:3], -1.0, v[28:29]
	v_cndmask_b32_e64 v30, 0, v30, s[2:3]
	v_mov_b32_e32 v32, 0xfff00000
	v_cmp_neq_f64_e64 s[2:3], -1.0, v[28:29]
	v_cndmask_b32_e64 v31, v32, v31, s[2:3]
	v_add_f64 v[46:47], v[22:23], v[30:31]
.LBB68_186:
	s_or_b64 exec, exec, s[6:7]
	v_max_f64 v[22:23], v[18:19], v[18:19]
	v_max_f64 v[28:29], v[46:47], v[46:47]
	v_min_f64 v[30:31], v[28:29], v[22:23]
	v_cmp_u_f64_e64 s[4:5], v[46:47], v[46:47]
	v_max_f64 v[28:29], v[28:29], v[22:23]
	v_cndmask_b32_e64 v30, v30, v46, s[4:5]
	v_cndmask_b32_e64 v31, v31, v47, s[4:5]
	v_cmp_u_f64_e64 s[2:3], v[18:19], v[18:19]
	v_cndmask_b32_e64 v28, v28, v46, s[4:5]
	v_cndmask_b32_e64 v29, v29, v47, s[4:5]
	;; [unrolled: 1-line block ×6, first 2 shown]
	v_cmp_neq_f64_e64 s[4:5], v[30:31], v[28:29]
	v_cmp_class_f64_e64 s[6:7], v[30:31], s12
	s_or_b64 s[4:5], s[4:5], s[6:7]
	s_and_saveexec_b64 s[8:9], s[4:5]
	s_cbranch_execz .LBB68_188
; %bb.187:
	s_mov_b32 s4, 0x652b82fe
	v_add_f64 v[30:31], v[30:31], -v[28:29]
	s_mov_b32 s5, 0x3ff71547
	v_mul_f64 v[32:33], v[30:31], s[4:5]
	v_rndne_f64_e32 v[32:33], v[32:33]
	s_mov_b32 s11, 0xbfe62e42
	s_mov_b32 s10, 0xfefa39ef
	v_fma_f64 v[34:35], s[10:11], v[32:33], v[30:31]
	s_mov_b32 s13, 0xbc7abc9e
	s_mov_b32 s12, 0x3b39803f
	;; [unrolled: 1-line block ×3, first 2 shown]
	v_fmac_f64_e32 v[34:35], s[12:13], v[32:33]
	v_mov_b32_e32 v36, 0xfca7ab0c
	v_mov_b32_e32 v37, 0x3e928af3
	s_mov_b32 s5, 0x3e5ade15
	v_fmac_f64_e32 v[36:37], s[4:5], v[34:35]
	v_mov_b32_e32 v38, 0x623fde64
	v_mov_b32_e32 v39, 0x3ec71dee
	v_fmac_f64_e32 v[38:39], v[34:35], v[36:37]
	v_mov_b32_e32 v36, 0x7c89e6b0
	v_mov_b32_e32 v37, 0x3efa0199
	;; [unrolled: 3-line block ×8, first 2 shown]
	v_fmac_f64_e32 v[36:37], v[34:35], v[38:39]
	v_fma_f64 v[36:37], v[34:35], v[36:37], 1.0
	s_mov_b32 s4, 0
	s_mov_b32 s6, 0
	v_fma_f64 v[34:35], v[34:35], v[36:37], 1.0
	v_cvt_i32_f64_e32 v32, v[32:33]
	s_mov_b32 s5, 0x40900000
	s_mov_b32 s7, 0xc090cc00
	v_ldexp_f64 v[32:33], v[34:35], v32
	v_mov_b32_e32 v34, 0x7ff00000
	v_cmp_nlt_f64_e64 s[4:5], s[4:5], v[30:31]
	v_cmp_ngt_f64_e64 s[6:7], s[6:7], v[30:31]
	v_cndmask_b32_e64 v33, v34, v33, s[4:5]
	s_and_b64 s[4:5], s[6:7], s[4:5]
	v_cndmask_b32_e64 v31, 0, v33, s[6:7]
	v_cndmask_b32_e64 v30, 0, v32, s[4:5]
	v_add_f64 v[32:33], v[30:31], 1.0
	v_add_f64 v[34:35], v[32:33], -1.0
	v_add_f64 v[36:37], v[34:35], -v[32:33]
	v_add_f64 v[36:37], v[36:37], 1.0
	v_add_f64 v[34:35], v[30:31], -v[34:35]
	s_mov_b32 s4, 0x55555555
	v_add_f64 v[34:35], v[34:35], v[36:37]
	v_frexp_mant_f64_e32 v[36:37], v[32:33]
	s_mov_b32 s5, 0x3fe55555
	v_frexp_exp_i32_f64_e32 v38, v[32:33]
	v_cmp_gt_f64_e64 s[4:5], s[4:5], v[36:37]
	v_subbrev_co_u32_e64 v56, s[4:5], 0, v38, s[4:5]
	v_sub_u32_e32 v36, 0, v56
	v_ldexp_f64 v[32:33], v[32:33], v36
	v_ldexp_f64 v[34:35], v[34:35], v36
	v_add_f64 v[36:37], v[32:33], -1.0
	v_add_f64 v[46:47], v[32:33], 1.0
	v_add_f64 v[38:39], v[36:37], 1.0
	v_add_f64 v[48:49], v[46:47], -1.0
	v_add_f64 v[38:39], v[32:33], -v[38:39]
	v_add_f64 v[32:33], v[32:33], -v[48:49]
	v_add_f64 v[32:33], v[34:35], v[32:33]
	v_add_f64 v[38:39], v[34:35], v[38:39]
	;; [unrolled: 1-line block ×3, first 2 shown]
	v_rcp_f64_e32 v[48:49], v[34:35]
	v_add_f64 v[40:41], v[36:37], v[38:39]
	v_add_f64 v[36:37], v[40:41], -v[36:37]
	v_add_f64 v[36:37], v[38:39], -v[36:37]
	v_add_f64 v[38:39], v[34:35], -v[46:47]
	v_add_f64 v[32:33], v[32:33], -v[38:39]
	v_fma_f64 v[38:39], -v[34:35], v[48:49], 1.0
	v_fmac_f64_e32 v[48:49], v[38:39], v[48:49]
	v_fma_f64 v[38:39], -v[34:35], v[48:49], 1.0
	v_fmac_f64_e32 v[48:49], v[38:39], v[48:49]
	v_mul_f64 v[38:39], v[40:41], v[48:49]
	v_mul_f64 v[46:47], v[34:35], v[38:39]
	v_fma_f64 v[50:51], v[38:39], v[34:35], -v[46:47]
	v_fmac_f64_e32 v[50:51], v[38:39], v[32:33]
	v_add_f64 v[52:53], v[46:47], v[50:51]
	v_add_f64 v[54:55], v[40:41], -v[52:53]
	v_add_f64 v[40:41], v[40:41], -v[54:55]
	;; [unrolled: 1-line block ×4, first 2 shown]
	v_add_f64 v[36:37], v[36:37], v[40:41]
	v_add_f64 v[40:41], v[46:47], -v[50:51]
	v_add_f64 v[36:37], v[40:41], v[36:37]
	v_add_f64 v[40:41], v[54:55], v[36:37]
	v_add_f64 v[46:47], v[54:55], -v[40:41]
	v_add_f64 v[36:37], v[36:37], v[46:47]
	v_mul_f64 v[46:47], v[48:49], v[40:41]
	v_mul_f64 v[50:51], v[34:35], v[46:47]
	v_fma_f64 v[34:35], v[46:47], v[34:35], -v[50:51]
	v_fmac_f64_e32 v[34:35], v[46:47], v[32:33]
	v_add_f64 v[32:33], v[50:51], v[34:35]
	v_add_f64 v[52:53], v[40:41], -v[32:33]
	v_add_f64 v[40:41], v[40:41], -v[52:53]
	;; [unrolled: 1-line block ×4, first 2 shown]
	v_add_f64 v[32:33], v[36:37], v[32:33]
	v_add_f64 v[34:35], v[50:51], -v[34:35]
	v_add_f64 v[32:33], v[34:35], v[32:33]
	v_add_f64 v[34:35], v[38:39], v[46:47]
	;; [unrolled: 1-line block ×3, first 2 shown]
	v_add_f64 v[36:37], v[34:35], -v[38:39]
	v_mul_f64 v[32:33], v[48:49], v[32:33]
	v_add_f64 v[36:37], v[46:47], -v[36:37]
	v_add_f64 v[32:33], v[36:37], v[32:33]
	v_add_f64 v[36:37], v[34:35], v[32:33]
	v_add_f64 v[34:35], v[36:37], -v[34:35]
	s_mov_b32 s4, 0xbf559e2b
	v_add_f64 v[32:33], v[32:33], -v[34:35]
	v_mul_f64 v[34:35], v[36:37], v[36:37]
	v_mov_b32_e32 v38, 0x6b47b09a
	v_mov_b32_e32 v39, 0x3fc38538
	s_mov_b32 s5, 0x3fc3ab76
	v_fmac_f64_e32 v[38:39], s[4:5], v[34:35]
	v_mov_b32_e32 v40, 0xd7f4df2e
	v_mov_b32_e32 v41, 0x3fc7474d
	v_fmac_f64_e32 v[40:41], v[34:35], v[38:39]
	v_mov_b32_e32 v38, 0x16291751
	v_mov_b32_e32 v39, 0x3fcc71c0
	;; [unrolled: 3-line block ×5, first 2 shown]
	v_fmac_f64_e32 v[40:41], v[34:35], v[38:39]
	v_cvt_f64_i32_e32 v[38:39], v56
	s_mov_b32 s11, 0x3fe62e42
	v_mul_f64 v[46:47], v[38:39], s[10:11]
	v_fma_f64 v[48:49], v[38:39], s[10:11], -v[46:47]
	s_mov_b32 s13, 0x3c7abc9e
	v_fmac_f64_e32 v[48:49], s[12:13], v[38:39]
	v_add_f64 v[38:39], v[46:47], v[48:49]
	v_add_f64 v[46:47], v[38:39], -v[46:47]
	v_mul_f64 v[34:35], v[36:37], v[34:35]
	v_add_f64 v[46:47], v[48:49], -v[46:47]
	v_ldexp_f64 v[48:49], v[36:37], 1
	v_mul_f64 v[34:35], v[34:35], v[40:41]
	v_add_f64 v[36:37], v[48:49], v[34:35]
	v_add_f64 v[40:41], v[36:37], -v[48:49]
	v_ldexp_f64 v[32:33], v[32:33], 1
	v_add_f64 v[34:35], v[34:35], -v[40:41]
	v_add_f64 v[32:33], v[32:33], v[34:35]
	v_add_f64 v[34:35], v[36:37], v[32:33]
	v_add_f64 v[36:37], v[34:35], -v[36:37]
	v_add_f64 v[32:33], v[32:33], -v[36:37]
	v_add_f64 v[36:37], v[38:39], v[34:35]
	v_add_f64 v[40:41], v[36:37], -v[38:39]
	v_add_f64 v[48:49], v[36:37], -v[40:41]
	;; [unrolled: 1-line block ×4, first 2 shown]
	v_add_f64 v[34:35], v[34:35], v[38:39]
	v_add_f64 v[38:39], v[46:47], v[32:33]
	v_add_f64 v[40:41], v[38:39], -v[46:47]
	v_add_f64 v[34:35], v[38:39], v[34:35]
	v_add_f64 v[48:49], v[38:39], -v[40:41]
	;; [unrolled: 2-line block ×3, first 2 shown]
	v_add_f64 v[32:33], v[32:33], -v[40:41]
	v_add_f64 v[36:37], v[38:39], -v[36:37]
	v_add_f64 v[32:33], v[32:33], v[46:47]
	v_add_f64 v[34:35], v[34:35], -v[36:37]
	s_mov_b32 s4, 0
	v_add_f64 v[32:33], v[32:33], v[34:35]
	s_mov_b32 s5, 0x7ff00000
	v_add_f64 v[32:33], v[38:39], v[32:33]
	v_cmp_eq_f64_e64 s[4:5], s[4:5], v[30:31]
	v_cndmask_b32_e64 v32, v32, v30, s[4:5]
	v_cndmask_b32_e64 v33, v33, v31, s[4:5]
	v_mov_b32_e32 v34, 0x7ff80000
	v_cmp_ngt_f64_e64 s[4:5], -1.0, v[30:31]
	v_cndmask_b32_e64 v33, v34, v33, s[4:5]
	v_cmp_nge_f64_e64 s[4:5], -1.0, v[30:31]
	v_cndmask_b32_e64 v32, 0, v32, s[4:5]
	v_mov_b32_e32 v34, 0xfff00000
	v_cmp_neq_f64_e64 s[4:5], -1.0, v[30:31]
	v_cndmask_b32_e64 v33, v34, v33, s[4:5]
	v_add_f64 v[46:47], v[28:29], v[32:33]
.LBB68_188:
	s_or_b64 exec, exec, s[8:9]
	v_max_f64 v[28:29], v[20:21], v[20:21]
	v_max_f64 v[30:31], v[46:47], v[46:47]
	v_min_f64 v[32:33], v[30:31], v[28:29]
	v_cmp_u_f64_e64 s[6:7], v[46:47], v[46:47]
	v_max_f64 v[30:31], v[30:31], v[28:29]
	v_cndmask_b32_e64 v32, v32, v46, s[6:7]
	v_cndmask_b32_e64 v33, v33, v47, s[6:7]
	v_cmp_u_f64_e64 s[4:5], v[20:21], v[20:21]
	v_cndmask_b32_e64 v30, v30, v46, s[6:7]
	v_cndmask_b32_e64 v31, v31, v47, s[6:7]
	;; [unrolled: 1-line block ×6, first 2 shown]
	s_movk_i32 s16, 0x1f8
	v_cmp_neq_f64_e64 s[6:7], v[32:33], v[30:31]
	v_cmp_class_f64_e64 s[8:9], v[32:33], s16
	s_or_b64 s[6:7], s[6:7], s[8:9]
	s_and_saveexec_b64 s[10:11], s[6:7]
	s_cbranch_execz .LBB68_190
; %bb.189:
	s_mov_b32 s6, 0x652b82fe
	v_add_f64 v[32:33], v[32:33], -v[30:31]
	s_mov_b32 s7, 0x3ff71547
	v_mul_f64 v[34:35], v[32:33], s[6:7]
	v_rndne_f64_e32 v[34:35], v[34:35]
	s_mov_b32 s13, 0xbfe62e42
	s_mov_b32 s12, 0xfefa39ef
	v_fma_f64 v[36:37], s[12:13], v[34:35], v[32:33]
	s_mov_b32 s15, 0xbc7abc9e
	s_mov_b32 s14, 0x3b39803f
	;; [unrolled: 1-line block ×3, first 2 shown]
	v_fmac_f64_e32 v[36:37], s[14:15], v[34:35]
	v_mov_b32_e32 v38, 0xfca7ab0c
	v_mov_b32_e32 v39, 0x3e928af3
	s_mov_b32 s7, 0x3e5ade15
	v_fmac_f64_e32 v[38:39], s[6:7], v[36:37]
	v_mov_b32_e32 v40, 0x623fde64
	v_mov_b32_e32 v41, 0x3ec71dee
	v_fmac_f64_e32 v[40:41], v[36:37], v[38:39]
	v_mov_b32_e32 v38, 0x7c89e6b0
	v_mov_b32_e32 v39, 0x3efa0199
	;; [unrolled: 3-line block ×8, first 2 shown]
	v_fmac_f64_e32 v[38:39], v[36:37], v[40:41]
	v_fma_f64 v[38:39], v[36:37], v[38:39], 1.0
	s_mov_b32 s6, 0
	s_mov_b32 s8, 0
	v_fma_f64 v[36:37], v[36:37], v[38:39], 1.0
	v_cvt_i32_f64_e32 v34, v[34:35]
	s_mov_b32 s7, 0x40900000
	s_mov_b32 s9, 0xc090cc00
	v_ldexp_f64 v[34:35], v[36:37], v34
	v_mov_b32_e32 v36, 0x7ff00000
	v_cmp_nlt_f64_e64 s[6:7], s[6:7], v[32:33]
	v_cmp_ngt_f64_e64 s[8:9], s[8:9], v[32:33]
	v_cndmask_b32_e64 v35, v36, v35, s[6:7]
	s_and_b64 s[6:7], s[8:9], s[6:7]
	v_cndmask_b32_e64 v33, 0, v35, s[8:9]
	v_cndmask_b32_e64 v32, 0, v34, s[6:7]
	v_add_f64 v[34:35], v[32:33], 1.0
	v_add_f64 v[36:37], v[34:35], -1.0
	v_add_f64 v[38:39], v[36:37], -v[34:35]
	v_add_f64 v[38:39], v[38:39], 1.0
	v_add_f64 v[36:37], v[32:33], -v[36:37]
	s_mov_b32 s6, 0x55555555
	v_add_f64 v[36:37], v[36:37], v[38:39]
	v_frexp_mant_f64_e32 v[38:39], v[34:35]
	s_mov_b32 s7, 0x3fe55555
	v_frexp_exp_i32_f64_e32 v40, v[34:35]
	v_cmp_gt_f64_e64 s[6:7], s[6:7], v[38:39]
	v_subbrev_co_u32_e64 v58, s[6:7], 0, v40, s[6:7]
	v_sub_u32_e32 v38, 0, v58
	v_ldexp_f64 v[34:35], v[34:35], v38
	v_ldexp_f64 v[36:37], v[36:37], v38
	v_add_f64 v[38:39], v[34:35], -1.0
	v_add_f64 v[48:49], v[34:35], 1.0
	v_add_f64 v[40:41], v[38:39], 1.0
	v_add_f64 v[50:51], v[48:49], -1.0
	v_add_f64 v[40:41], v[34:35], -v[40:41]
	v_add_f64 v[34:35], v[34:35], -v[50:51]
	v_add_f64 v[34:35], v[36:37], v[34:35]
	v_add_f64 v[40:41], v[36:37], v[40:41]
	;; [unrolled: 1-line block ×3, first 2 shown]
	v_rcp_f64_e32 v[50:51], v[36:37]
	v_add_f64 v[46:47], v[38:39], v[40:41]
	v_add_f64 v[38:39], v[46:47], -v[38:39]
	v_add_f64 v[38:39], v[40:41], -v[38:39]
	;; [unrolled: 1-line block ×4, first 2 shown]
	v_fma_f64 v[40:41], -v[36:37], v[50:51], 1.0
	v_fmac_f64_e32 v[50:51], v[40:41], v[50:51]
	v_fma_f64 v[40:41], -v[36:37], v[50:51], 1.0
	v_fmac_f64_e32 v[50:51], v[40:41], v[50:51]
	v_mul_f64 v[40:41], v[46:47], v[50:51]
	v_mul_f64 v[48:49], v[36:37], v[40:41]
	v_fma_f64 v[52:53], v[40:41], v[36:37], -v[48:49]
	v_fmac_f64_e32 v[52:53], v[40:41], v[34:35]
	v_add_f64 v[54:55], v[48:49], v[52:53]
	v_add_f64 v[56:57], v[46:47], -v[54:55]
	v_add_f64 v[46:47], v[46:47], -v[56:57]
	;; [unrolled: 1-line block ×4, first 2 shown]
	v_add_f64 v[38:39], v[38:39], v[46:47]
	v_add_f64 v[46:47], v[48:49], -v[52:53]
	v_add_f64 v[38:39], v[46:47], v[38:39]
	v_add_f64 v[46:47], v[56:57], v[38:39]
	v_add_f64 v[48:49], v[56:57], -v[46:47]
	v_add_f64 v[38:39], v[38:39], v[48:49]
	v_mul_f64 v[48:49], v[50:51], v[46:47]
	v_mul_f64 v[52:53], v[36:37], v[48:49]
	v_fma_f64 v[36:37], v[48:49], v[36:37], -v[52:53]
	v_fmac_f64_e32 v[36:37], v[48:49], v[34:35]
	v_add_f64 v[34:35], v[52:53], v[36:37]
	v_add_f64 v[54:55], v[46:47], -v[34:35]
	v_add_f64 v[46:47], v[46:47], -v[54:55]
	;; [unrolled: 1-line block ×4, first 2 shown]
	v_add_f64 v[34:35], v[38:39], v[34:35]
	v_add_f64 v[36:37], v[52:53], -v[36:37]
	v_add_f64 v[34:35], v[36:37], v[34:35]
	v_add_f64 v[36:37], v[40:41], v[48:49]
	;; [unrolled: 1-line block ×3, first 2 shown]
	v_add_f64 v[38:39], v[36:37], -v[40:41]
	v_mul_f64 v[34:35], v[50:51], v[34:35]
	v_add_f64 v[38:39], v[48:49], -v[38:39]
	v_add_f64 v[34:35], v[38:39], v[34:35]
	v_add_f64 v[38:39], v[36:37], v[34:35]
	v_add_f64 v[36:37], v[38:39], -v[36:37]
	s_mov_b32 s6, 0xbf559e2b
	v_add_f64 v[34:35], v[34:35], -v[36:37]
	v_mul_f64 v[36:37], v[38:39], v[38:39]
	v_mov_b32_e32 v40, 0x6b47b09a
	v_mov_b32_e32 v41, 0x3fc38538
	s_mov_b32 s7, 0x3fc3ab76
	v_fmac_f64_e32 v[40:41], s[6:7], v[36:37]
	v_mov_b32_e32 v46, 0xd7f4df2e
	v_mov_b32_e32 v47, 0x3fc7474d
	v_fmac_f64_e32 v[46:47], v[36:37], v[40:41]
	v_mov_b32_e32 v40, 0x16291751
	v_mov_b32_e32 v41, 0x3fcc71c0
	;; [unrolled: 3-line block ×5, first 2 shown]
	v_fmac_f64_e32 v[46:47], v[36:37], v[40:41]
	v_cvt_f64_i32_e32 v[40:41], v58
	s_mov_b32 s13, 0x3fe62e42
	v_mul_f64 v[48:49], v[40:41], s[12:13]
	v_fma_f64 v[50:51], v[40:41], s[12:13], -v[48:49]
	s_mov_b32 s15, 0x3c7abc9e
	v_fmac_f64_e32 v[50:51], s[14:15], v[40:41]
	v_add_f64 v[40:41], v[48:49], v[50:51]
	v_add_f64 v[48:49], v[40:41], -v[48:49]
	v_mul_f64 v[36:37], v[38:39], v[36:37]
	v_add_f64 v[48:49], v[50:51], -v[48:49]
	v_ldexp_f64 v[50:51], v[38:39], 1
	v_mul_f64 v[36:37], v[36:37], v[46:47]
	v_add_f64 v[38:39], v[50:51], v[36:37]
	v_add_f64 v[46:47], v[38:39], -v[50:51]
	v_ldexp_f64 v[34:35], v[34:35], 1
	v_add_f64 v[36:37], v[36:37], -v[46:47]
	v_add_f64 v[34:35], v[34:35], v[36:37]
	v_add_f64 v[36:37], v[38:39], v[34:35]
	v_add_f64 v[38:39], v[36:37], -v[38:39]
	v_add_f64 v[34:35], v[34:35], -v[38:39]
	v_add_f64 v[38:39], v[40:41], v[36:37]
	v_add_f64 v[46:47], v[38:39], -v[40:41]
	v_add_f64 v[50:51], v[38:39], -v[46:47]
	;; [unrolled: 1-line block ×4, first 2 shown]
	v_add_f64 v[36:37], v[36:37], v[40:41]
	v_add_f64 v[40:41], v[48:49], v[34:35]
	v_add_f64 v[46:47], v[40:41], -v[48:49]
	v_add_f64 v[36:37], v[40:41], v[36:37]
	v_add_f64 v[50:51], v[40:41], -v[46:47]
	;; [unrolled: 2-line block ×3, first 2 shown]
	v_add_f64 v[34:35], v[34:35], -v[46:47]
	v_add_f64 v[38:39], v[40:41], -v[38:39]
	v_add_f64 v[34:35], v[34:35], v[48:49]
	v_add_f64 v[36:37], v[36:37], -v[38:39]
	s_mov_b32 s6, 0
	v_add_f64 v[34:35], v[34:35], v[36:37]
	s_mov_b32 s7, 0x7ff00000
	v_add_f64 v[34:35], v[40:41], v[34:35]
	v_cmp_eq_f64_e64 s[6:7], s[6:7], v[32:33]
	v_cndmask_b32_e64 v34, v34, v32, s[6:7]
	v_cndmask_b32_e64 v35, v35, v33, s[6:7]
	v_mov_b32_e32 v36, 0x7ff80000
	v_cmp_ngt_f64_e64 s[6:7], -1.0, v[32:33]
	v_cndmask_b32_e64 v35, v36, v35, s[6:7]
	v_cmp_nge_f64_e64 s[6:7], -1.0, v[32:33]
	v_cndmask_b32_e64 v34, 0, v34, s[6:7]
	v_mov_b32_e32 v36, 0xfff00000
	v_cmp_neq_f64_e64 s[6:7], -1.0, v[32:33]
	v_cndmask_b32_e64 v35, v36, v35, s[6:7]
	v_add_f64 v[46:47], v[30:31], v[34:35]
.LBB68_190:
	s_or_b64 exec, exec, s[10:11]
	v_max_f64 v[30:31], v[14:15], v[14:15]
	v_max_f64 v[32:33], v[46:47], v[46:47]
	v_min_f64 v[34:35], v[32:33], v[30:31]
	v_cmp_u_f64_e64 s[8:9], v[46:47], v[46:47]
	v_max_f64 v[32:33], v[32:33], v[30:31]
	v_cndmask_b32_e64 v34, v34, v46, s[8:9]
	v_cndmask_b32_e64 v35, v35, v47, s[8:9]
	v_cmp_u_f64_e64 s[6:7], v[14:15], v[14:15]
	v_cndmask_b32_e64 v32, v32, v46, s[8:9]
	v_cndmask_b32_e64 v33, v33, v47, s[8:9]
	;; [unrolled: 1-line block ×6, first 2 shown]
	v_cmp_neq_f64_e64 s[8:9], v[34:35], v[32:33]
	v_cmp_class_f64_e64 s[10:11], v[34:35], s16
	s_or_b64 s[8:9], s[8:9], s[10:11]
	s_and_saveexec_b64 s[12:13], s[8:9]
	s_cbranch_execz .LBB68_192
; %bb.191:
	s_mov_b32 s8, 0x652b82fe
	v_add_f64 v[34:35], v[34:35], -v[32:33]
	s_mov_b32 s9, 0x3ff71547
	v_mul_f64 v[36:37], v[34:35], s[8:9]
	v_rndne_f64_e32 v[36:37], v[36:37]
	s_mov_b32 s15, 0xbfe62e42
	s_mov_b32 s14, 0xfefa39ef
	v_fma_f64 v[38:39], s[14:15], v[36:37], v[34:35]
	s_mov_b32 s17, 0xbc7abc9e
	s_mov_b32 s16, 0x3b39803f
	;; [unrolled: 1-line block ×3, first 2 shown]
	v_fmac_f64_e32 v[38:39], s[16:17], v[36:37]
	v_mov_b32_e32 v40, 0xfca7ab0c
	v_mov_b32_e32 v41, 0x3e928af3
	s_mov_b32 s9, 0x3e5ade15
	v_fmac_f64_e32 v[40:41], s[8:9], v[38:39]
	v_mov_b32_e32 v46, 0x623fde64
	v_mov_b32_e32 v47, 0x3ec71dee
	v_fmac_f64_e32 v[46:47], v[38:39], v[40:41]
	v_mov_b32_e32 v40, 0x7c89e6b0
	v_mov_b32_e32 v41, 0x3efa0199
	;; [unrolled: 3-line block ×8, first 2 shown]
	v_fmac_f64_e32 v[40:41], v[38:39], v[46:47]
	v_fma_f64 v[40:41], v[38:39], v[40:41], 1.0
	s_mov_b32 s8, 0
	s_mov_b32 s10, 0
	v_fma_f64 v[38:39], v[38:39], v[40:41], 1.0
	v_cvt_i32_f64_e32 v36, v[36:37]
	s_mov_b32 s9, 0x40900000
	s_mov_b32 s11, 0xc090cc00
	v_ldexp_f64 v[36:37], v[38:39], v36
	v_mov_b32_e32 v38, 0x7ff00000
	v_cmp_nlt_f64_e64 s[8:9], s[8:9], v[34:35]
	v_cmp_ngt_f64_e64 s[10:11], s[10:11], v[34:35]
	v_cndmask_b32_e64 v37, v38, v37, s[8:9]
	s_and_b64 s[8:9], s[10:11], s[8:9]
	v_cndmask_b32_e64 v35, 0, v37, s[10:11]
	v_cndmask_b32_e64 v34, 0, v36, s[8:9]
	v_add_f64 v[36:37], v[34:35], 1.0
	v_add_f64 v[38:39], v[36:37], -1.0
	v_add_f64 v[40:41], v[38:39], -v[36:37]
	v_add_f64 v[40:41], v[40:41], 1.0
	v_add_f64 v[38:39], v[34:35], -v[38:39]
	s_mov_b32 s8, 0x55555555
	v_add_f64 v[38:39], v[38:39], v[40:41]
	v_frexp_mant_f64_e32 v[40:41], v[36:37]
	s_mov_b32 s9, 0x3fe55555
	v_frexp_exp_i32_f64_e32 v46, v[36:37]
	v_cmp_gt_f64_e64 s[8:9], s[8:9], v[40:41]
	v_subbrev_co_u32_e64 v60, s[8:9], 0, v46, s[8:9]
	v_sub_u32_e32 v40, 0, v60
	v_ldexp_f64 v[36:37], v[36:37], v40
	v_ldexp_f64 v[38:39], v[38:39], v40
	v_add_f64 v[40:41], v[36:37], -1.0
	v_add_f64 v[50:51], v[36:37], 1.0
	v_add_f64 v[46:47], v[40:41], 1.0
	v_add_f64 v[52:53], v[50:51], -1.0
	v_add_f64 v[46:47], v[36:37], -v[46:47]
	v_add_f64 v[36:37], v[36:37], -v[52:53]
	v_add_f64 v[36:37], v[38:39], v[36:37]
	v_add_f64 v[46:47], v[38:39], v[46:47]
	;; [unrolled: 1-line block ×3, first 2 shown]
	v_rcp_f64_e32 v[52:53], v[38:39]
	v_add_f64 v[48:49], v[40:41], v[46:47]
	v_add_f64 v[40:41], v[48:49], -v[40:41]
	v_add_f64 v[40:41], v[46:47], -v[40:41]
	;; [unrolled: 1-line block ×4, first 2 shown]
	v_fma_f64 v[46:47], -v[38:39], v[52:53], 1.0
	v_fmac_f64_e32 v[52:53], v[46:47], v[52:53]
	v_fma_f64 v[46:47], -v[38:39], v[52:53], 1.0
	v_fmac_f64_e32 v[52:53], v[46:47], v[52:53]
	v_mul_f64 v[46:47], v[48:49], v[52:53]
	v_mul_f64 v[50:51], v[38:39], v[46:47]
	v_fma_f64 v[54:55], v[46:47], v[38:39], -v[50:51]
	v_fmac_f64_e32 v[54:55], v[46:47], v[36:37]
	v_add_f64 v[56:57], v[50:51], v[54:55]
	v_add_f64 v[58:59], v[48:49], -v[56:57]
	v_add_f64 v[48:49], v[48:49], -v[58:59]
	;; [unrolled: 1-line block ×4, first 2 shown]
	v_add_f64 v[40:41], v[40:41], v[48:49]
	v_add_f64 v[48:49], v[50:51], -v[54:55]
	v_add_f64 v[40:41], v[48:49], v[40:41]
	v_add_f64 v[48:49], v[58:59], v[40:41]
	v_add_f64 v[50:51], v[58:59], -v[48:49]
	v_add_f64 v[40:41], v[40:41], v[50:51]
	v_mul_f64 v[50:51], v[52:53], v[48:49]
	v_mul_f64 v[54:55], v[38:39], v[50:51]
	v_fma_f64 v[38:39], v[50:51], v[38:39], -v[54:55]
	v_fmac_f64_e32 v[38:39], v[50:51], v[36:37]
	v_add_f64 v[36:37], v[54:55], v[38:39]
	v_add_f64 v[56:57], v[48:49], -v[36:37]
	v_add_f64 v[48:49], v[48:49], -v[56:57]
	;; [unrolled: 1-line block ×4, first 2 shown]
	v_add_f64 v[36:37], v[40:41], v[36:37]
	v_add_f64 v[38:39], v[54:55], -v[38:39]
	v_add_f64 v[36:37], v[38:39], v[36:37]
	v_add_f64 v[38:39], v[46:47], v[50:51]
	;; [unrolled: 1-line block ×3, first 2 shown]
	v_add_f64 v[40:41], v[38:39], -v[46:47]
	v_mul_f64 v[36:37], v[52:53], v[36:37]
	v_add_f64 v[40:41], v[50:51], -v[40:41]
	v_add_f64 v[36:37], v[40:41], v[36:37]
	v_add_f64 v[40:41], v[38:39], v[36:37]
	v_add_f64 v[38:39], v[40:41], -v[38:39]
	s_mov_b32 s8, 0xbf559e2b
	v_add_f64 v[36:37], v[36:37], -v[38:39]
	v_mul_f64 v[38:39], v[40:41], v[40:41]
	v_mov_b32_e32 v46, 0x6b47b09a
	v_mov_b32_e32 v47, 0x3fc38538
	s_mov_b32 s9, 0x3fc3ab76
	v_fmac_f64_e32 v[46:47], s[8:9], v[38:39]
	v_mov_b32_e32 v48, 0xd7f4df2e
	v_mov_b32_e32 v49, 0x3fc7474d
	v_fmac_f64_e32 v[48:49], v[38:39], v[46:47]
	v_mov_b32_e32 v46, 0x16291751
	v_mov_b32_e32 v47, 0x3fcc71c0
	;; [unrolled: 3-line block ×5, first 2 shown]
	v_fmac_f64_e32 v[48:49], v[38:39], v[46:47]
	v_cvt_f64_i32_e32 v[46:47], v60
	s_mov_b32 s15, 0x3fe62e42
	v_mul_f64 v[50:51], v[46:47], s[14:15]
	v_fma_f64 v[52:53], v[46:47], s[14:15], -v[50:51]
	s_mov_b32 s17, 0x3c7abc9e
	v_fmac_f64_e32 v[52:53], s[16:17], v[46:47]
	v_add_f64 v[46:47], v[50:51], v[52:53]
	v_add_f64 v[50:51], v[46:47], -v[50:51]
	v_mul_f64 v[38:39], v[40:41], v[38:39]
	v_add_f64 v[50:51], v[52:53], -v[50:51]
	v_ldexp_f64 v[52:53], v[40:41], 1
	v_mul_f64 v[38:39], v[38:39], v[48:49]
	v_add_f64 v[40:41], v[52:53], v[38:39]
	v_add_f64 v[48:49], v[40:41], -v[52:53]
	v_ldexp_f64 v[36:37], v[36:37], 1
	v_add_f64 v[38:39], v[38:39], -v[48:49]
	v_add_f64 v[36:37], v[36:37], v[38:39]
	v_add_f64 v[38:39], v[40:41], v[36:37]
	v_add_f64 v[40:41], v[38:39], -v[40:41]
	v_add_f64 v[36:37], v[36:37], -v[40:41]
	v_add_f64 v[40:41], v[46:47], v[38:39]
	v_add_f64 v[48:49], v[40:41], -v[46:47]
	v_add_f64 v[52:53], v[40:41], -v[48:49]
	;; [unrolled: 1-line block ×4, first 2 shown]
	v_add_f64 v[38:39], v[38:39], v[46:47]
	v_add_f64 v[46:47], v[50:51], v[36:37]
	v_add_f64 v[48:49], v[46:47], -v[50:51]
	v_add_f64 v[38:39], v[46:47], v[38:39]
	v_add_f64 v[52:53], v[46:47], -v[48:49]
	;; [unrolled: 2-line block ×3, first 2 shown]
	v_add_f64 v[36:37], v[36:37], -v[48:49]
	v_add_f64 v[40:41], v[46:47], -v[40:41]
	v_add_f64 v[36:37], v[36:37], v[50:51]
	v_add_f64 v[38:39], v[38:39], -v[40:41]
	s_mov_b32 s8, 0
	v_add_f64 v[36:37], v[36:37], v[38:39]
	s_mov_b32 s9, 0x7ff00000
	v_add_f64 v[36:37], v[46:47], v[36:37]
	v_cmp_eq_f64_e64 s[8:9], s[8:9], v[34:35]
	v_cndmask_b32_e64 v36, v36, v34, s[8:9]
	v_cndmask_b32_e64 v37, v37, v35, s[8:9]
	v_mov_b32_e32 v38, 0x7ff80000
	v_cmp_ngt_f64_e64 s[8:9], -1.0, v[34:35]
	v_cndmask_b32_e64 v37, v38, v37, s[8:9]
	v_cmp_nge_f64_e64 s[8:9], -1.0, v[34:35]
	v_cndmask_b32_e64 v36, 0, v36, s[8:9]
	v_mov_b32_e32 v38, 0xfff00000
	v_cmp_neq_f64_e64 s[8:9], -1.0, v[34:35]
	v_cndmask_b32_e64 v37, v38, v37, s[8:9]
	v_add_f64 v[46:47], v[32:33], v[36:37]
.LBB68_192:
	s_or_b64 exec, exec, s[12:13]
	v_max_f64 v[32:33], v[16:17], v[16:17]
	v_max_f64 v[34:35], v[46:47], v[46:47]
	v_min_f64 v[36:37], v[34:35], v[32:33]
	v_cmp_u_f64_e64 s[10:11], v[46:47], v[46:47]
	v_max_f64 v[34:35], v[34:35], v[32:33]
	v_cndmask_b32_e64 v36, v36, v46, s[10:11]
	v_cndmask_b32_e64 v37, v37, v47, s[10:11]
	v_cmp_u_f64_e64 s[8:9], v[16:17], v[16:17]
	v_cndmask_b32_e64 v34, v34, v46, s[10:11]
	v_cndmask_b32_e64 v35, v35, v47, s[10:11]
	;; [unrolled: 1-line block ×6, first 2 shown]
	s_movk_i32 s22, 0x1f8
	v_cmp_neq_f64_e64 s[10:11], v[36:37], v[34:35]
	v_cmp_class_f64_e64 s[12:13], v[36:37], s22
	s_or_b64 s[10:11], s[10:11], s[12:13]
	s_and_saveexec_b64 s[14:15], s[10:11]
	s_cbranch_execz .LBB68_194
; %bb.193:
	s_mov_b32 s10, 0x652b82fe
	v_add_f64 v[36:37], v[36:37], -v[34:35]
	s_mov_b32 s11, 0x3ff71547
	v_mul_f64 v[38:39], v[36:37], s[10:11]
	v_rndne_f64_e32 v[38:39], v[38:39]
	s_mov_b32 s17, 0xbfe62e42
	s_mov_b32 s16, 0xfefa39ef
	v_fma_f64 v[40:41], s[16:17], v[38:39], v[36:37]
	s_mov_b32 s21, 0xbc7abc9e
	s_mov_b32 s20, 0x3b39803f
	;; [unrolled: 1-line block ×3, first 2 shown]
	v_fmac_f64_e32 v[40:41], s[20:21], v[38:39]
	v_mov_b32_e32 v46, 0xfca7ab0c
	v_mov_b32_e32 v47, 0x3e928af3
	s_mov_b32 s11, 0x3e5ade15
	v_fmac_f64_e32 v[46:47], s[10:11], v[40:41]
	v_mov_b32_e32 v48, 0x623fde64
	v_mov_b32_e32 v49, 0x3ec71dee
	v_fmac_f64_e32 v[48:49], v[40:41], v[46:47]
	v_mov_b32_e32 v46, 0x7c89e6b0
	v_mov_b32_e32 v47, 0x3efa0199
	;; [unrolled: 3-line block ×8, first 2 shown]
	v_fmac_f64_e32 v[46:47], v[40:41], v[48:49]
	v_fma_f64 v[46:47], v[40:41], v[46:47], 1.0
	s_mov_b32 s10, 0
	s_mov_b32 s12, 0
	v_fma_f64 v[40:41], v[40:41], v[46:47], 1.0
	v_cvt_i32_f64_e32 v38, v[38:39]
	s_mov_b32 s11, 0x40900000
	s_mov_b32 s13, 0xc090cc00
	v_ldexp_f64 v[38:39], v[40:41], v38
	v_mov_b32_e32 v40, 0x7ff00000
	v_cmp_nlt_f64_e64 s[10:11], s[10:11], v[36:37]
	v_cmp_ngt_f64_e64 s[12:13], s[12:13], v[36:37]
	v_cndmask_b32_e64 v39, v40, v39, s[10:11]
	s_and_b64 s[10:11], s[12:13], s[10:11]
	v_cndmask_b32_e64 v37, 0, v39, s[12:13]
	v_cndmask_b32_e64 v36, 0, v38, s[10:11]
	v_add_f64 v[38:39], v[36:37], 1.0
	v_add_f64 v[40:41], v[38:39], -1.0
	v_add_f64 v[46:47], v[40:41], -v[38:39]
	v_add_f64 v[46:47], v[46:47], 1.0
	v_add_f64 v[40:41], v[36:37], -v[40:41]
	s_mov_b32 s10, 0x55555555
	v_add_f64 v[40:41], v[40:41], v[46:47]
	v_frexp_mant_f64_e32 v[46:47], v[38:39]
	s_mov_b32 s11, 0x3fe55555
	v_frexp_exp_i32_f64_e32 v48, v[38:39]
	v_cmp_gt_f64_e64 s[10:11], s[10:11], v[46:47]
	v_subbrev_co_u32_e64 v62, s[10:11], 0, v48, s[10:11]
	v_sub_u32_e32 v46, 0, v62
	v_ldexp_f64 v[38:39], v[38:39], v46
	v_ldexp_f64 v[40:41], v[40:41], v46
	v_add_f64 v[46:47], v[38:39], -1.0
	v_add_f64 v[52:53], v[38:39], 1.0
	v_add_f64 v[48:49], v[46:47], 1.0
	v_add_f64 v[54:55], v[52:53], -1.0
	v_add_f64 v[48:49], v[38:39], -v[48:49]
	v_add_f64 v[38:39], v[38:39], -v[54:55]
	v_add_f64 v[38:39], v[40:41], v[38:39]
	v_add_f64 v[48:49], v[40:41], v[48:49]
	;; [unrolled: 1-line block ×3, first 2 shown]
	v_rcp_f64_e32 v[54:55], v[40:41]
	v_add_f64 v[50:51], v[46:47], v[48:49]
	v_add_f64 v[46:47], v[50:51], -v[46:47]
	v_add_f64 v[46:47], v[48:49], -v[46:47]
	;; [unrolled: 1-line block ×4, first 2 shown]
	v_fma_f64 v[48:49], -v[40:41], v[54:55], 1.0
	v_fmac_f64_e32 v[54:55], v[48:49], v[54:55]
	v_fma_f64 v[48:49], -v[40:41], v[54:55], 1.0
	v_fmac_f64_e32 v[54:55], v[48:49], v[54:55]
	v_mul_f64 v[48:49], v[50:51], v[54:55]
	v_mul_f64 v[52:53], v[40:41], v[48:49]
	v_fma_f64 v[56:57], v[48:49], v[40:41], -v[52:53]
	v_fmac_f64_e32 v[56:57], v[48:49], v[38:39]
	v_add_f64 v[58:59], v[52:53], v[56:57]
	v_add_f64 v[60:61], v[50:51], -v[58:59]
	v_add_f64 v[50:51], v[50:51], -v[60:61]
	;; [unrolled: 1-line block ×4, first 2 shown]
	v_add_f64 v[46:47], v[46:47], v[50:51]
	v_add_f64 v[50:51], v[52:53], -v[56:57]
	v_add_f64 v[46:47], v[50:51], v[46:47]
	v_add_f64 v[50:51], v[60:61], v[46:47]
	v_add_f64 v[52:53], v[60:61], -v[50:51]
	v_add_f64 v[46:47], v[46:47], v[52:53]
	v_mul_f64 v[52:53], v[54:55], v[50:51]
	v_mul_f64 v[56:57], v[40:41], v[52:53]
	v_fma_f64 v[40:41], v[52:53], v[40:41], -v[56:57]
	v_fmac_f64_e32 v[40:41], v[52:53], v[38:39]
	v_add_f64 v[38:39], v[56:57], v[40:41]
	v_add_f64 v[58:59], v[50:51], -v[38:39]
	v_add_f64 v[50:51], v[50:51], -v[58:59]
	;; [unrolled: 1-line block ×4, first 2 shown]
	v_add_f64 v[38:39], v[46:47], v[38:39]
	v_add_f64 v[40:41], v[56:57], -v[40:41]
	v_add_f64 v[38:39], v[40:41], v[38:39]
	v_add_f64 v[40:41], v[48:49], v[52:53]
	;; [unrolled: 1-line block ×3, first 2 shown]
	v_add_f64 v[46:47], v[40:41], -v[48:49]
	v_mul_f64 v[38:39], v[54:55], v[38:39]
	v_add_f64 v[46:47], v[52:53], -v[46:47]
	v_add_f64 v[38:39], v[46:47], v[38:39]
	v_add_f64 v[46:47], v[40:41], v[38:39]
	v_add_f64 v[40:41], v[46:47], -v[40:41]
	s_mov_b32 s10, 0xbf559e2b
	v_add_f64 v[38:39], v[38:39], -v[40:41]
	v_mul_f64 v[40:41], v[46:47], v[46:47]
	v_mov_b32_e32 v48, 0x6b47b09a
	v_mov_b32_e32 v49, 0x3fc38538
	s_mov_b32 s11, 0x3fc3ab76
	v_fmac_f64_e32 v[48:49], s[10:11], v[40:41]
	v_mov_b32_e32 v50, 0xd7f4df2e
	v_mov_b32_e32 v51, 0x3fc7474d
	v_fmac_f64_e32 v[50:51], v[40:41], v[48:49]
	v_mov_b32_e32 v48, 0x16291751
	v_mov_b32_e32 v49, 0x3fcc71c0
	;; [unrolled: 3-line block ×5, first 2 shown]
	v_fmac_f64_e32 v[50:51], v[40:41], v[48:49]
	v_cvt_f64_i32_e32 v[48:49], v62
	s_mov_b32 s17, 0x3fe62e42
	v_mul_f64 v[52:53], v[48:49], s[16:17]
	v_fma_f64 v[54:55], v[48:49], s[16:17], -v[52:53]
	s_mov_b32 s21, 0x3c7abc9e
	v_fmac_f64_e32 v[54:55], s[20:21], v[48:49]
	v_add_f64 v[48:49], v[52:53], v[54:55]
	v_add_f64 v[52:53], v[48:49], -v[52:53]
	v_mul_f64 v[40:41], v[46:47], v[40:41]
	v_add_f64 v[52:53], v[54:55], -v[52:53]
	v_ldexp_f64 v[54:55], v[46:47], 1
	v_mul_f64 v[40:41], v[40:41], v[50:51]
	v_add_f64 v[46:47], v[54:55], v[40:41]
	v_add_f64 v[50:51], v[46:47], -v[54:55]
	v_ldexp_f64 v[38:39], v[38:39], 1
	v_add_f64 v[40:41], v[40:41], -v[50:51]
	v_add_f64 v[38:39], v[38:39], v[40:41]
	v_add_f64 v[40:41], v[46:47], v[38:39]
	v_add_f64 v[46:47], v[40:41], -v[46:47]
	v_add_f64 v[38:39], v[38:39], -v[46:47]
	v_add_f64 v[46:47], v[48:49], v[40:41]
	v_add_f64 v[50:51], v[46:47], -v[48:49]
	v_add_f64 v[54:55], v[46:47], -v[50:51]
	;; [unrolled: 1-line block ×4, first 2 shown]
	v_add_f64 v[40:41], v[40:41], v[48:49]
	v_add_f64 v[48:49], v[52:53], v[38:39]
	v_add_f64 v[50:51], v[48:49], -v[52:53]
	v_add_f64 v[40:41], v[48:49], v[40:41]
	v_add_f64 v[54:55], v[48:49], -v[50:51]
	;; [unrolled: 2-line block ×3, first 2 shown]
	v_add_f64 v[38:39], v[38:39], -v[50:51]
	v_add_f64 v[46:47], v[48:49], -v[46:47]
	v_add_f64 v[38:39], v[38:39], v[52:53]
	v_add_f64 v[40:41], v[40:41], -v[46:47]
	s_mov_b32 s10, 0
	v_add_f64 v[38:39], v[38:39], v[40:41]
	s_mov_b32 s11, 0x7ff00000
	v_add_f64 v[38:39], v[48:49], v[38:39]
	v_cmp_eq_f64_e64 s[10:11], s[10:11], v[36:37]
	v_cndmask_b32_e64 v38, v38, v36, s[10:11]
	v_cndmask_b32_e64 v39, v39, v37, s[10:11]
	v_mov_b32_e32 v40, 0x7ff80000
	v_cmp_ngt_f64_e64 s[10:11], -1.0, v[36:37]
	v_cndmask_b32_e64 v39, v40, v39, s[10:11]
	v_cmp_nge_f64_e64 s[10:11], -1.0, v[36:37]
	v_cndmask_b32_e64 v38, 0, v38, s[10:11]
	v_mov_b32_e32 v40, 0xfff00000
	v_cmp_neq_f64_e64 s[10:11], -1.0, v[36:37]
	v_cndmask_b32_e64 v39, v40, v39, s[10:11]
	v_add_f64 v[46:47], v[34:35], v[38:39]
.LBB68_194:
	s_or_b64 exec, exec, s[14:15]
	v_max_f64 v[34:35], v[10:11], v[10:11]
	v_max_f64 v[36:37], v[46:47], v[46:47]
	v_min_f64 v[38:39], v[36:37], v[34:35]
	v_cmp_u_f64_e64 s[12:13], v[46:47], v[46:47]
	v_max_f64 v[36:37], v[36:37], v[34:35]
	v_cndmask_b32_e64 v38, v38, v46, s[12:13]
	v_cndmask_b32_e64 v39, v39, v47, s[12:13]
	v_cmp_u_f64_e64 s[10:11], v[10:11], v[10:11]
	v_cndmask_b32_e64 v36, v36, v46, s[12:13]
	v_cndmask_b32_e64 v37, v37, v47, s[12:13]
	;; [unrolled: 1-line block ×6, first 2 shown]
	v_cmp_neq_f64_e64 s[12:13], v[38:39], v[36:37]
	v_cmp_class_f64_e64 s[14:15], v[38:39], s22
	s_or_b64 s[12:13], s[12:13], s[14:15]
	s_and_saveexec_b64 s[16:17], s[12:13]
	s_cbranch_execz .LBB68_196
; %bb.195:
	s_mov_b32 s12, 0x652b82fe
	v_add_f64 v[38:39], v[38:39], -v[36:37]
	s_mov_b32 s13, 0x3ff71547
	v_mul_f64 v[40:41], v[38:39], s[12:13]
	v_rndne_f64_e32 v[40:41], v[40:41]
	s_mov_b32 s21, 0xbfe62e42
	s_mov_b32 s20, 0xfefa39ef
	v_fma_f64 v[46:47], s[20:21], v[40:41], v[38:39]
	s_mov_b32 s23, 0xbc7abc9e
	s_mov_b32 s22, 0x3b39803f
	;; [unrolled: 1-line block ×3, first 2 shown]
	v_fmac_f64_e32 v[46:47], s[22:23], v[40:41]
	v_mov_b32_e32 v48, 0xfca7ab0c
	v_mov_b32_e32 v49, 0x3e928af3
	s_mov_b32 s13, 0x3e5ade15
	v_fmac_f64_e32 v[48:49], s[12:13], v[46:47]
	v_mov_b32_e32 v50, 0x623fde64
	v_mov_b32_e32 v51, 0x3ec71dee
	v_fmac_f64_e32 v[50:51], v[46:47], v[48:49]
	v_mov_b32_e32 v48, 0x7c89e6b0
	v_mov_b32_e32 v49, 0x3efa0199
	v_fmac_f64_e32 v[48:49], v[46:47], v[50:51]
	v_mov_b32_e32 v50, 0x14761f6e
	v_mov_b32_e32 v51, 0x3f2a01a0
	v_fmac_f64_e32 v[50:51], v[46:47], v[48:49]
	v_mov_b32_e32 v48, 0x1852b7b0
	v_mov_b32_e32 v49, 0x3f56c16c
	v_fmac_f64_e32 v[48:49], v[46:47], v[50:51]
	v_mov_b32_e32 v50, 0x11122322
	v_mov_b32_e32 v51, 0x3f811111
	v_fmac_f64_e32 v[50:51], v[46:47], v[48:49]
	v_mov_b32_e32 v48, 0x555502a1
	v_mov_b32_e32 v49, 0x3fa55555
	v_fmac_f64_e32 v[48:49], v[46:47], v[50:51]
	v_mov_b32_e32 v50, 0x55555511
	v_mov_b32_e32 v51, 0x3fc55555
	v_fmac_f64_e32 v[50:51], v[46:47], v[48:49]
	v_mov_b32_e32 v48, 11
	v_mov_b32_e32 v49, 0x3fe00000
	v_fmac_f64_e32 v[48:49], v[46:47], v[50:51]
	v_fma_f64 v[48:49], v[46:47], v[48:49], 1.0
	s_mov_b32 s12, 0
	s_mov_b32 s14, 0
	v_fma_f64 v[46:47], v[46:47], v[48:49], 1.0
	v_cvt_i32_f64_e32 v40, v[40:41]
	s_mov_b32 s13, 0x40900000
	s_mov_b32 s15, 0xc090cc00
	v_ldexp_f64 v[40:41], v[46:47], v40
	v_mov_b32_e32 v46, 0x7ff00000
	v_cmp_nlt_f64_e64 s[12:13], s[12:13], v[38:39]
	v_cmp_ngt_f64_e64 s[14:15], s[14:15], v[38:39]
	v_cndmask_b32_e64 v41, v46, v41, s[12:13]
	s_and_b64 s[12:13], s[14:15], s[12:13]
	v_cndmask_b32_e64 v39, 0, v41, s[14:15]
	v_cndmask_b32_e64 v38, 0, v40, s[12:13]
	v_add_f64 v[40:41], v[38:39], 1.0
	v_add_f64 v[46:47], v[40:41], -1.0
	v_add_f64 v[48:49], v[46:47], -v[40:41]
	v_add_f64 v[48:49], v[48:49], 1.0
	v_add_f64 v[46:47], v[38:39], -v[46:47]
	s_mov_b32 s12, 0x55555555
	v_add_f64 v[46:47], v[46:47], v[48:49]
	v_frexp_mant_f64_e32 v[48:49], v[40:41]
	s_mov_b32 s13, 0x3fe55555
	v_frexp_exp_i32_f64_e32 v50, v[40:41]
	v_cmp_gt_f64_e64 s[12:13], s[12:13], v[48:49]
	v_subbrev_co_u32_e64 v64, s[12:13], 0, v50, s[12:13]
	v_sub_u32_e32 v48, 0, v64
	v_ldexp_f64 v[40:41], v[40:41], v48
	v_ldexp_f64 v[46:47], v[46:47], v48
	v_add_f64 v[48:49], v[40:41], -1.0
	v_add_f64 v[54:55], v[40:41], 1.0
	v_add_f64 v[50:51], v[48:49], 1.0
	v_add_f64 v[56:57], v[54:55], -1.0
	v_add_f64 v[50:51], v[40:41], -v[50:51]
	v_add_f64 v[40:41], v[40:41], -v[56:57]
	v_add_f64 v[40:41], v[46:47], v[40:41]
	v_add_f64 v[50:51], v[46:47], v[50:51]
	;; [unrolled: 1-line block ×3, first 2 shown]
	v_rcp_f64_e32 v[56:57], v[46:47]
	v_add_f64 v[52:53], v[48:49], v[50:51]
	v_add_f64 v[48:49], v[52:53], -v[48:49]
	v_add_f64 v[48:49], v[50:51], -v[48:49]
	;; [unrolled: 1-line block ×4, first 2 shown]
	v_fma_f64 v[50:51], -v[46:47], v[56:57], 1.0
	v_fmac_f64_e32 v[56:57], v[50:51], v[56:57]
	v_fma_f64 v[50:51], -v[46:47], v[56:57], 1.0
	v_fmac_f64_e32 v[56:57], v[50:51], v[56:57]
	v_mul_f64 v[50:51], v[52:53], v[56:57]
	v_mul_f64 v[54:55], v[46:47], v[50:51]
	v_fma_f64 v[58:59], v[50:51], v[46:47], -v[54:55]
	v_fmac_f64_e32 v[58:59], v[50:51], v[40:41]
	v_add_f64 v[60:61], v[54:55], v[58:59]
	v_add_f64 v[62:63], v[52:53], -v[60:61]
	v_add_f64 v[52:53], v[52:53], -v[62:63]
	;; [unrolled: 1-line block ×4, first 2 shown]
	v_add_f64 v[48:49], v[48:49], v[52:53]
	v_add_f64 v[52:53], v[54:55], -v[58:59]
	v_add_f64 v[48:49], v[52:53], v[48:49]
	v_add_f64 v[52:53], v[62:63], v[48:49]
	v_add_f64 v[54:55], v[62:63], -v[52:53]
	v_add_f64 v[48:49], v[48:49], v[54:55]
	v_mul_f64 v[54:55], v[56:57], v[52:53]
	v_mul_f64 v[58:59], v[46:47], v[54:55]
	v_fma_f64 v[46:47], v[54:55], v[46:47], -v[58:59]
	v_fmac_f64_e32 v[46:47], v[54:55], v[40:41]
	v_add_f64 v[40:41], v[58:59], v[46:47]
	v_add_f64 v[60:61], v[52:53], -v[40:41]
	v_add_f64 v[52:53], v[52:53], -v[60:61]
	;; [unrolled: 1-line block ×4, first 2 shown]
	v_add_f64 v[40:41], v[48:49], v[40:41]
	v_add_f64 v[46:47], v[58:59], -v[46:47]
	v_add_f64 v[40:41], v[46:47], v[40:41]
	v_add_f64 v[46:47], v[50:51], v[54:55]
	v_add_f64 v[40:41], v[60:61], v[40:41]
	v_add_f64 v[48:49], v[46:47], -v[50:51]
	v_mul_f64 v[40:41], v[56:57], v[40:41]
	v_add_f64 v[48:49], v[54:55], -v[48:49]
	v_add_f64 v[40:41], v[48:49], v[40:41]
	v_add_f64 v[48:49], v[46:47], v[40:41]
	v_add_f64 v[46:47], v[48:49], -v[46:47]
	s_mov_b32 s12, 0xbf559e2b
	v_add_f64 v[40:41], v[40:41], -v[46:47]
	v_mul_f64 v[46:47], v[48:49], v[48:49]
	v_mov_b32_e32 v50, 0x6b47b09a
	v_mov_b32_e32 v51, 0x3fc38538
	s_mov_b32 s13, 0x3fc3ab76
	v_fmac_f64_e32 v[50:51], s[12:13], v[46:47]
	v_mov_b32_e32 v52, 0xd7f4df2e
	v_mov_b32_e32 v53, 0x3fc7474d
	v_fmac_f64_e32 v[52:53], v[46:47], v[50:51]
	v_mov_b32_e32 v50, 0x16291751
	v_mov_b32_e32 v51, 0x3fcc71c0
	;; [unrolled: 3-line block ×5, first 2 shown]
	v_fmac_f64_e32 v[52:53], v[46:47], v[50:51]
	v_cvt_f64_i32_e32 v[50:51], v64
	s_mov_b32 s21, 0x3fe62e42
	v_mul_f64 v[54:55], v[50:51], s[20:21]
	v_fma_f64 v[56:57], v[50:51], s[20:21], -v[54:55]
	s_mov_b32 s23, 0x3c7abc9e
	v_fmac_f64_e32 v[56:57], s[22:23], v[50:51]
	v_add_f64 v[50:51], v[54:55], v[56:57]
	v_add_f64 v[54:55], v[50:51], -v[54:55]
	v_mul_f64 v[46:47], v[48:49], v[46:47]
	v_add_f64 v[54:55], v[56:57], -v[54:55]
	v_ldexp_f64 v[56:57], v[48:49], 1
	v_mul_f64 v[46:47], v[46:47], v[52:53]
	v_add_f64 v[48:49], v[56:57], v[46:47]
	v_add_f64 v[52:53], v[48:49], -v[56:57]
	v_ldexp_f64 v[40:41], v[40:41], 1
	v_add_f64 v[46:47], v[46:47], -v[52:53]
	v_add_f64 v[40:41], v[40:41], v[46:47]
	v_add_f64 v[46:47], v[48:49], v[40:41]
	v_add_f64 v[48:49], v[46:47], -v[48:49]
	v_add_f64 v[40:41], v[40:41], -v[48:49]
	v_add_f64 v[48:49], v[50:51], v[46:47]
	v_add_f64 v[52:53], v[48:49], -v[50:51]
	v_add_f64 v[56:57], v[48:49], -v[52:53]
	;; [unrolled: 1-line block ×4, first 2 shown]
	v_add_f64 v[46:47], v[46:47], v[50:51]
	v_add_f64 v[50:51], v[54:55], v[40:41]
	v_add_f64 v[52:53], v[50:51], -v[54:55]
	v_add_f64 v[46:47], v[50:51], v[46:47]
	v_add_f64 v[56:57], v[50:51], -v[52:53]
	;; [unrolled: 2-line block ×3, first 2 shown]
	v_add_f64 v[40:41], v[40:41], -v[52:53]
	v_add_f64 v[48:49], v[50:51], -v[48:49]
	v_add_f64 v[40:41], v[40:41], v[54:55]
	v_add_f64 v[46:47], v[46:47], -v[48:49]
	s_mov_b32 s12, 0
	v_add_f64 v[40:41], v[40:41], v[46:47]
	s_mov_b32 s13, 0x7ff00000
	v_add_f64 v[40:41], v[50:51], v[40:41]
	v_cmp_eq_f64_e64 s[12:13], s[12:13], v[38:39]
	v_cndmask_b32_e64 v40, v40, v38, s[12:13]
	v_cndmask_b32_e64 v41, v41, v39, s[12:13]
	v_mov_b32_e32 v46, 0x7ff80000
	v_cmp_ngt_f64_e64 s[12:13], -1.0, v[38:39]
	v_cndmask_b32_e64 v41, v46, v41, s[12:13]
	v_cmp_nge_f64_e64 s[12:13], -1.0, v[38:39]
	v_cndmask_b32_e64 v40, 0, v40, s[12:13]
	v_mov_b32_e32 v46, 0xfff00000
	v_cmp_neq_f64_e64 s[12:13], -1.0, v[38:39]
	v_cndmask_b32_e64 v41, v46, v41, s[12:13]
	v_add_f64 v[46:47], v[36:37], v[40:41]
.LBB68_196:
	s_or_b64 exec, exec, s[16:17]
	v_max_f64 v[36:37], v[12:13], v[12:13]
	v_max_f64 v[38:39], v[46:47], v[46:47]
	v_min_f64 v[40:41], v[38:39], v[36:37]
	v_cmp_u_f64_e64 s[14:15], v[46:47], v[46:47]
	v_max_f64 v[38:39], v[38:39], v[36:37]
	v_cndmask_b32_e64 v40, v40, v46, s[14:15]
	v_cndmask_b32_e64 v41, v41, v47, s[14:15]
	v_cmp_u_f64_e64 s[12:13], v[12:13], v[12:13]
	v_cndmask_b32_e64 v38, v38, v46, s[14:15]
	v_cndmask_b32_e64 v39, v39, v47, s[14:15]
	v_cndmask_b32_e64 v41, v41, v13, s[12:13]
	v_cndmask_b32_e64 v40, v40, v12, s[12:13]
	v_cndmask_b32_e64 v39, v39, v13, s[12:13]
	v_cndmask_b32_e64 v38, v38, v12, s[12:13]
	s_movk_i32 s26, 0x1f8
	v_cmp_neq_f64_e64 s[14:15], v[40:41], v[38:39]
	v_cmp_class_f64_e64 s[16:17], v[40:41], s26
	s_or_b64 s[14:15], s[14:15], s[16:17]
	s_and_saveexec_b64 s[20:21], s[14:15]
	s_cbranch_execz .LBB68_198
; %bb.197:
	s_mov_b32 s14, 0x652b82fe
	v_add_f64 v[40:41], v[40:41], -v[38:39]
	s_mov_b32 s15, 0x3ff71547
	v_mul_f64 v[46:47], v[40:41], s[14:15]
	v_rndne_f64_e32 v[46:47], v[46:47]
	s_mov_b32 s23, 0xbfe62e42
	s_mov_b32 s22, 0xfefa39ef
	v_fma_f64 v[48:49], s[22:23], v[46:47], v[40:41]
	s_mov_b32 s25, 0xbc7abc9e
	s_mov_b32 s24, 0x3b39803f
	;; [unrolled: 1-line block ×3, first 2 shown]
	v_fmac_f64_e32 v[48:49], s[24:25], v[46:47]
	v_mov_b32_e32 v50, 0xfca7ab0c
	v_mov_b32_e32 v51, 0x3e928af3
	s_mov_b32 s15, 0x3e5ade15
	v_fmac_f64_e32 v[50:51], s[14:15], v[48:49]
	v_mov_b32_e32 v52, 0x623fde64
	v_mov_b32_e32 v53, 0x3ec71dee
	v_fmac_f64_e32 v[52:53], v[48:49], v[50:51]
	v_mov_b32_e32 v50, 0x7c89e6b0
	v_mov_b32_e32 v51, 0x3efa0199
	;; [unrolled: 3-line block ×8, first 2 shown]
	v_fmac_f64_e32 v[50:51], v[48:49], v[52:53]
	v_fma_f64 v[50:51], v[48:49], v[50:51], 1.0
	s_mov_b32 s14, 0
	s_mov_b32 s16, 0
	v_fma_f64 v[48:49], v[48:49], v[50:51], 1.0
	v_cvt_i32_f64_e32 v46, v[46:47]
	s_mov_b32 s15, 0x40900000
	s_mov_b32 s17, 0xc090cc00
	v_ldexp_f64 v[46:47], v[48:49], v46
	v_mov_b32_e32 v48, 0x7ff00000
	v_cmp_nlt_f64_e64 s[14:15], s[14:15], v[40:41]
	v_cmp_ngt_f64_e64 s[16:17], s[16:17], v[40:41]
	v_cndmask_b32_e64 v47, v48, v47, s[14:15]
	s_and_b64 s[14:15], s[16:17], s[14:15]
	v_cndmask_b32_e64 v41, 0, v47, s[16:17]
	v_cndmask_b32_e64 v40, 0, v46, s[14:15]
	v_add_f64 v[46:47], v[40:41], 1.0
	v_add_f64 v[48:49], v[46:47], -1.0
	v_add_f64 v[50:51], v[48:49], -v[46:47]
	v_add_f64 v[50:51], v[50:51], 1.0
	v_add_f64 v[48:49], v[40:41], -v[48:49]
	s_mov_b32 s14, 0x55555555
	v_add_f64 v[48:49], v[48:49], v[50:51]
	v_frexp_mant_f64_e32 v[50:51], v[46:47]
	s_mov_b32 s15, 0x3fe55555
	v_frexp_exp_i32_f64_e32 v52, v[46:47]
	v_cmp_gt_f64_e64 s[14:15], s[14:15], v[50:51]
	v_subbrev_co_u32_e64 v66, s[14:15], 0, v52, s[14:15]
	v_sub_u32_e32 v50, 0, v66
	v_ldexp_f64 v[46:47], v[46:47], v50
	v_ldexp_f64 v[48:49], v[48:49], v50
	v_add_f64 v[50:51], v[46:47], -1.0
	v_add_f64 v[56:57], v[46:47], 1.0
	v_add_f64 v[52:53], v[50:51], 1.0
	v_add_f64 v[58:59], v[56:57], -1.0
	v_add_f64 v[52:53], v[46:47], -v[52:53]
	v_add_f64 v[46:47], v[46:47], -v[58:59]
	v_add_f64 v[46:47], v[48:49], v[46:47]
	v_add_f64 v[52:53], v[48:49], v[52:53]
	;; [unrolled: 1-line block ×3, first 2 shown]
	v_rcp_f64_e32 v[58:59], v[48:49]
	v_add_f64 v[54:55], v[50:51], v[52:53]
	v_add_f64 v[50:51], v[54:55], -v[50:51]
	v_add_f64 v[50:51], v[52:53], -v[50:51]
	;; [unrolled: 1-line block ×4, first 2 shown]
	v_fma_f64 v[52:53], -v[48:49], v[58:59], 1.0
	v_fmac_f64_e32 v[58:59], v[52:53], v[58:59]
	v_fma_f64 v[52:53], -v[48:49], v[58:59], 1.0
	v_fmac_f64_e32 v[58:59], v[52:53], v[58:59]
	v_mul_f64 v[52:53], v[54:55], v[58:59]
	v_mul_f64 v[56:57], v[48:49], v[52:53]
	v_fma_f64 v[60:61], v[52:53], v[48:49], -v[56:57]
	v_fmac_f64_e32 v[60:61], v[52:53], v[46:47]
	v_add_f64 v[62:63], v[56:57], v[60:61]
	v_add_f64 v[64:65], v[54:55], -v[62:63]
	v_add_f64 v[54:55], v[54:55], -v[64:65]
	;; [unrolled: 1-line block ×4, first 2 shown]
	v_add_f64 v[50:51], v[50:51], v[54:55]
	v_add_f64 v[54:55], v[56:57], -v[60:61]
	v_add_f64 v[50:51], v[54:55], v[50:51]
	v_add_f64 v[54:55], v[64:65], v[50:51]
	v_add_f64 v[56:57], v[64:65], -v[54:55]
	v_add_f64 v[50:51], v[50:51], v[56:57]
	v_mul_f64 v[56:57], v[58:59], v[54:55]
	v_mul_f64 v[60:61], v[48:49], v[56:57]
	v_fma_f64 v[48:49], v[56:57], v[48:49], -v[60:61]
	v_fmac_f64_e32 v[48:49], v[56:57], v[46:47]
	v_add_f64 v[46:47], v[60:61], v[48:49]
	v_add_f64 v[62:63], v[54:55], -v[46:47]
	v_add_f64 v[54:55], v[54:55], -v[62:63]
	;; [unrolled: 1-line block ×4, first 2 shown]
	v_add_f64 v[46:47], v[50:51], v[46:47]
	v_add_f64 v[48:49], v[60:61], -v[48:49]
	v_add_f64 v[46:47], v[48:49], v[46:47]
	v_add_f64 v[48:49], v[52:53], v[56:57]
	;; [unrolled: 1-line block ×3, first 2 shown]
	v_add_f64 v[50:51], v[48:49], -v[52:53]
	v_mul_f64 v[46:47], v[58:59], v[46:47]
	v_add_f64 v[50:51], v[56:57], -v[50:51]
	v_add_f64 v[46:47], v[50:51], v[46:47]
	v_add_f64 v[50:51], v[48:49], v[46:47]
	v_add_f64 v[48:49], v[50:51], -v[48:49]
	s_mov_b32 s14, 0xbf559e2b
	v_add_f64 v[46:47], v[46:47], -v[48:49]
	v_mul_f64 v[48:49], v[50:51], v[50:51]
	v_mov_b32_e32 v52, 0x6b47b09a
	v_mov_b32_e32 v53, 0x3fc38538
	s_mov_b32 s15, 0x3fc3ab76
	v_fmac_f64_e32 v[52:53], s[14:15], v[48:49]
	v_mov_b32_e32 v54, 0xd7f4df2e
	v_mov_b32_e32 v55, 0x3fc7474d
	v_fmac_f64_e32 v[54:55], v[48:49], v[52:53]
	v_mov_b32_e32 v52, 0x16291751
	v_mov_b32_e32 v53, 0x3fcc71c0
	;; [unrolled: 3-line block ×5, first 2 shown]
	v_fmac_f64_e32 v[54:55], v[48:49], v[52:53]
	v_cvt_f64_i32_e32 v[52:53], v66
	s_mov_b32 s23, 0x3fe62e42
	v_mul_f64 v[56:57], v[52:53], s[22:23]
	v_fma_f64 v[58:59], v[52:53], s[22:23], -v[56:57]
	s_mov_b32 s25, 0x3c7abc9e
	v_fmac_f64_e32 v[58:59], s[24:25], v[52:53]
	v_add_f64 v[52:53], v[56:57], v[58:59]
	v_add_f64 v[56:57], v[52:53], -v[56:57]
	v_mul_f64 v[48:49], v[50:51], v[48:49]
	v_add_f64 v[56:57], v[58:59], -v[56:57]
	v_ldexp_f64 v[58:59], v[50:51], 1
	v_mul_f64 v[48:49], v[48:49], v[54:55]
	v_add_f64 v[50:51], v[58:59], v[48:49]
	v_add_f64 v[54:55], v[50:51], -v[58:59]
	v_ldexp_f64 v[46:47], v[46:47], 1
	v_add_f64 v[48:49], v[48:49], -v[54:55]
	v_add_f64 v[46:47], v[46:47], v[48:49]
	v_add_f64 v[48:49], v[50:51], v[46:47]
	v_add_f64 v[50:51], v[48:49], -v[50:51]
	v_add_f64 v[46:47], v[46:47], -v[50:51]
	v_add_f64 v[50:51], v[52:53], v[48:49]
	v_add_f64 v[54:55], v[50:51], -v[52:53]
	v_add_f64 v[58:59], v[50:51], -v[54:55]
	;; [unrolled: 1-line block ×4, first 2 shown]
	v_add_f64 v[48:49], v[48:49], v[52:53]
	v_add_f64 v[52:53], v[56:57], v[46:47]
	v_add_f64 v[54:55], v[52:53], -v[56:57]
	v_add_f64 v[48:49], v[52:53], v[48:49]
	v_add_f64 v[58:59], v[52:53], -v[54:55]
	;; [unrolled: 2-line block ×3, first 2 shown]
	v_add_f64 v[46:47], v[46:47], -v[54:55]
	v_add_f64 v[50:51], v[52:53], -v[50:51]
	v_add_f64 v[46:47], v[46:47], v[56:57]
	v_add_f64 v[48:49], v[48:49], -v[50:51]
	s_mov_b32 s14, 0
	v_add_f64 v[46:47], v[46:47], v[48:49]
	s_mov_b32 s15, 0x7ff00000
	v_add_f64 v[46:47], v[52:53], v[46:47]
	v_cmp_eq_f64_e64 s[14:15], s[14:15], v[40:41]
	v_cndmask_b32_e64 v46, v46, v40, s[14:15]
	v_cndmask_b32_e64 v47, v47, v41, s[14:15]
	v_mov_b32_e32 v48, 0x7ff80000
	v_cmp_ngt_f64_e64 s[14:15], -1.0, v[40:41]
	v_cndmask_b32_e64 v47, v48, v47, s[14:15]
	v_cmp_nge_f64_e64 s[14:15], -1.0, v[40:41]
	v_cndmask_b32_e64 v46, 0, v46, s[14:15]
	v_mov_b32_e32 v48, 0xfff00000
	v_cmp_neq_f64_e64 s[14:15], -1.0, v[40:41]
	v_cndmask_b32_e64 v47, v48, v47, s[14:15]
	v_add_f64 v[46:47], v[38:39], v[46:47]
.LBB68_198:
	s_or_b64 exec, exec, s[20:21]
	v_max_f64 v[38:39], v[6:7], v[6:7]
	v_max_f64 v[40:41], v[46:47], v[46:47]
	v_min_f64 v[48:49], v[40:41], v[38:39]
	v_cmp_u_f64_e64 s[16:17], v[46:47], v[46:47]
	v_max_f64 v[40:41], v[40:41], v[38:39]
	v_cndmask_b32_e64 v48, v48, v46, s[16:17]
	v_cndmask_b32_e64 v49, v49, v47, s[16:17]
	v_cmp_u_f64_e64 s[14:15], v[6:7], v[6:7]
	v_cndmask_b32_e64 v40, v40, v46, s[16:17]
	v_cndmask_b32_e64 v41, v41, v47, s[16:17]
	;; [unrolled: 1-line block ×6, first 2 shown]
	v_cmp_neq_f64_e64 s[16:17], v[48:49], v[40:41]
	v_cmp_class_f64_e64 s[20:21], v[48:49], s26
	s_or_b64 s[16:17], s[16:17], s[20:21]
	s_and_saveexec_b64 s[22:23], s[16:17]
	s_cbranch_execz .LBB68_200
; %bb.199:
	s_mov_b32 s16, 0x652b82fe
	v_add_f64 v[46:47], v[48:49], -v[40:41]
	s_mov_b32 s17, 0x3ff71547
	v_mul_f64 v[48:49], v[46:47], s[16:17]
	v_rndne_f64_e32 v[48:49], v[48:49]
	s_mov_b32 s25, 0xbfe62e42
	s_mov_b32 s24, 0xfefa39ef
	v_fma_f64 v[50:51], s[24:25], v[48:49], v[46:47]
	s_mov_b32 s27, 0xbc7abc9e
	s_mov_b32 s26, 0x3b39803f
	;; [unrolled: 1-line block ×3, first 2 shown]
	v_fmac_f64_e32 v[50:51], s[26:27], v[48:49]
	v_mov_b32_e32 v52, 0xfca7ab0c
	v_mov_b32_e32 v53, 0x3e928af3
	s_mov_b32 s17, 0x3e5ade15
	v_fmac_f64_e32 v[52:53], s[16:17], v[50:51]
	v_mov_b32_e32 v54, 0x623fde64
	v_mov_b32_e32 v55, 0x3ec71dee
	v_fmac_f64_e32 v[54:55], v[50:51], v[52:53]
	v_mov_b32_e32 v52, 0x7c89e6b0
	v_mov_b32_e32 v53, 0x3efa0199
	;; [unrolled: 3-line block ×8, first 2 shown]
	v_fmac_f64_e32 v[52:53], v[50:51], v[54:55]
	v_fma_f64 v[52:53], v[50:51], v[52:53], 1.0
	s_mov_b32 s16, 0
	s_mov_b32 s20, 0
	v_fma_f64 v[50:51], v[50:51], v[52:53], 1.0
	v_cvt_i32_f64_e32 v48, v[48:49]
	s_mov_b32 s17, 0x40900000
	s_mov_b32 s21, 0xc090cc00
	v_ldexp_f64 v[48:49], v[50:51], v48
	v_mov_b32_e32 v50, 0x7ff00000
	v_cmp_nlt_f64_e64 s[16:17], s[16:17], v[46:47]
	v_cmp_ngt_f64_e64 s[20:21], s[20:21], v[46:47]
	v_cndmask_b32_e64 v49, v50, v49, s[16:17]
	s_and_b64 s[16:17], s[20:21], s[16:17]
	v_cndmask_b32_e64 v47, 0, v49, s[20:21]
	v_cndmask_b32_e64 v46, 0, v48, s[16:17]
	v_add_f64 v[48:49], v[46:47], 1.0
	v_add_f64 v[50:51], v[48:49], -1.0
	v_add_f64 v[52:53], v[50:51], -v[48:49]
	v_add_f64 v[52:53], v[52:53], 1.0
	v_add_f64 v[50:51], v[46:47], -v[50:51]
	s_mov_b32 s16, 0x55555555
	v_add_f64 v[50:51], v[50:51], v[52:53]
	v_frexp_mant_f64_e32 v[52:53], v[48:49]
	s_mov_b32 s17, 0x3fe55555
	v_frexp_exp_i32_f64_e32 v54, v[48:49]
	v_cmp_gt_f64_e64 s[16:17], s[16:17], v[52:53]
	v_subbrev_co_u32_e64 v68, s[16:17], 0, v54, s[16:17]
	v_sub_u32_e32 v52, 0, v68
	v_ldexp_f64 v[48:49], v[48:49], v52
	v_ldexp_f64 v[50:51], v[50:51], v52
	v_add_f64 v[52:53], v[48:49], -1.0
	v_add_f64 v[58:59], v[48:49], 1.0
	v_add_f64 v[54:55], v[52:53], 1.0
	v_add_f64 v[60:61], v[58:59], -1.0
	v_add_f64 v[54:55], v[48:49], -v[54:55]
	v_add_f64 v[48:49], v[48:49], -v[60:61]
	v_add_f64 v[48:49], v[50:51], v[48:49]
	v_add_f64 v[54:55], v[50:51], v[54:55]
	;; [unrolled: 1-line block ×3, first 2 shown]
	v_rcp_f64_e32 v[60:61], v[50:51]
	v_add_f64 v[56:57], v[52:53], v[54:55]
	v_add_f64 v[52:53], v[56:57], -v[52:53]
	v_add_f64 v[52:53], v[54:55], -v[52:53]
	;; [unrolled: 1-line block ×4, first 2 shown]
	v_fma_f64 v[54:55], -v[50:51], v[60:61], 1.0
	v_fmac_f64_e32 v[60:61], v[54:55], v[60:61]
	v_fma_f64 v[54:55], -v[50:51], v[60:61], 1.0
	v_fmac_f64_e32 v[60:61], v[54:55], v[60:61]
	v_mul_f64 v[54:55], v[56:57], v[60:61]
	v_mul_f64 v[58:59], v[50:51], v[54:55]
	v_fma_f64 v[62:63], v[54:55], v[50:51], -v[58:59]
	v_fmac_f64_e32 v[62:63], v[54:55], v[48:49]
	v_add_f64 v[64:65], v[58:59], v[62:63]
	v_add_f64 v[66:67], v[56:57], -v[64:65]
	v_add_f64 v[56:57], v[56:57], -v[66:67]
	;; [unrolled: 1-line block ×4, first 2 shown]
	v_add_f64 v[52:53], v[52:53], v[56:57]
	v_add_f64 v[56:57], v[58:59], -v[62:63]
	v_add_f64 v[52:53], v[56:57], v[52:53]
	v_add_f64 v[56:57], v[66:67], v[52:53]
	v_add_f64 v[58:59], v[66:67], -v[56:57]
	v_add_f64 v[52:53], v[52:53], v[58:59]
	v_mul_f64 v[58:59], v[60:61], v[56:57]
	v_mul_f64 v[62:63], v[50:51], v[58:59]
	v_fma_f64 v[50:51], v[58:59], v[50:51], -v[62:63]
	v_fmac_f64_e32 v[50:51], v[58:59], v[48:49]
	v_add_f64 v[48:49], v[62:63], v[50:51]
	v_add_f64 v[64:65], v[56:57], -v[48:49]
	v_add_f64 v[56:57], v[56:57], -v[64:65]
	;; [unrolled: 1-line block ×4, first 2 shown]
	v_add_f64 v[48:49], v[52:53], v[48:49]
	v_add_f64 v[50:51], v[62:63], -v[50:51]
	v_add_f64 v[48:49], v[50:51], v[48:49]
	v_add_f64 v[50:51], v[54:55], v[58:59]
	;; [unrolled: 1-line block ×3, first 2 shown]
	v_add_f64 v[52:53], v[50:51], -v[54:55]
	v_mul_f64 v[48:49], v[60:61], v[48:49]
	v_add_f64 v[52:53], v[58:59], -v[52:53]
	v_add_f64 v[48:49], v[52:53], v[48:49]
	v_add_f64 v[52:53], v[50:51], v[48:49]
	v_add_f64 v[50:51], v[52:53], -v[50:51]
	s_mov_b32 s16, 0xbf559e2b
	v_add_f64 v[48:49], v[48:49], -v[50:51]
	v_mul_f64 v[50:51], v[52:53], v[52:53]
	v_mov_b32_e32 v54, 0x6b47b09a
	v_mov_b32_e32 v55, 0x3fc38538
	s_mov_b32 s17, 0x3fc3ab76
	v_fmac_f64_e32 v[54:55], s[16:17], v[50:51]
	v_mov_b32_e32 v56, 0xd7f4df2e
	v_mov_b32_e32 v57, 0x3fc7474d
	v_fmac_f64_e32 v[56:57], v[50:51], v[54:55]
	v_mov_b32_e32 v54, 0x16291751
	v_mov_b32_e32 v55, 0x3fcc71c0
	;; [unrolled: 3-line block ×5, first 2 shown]
	v_fmac_f64_e32 v[56:57], v[50:51], v[54:55]
	v_cvt_f64_i32_e32 v[54:55], v68
	s_mov_b32 s25, 0x3fe62e42
	v_mul_f64 v[58:59], v[54:55], s[24:25]
	v_fma_f64 v[60:61], v[54:55], s[24:25], -v[58:59]
	s_mov_b32 s27, 0x3c7abc9e
	v_fmac_f64_e32 v[60:61], s[26:27], v[54:55]
	v_add_f64 v[54:55], v[58:59], v[60:61]
	v_add_f64 v[58:59], v[54:55], -v[58:59]
	v_mul_f64 v[50:51], v[52:53], v[50:51]
	v_add_f64 v[58:59], v[60:61], -v[58:59]
	v_ldexp_f64 v[60:61], v[52:53], 1
	v_mul_f64 v[50:51], v[50:51], v[56:57]
	v_add_f64 v[52:53], v[60:61], v[50:51]
	v_add_f64 v[56:57], v[52:53], -v[60:61]
	v_ldexp_f64 v[48:49], v[48:49], 1
	v_add_f64 v[50:51], v[50:51], -v[56:57]
	v_add_f64 v[48:49], v[48:49], v[50:51]
	v_add_f64 v[50:51], v[52:53], v[48:49]
	v_add_f64 v[52:53], v[50:51], -v[52:53]
	v_add_f64 v[48:49], v[48:49], -v[52:53]
	v_add_f64 v[52:53], v[54:55], v[50:51]
	v_add_f64 v[56:57], v[52:53], -v[54:55]
	v_add_f64 v[60:61], v[52:53], -v[56:57]
	;; [unrolled: 1-line block ×4, first 2 shown]
	v_add_f64 v[50:51], v[50:51], v[54:55]
	v_add_f64 v[54:55], v[58:59], v[48:49]
	v_add_f64 v[56:57], v[54:55], -v[58:59]
	v_add_f64 v[50:51], v[54:55], v[50:51]
	v_add_f64 v[60:61], v[54:55], -v[56:57]
	;; [unrolled: 2-line block ×3, first 2 shown]
	v_add_f64 v[48:49], v[48:49], -v[56:57]
	v_add_f64 v[52:53], v[54:55], -v[52:53]
	v_add_f64 v[48:49], v[48:49], v[58:59]
	v_add_f64 v[50:51], v[50:51], -v[52:53]
	s_mov_b32 s16, 0
	v_add_f64 v[48:49], v[48:49], v[50:51]
	s_mov_b32 s17, 0x7ff00000
	v_add_f64 v[48:49], v[54:55], v[48:49]
	v_cmp_eq_f64_e64 s[16:17], s[16:17], v[46:47]
	v_cndmask_b32_e64 v48, v48, v46, s[16:17]
	v_cndmask_b32_e64 v49, v49, v47, s[16:17]
	v_mov_b32_e32 v50, 0x7ff80000
	v_cmp_ngt_f64_e64 s[16:17], -1.0, v[46:47]
	v_cndmask_b32_e64 v49, v50, v49, s[16:17]
	v_cmp_nge_f64_e64 s[16:17], -1.0, v[46:47]
	v_cndmask_b32_e64 v48, 0, v48, s[16:17]
	v_mov_b32_e32 v50, 0xfff00000
	v_cmp_neq_f64_e64 s[16:17], -1.0, v[46:47]
	v_cndmask_b32_e64 v49, v50, v49, s[16:17]
	v_add_f64 v[46:47], v[40:41], v[48:49]
.LBB68_200:
	s_or_b64 exec, exec, s[22:23]
	v_max_f64 v[40:41], v[8:9], v[8:9]
	v_max_f64 v[48:49], v[46:47], v[46:47]
	v_min_f64 v[50:51], v[48:49], v[40:41]
	v_cmp_u_f64_e64 s[20:21], v[46:47], v[46:47]
	v_max_f64 v[48:49], v[48:49], v[40:41]
	v_cndmask_b32_e64 v50, v50, v46, s[20:21]
	v_cndmask_b32_e64 v51, v51, v47, s[20:21]
	v_cmp_u_f64_e64 s[16:17], v[8:9], v[8:9]
	v_cndmask_b32_e64 v48, v48, v46, s[20:21]
	v_cndmask_b32_e64 v49, v49, v47, s[20:21]
	;; [unrolled: 1-line block ×6, first 2 shown]
	s_movk_i32 s22, 0x1f8
	v_cmp_neq_f64_e64 s[20:21], v[50:51], v[48:49]
	v_cmp_class_f64_e64 s[22:23], v[50:51], s22
	s_or_b64 s[20:21], s[20:21], s[22:23]
	s_and_saveexec_b64 s[24:25], s[20:21]
	s_cbranch_execz .LBB68_202
; %bb.201:
	s_mov_b32 s20, 0x652b82fe
	v_add_f64 v[46:47], v[50:51], -v[48:49]
	s_mov_b32 s21, 0x3ff71547
	v_mul_f64 v[50:51], v[46:47], s[20:21]
	v_rndne_f64_e32 v[50:51], v[50:51]
	s_mov_b32 s27, 0xbfe62e42
	s_mov_b32 s26, 0xfefa39ef
	v_fma_f64 v[52:53], s[26:27], v[50:51], v[46:47]
	s_mov_b32 s37, 0xbc7abc9e
	s_mov_b32 s36, 0x3b39803f
	;; [unrolled: 1-line block ×3, first 2 shown]
	v_fmac_f64_e32 v[52:53], s[36:37], v[50:51]
	v_mov_b32_e32 v54, 0xfca7ab0c
	v_mov_b32_e32 v55, 0x3e928af3
	s_mov_b32 s21, 0x3e5ade15
	v_fmac_f64_e32 v[54:55], s[20:21], v[52:53]
	v_mov_b32_e32 v56, 0x623fde64
	v_mov_b32_e32 v57, 0x3ec71dee
	v_fmac_f64_e32 v[56:57], v[52:53], v[54:55]
	v_mov_b32_e32 v54, 0x7c89e6b0
	v_mov_b32_e32 v55, 0x3efa0199
	;; [unrolled: 3-line block ×8, first 2 shown]
	v_fmac_f64_e32 v[54:55], v[52:53], v[56:57]
	v_fma_f64 v[54:55], v[52:53], v[54:55], 1.0
	s_mov_b32 s20, 0
	s_mov_b32 s22, 0
	v_fma_f64 v[52:53], v[52:53], v[54:55], 1.0
	v_cvt_i32_f64_e32 v50, v[50:51]
	s_mov_b32 s21, 0x40900000
	s_mov_b32 s23, 0xc090cc00
	v_ldexp_f64 v[50:51], v[52:53], v50
	v_mov_b32_e32 v52, 0x7ff00000
	v_cmp_nlt_f64_e64 s[20:21], s[20:21], v[46:47]
	v_cmp_ngt_f64_e64 s[22:23], s[22:23], v[46:47]
	v_cndmask_b32_e64 v51, v52, v51, s[20:21]
	s_and_b64 s[20:21], s[22:23], s[20:21]
	v_cndmask_b32_e64 v47, 0, v51, s[22:23]
	v_cndmask_b32_e64 v46, 0, v50, s[20:21]
	v_add_f64 v[50:51], v[46:47], 1.0
	v_add_f64 v[52:53], v[50:51], -1.0
	v_add_f64 v[54:55], v[52:53], -v[50:51]
	v_add_f64 v[54:55], v[54:55], 1.0
	v_add_f64 v[52:53], v[46:47], -v[52:53]
	s_mov_b32 s20, 0x55555555
	v_add_f64 v[52:53], v[52:53], v[54:55]
	v_frexp_mant_f64_e32 v[54:55], v[50:51]
	s_mov_b32 s21, 0x3fe55555
	v_frexp_exp_i32_f64_e32 v56, v[50:51]
	v_cmp_gt_f64_e64 s[20:21], s[20:21], v[54:55]
	v_subbrev_co_u32_e64 v70, s[20:21], 0, v56, s[20:21]
	v_sub_u32_e32 v54, 0, v70
	v_ldexp_f64 v[50:51], v[50:51], v54
	v_ldexp_f64 v[52:53], v[52:53], v54
	v_add_f64 v[54:55], v[50:51], -1.0
	v_add_f64 v[60:61], v[50:51], 1.0
	v_add_f64 v[56:57], v[54:55], 1.0
	v_add_f64 v[62:63], v[60:61], -1.0
	v_add_f64 v[56:57], v[50:51], -v[56:57]
	v_add_f64 v[50:51], v[50:51], -v[62:63]
	v_add_f64 v[50:51], v[52:53], v[50:51]
	v_add_f64 v[56:57], v[52:53], v[56:57]
	v_add_f64 v[52:53], v[60:61], v[50:51]
	v_rcp_f64_e32 v[62:63], v[52:53]
	v_add_f64 v[58:59], v[54:55], v[56:57]
	v_add_f64 v[54:55], v[58:59], -v[54:55]
	v_add_f64 v[54:55], v[56:57], -v[54:55]
	;; [unrolled: 1-line block ×4, first 2 shown]
	v_fma_f64 v[56:57], -v[52:53], v[62:63], 1.0
	v_fmac_f64_e32 v[62:63], v[56:57], v[62:63]
	v_fma_f64 v[56:57], -v[52:53], v[62:63], 1.0
	v_fmac_f64_e32 v[62:63], v[56:57], v[62:63]
	v_mul_f64 v[56:57], v[58:59], v[62:63]
	v_mul_f64 v[60:61], v[52:53], v[56:57]
	v_fma_f64 v[64:65], v[56:57], v[52:53], -v[60:61]
	v_fmac_f64_e32 v[64:65], v[56:57], v[50:51]
	v_add_f64 v[66:67], v[60:61], v[64:65]
	v_add_f64 v[68:69], v[58:59], -v[66:67]
	v_add_f64 v[58:59], v[58:59], -v[68:69]
	v_add_f64 v[60:61], v[66:67], -v[60:61]
	v_add_f64 v[58:59], v[58:59], -v[66:67]
	v_add_f64 v[54:55], v[54:55], v[58:59]
	v_add_f64 v[58:59], v[60:61], -v[64:65]
	v_add_f64 v[54:55], v[58:59], v[54:55]
	v_add_f64 v[58:59], v[68:69], v[54:55]
	v_add_f64 v[60:61], v[68:69], -v[58:59]
	v_add_f64 v[54:55], v[54:55], v[60:61]
	v_mul_f64 v[60:61], v[62:63], v[58:59]
	v_mul_f64 v[64:65], v[52:53], v[60:61]
	v_fma_f64 v[52:53], v[60:61], v[52:53], -v[64:65]
	v_fmac_f64_e32 v[52:53], v[60:61], v[50:51]
	v_add_f64 v[50:51], v[64:65], v[52:53]
	v_add_f64 v[66:67], v[58:59], -v[50:51]
	v_add_f64 v[58:59], v[58:59], -v[66:67]
	;; [unrolled: 1-line block ×4, first 2 shown]
	v_add_f64 v[50:51], v[54:55], v[50:51]
	v_add_f64 v[52:53], v[64:65], -v[52:53]
	v_add_f64 v[50:51], v[52:53], v[50:51]
	v_add_f64 v[52:53], v[56:57], v[60:61]
	v_add_f64 v[50:51], v[66:67], v[50:51]
	v_add_f64 v[54:55], v[52:53], -v[56:57]
	v_mul_f64 v[50:51], v[62:63], v[50:51]
	v_add_f64 v[54:55], v[60:61], -v[54:55]
	v_add_f64 v[50:51], v[54:55], v[50:51]
	v_add_f64 v[54:55], v[52:53], v[50:51]
	v_add_f64 v[52:53], v[54:55], -v[52:53]
	s_mov_b32 s20, 0xbf559e2b
	v_add_f64 v[50:51], v[50:51], -v[52:53]
	v_mul_f64 v[52:53], v[54:55], v[54:55]
	v_mov_b32_e32 v56, 0x6b47b09a
	v_mov_b32_e32 v57, 0x3fc38538
	s_mov_b32 s21, 0x3fc3ab76
	v_fmac_f64_e32 v[56:57], s[20:21], v[52:53]
	v_mov_b32_e32 v58, 0xd7f4df2e
	v_mov_b32_e32 v59, 0x3fc7474d
	v_fmac_f64_e32 v[58:59], v[52:53], v[56:57]
	v_mov_b32_e32 v56, 0x16291751
	v_mov_b32_e32 v57, 0x3fcc71c0
	;; [unrolled: 3-line block ×5, first 2 shown]
	v_fmac_f64_e32 v[58:59], v[52:53], v[56:57]
	v_cvt_f64_i32_e32 v[56:57], v70
	s_mov_b32 s27, 0x3fe62e42
	v_mul_f64 v[60:61], v[56:57], s[26:27]
	v_fma_f64 v[62:63], v[56:57], s[26:27], -v[60:61]
	s_mov_b32 s37, 0x3c7abc9e
	v_fmac_f64_e32 v[62:63], s[36:37], v[56:57]
	v_add_f64 v[56:57], v[60:61], v[62:63]
	v_add_f64 v[60:61], v[56:57], -v[60:61]
	v_mul_f64 v[52:53], v[54:55], v[52:53]
	v_add_f64 v[60:61], v[62:63], -v[60:61]
	v_ldexp_f64 v[62:63], v[54:55], 1
	v_mul_f64 v[52:53], v[52:53], v[58:59]
	v_add_f64 v[54:55], v[62:63], v[52:53]
	v_add_f64 v[58:59], v[54:55], -v[62:63]
	v_ldexp_f64 v[50:51], v[50:51], 1
	v_add_f64 v[52:53], v[52:53], -v[58:59]
	v_add_f64 v[50:51], v[50:51], v[52:53]
	v_add_f64 v[52:53], v[54:55], v[50:51]
	v_add_f64 v[54:55], v[52:53], -v[54:55]
	v_add_f64 v[50:51], v[50:51], -v[54:55]
	v_add_f64 v[54:55], v[56:57], v[52:53]
	v_add_f64 v[58:59], v[54:55], -v[56:57]
	v_add_f64 v[62:63], v[54:55], -v[58:59]
	;; [unrolled: 1-line block ×4, first 2 shown]
	v_add_f64 v[52:53], v[52:53], v[56:57]
	v_add_f64 v[56:57], v[60:61], v[50:51]
	v_add_f64 v[58:59], v[56:57], -v[60:61]
	v_add_f64 v[52:53], v[56:57], v[52:53]
	v_add_f64 v[62:63], v[56:57], -v[58:59]
	v_add_f64 v[56:57], v[54:55], v[52:53]
	v_add_f64 v[60:61], v[60:61], -v[62:63]
	v_add_f64 v[50:51], v[50:51], -v[58:59]
	v_add_f64 v[54:55], v[56:57], -v[54:55]
	v_add_f64 v[50:51], v[50:51], v[60:61]
	v_add_f64 v[52:53], v[52:53], -v[54:55]
	s_mov_b32 s20, 0
	v_add_f64 v[50:51], v[50:51], v[52:53]
	s_mov_b32 s21, 0x7ff00000
	v_add_f64 v[50:51], v[56:57], v[50:51]
	v_cmp_eq_f64_e64 s[20:21], s[20:21], v[46:47]
	v_cndmask_b32_e64 v50, v50, v46, s[20:21]
	v_cndmask_b32_e64 v51, v51, v47, s[20:21]
	v_mov_b32_e32 v52, 0x7ff80000
	v_cmp_ngt_f64_e64 s[20:21], -1.0, v[46:47]
	v_cndmask_b32_e64 v51, v52, v51, s[20:21]
	v_cmp_nge_f64_e64 s[20:21], -1.0, v[46:47]
	v_cndmask_b32_e64 v50, 0, v50, s[20:21]
	v_mov_b32_e32 v52, 0xfff00000
	v_cmp_neq_f64_e64 s[20:21], -1.0, v[46:47]
	v_cndmask_b32_e64 v51, v52, v51, s[20:21]
	v_add_f64 v[46:47], v[48:49], v[50:51]
.LBB68_202:
	s_or_b64 exec, exec, s[24:25]
	v_mbcnt_lo_u32_b32 v48, -1, 0
	v_mbcnt_hi_u32_b32 v54, -1, v48
	v_and_b32_e32 v52, 15, v54
	v_mov_b32_dpp v48, v46 row_shr:1 row_mask:0xf bank_mask:0xf
	v_mov_b32_dpp v49, v47 row_shr:1 row_mask:0xf bank_mask:0xf
	v_cmp_ne_u32_e64 s[20:21], 0, v52
	v_mov_b32_e32 v50, v46
	v_mov_b32_e32 v51, v47
	s_and_saveexec_b64 s[24:25], s[20:21]
	s_cbranch_execz .LBB68_206
; %bb.203:
	v_max_f64 v[56:57], v[48:49], v[48:49]
	v_max_f64 v[58:59], v[46:47], v[46:47]
	v_min_f64 v[50:51], v[56:57], v[58:59]
	v_cmp_u_f64_e64 s[20:21], v[48:49], v[48:49]
	v_max_f64 v[56:57], v[56:57], v[58:59]
	v_cndmask_b32_e64 v50, v50, v48, s[20:21]
	v_cndmask_b32_e64 v51, v51, v49, s[20:21]
	v_cmp_u_f64_e64 s[22:23], v[46:47], v[46:47]
	v_cndmask_b32_e64 v53, v56, v48, s[20:21]
	v_cndmask_b32_e64 v55, v57, v49, s[20:21]
	;; [unrolled: 1-line block ×6, first 2 shown]
	s_movk_i32 s22, 0x1f8
	v_cmp_neq_f64_e64 s[20:21], v[50:51], v[46:47]
	v_cmp_class_f64_e64 s[22:23], v[50:51], s22
	s_or_b64 s[20:21], s[20:21], s[22:23]
	s_and_saveexec_b64 s[26:27], s[20:21]
	s_cbranch_execz .LBB68_205
; %bb.204:
	s_mov_b32 s20, 0x652b82fe
	v_add_f64 v[48:49], v[50:51], -v[46:47]
	s_mov_b32 s21, 0x3ff71547
	v_mul_f64 v[50:51], v[48:49], s[20:21]
	v_rndne_f64_e32 v[50:51], v[50:51]
	s_mov_b32 s37, 0xbfe62e42
	s_mov_b32 s36, 0xfefa39ef
	v_fma_f64 v[56:57], s[36:37], v[50:51], v[48:49]
	s_mov_b32 s41, 0xbc7abc9e
	s_mov_b32 s40, 0x3b39803f
	;; [unrolled: 1-line block ×3, first 2 shown]
	v_fmac_f64_e32 v[56:57], s[40:41], v[50:51]
	v_mov_b32_e32 v58, 0xfca7ab0c
	v_mov_b32_e32 v59, 0x3e928af3
	s_mov_b32 s21, 0x3e5ade15
	v_fmac_f64_e32 v[58:59], s[20:21], v[56:57]
	v_mov_b32_e32 v60, 0x623fde64
	v_mov_b32_e32 v61, 0x3ec71dee
	v_fmac_f64_e32 v[60:61], v[56:57], v[58:59]
	v_mov_b32_e32 v58, 0x7c89e6b0
	v_mov_b32_e32 v59, 0x3efa0199
	;; [unrolled: 3-line block ×8, first 2 shown]
	v_fmac_f64_e32 v[58:59], v[56:57], v[60:61]
	v_fma_f64 v[58:59], v[56:57], v[58:59], 1.0
	s_mov_b32 s20, 0
	s_mov_b32 s22, 0
	v_fma_f64 v[56:57], v[56:57], v[58:59], 1.0
	v_cvt_i32_f64_e32 v50, v[50:51]
	s_mov_b32 s21, 0x40900000
	s_mov_b32 s23, 0xc090cc00
	v_ldexp_f64 v[50:51], v[56:57], v50
	v_mov_b32_e32 v53, 0x7ff00000
	v_cmp_nlt_f64_e64 s[20:21], s[20:21], v[48:49]
	v_cmp_ngt_f64_e64 s[22:23], s[22:23], v[48:49]
	v_cndmask_b32_e64 v51, v53, v51, s[20:21]
	s_and_b64 s[20:21], s[22:23], s[20:21]
	v_cndmask_b32_e64 v49, 0, v51, s[22:23]
	v_cndmask_b32_e64 v48, 0, v50, s[20:21]
	v_add_f64 v[50:51], v[48:49], 1.0
	v_add_f64 v[56:57], v[50:51], -1.0
	v_add_f64 v[58:59], v[56:57], -v[50:51]
	v_add_f64 v[58:59], v[58:59], 1.0
	v_add_f64 v[56:57], v[48:49], -v[56:57]
	s_mov_b32 s20, 0x55555555
	v_add_f64 v[56:57], v[56:57], v[58:59]
	v_frexp_mant_f64_e32 v[58:59], v[50:51]
	s_mov_b32 s21, 0x3fe55555
	v_frexp_exp_i32_f64_e32 v53, v[50:51]
	v_cmp_gt_f64_e64 s[20:21], s[20:21], v[58:59]
	v_subbrev_co_u32_e64 v53, s[20:21], 0, v53, s[20:21]
	v_sub_u32_e32 v55, 0, v53
	v_ldexp_f64 v[50:51], v[50:51], v55
	v_add_f64 v[58:59], v[50:51], -1.0
	v_add_f64 v[64:65], v[50:51], 1.0
	v_add_f64 v[60:61], v[58:59], 1.0
	v_add_f64 v[66:67], v[64:65], -1.0
	v_ldexp_f64 v[56:57], v[56:57], v55
	v_add_f64 v[60:61], v[50:51], -v[60:61]
	v_add_f64 v[50:51], v[50:51], -v[66:67]
	v_add_f64 v[50:51], v[56:57], v[50:51]
	v_add_f64 v[60:61], v[56:57], v[60:61]
	v_add_f64 v[56:57], v[64:65], v[50:51]
	v_rcp_f64_e32 v[66:67], v[56:57]
	v_add_f64 v[62:63], v[58:59], v[60:61]
	v_add_f64 v[58:59], v[62:63], -v[58:59]
	v_add_f64 v[58:59], v[60:61], -v[58:59]
	v_add_f64 v[60:61], v[56:57], -v[64:65]
	v_add_f64 v[50:51], v[50:51], -v[60:61]
	v_fma_f64 v[60:61], -v[56:57], v[66:67], 1.0
	v_fmac_f64_e32 v[66:67], v[60:61], v[66:67]
	v_fma_f64 v[60:61], -v[56:57], v[66:67], 1.0
	v_fmac_f64_e32 v[66:67], v[60:61], v[66:67]
	v_mul_f64 v[60:61], v[62:63], v[66:67]
	v_mul_f64 v[64:65], v[56:57], v[60:61]
	v_fma_f64 v[68:69], v[60:61], v[56:57], -v[64:65]
	v_fmac_f64_e32 v[68:69], v[60:61], v[50:51]
	v_add_f64 v[70:71], v[64:65], v[68:69]
	v_add_f64 v[72:73], v[62:63], -v[70:71]
	v_add_f64 v[62:63], v[62:63], -v[72:73]
	;; [unrolled: 1-line block ×4, first 2 shown]
	v_add_f64 v[58:59], v[58:59], v[62:63]
	v_add_f64 v[62:63], v[64:65], -v[68:69]
	v_add_f64 v[58:59], v[62:63], v[58:59]
	v_add_f64 v[62:63], v[72:73], v[58:59]
	v_add_f64 v[64:65], v[72:73], -v[62:63]
	v_add_f64 v[58:59], v[58:59], v[64:65]
	v_mul_f64 v[64:65], v[66:67], v[62:63]
	v_mul_f64 v[68:69], v[56:57], v[64:65]
	v_fma_f64 v[56:57], v[64:65], v[56:57], -v[68:69]
	v_fmac_f64_e32 v[56:57], v[64:65], v[50:51]
	v_add_f64 v[50:51], v[68:69], v[56:57]
	v_add_f64 v[70:71], v[62:63], -v[50:51]
	v_add_f64 v[62:63], v[62:63], -v[70:71]
	v_add_f64 v[68:69], v[50:51], -v[68:69]
	v_add_f64 v[50:51], v[62:63], -v[50:51]
	v_add_f64 v[50:51], v[58:59], v[50:51]
	v_add_f64 v[56:57], v[68:69], -v[56:57]
	v_add_f64 v[50:51], v[56:57], v[50:51]
	v_add_f64 v[56:57], v[60:61], v[64:65]
	;; [unrolled: 1-line block ×3, first 2 shown]
	v_add_f64 v[58:59], v[56:57], -v[60:61]
	v_mul_f64 v[50:51], v[66:67], v[50:51]
	v_add_f64 v[58:59], v[64:65], -v[58:59]
	v_add_f64 v[50:51], v[58:59], v[50:51]
	v_add_f64 v[58:59], v[56:57], v[50:51]
	v_add_f64 v[56:57], v[58:59], -v[56:57]
	s_mov_b32 s20, 0xbf559e2b
	v_add_f64 v[50:51], v[50:51], -v[56:57]
	v_mul_f64 v[56:57], v[58:59], v[58:59]
	v_mov_b32_e32 v60, 0x6b47b09a
	v_mov_b32_e32 v61, 0x3fc38538
	s_mov_b32 s21, 0x3fc3ab76
	v_fmac_f64_e32 v[60:61], s[20:21], v[56:57]
	v_mov_b32_e32 v62, 0xd7f4df2e
	v_mov_b32_e32 v63, 0x3fc7474d
	v_fmac_f64_e32 v[62:63], v[56:57], v[60:61]
	v_mov_b32_e32 v60, 0x16291751
	v_mov_b32_e32 v61, 0x3fcc71c0
	;; [unrolled: 3-line block ×5, first 2 shown]
	v_fmac_f64_e32 v[62:63], v[56:57], v[60:61]
	v_cvt_f64_i32_e32 v[60:61], v53
	s_mov_b32 s37, 0x3fe62e42
	v_mul_f64 v[64:65], v[60:61], s[36:37]
	v_fma_f64 v[66:67], v[60:61], s[36:37], -v[64:65]
	s_mov_b32 s41, 0x3c7abc9e
	v_fmac_f64_e32 v[66:67], s[40:41], v[60:61]
	v_add_f64 v[60:61], v[64:65], v[66:67]
	v_add_f64 v[64:65], v[60:61], -v[64:65]
	v_mul_f64 v[56:57], v[58:59], v[56:57]
	v_add_f64 v[64:65], v[66:67], -v[64:65]
	v_ldexp_f64 v[66:67], v[58:59], 1
	v_mul_f64 v[56:57], v[56:57], v[62:63]
	v_add_f64 v[58:59], v[66:67], v[56:57]
	v_add_f64 v[62:63], v[58:59], -v[66:67]
	v_ldexp_f64 v[50:51], v[50:51], 1
	v_add_f64 v[56:57], v[56:57], -v[62:63]
	v_add_f64 v[50:51], v[50:51], v[56:57]
	v_add_f64 v[56:57], v[58:59], v[50:51]
	v_add_f64 v[58:59], v[56:57], -v[58:59]
	v_add_f64 v[50:51], v[50:51], -v[58:59]
	v_add_f64 v[58:59], v[60:61], v[56:57]
	v_add_f64 v[62:63], v[58:59], -v[60:61]
	v_add_f64 v[66:67], v[58:59], -v[62:63]
	;; [unrolled: 1-line block ×4, first 2 shown]
	v_add_f64 v[56:57], v[56:57], v[60:61]
	v_add_f64 v[60:61], v[64:65], v[50:51]
	v_add_f64 v[62:63], v[60:61], -v[64:65]
	v_add_f64 v[56:57], v[60:61], v[56:57]
	v_add_f64 v[66:67], v[60:61], -v[62:63]
	;; [unrolled: 2-line block ×3, first 2 shown]
	v_add_f64 v[50:51], v[50:51], -v[62:63]
	v_add_f64 v[58:59], v[60:61], -v[58:59]
	v_add_f64 v[50:51], v[50:51], v[64:65]
	v_add_f64 v[56:57], v[56:57], -v[58:59]
	s_mov_b32 s20, 0
	v_add_f64 v[50:51], v[50:51], v[56:57]
	s_mov_b32 s21, 0x7ff00000
	v_add_f64 v[50:51], v[60:61], v[50:51]
	v_cmp_eq_f64_e64 s[20:21], s[20:21], v[48:49]
	v_cndmask_b32_e64 v50, v50, v48, s[20:21]
	v_cndmask_b32_e64 v51, v51, v49, s[20:21]
	v_mov_b32_e32 v53, 0x7ff80000
	v_cmp_ngt_f64_e64 s[20:21], -1.0, v[48:49]
	v_cndmask_b32_e64 v51, v53, v51, s[20:21]
	v_cmp_nge_f64_e64 s[20:21], -1.0, v[48:49]
	v_cndmask_b32_e64 v50, 0, v50, s[20:21]
	v_mov_b32_e32 v53, 0xfff00000
	v_cmp_neq_f64_e64 s[20:21], -1.0, v[48:49]
	v_cndmask_b32_e64 v51, v53, v51, s[20:21]
	v_add_f64 v[48:49], v[46:47], v[50:51]
.LBB68_205:
	s_or_b64 exec, exec, s[26:27]
	v_mov_b32_e32 v50, v48
	v_mov_b32_e32 v51, v49
	v_pk_mov_b32 v[46:47], v[48:49], v[48:49] op_sel:[0,1]
.LBB68_206:
	s_or_b64 exec, exec, s[24:25]
	v_mov_b32_dpp v48, v50 row_shr:2 row_mask:0xf bank_mask:0xf
	v_mov_b32_dpp v49, v51 row_shr:2 row_mask:0xf bank_mask:0xf
	v_cmp_lt_u32_e64 s[20:21], 1, v52
	s_and_saveexec_b64 s[24:25], s[20:21]
	s_cbranch_execz .LBB68_210
; %bb.207:
	v_max_f64 v[56:57], v[48:49], v[48:49]
	v_max_f64 v[58:59], v[46:47], v[46:47]
	v_min_f64 v[50:51], v[56:57], v[58:59]
	v_cmp_u_f64_e64 s[20:21], v[48:49], v[48:49]
	v_max_f64 v[56:57], v[56:57], v[58:59]
	v_cndmask_b32_e64 v50, v50, v48, s[20:21]
	v_cndmask_b32_e64 v51, v51, v49, s[20:21]
	v_cmp_u_f64_e64 s[22:23], v[46:47], v[46:47]
	v_cndmask_b32_e64 v53, v56, v48, s[20:21]
	v_cndmask_b32_e64 v55, v57, v49, s[20:21]
	;; [unrolled: 1-line block ×6, first 2 shown]
	s_movk_i32 s22, 0x1f8
	v_cmp_neq_f64_e64 s[20:21], v[50:51], v[46:47]
	v_cmp_class_f64_e64 s[22:23], v[50:51], s22
	s_or_b64 s[20:21], s[20:21], s[22:23]
	s_and_saveexec_b64 s[26:27], s[20:21]
	s_cbranch_execz .LBB68_209
; %bb.208:
	s_mov_b32 s20, 0x652b82fe
	v_add_f64 v[48:49], v[50:51], -v[46:47]
	s_mov_b32 s21, 0x3ff71547
	v_mul_f64 v[50:51], v[48:49], s[20:21]
	v_rndne_f64_e32 v[50:51], v[50:51]
	s_mov_b32 s37, 0xbfe62e42
	s_mov_b32 s36, 0xfefa39ef
	v_fma_f64 v[56:57], s[36:37], v[50:51], v[48:49]
	s_mov_b32 s41, 0xbc7abc9e
	s_mov_b32 s40, 0x3b39803f
	s_mov_b32 s20, 0x6a5dcb37
	v_fmac_f64_e32 v[56:57], s[40:41], v[50:51]
	v_mov_b32_e32 v58, 0xfca7ab0c
	v_mov_b32_e32 v59, 0x3e928af3
	s_mov_b32 s21, 0x3e5ade15
	v_fmac_f64_e32 v[58:59], s[20:21], v[56:57]
	v_mov_b32_e32 v60, 0x623fde64
	v_mov_b32_e32 v61, 0x3ec71dee
	v_fmac_f64_e32 v[60:61], v[56:57], v[58:59]
	v_mov_b32_e32 v58, 0x7c89e6b0
	v_mov_b32_e32 v59, 0x3efa0199
	;; [unrolled: 3-line block ×8, first 2 shown]
	v_fmac_f64_e32 v[58:59], v[56:57], v[60:61]
	v_fma_f64 v[58:59], v[56:57], v[58:59], 1.0
	s_mov_b32 s20, 0
	s_mov_b32 s22, 0
	v_fma_f64 v[56:57], v[56:57], v[58:59], 1.0
	v_cvt_i32_f64_e32 v50, v[50:51]
	s_mov_b32 s21, 0x40900000
	s_mov_b32 s23, 0xc090cc00
	v_ldexp_f64 v[50:51], v[56:57], v50
	v_mov_b32_e32 v53, 0x7ff00000
	v_cmp_nlt_f64_e64 s[20:21], s[20:21], v[48:49]
	v_cmp_ngt_f64_e64 s[22:23], s[22:23], v[48:49]
	v_cndmask_b32_e64 v51, v53, v51, s[20:21]
	s_and_b64 s[20:21], s[22:23], s[20:21]
	v_cndmask_b32_e64 v49, 0, v51, s[22:23]
	v_cndmask_b32_e64 v48, 0, v50, s[20:21]
	v_add_f64 v[50:51], v[48:49], 1.0
	v_add_f64 v[56:57], v[50:51], -1.0
	v_add_f64 v[58:59], v[56:57], -v[50:51]
	v_add_f64 v[58:59], v[58:59], 1.0
	v_add_f64 v[56:57], v[48:49], -v[56:57]
	s_mov_b32 s20, 0x55555555
	v_add_f64 v[56:57], v[56:57], v[58:59]
	v_frexp_mant_f64_e32 v[58:59], v[50:51]
	s_mov_b32 s21, 0x3fe55555
	v_frexp_exp_i32_f64_e32 v53, v[50:51]
	v_cmp_gt_f64_e64 s[20:21], s[20:21], v[58:59]
	v_subbrev_co_u32_e64 v53, s[20:21], 0, v53, s[20:21]
	v_sub_u32_e32 v55, 0, v53
	v_ldexp_f64 v[50:51], v[50:51], v55
	v_add_f64 v[58:59], v[50:51], -1.0
	v_add_f64 v[64:65], v[50:51], 1.0
	v_add_f64 v[60:61], v[58:59], 1.0
	v_add_f64 v[66:67], v[64:65], -1.0
	v_ldexp_f64 v[56:57], v[56:57], v55
	v_add_f64 v[60:61], v[50:51], -v[60:61]
	v_add_f64 v[50:51], v[50:51], -v[66:67]
	v_add_f64 v[50:51], v[56:57], v[50:51]
	v_add_f64 v[60:61], v[56:57], v[60:61]
	;; [unrolled: 1-line block ×3, first 2 shown]
	v_rcp_f64_e32 v[66:67], v[56:57]
	v_add_f64 v[62:63], v[58:59], v[60:61]
	v_add_f64 v[58:59], v[62:63], -v[58:59]
	v_add_f64 v[58:59], v[60:61], -v[58:59]
	;; [unrolled: 1-line block ×4, first 2 shown]
	v_fma_f64 v[60:61], -v[56:57], v[66:67], 1.0
	v_fmac_f64_e32 v[66:67], v[60:61], v[66:67]
	v_fma_f64 v[60:61], -v[56:57], v[66:67], 1.0
	v_fmac_f64_e32 v[66:67], v[60:61], v[66:67]
	v_mul_f64 v[60:61], v[62:63], v[66:67]
	v_mul_f64 v[64:65], v[56:57], v[60:61]
	v_fma_f64 v[68:69], v[60:61], v[56:57], -v[64:65]
	v_fmac_f64_e32 v[68:69], v[60:61], v[50:51]
	v_add_f64 v[70:71], v[64:65], v[68:69]
	v_add_f64 v[72:73], v[62:63], -v[70:71]
	v_add_f64 v[62:63], v[62:63], -v[72:73]
	;; [unrolled: 1-line block ×4, first 2 shown]
	v_add_f64 v[58:59], v[58:59], v[62:63]
	v_add_f64 v[62:63], v[64:65], -v[68:69]
	v_add_f64 v[58:59], v[62:63], v[58:59]
	v_add_f64 v[62:63], v[72:73], v[58:59]
	v_add_f64 v[64:65], v[72:73], -v[62:63]
	v_add_f64 v[58:59], v[58:59], v[64:65]
	v_mul_f64 v[64:65], v[66:67], v[62:63]
	v_mul_f64 v[68:69], v[56:57], v[64:65]
	v_fma_f64 v[56:57], v[64:65], v[56:57], -v[68:69]
	v_fmac_f64_e32 v[56:57], v[64:65], v[50:51]
	v_add_f64 v[50:51], v[68:69], v[56:57]
	v_add_f64 v[70:71], v[62:63], -v[50:51]
	v_add_f64 v[62:63], v[62:63], -v[70:71]
	;; [unrolled: 1-line block ×4, first 2 shown]
	v_add_f64 v[50:51], v[58:59], v[50:51]
	v_add_f64 v[56:57], v[68:69], -v[56:57]
	v_add_f64 v[50:51], v[56:57], v[50:51]
	v_add_f64 v[56:57], v[60:61], v[64:65]
	;; [unrolled: 1-line block ×3, first 2 shown]
	v_add_f64 v[58:59], v[56:57], -v[60:61]
	v_mul_f64 v[50:51], v[66:67], v[50:51]
	v_add_f64 v[58:59], v[64:65], -v[58:59]
	v_add_f64 v[50:51], v[58:59], v[50:51]
	v_add_f64 v[58:59], v[56:57], v[50:51]
	v_add_f64 v[56:57], v[58:59], -v[56:57]
	s_mov_b32 s20, 0xbf559e2b
	v_add_f64 v[50:51], v[50:51], -v[56:57]
	v_mul_f64 v[56:57], v[58:59], v[58:59]
	v_mov_b32_e32 v60, 0x6b47b09a
	v_mov_b32_e32 v61, 0x3fc38538
	s_mov_b32 s21, 0x3fc3ab76
	v_fmac_f64_e32 v[60:61], s[20:21], v[56:57]
	v_mov_b32_e32 v62, 0xd7f4df2e
	v_mov_b32_e32 v63, 0x3fc7474d
	v_fmac_f64_e32 v[62:63], v[56:57], v[60:61]
	v_mov_b32_e32 v60, 0x16291751
	v_mov_b32_e32 v61, 0x3fcc71c0
	;; [unrolled: 3-line block ×5, first 2 shown]
	v_fmac_f64_e32 v[62:63], v[56:57], v[60:61]
	v_cvt_f64_i32_e32 v[60:61], v53
	s_mov_b32 s37, 0x3fe62e42
	v_mul_f64 v[64:65], v[60:61], s[36:37]
	v_fma_f64 v[66:67], v[60:61], s[36:37], -v[64:65]
	s_mov_b32 s41, 0x3c7abc9e
	v_fmac_f64_e32 v[66:67], s[40:41], v[60:61]
	v_add_f64 v[60:61], v[64:65], v[66:67]
	v_add_f64 v[64:65], v[60:61], -v[64:65]
	v_mul_f64 v[56:57], v[58:59], v[56:57]
	v_add_f64 v[64:65], v[66:67], -v[64:65]
	v_ldexp_f64 v[66:67], v[58:59], 1
	v_mul_f64 v[56:57], v[56:57], v[62:63]
	v_add_f64 v[58:59], v[66:67], v[56:57]
	v_add_f64 v[62:63], v[58:59], -v[66:67]
	v_ldexp_f64 v[50:51], v[50:51], 1
	v_add_f64 v[56:57], v[56:57], -v[62:63]
	v_add_f64 v[50:51], v[50:51], v[56:57]
	v_add_f64 v[56:57], v[58:59], v[50:51]
	v_add_f64 v[58:59], v[56:57], -v[58:59]
	v_add_f64 v[50:51], v[50:51], -v[58:59]
	v_add_f64 v[58:59], v[60:61], v[56:57]
	v_add_f64 v[62:63], v[58:59], -v[60:61]
	v_add_f64 v[66:67], v[58:59], -v[62:63]
	;; [unrolled: 1-line block ×4, first 2 shown]
	v_add_f64 v[56:57], v[56:57], v[60:61]
	v_add_f64 v[60:61], v[64:65], v[50:51]
	v_add_f64 v[62:63], v[60:61], -v[64:65]
	v_add_f64 v[56:57], v[60:61], v[56:57]
	v_add_f64 v[66:67], v[60:61], -v[62:63]
	;; [unrolled: 2-line block ×3, first 2 shown]
	v_add_f64 v[50:51], v[50:51], -v[62:63]
	v_add_f64 v[58:59], v[60:61], -v[58:59]
	v_add_f64 v[50:51], v[50:51], v[64:65]
	v_add_f64 v[56:57], v[56:57], -v[58:59]
	s_mov_b32 s20, 0
	v_add_f64 v[50:51], v[50:51], v[56:57]
	s_mov_b32 s21, 0x7ff00000
	v_add_f64 v[50:51], v[60:61], v[50:51]
	v_cmp_eq_f64_e64 s[20:21], s[20:21], v[48:49]
	v_cndmask_b32_e64 v50, v50, v48, s[20:21]
	v_cndmask_b32_e64 v51, v51, v49, s[20:21]
	v_mov_b32_e32 v53, 0x7ff80000
	v_cmp_ngt_f64_e64 s[20:21], -1.0, v[48:49]
	v_cndmask_b32_e64 v51, v53, v51, s[20:21]
	v_cmp_nge_f64_e64 s[20:21], -1.0, v[48:49]
	v_cndmask_b32_e64 v50, 0, v50, s[20:21]
	v_mov_b32_e32 v53, 0xfff00000
	v_cmp_neq_f64_e64 s[20:21], -1.0, v[48:49]
	v_cndmask_b32_e64 v51, v53, v51, s[20:21]
	v_add_f64 v[48:49], v[46:47], v[50:51]
.LBB68_209:
	s_or_b64 exec, exec, s[26:27]
	v_pk_mov_b32 v[46:47], v[48:49], v[48:49] op_sel:[0,1]
	v_mov_b32_e32 v50, v48
	v_mov_b32_e32 v51, v49
.LBB68_210:
	s_or_b64 exec, exec, s[24:25]
	v_mov_b32_dpp v48, v50 row_shr:4 row_mask:0xf bank_mask:0xf
	v_mov_b32_dpp v49, v51 row_shr:4 row_mask:0xf bank_mask:0xf
	v_cmp_lt_u32_e64 s[20:21], 3, v52
	s_and_saveexec_b64 s[24:25], s[20:21]
	s_cbranch_execz .LBB68_214
; %bb.211:
	v_max_f64 v[56:57], v[48:49], v[48:49]
	v_max_f64 v[58:59], v[46:47], v[46:47]
	v_min_f64 v[50:51], v[56:57], v[58:59]
	v_cmp_u_f64_e64 s[20:21], v[48:49], v[48:49]
	v_max_f64 v[56:57], v[56:57], v[58:59]
	v_cndmask_b32_e64 v50, v50, v48, s[20:21]
	v_cndmask_b32_e64 v51, v51, v49, s[20:21]
	v_cmp_u_f64_e64 s[22:23], v[46:47], v[46:47]
	v_cndmask_b32_e64 v53, v56, v48, s[20:21]
	v_cndmask_b32_e64 v55, v57, v49, s[20:21]
	;; [unrolled: 1-line block ×6, first 2 shown]
	s_movk_i32 s22, 0x1f8
	v_cmp_neq_f64_e64 s[20:21], v[50:51], v[46:47]
	v_cmp_class_f64_e64 s[22:23], v[50:51], s22
	s_or_b64 s[20:21], s[20:21], s[22:23]
	s_and_saveexec_b64 s[26:27], s[20:21]
	s_cbranch_execz .LBB68_213
; %bb.212:
	s_mov_b32 s20, 0x652b82fe
	v_add_f64 v[48:49], v[50:51], -v[46:47]
	s_mov_b32 s21, 0x3ff71547
	v_mul_f64 v[50:51], v[48:49], s[20:21]
	v_rndne_f64_e32 v[50:51], v[50:51]
	s_mov_b32 s37, 0xbfe62e42
	s_mov_b32 s36, 0xfefa39ef
	v_fma_f64 v[56:57], s[36:37], v[50:51], v[48:49]
	s_mov_b32 s41, 0xbc7abc9e
	s_mov_b32 s40, 0x3b39803f
	s_mov_b32 s20, 0x6a5dcb37
	v_fmac_f64_e32 v[56:57], s[40:41], v[50:51]
	v_mov_b32_e32 v58, 0xfca7ab0c
	v_mov_b32_e32 v59, 0x3e928af3
	s_mov_b32 s21, 0x3e5ade15
	v_fmac_f64_e32 v[58:59], s[20:21], v[56:57]
	v_mov_b32_e32 v60, 0x623fde64
	v_mov_b32_e32 v61, 0x3ec71dee
	v_fmac_f64_e32 v[60:61], v[56:57], v[58:59]
	v_mov_b32_e32 v58, 0x7c89e6b0
	v_mov_b32_e32 v59, 0x3efa0199
	;; [unrolled: 3-line block ×8, first 2 shown]
	v_fmac_f64_e32 v[58:59], v[56:57], v[60:61]
	v_fma_f64 v[58:59], v[56:57], v[58:59], 1.0
	s_mov_b32 s20, 0
	s_mov_b32 s22, 0
	v_fma_f64 v[56:57], v[56:57], v[58:59], 1.0
	v_cvt_i32_f64_e32 v50, v[50:51]
	s_mov_b32 s21, 0x40900000
	s_mov_b32 s23, 0xc090cc00
	v_ldexp_f64 v[50:51], v[56:57], v50
	v_mov_b32_e32 v53, 0x7ff00000
	v_cmp_nlt_f64_e64 s[20:21], s[20:21], v[48:49]
	v_cmp_ngt_f64_e64 s[22:23], s[22:23], v[48:49]
	v_cndmask_b32_e64 v51, v53, v51, s[20:21]
	s_and_b64 s[20:21], s[22:23], s[20:21]
	v_cndmask_b32_e64 v49, 0, v51, s[22:23]
	v_cndmask_b32_e64 v48, 0, v50, s[20:21]
	v_add_f64 v[50:51], v[48:49], 1.0
	v_add_f64 v[56:57], v[50:51], -1.0
	v_add_f64 v[58:59], v[56:57], -v[50:51]
	v_add_f64 v[58:59], v[58:59], 1.0
	v_add_f64 v[56:57], v[48:49], -v[56:57]
	s_mov_b32 s20, 0x55555555
	v_add_f64 v[56:57], v[56:57], v[58:59]
	v_frexp_mant_f64_e32 v[58:59], v[50:51]
	s_mov_b32 s21, 0x3fe55555
	v_frexp_exp_i32_f64_e32 v53, v[50:51]
	v_cmp_gt_f64_e64 s[20:21], s[20:21], v[58:59]
	v_subbrev_co_u32_e64 v53, s[20:21], 0, v53, s[20:21]
	v_sub_u32_e32 v55, 0, v53
	v_ldexp_f64 v[50:51], v[50:51], v55
	v_add_f64 v[58:59], v[50:51], -1.0
	v_add_f64 v[64:65], v[50:51], 1.0
	v_add_f64 v[60:61], v[58:59], 1.0
	v_add_f64 v[66:67], v[64:65], -1.0
	v_ldexp_f64 v[56:57], v[56:57], v55
	v_add_f64 v[60:61], v[50:51], -v[60:61]
	v_add_f64 v[50:51], v[50:51], -v[66:67]
	v_add_f64 v[50:51], v[56:57], v[50:51]
	v_add_f64 v[60:61], v[56:57], v[60:61]
	;; [unrolled: 1-line block ×3, first 2 shown]
	v_rcp_f64_e32 v[66:67], v[56:57]
	v_add_f64 v[62:63], v[58:59], v[60:61]
	v_add_f64 v[58:59], v[62:63], -v[58:59]
	v_add_f64 v[58:59], v[60:61], -v[58:59]
	;; [unrolled: 1-line block ×4, first 2 shown]
	v_fma_f64 v[60:61], -v[56:57], v[66:67], 1.0
	v_fmac_f64_e32 v[66:67], v[60:61], v[66:67]
	v_fma_f64 v[60:61], -v[56:57], v[66:67], 1.0
	v_fmac_f64_e32 v[66:67], v[60:61], v[66:67]
	v_mul_f64 v[60:61], v[62:63], v[66:67]
	v_mul_f64 v[64:65], v[56:57], v[60:61]
	v_fma_f64 v[68:69], v[60:61], v[56:57], -v[64:65]
	v_fmac_f64_e32 v[68:69], v[60:61], v[50:51]
	v_add_f64 v[70:71], v[64:65], v[68:69]
	v_add_f64 v[72:73], v[62:63], -v[70:71]
	v_add_f64 v[62:63], v[62:63], -v[72:73]
	;; [unrolled: 1-line block ×4, first 2 shown]
	v_add_f64 v[58:59], v[58:59], v[62:63]
	v_add_f64 v[62:63], v[64:65], -v[68:69]
	v_add_f64 v[58:59], v[62:63], v[58:59]
	v_add_f64 v[62:63], v[72:73], v[58:59]
	v_add_f64 v[64:65], v[72:73], -v[62:63]
	v_add_f64 v[58:59], v[58:59], v[64:65]
	v_mul_f64 v[64:65], v[66:67], v[62:63]
	v_mul_f64 v[68:69], v[56:57], v[64:65]
	v_fma_f64 v[56:57], v[64:65], v[56:57], -v[68:69]
	v_fmac_f64_e32 v[56:57], v[64:65], v[50:51]
	v_add_f64 v[50:51], v[68:69], v[56:57]
	v_add_f64 v[70:71], v[62:63], -v[50:51]
	v_add_f64 v[62:63], v[62:63], -v[70:71]
	;; [unrolled: 1-line block ×4, first 2 shown]
	v_add_f64 v[50:51], v[58:59], v[50:51]
	v_add_f64 v[56:57], v[68:69], -v[56:57]
	v_add_f64 v[50:51], v[56:57], v[50:51]
	v_add_f64 v[56:57], v[60:61], v[64:65]
	;; [unrolled: 1-line block ×3, first 2 shown]
	v_add_f64 v[58:59], v[56:57], -v[60:61]
	v_mul_f64 v[50:51], v[66:67], v[50:51]
	v_add_f64 v[58:59], v[64:65], -v[58:59]
	v_add_f64 v[50:51], v[58:59], v[50:51]
	v_add_f64 v[58:59], v[56:57], v[50:51]
	v_add_f64 v[56:57], v[58:59], -v[56:57]
	s_mov_b32 s20, 0xbf559e2b
	v_add_f64 v[50:51], v[50:51], -v[56:57]
	v_mul_f64 v[56:57], v[58:59], v[58:59]
	v_mov_b32_e32 v60, 0x6b47b09a
	v_mov_b32_e32 v61, 0x3fc38538
	s_mov_b32 s21, 0x3fc3ab76
	v_fmac_f64_e32 v[60:61], s[20:21], v[56:57]
	v_mov_b32_e32 v62, 0xd7f4df2e
	v_mov_b32_e32 v63, 0x3fc7474d
	v_fmac_f64_e32 v[62:63], v[56:57], v[60:61]
	v_mov_b32_e32 v60, 0x16291751
	v_mov_b32_e32 v61, 0x3fcc71c0
	;; [unrolled: 3-line block ×5, first 2 shown]
	v_fmac_f64_e32 v[62:63], v[56:57], v[60:61]
	v_cvt_f64_i32_e32 v[60:61], v53
	s_mov_b32 s37, 0x3fe62e42
	v_mul_f64 v[64:65], v[60:61], s[36:37]
	v_fma_f64 v[66:67], v[60:61], s[36:37], -v[64:65]
	s_mov_b32 s41, 0x3c7abc9e
	v_fmac_f64_e32 v[66:67], s[40:41], v[60:61]
	v_add_f64 v[60:61], v[64:65], v[66:67]
	v_add_f64 v[64:65], v[60:61], -v[64:65]
	v_mul_f64 v[56:57], v[58:59], v[56:57]
	v_add_f64 v[64:65], v[66:67], -v[64:65]
	v_ldexp_f64 v[66:67], v[58:59], 1
	v_mul_f64 v[56:57], v[56:57], v[62:63]
	v_add_f64 v[58:59], v[66:67], v[56:57]
	v_add_f64 v[62:63], v[58:59], -v[66:67]
	v_ldexp_f64 v[50:51], v[50:51], 1
	v_add_f64 v[56:57], v[56:57], -v[62:63]
	v_add_f64 v[50:51], v[50:51], v[56:57]
	v_add_f64 v[56:57], v[58:59], v[50:51]
	v_add_f64 v[58:59], v[56:57], -v[58:59]
	v_add_f64 v[50:51], v[50:51], -v[58:59]
	v_add_f64 v[58:59], v[60:61], v[56:57]
	v_add_f64 v[62:63], v[58:59], -v[60:61]
	v_add_f64 v[66:67], v[58:59], -v[62:63]
	;; [unrolled: 1-line block ×4, first 2 shown]
	v_add_f64 v[56:57], v[56:57], v[60:61]
	v_add_f64 v[60:61], v[64:65], v[50:51]
	v_add_f64 v[62:63], v[60:61], -v[64:65]
	v_add_f64 v[56:57], v[60:61], v[56:57]
	v_add_f64 v[66:67], v[60:61], -v[62:63]
	;; [unrolled: 2-line block ×3, first 2 shown]
	v_add_f64 v[50:51], v[50:51], -v[62:63]
	v_add_f64 v[58:59], v[60:61], -v[58:59]
	v_add_f64 v[50:51], v[50:51], v[64:65]
	v_add_f64 v[56:57], v[56:57], -v[58:59]
	s_mov_b32 s20, 0
	v_add_f64 v[50:51], v[50:51], v[56:57]
	s_mov_b32 s21, 0x7ff00000
	v_add_f64 v[50:51], v[60:61], v[50:51]
	v_cmp_eq_f64_e64 s[20:21], s[20:21], v[48:49]
	v_cndmask_b32_e64 v50, v50, v48, s[20:21]
	v_cndmask_b32_e64 v51, v51, v49, s[20:21]
	v_mov_b32_e32 v53, 0x7ff80000
	v_cmp_ngt_f64_e64 s[20:21], -1.0, v[48:49]
	v_cndmask_b32_e64 v51, v53, v51, s[20:21]
	v_cmp_nge_f64_e64 s[20:21], -1.0, v[48:49]
	v_cndmask_b32_e64 v50, 0, v50, s[20:21]
	v_mov_b32_e32 v53, 0xfff00000
	v_cmp_neq_f64_e64 s[20:21], -1.0, v[48:49]
	v_cndmask_b32_e64 v51, v53, v51, s[20:21]
	v_add_f64 v[48:49], v[46:47], v[50:51]
.LBB68_213:
	s_or_b64 exec, exec, s[26:27]
	v_pk_mov_b32 v[46:47], v[48:49], v[48:49] op_sel:[0,1]
	v_mov_b32_e32 v50, v48
	v_mov_b32_e32 v51, v49
.LBB68_214:
	s_or_b64 exec, exec, s[24:25]
	v_mov_b32_dpp v48, v50 row_shr:8 row_mask:0xf bank_mask:0xf
	v_mov_b32_dpp v49, v51 row_shr:8 row_mask:0xf bank_mask:0xf
	v_cmp_lt_u32_e64 s[20:21], 7, v52
	s_and_saveexec_b64 s[24:25], s[20:21]
	s_cbranch_execz .LBB68_218
; %bb.215:
	v_max_f64 v[52:53], v[48:49], v[48:49]
	v_max_f64 v[56:57], v[46:47], v[46:47]
	v_min_f64 v[50:51], v[52:53], v[56:57]
	v_cmp_u_f64_e64 s[20:21], v[48:49], v[48:49]
	v_max_f64 v[52:53], v[52:53], v[56:57]
	v_cndmask_b32_e64 v50, v50, v48, s[20:21]
	v_cndmask_b32_e64 v51, v51, v49, s[20:21]
	v_cmp_u_f64_e64 s[22:23], v[46:47], v[46:47]
	v_cndmask_b32_e64 v52, v52, v48, s[20:21]
	v_cndmask_b32_e64 v53, v53, v49, s[20:21]
	;; [unrolled: 1-line block ×6, first 2 shown]
	s_movk_i32 s22, 0x1f8
	v_cmp_neq_f64_e64 s[20:21], v[50:51], v[46:47]
	v_cmp_class_f64_e64 s[22:23], v[50:51], s22
	s_or_b64 s[20:21], s[20:21], s[22:23]
	s_and_saveexec_b64 s[26:27], s[20:21]
	s_cbranch_execz .LBB68_217
; %bb.216:
	s_mov_b32 s20, 0x652b82fe
	v_add_f64 v[48:49], v[50:51], -v[46:47]
	s_mov_b32 s21, 0x3ff71547
	v_mul_f64 v[50:51], v[48:49], s[20:21]
	v_rndne_f64_e32 v[50:51], v[50:51]
	s_mov_b32 s37, 0xbfe62e42
	s_mov_b32 s36, 0xfefa39ef
	v_fma_f64 v[52:53], s[36:37], v[50:51], v[48:49]
	s_mov_b32 s41, 0xbc7abc9e
	s_mov_b32 s40, 0x3b39803f
	;; [unrolled: 1-line block ×3, first 2 shown]
	v_fmac_f64_e32 v[52:53], s[40:41], v[50:51]
	v_mov_b32_e32 v56, 0xfca7ab0c
	v_mov_b32_e32 v57, 0x3e928af3
	s_mov_b32 s21, 0x3e5ade15
	v_fmac_f64_e32 v[56:57], s[20:21], v[52:53]
	v_mov_b32_e32 v58, 0x623fde64
	v_mov_b32_e32 v59, 0x3ec71dee
	v_fmac_f64_e32 v[58:59], v[52:53], v[56:57]
	v_mov_b32_e32 v56, 0x7c89e6b0
	v_mov_b32_e32 v57, 0x3efa0199
	;; [unrolled: 3-line block ×8, first 2 shown]
	v_fmac_f64_e32 v[56:57], v[52:53], v[58:59]
	v_fma_f64 v[56:57], v[52:53], v[56:57], 1.0
	s_mov_b32 s20, 0
	s_mov_b32 s22, 0
	v_fma_f64 v[52:53], v[52:53], v[56:57], 1.0
	v_cvt_i32_f64_e32 v50, v[50:51]
	s_mov_b32 s21, 0x40900000
	s_mov_b32 s23, 0xc090cc00
	v_ldexp_f64 v[50:51], v[52:53], v50
	v_mov_b32_e32 v52, 0x7ff00000
	v_cmp_nlt_f64_e64 s[20:21], s[20:21], v[48:49]
	v_cmp_ngt_f64_e64 s[22:23], s[22:23], v[48:49]
	v_cndmask_b32_e64 v51, v52, v51, s[20:21]
	s_and_b64 s[20:21], s[22:23], s[20:21]
	v_cndmask_b32_e64 v49, 0, v51, s[22:23]
	v_cndmask_b32_e64 v48, 0, v50, s[20:21]
	v_add_f64 v[50:51], v[48:49], 1.0
	v_add_f64 v[52:53], v[50:51], -1.0
	v_add_f64 v[56:57], v[52:53], -v[50:51]
	v_add_f64 v[56:57], v[56:57], 1.0
	v_add_f64 v[52:53], v[48:49], -v[52:53]
	s_mov_b32 s20, 0x55555555
	v_add_f64 v[52:53], v[52:53], v[56:57]
	v_frexp_mant_f64_e32 v[56:57], v[50:51]
	s_mov_b32 s21, 0x3fe55555
	v_frexp_exp_i32_f64_e32 v55, v[50:51]
	v_cmp_gt_f64_e64 s[20:21], s[20:21], v[56:57]
	v_subbrev_co_u32_e64 v55, s[20:21], 0, v55, s[20:21]
	v_sub_u32_e32 v56, 0, v55
	v_ldexp_f64 v[50:51], v[50:51], v56
	v_ldexp_f64 v[52:53], v[52:53], v56
	v_add_f64 v[56:57], v[50:51], -1.0
	v_add_f64 v[62:63], v[50:51], 1.0
	v_add_f64 v[58:59], v[56:57], 1.0
	v_add_f64 v[64:65], v[62:63], -1.0
	v_add_f64 v[58:59], v[50:51], -v[58:59]
	v_add_f64 v[50:51], v[50:51], -v[64:65]
	v_add_f64 v[50:51], v[52:53], v[50:51]
	v_add_f64 v[58:59], v[52:53], v[58:59]
	v_add_f64 v[52:53], v[62:63], v[50:51]
	v_rcp_f64_e32 v[64:65], v[52:53]
	v_add_f64 v[60:61], v[56:57], v[58:59]
	v_add_f64 v[56:57], v[60:61], -v[56:57]
	v_add_f64 v[56:57], v[58:59], -v[56:57]
	;; [unrolled: 1-line block ×4, first 2 shown]
	v_fma_f64 v[58:59], -v[52:53], v[64:65], 1.0
	v_fmac_f64_e32 v[64:65], v[58:59], v[64:65]
	v_fma_f64 v[58:59], -v[52:53], v[64:65], 1.0
	v_fmac_f64_e32 v[64:65], v[58:59], v[64:65]
	v_mul_f64 v[58:59], v[60:61], v[64:65]
	v_mul_f64 v[62:63], v[52:53], v[58:59]
	v_fma_f64 v[66:67], v[58:59], v[52:53], -v[62:63]
	v_fmac_f64_e32 v[66:67], v[58:59], v[50:51]
	v_add_f64 v[68:69], v[62:63], v[66:67]
	v_add_f64 v[70:71], v[60:61], -v[68:69]
	v_add_f64 v[60:61], v[60:61], -v[70:71]
	;; [unrolled: 1-line block ×4, first 2 shown]
	v_add_f64 v[56:57], v[56:57], v[60:61]
	v_add_f64 v[60:61], v[62:63], -v[66:67]
	v_add_f64 v[56:57], v[60:61], v[56:57]
	v_add_f64 v[60:61], v[70:71], v[56:57]
	v_add_f64 v[62:63], v[70:71], -v[60:61]
	v_add_f64 v[56:57], v[56:57], v[62:63]
	v_mul_f64 v[62:63], v[64:65], v[60:61]
	v_mul_f64 v[66:67], v[52:53], v[62:63]
	v_fma_f64 v[52:53], v[62:63], v[52:53], -v[66:67]
	v_fmac_f64_e32 v[52:53], v[62:63], v[50:51]
	v_add_f64 v[50:51], v[66:67], v[52:53]
	v_add_f64 v[68:69], v[60:61], -v[50:51]
	v_add_f64 v[60:61], v[60:61], -v[68:69]
	;; [unrolled: 1-line block ×4, first 2 shown]
	v_add_f64 v[50:51], v[56:57], v[50:51]
	v_add_f64 v[52:53], v[66:67], -v[52:53]
	v_add_f64 v[50:51], v[52:53], v[50:51]
	v_add_f64 v[52:53], v[58:59], v[62:63]
	;; [unrolled: 1-line block ×3, first 2 shown]
	v_add_f64 v[56:57], v[52:53], -v[58:59]
	v_mul_f64 v[50:51], v[64:65], v[50:51]
	v_add_f64 v[56:57], v[62:63], -v[56:57]
	v_add_f64 v[50:51], v[56:57], v[50:51]
	v_add_f64 v[56:57], v[52:53], v[50:51]
	v_add_f64 v[52:53], v[56:57], -v[52:53]
	s_mov_b32 s20, 0xbf559e2b
	v_add_f64 v[50:51], v[50:51], -v[52:53]
	v_mul_f64 v[52:53], v[56:57], v[56:57]
	v_mov_b32_e32 v58, 0x6b47b09a
	v_mov_b32_e32 v59, 0x3fc38538
	s_mov_b32 s21, 0x3fc3ab76
	v_fmac_f64_e32 v[58:59], s[20:21], v[52:53]
	v_mov_b32_e32 v60, 0xd7f4df2e
	v_mov_b32_e32 v61, 0x3fc7474d
	v_fmac_f64_e32 v[60:61], v[52:53], v[58:59]
	v_mov_b32_e32 v58, 0x16291751
	v_mov_b32_e32 v59, 0x3fcc71c0
	;; [unrolled: 3-line block ×5, first 2 shown]
	v_fmac_f64_e32 v[60:61], v[52:53], v[58:59]
	v_cvt_f64_i32_e32 v[58:59], v55
	s_mov_b32 s37, 0x3fe62e42
	v_mul_f64 v[62:63], v[58:59], s[36:37]
	v_fma_f64 v[64:65], v[58:59], s[36:37], -v[62:63]
	s_mov_b32 s41, 0x3c7abc9e
	v_fmac_f64_e32 v[64:65], s[40:41], v[58:59]
	v_add_f64 v[58:59], v[62:63], v[64:65]
	v_add_f64 v[62:63], v[58:59], -v[62:63]
	v_mul_f64 v[52:53], v[56:57], v[52:53]
	v_add_f64 v[62:63], v[64:65], -v[62:63]
	v_ldexp_f64 v[64:65], v[56:57], 1
	v_mul_f64 v[52:53], v[52:53], v[60:61]
	v_add_f64 v[56:57], v[64:65], v[52:53]
	v_add_f64 v[60:61], v[56:57], -v[64:65]
	v_ldexp_f64 v[50:51], v[50:51], 1
	v_add_f64 v[52:53], v[52:53], -v[60:61]
	v_add_f64 v[50:51], v[50:51], v[52:53]
	v_add_f64 v[52:53], v[56:57], v[50:51]
	v_add_f64 v[56:57], v[52:53], -v[56:57]
	v_add_f64 v[50:51], v[50:51], -v[56:57]
	v_add_f64 v[56:57], v[58:59], v[52:53]
	v_add_f64 v[60:61], v[56:57], -v[58:59]
	v_add_f64 v[64:65], v[56:57], -v[60:61]
	;; [unrolled: 1-line block ×4, first 2 shown]
	v_add_f64 v[52:53], v[52:53], v[58:59]
	v_add_f64 v[58:59], v[62:63], v[50:51]
	v_add_f64 v[60:61], v[58:59], -v[62:63]
	v_add_f64 v[52:53], v[58:59], v[52:53]
	v_add_f64 v[64:65], v[58:59], -v[60:61]
	;; [unrolled: 2-line block ×3, first 2 shown]
	v_add_f64 v[50:51], v[50:51], -v[60:61]
	v_add_f64 v[56:57], v[58:59], -v[56:57]
	v_add_f64 v[50:51], v[50:51], v[62:63]
	v_add_f64 v[52:53], v[52:53], -v[56:57]
	s_mov_b32 s20, 0
	v_add_f64 v[50:51], v[50:51], v[52:53]
	s_mov_b32 s21, 0x7ff00000
	v_add_f64 v[50:51], v[58:59], v[50:51]
	v_cmp_eq_f64_e64 s[20:21], s[20:21], v[48:49]
	v_cndmask_b32_e64 v50, v50, v48, s[20:21]
	v_cndmask_b32_e64 v51, v51, v49, s[20:21]
	v_mov_b32_e32 v52, 0x7ff80000
	v_cmp_ngt_f64_e64 s[20:21], -1.0, v[48:49]
	v_cndmask_b32_e64 v51, v52, v51, s[20:21]
	v_cmp_nge_f64_e64 s[20:21], -1.0, v[48:49]
	v_cndmask_b32_e64 v50, 0, v50, s[20:21]
	v_mov_b32_e32 v52, 0xfff00000
	v_cmp_neq_f64_e64 s[20:21], -1.0, v[48:49]
	v_cndmask_b32_e64 v51, v52, v51, s[20:21]
	v_add_f64 v[48:49], v[46:47], v[50:51]
.LBB68_217:
	s_or_b64 exec, exec, s[26:27]
	v_pk_mov_b32 v[46:47], v[48:49], v[48:49] op_sel:[0,1]
	v_mov_b32_e32 v50, v48
	v_mov_b32_e32 v51, v49
.LBB68_218:
	s_or_b64 exec, exec, s[24:25]
	v_and_b32_e32 v52, 16, v54
	v_mov_b32_dpp v48, v50 row_bcast:15 row_mask:0xf bank_mask:0xf
	v_mov_b32_dpp v49, v51 row_bcast:15 row_mask:0xf bank_mask:0xf
	v_cmp_ne_u32_e64 s[20:21], 0, v52
	s_and_saveexec_b64 s[24:25], s[20:21]
	s_cbranch_execz .LBB68_222
; %bb.219:
	v_max_f64 v[52:53], v[48:49], v[48:49]
	v_max_f64 v[56:57], v[46:47], v[46:47]
	v_min_f64 v[50:51], v[52:53], v[56:57]
	v_cmp_u_f64_e64 s[20:21], v[48:49], v[48:49]
	v_max_f64 v[52:53], v[52:53], v[56:57]
	v_cndmask_b32_e64 v50, v50, v48, s[20:21]
	v_cndmask_b32_e64 v51, v51, v49, s[20:21]
	v_cmp_u_f64_e64 s[22:23], v[46:47], v[46:47]
	v_cndmask_b32_e64 v52, v52, v48, s[20:21]
	v_cndmask_b32_e64 v53, v53, v49, s[20:21]
	;; [unrolled: 1-line block ×6, first 2 shown]
	s_movk_i32 s22, 0x1f8
	v_cmp_neq_f64_e64 s[20:21], v[50:51], v[46:47]
	v_cmp_class_f64_e64 s[22:23], v[50:51], s22
	s_or_b64 s[20:21], s[20:21], s[22:23]
	s_and_saveexec_b64 s[26:27], s[20:21]
	s_cbranch_execz .LBB68_221
; %bb.220:
	s_mov_b32 s20, 0x652b82fe
	v_add_f64 v[48:49], v[50:51], -v[46:47]
	s_mov_b32 s21, 0x3ff71547
	v_mul_f64 v[50:51], v[48:49], s[20:21]
	v_rndne_f64_e32 v[50:51], v[50:51]
	s_mov_b32 s37, 0xbfe62e42
	s_mov_b32 s36, 0xfefa39ef
	v_fma_f64 v[52:53], s[36:37], v[50:51], v[48:49]
	s_mov_b32 s41, 0xbc7abc9e
	s_mov_b32 s40, 0x3b39803f
	s_mov_b32 s20, 0x6a5dcb37
	v_fmac_f64_e32 v[52:53], s[40:41], v[50:51]
	v_mov_b32_e32 v56, 0xfca7ab0c
	v_mov_b32_e32 v57, 0x3e928af3
	s_mov_b32 s21, 0x3e5ade15
	v_fmac_f64_e32 v[56:57], s[20:21], v[52:53]
	v_mov_b32_e32 v58, 0x623fde64
	v_mov_b32_e32 v59, 0x3ec71dee
	v_fmac_f64_e32 v[58:59], v[52:53], v[56:57]
	v_mov_b32_e32 v56, 0x7c89e6b0
	v_mov_b32_e32 v57, 0x3efa0199
	;; [unrolled: 3-line block ×8, first 2 shown]
	v_fmac_f64_e32 v[56:57], v[52:53], v[58:59]
	v_fma_f64 v[56:57], v[52:53], v[56:57], 1.0
	s_mov_b32 s20, 0
	s_mov_b32 s22, 0
	v_fma_f64 v[52:53], v[52:53], v[56:57], 1.0
	v_cvt_i32_f64_e32 v50, v[50:51]
	s_mov_b32 s21, 0x40900000
	s_mov_b32 s23, 0xc090cc00
	v_ldexp_f64 v[50:51], v[52:53], v50
	v_mov_b32_e32 v52, 0x7ff00000
	v_cmp_nlt_f64_e64 s[20:21], s[20:21], v[48:49]
	v_cmp_ngt_f64_e64 s[22:23], s[22:23], v[48:49]
	v_cndmask_b32_e64 v51, v52, v51, s[20:21]
	s_and_b64 s[20:21], s[22:23], s[20:21]
	v_cndmask_b32_e64 v49, 0, v51, s[22:23]
	v_cndmask_b32_e64 v48, 0, v50, s[20:21]
	v_add_f64 v[50:51], v[48:49], 1.0
	v_add_f64 v[52:53], v[50:51], -1.0
	v_add_f64 v[56:57], v[52:53], -v[50:51]
	v_add_f64 v[56:57], v[56:57], 1.0
	v_add_f64 v[52:53], v[48:49], -v[52:53]
	s_mov_b32 s20, 0x55555555
	v_add_f64 v[52:53], v[52:53], v[56:57]
	v_frexp_mant_f64_e32 v[56:57], v[50:51]
	s_mov_b32 s21, 0x3fe55555
	v_frexp_exp_i32_f64_e32 v55, v[50:51]
	v_cmp_gt_f64_e64 s[20:21], s[20:21], v[56:57]
	v_subbrev_co_u32_e64 v55, s[20:21], 0, v55, s[20:21]
	v_sub_u32_e32 v56, 0, v55
	v_ldexp_f64 v[50:51], v[50:51], v56
	v_ldexp_f64 v[52:53], v[52:53], v56
	v_add_f64 v[56:57], v[50:51], -1.0
	v_add_f64 v[62:63], v[50:51], 1.0
	v_add_f64 v[58:59], v[56:57], 1.0
	v_add_f64 v[64:65], v[62:63], -1.0
	v_add_f64 v[58:59], v[50:51], -v[58:59]
	v_add_f64 v[50:51], v[50:51], -v[64:65]
	v_add_f64 v[50:51], v[52:53], v[50:51]
	v_add_f64 v[58:59], v[52:53], v[58:59]
	;; [unrolled: 1-line block ×3, first 2 shown]
	v_rcp_f64_e32 v[64:65], v[52:53]
	v_add_f64 v[60:61], v[56:57], v[58:59]
	v_add_f64 v[56:57], v[60:61], -v[56:57]
	v_add_f64 v[56:57], v[58:59], -v[56:57]
	;; [unrolled: 1-line block ×4, first 2 shown]
	v_fma_f64 v[58:59], -v[52:53], v[64:65], 1.0
	v_fmac_f64_e32 v[64:65], v[58:59], v[64:65]
	v_fma_f64 v[58:59], -v[52:53], v[64:65], 1.0
	v_fmac_f64_e32 v[64:65], v[58:59], v[64:65]
	v_mul_f64 v[58:59], v[60:61], v[64:65]
	v_mul_f64 v[62:63], v[52:53], v[58:59]
	v_fma_f64 v[66:67], v[58:59], v[52:53], -v[62:63]
	v_fmac_f64_e32 v[66:67], v[58:59], v[50:51]
	v_add_f64 v[68:69], v[62:63], v[66:67]
	v_add_f64 v[70:71], v[60:61], -v[68:69]
	v_add_f64 v[60:61], v[60:61], -v[70:71]
	;; [unrolled: 1-line block ×4, first 2 shown]
	v_add_f64 v[56:57], v[56:57], v[60:61]
	v_add_f64 v[60:61], v[62:63], -v[66:67]
	v_add_f64 v[56:57], v[60:61], v[56:57]
	v_add_f64 v[60:61], v[70:71], v[56:57]
	v_add_f64 v[62:63], v[70:71], -v[60:61]
	v_add_f64 v[56:57], v[56:57], v[62:63]
	v_mul_f64 v[62:63], v[64:65], v[60:61]
	v_mul_f64 v[66:67], v[52:53], v[62:63]
	v_fma_f64 v[52:53], v[62:63], v[52:53], -v[66:67]
	v_fmac_f64_e32 v[52:53], v[62:63], v[50:51]
	v_add_f64 v[50:51], v[66:67], v[52:53]
	v_add_f64 v[68:69], v[60:61], -v[50:51]
	v_add_f64 v[60:61], v[60:61], -v[68:69]
	;; [unrolled: 1-line block ×4, first 2 shown]
	v_add_f64 v[50:51], v[56:57], v[50:51]
	v_add_f64 v[52:53], v[66:67], -v[52:53]
	v_add_f64 v[50:51], v[52:53], v[50:51]
	v_add_f64 v[52:53], v[58:59], v[62:63]
	;; [unrolled: 1-line block ×3, first 2 shown]
	v_add_f64 v[56:57], v[52:53], -v[58:59]
	v_mul_f64 v[50:51], v[64:65], v[50:51]
	v_add_f64 v[56:57], v[62:63], -v[56:57]
	v_add_f64 v[50:51], v[56:57], v[50:51]
	v_add_f64 v[56:57], v[52:53], v[50:51]
	v_add_f64 v[52:53], v[56:57], -v[52:53]
	s_mov_b32 s20, 0xbf559e2b
	v_add_f64 v[50:51], v[50:51], -v[52:53]
	v_mul_f64 v[52:53], v[56:57], v[56:57]
	v_mov_b32_e32 v58, 0x6b47b09a
	v_mov_b32_e32 v59, 0x3fc38538
	s_mov_b32 s21, 0x3fc3ab76
	v_fmac_f64_e32 v[58:59], s[20:21], v[52:53]
	v_mov_b32_e32 v60, 0xd7f4df2e
	v_mov_b32_e32 v61, 0x3fc7474d
	v_fmac_f64_e32 v[60:61], v[52:53], v[58:59]
	v_mov_b32_e32 v58, 0x16291751
	v_mov_b32_e32 v59, 0x3fcc71c0
	;; [unrolled: 3-line block ×5, first 2 shown]
	v_fmac_f64_e32 v[60:61], v[52:53], v[58:59]
	v_cvt_f64_i32_e32 v[58:59], v55
	s_mov_b32 s37, 0x3fe62e42
	v_mul_f64 v[62:63], v[58:59], s[36:37]
	v_fma_f64 v[64:65], v[58:59], s[36:37], -v[62:63]
	s_mov_b32 s41, 0x3c7abc9e
	v_fmac_f64_e32 v[64:65], s[40:41], v[58:59]
	v_add_f64 v[58:59], v[62:63], v[64:65]
	v_add_f64 v[62:63], v[58:59], -v[62:63]
	v_mul_f64 v[52:53], v[56:57], v[52:53]
	v_add_f64 v[62:63], v[64:65], -v[62:63]
	v_ldexp_f64 v[64:65], v[56:57], 1
	v_mul_f64 v[52:53], v[52:53], v[60:61]
	v_add_f64 v[56:57], v[64:65], v[52:53]
	v_add_f64 v[60:61], v[56:57], -v[64:65]
	v_ldexp_f64 v[50:51], v[50:51], 1
	v_add_f64 v[52:53], v[52:53], -v[60:61]
	v_add_f64 v[50:51], v[50:51], v[52:53]
	v_add_f64 v[52:53], v[56:57], v[50:51]
	v_add_f64 v[56:57], v[52:53], -v[56:57]
	v_add_f64 v[50:51], v[50:51], -v[56:57]
	v_add_f64 v[56:57], v[58:59], v[52:53]
	v_add_f64 v[60:61], v[56:57], -v[58:59]
	v_add_f64 v[64:65], v[56:57], -v[60:61]
	;; [unrolled: 1-line block ×4, first 2 shown]
	v_add_f64 v[52:53], v[52:53], v[58:59]
	v_add_f64 v[58:59], v[62:63], v[50:51]
	v_add_f64 v[60:61], v[58:59], -v[62:63]
	v_add_f64 v[52:53], v[58:59], v[52:53]
	v_add_f64 v[64:65], v[58:59], -v[60:61]
	;; [unrolled: 2-line block ×3, first 2 shown]
	v_add_f64 v[50:51], v[50:51], -v[60:61]
	v_add_f64 v[56:57], v[58:59], -v[56:57]
	v_add_f64 v[50:51], v[50:51], v[62:63]
	v_add_f64 v[52:53], v[52:53], -v[56:57]
	s_mov_b32 s20, 0
	v_add_f64 v[50:51], v[50:51], v[52:53]
	s_mov_b32 s21, 0x7ff00000
	v_add_f64 v[50:51], v[58:59], v[50:51]
	v_cmp_eq_f64_e64 s[20:21], s[20:21], v[48:49]
	v_cndmask_b32_e64 v50, v50, v48, s[20:21]
	v_cndmask_b32_e64 v51, v51, v49, s[20:21]
	v_mov_b32_e32 v52, 0x7ff80000
	v_cmp_ngt_f64_e64 s[20:21], -1.0, v[48:49]
	v_cndmask_b32_e64 v51, v52, v51, s[20:21]
	v_cmp_nge_f64_e64 s[20:21], -1.0, v[48:49]
	v_cndmask_b32_e64 v50, 0, v50, s[20:21]
	v_mov_b32_e32 v52, 0xfff00000
	v_cmp_neq_f64_e64 s[20:21], -1.0, v[48:49]
	v_cndmask_b32_e64 v51, v52, v51, s[20:21]
	v_add_f64 v[48:49], v[46:47], v[50:51]
.LBB68_221:
	s_or_b64 exec, exec, s[26:27]
	v_mov_b32_e32 v50, v48
	v_mov_b32_e32 v51, v49
	v_pk_mov_b32 v[46:47], v[48:49], v[48:49] op_sel:[0,1]
.LBB68_222:
	s_or_b64 exec, exec, s[24:25]
	v_mov_b32_dpp v48, v50 row_bcast:31 row_mask:0xf bank_mask:0xf
	v_mov_b32_dpp v49, v51 row_bcast:31 row_mask:0xf bank_mask:0xf
	v_cmp_lt_u32_e64 s[20:21], 31, v54
	s_and_saveexec_b64 s[24:25], s[20:21]
	s_cbranch_execz .LBB68_226
; %bb.223:
	v_max_f64 v[52:53], v[48:49], v[48:49]
	v_max_f64 v[56:57], v[46:47], v[46:47]
	v_min_f64 v[50:51], v[52:53], v[56:57]
	v_cmp_u_f64_e64 s[20:21], v[48:49], v[48:49]
	v_max_f64 v[52:53], v[52:53], v[56:57]
	v_cndmask_b32_e64 v50, v50, v48, s[20:21]
	v_cndmask_b32_e64 v51, v51, v49, s[20:21]
	v_cmp_u_f64_e64 s[22:23], v[46:47], v[46:47]
	v_cndmask_b32_e64 v52, v52, v48, s[20:21]
	v_cndmask_b32_e64 v53, v53, v49, s[20:21]
	;; [unrolled: 1-line block ×6, first 2 shown]
	s_movk_i32 s22, 0x1f8
	v_cmp_neq_f64_e64 s[20:21], v[50:51], v[46:47]
	v_cmp_class_f64_e64 s[22:23], v[50:51], s22
	s_or_b64 s[20:21], s[20:21], s[22:23]
	s_and_saveexec_b64 s[26:27], s[20:21]
	s_cbranch_execz .LBB68_225
; %bb.224:
	s_mov_b32 s20, 0x652b82fe
	v_add_f64 v[48:49], v[50:51], -v[46:47]
	s_mov_b32 s21, 0x3ff71547
	v_mul_f64 v[50:51], v[48:49], s[20:21]
	v_rndne_f64_e32 v[50:51], v[50:51]
	s_mov_b32 s37, 0xbfe62e42
	s_mov_b32 s36, 0xfefa39ef
	v_fma_f64 v[52:53], s[36:37], v[50:51], v[48:49]
	s_mov_b32 s41, 0xbc7abc9e
	s_mov_b32 s40, 0x3b39803f
	;; [unrolled: 1-line block ×3, first 2 shown]
	v_fmac_f64_e32 v[52:53], s[40:41], v[50:51]
	v_mov_b32_e32 v56, 0xfca7ab0c
	v_mov_b32_e32 v57, 0x3e928af3
	s_mov_b32 s21, 0x3e5ade15
	v_fmac_f64_e32 v[56:57], s[20:21], v[52:53]
	v_mov_b32_e32 v58, 0x623fde64
	v_mov_b32_e32 v59, 0x3ec71dee
	v_fmac_f64_e32 v[58:59], v[52:53], v[56:57]
	v_mov_b32_e32 v56, 0x7c89e6b0
	v_mov_b32_e32 v57, 0x3efa0199
	;; [unrolled: 3-line block ×8, first 2 shown]
	v_fmac_f64_e32 v[56:57], v[52:53], v[58:59]
	v_fma_f64 v[56:57], v[52:53], v[56:57], 1.0
	s_mov_b32 s20, 0
	s_mov_b32 s22, 0
	v_fma_f64 v[52:53], v[52:53], v[56:57], 1.0
	v_cvt_i32_f64_e32 v50, v[50:51]
	s_mov_b32 s21, 0x40900000
	s_mov_b32 s23, 0xc090cc00
	v_ldexp_f64 v[50:51], v[52:53], v50
	v_mov_b32_e32 v52, 0x7ff00000
	v_cmp_nlt_f64_e64 s[20:21], s[20:21], v[48:49]
	v_cmp_ngt_f64_e64 s[22:23], s[22:23], v[48:49]
	v_cndmask_b32_e64 v51, v52, v51, s[20:21]
	s_and_b64 s[20:21], s[22:23], s[20:21]
	v_cndmask_b32_e64 v49, 0, v51, s[22:23]
	v_cndmask_b32_e64 v48, 0, v50, s[20:21]
	v_add_f64 v[50:51], v[48:49], 1.0
	v_add_f64 v[52:53], v[50:51], -1.0
	v_add_f64 v[56:57], v[52:53], -v[50:51]
	v_add_f64 v[56:57], v[56:57], 1.0
	v_add_f64 v[52:53], v[48:49], -v[52:53]
	s_mov_b32 s20, 0x55555555
	v_add_f64 v[52:53], v[52:53], v[56:57]
	v_frexp_mant_f64_e32 v[56:57], v[50:51]
	s_mov_b32 s21, 0x3fe55555
	v_frexp_exp_i32_f64_e32 v55, v[50:51]
	v_cmp_gt_f64_e64 s[20:21], s[20:21], v[56:57]
	v_subbrev_co_u32_e64 v55, s[20:21], 0, v55, s[20:21]
	v_sub_u32_e32 v56, 0, v55
	v_ldexp_f64 v[50:51], v[50:51], v56
	v_ldexp_f64 v[52:53], v[52:53], v56
	v_add_f64 v[56:57], v[50:51], -1.0
	v_add_f64 v[62:63], v[50:51], 1.0
	v_add_f64 v[58:59], v[56:57], 1.0
	v_add_f64 v[64:65], v[62:63], -1.0
	v_add_f64 v[58:59], v[50:51], -v[58:59]
	v_add_f64 v[50:51], v[50:51], -v[64:65]
	v_add_f64 v[50:51], v[52:53], v[50:51]
	v_add_f64 v[58:59], v[52:53], v[58:59]
	;; [unrolled: 1-line block ×3, first 2 shown]
	v_rcp_f64_e32 v[64:65], v[52:53]
	v_add_f64 v[60:61], v[56:57], v[58:59]
	v_add_f64 v[56:57], v[60:61], -v[56:57]
	v_add_f64 v[56:57], v[58:59], -v[56:57]
	;; [unrolled: 1-line block ×4, first 2 shown]
	v_fma_f64 v[58:59], -v[52:53], v[64:65], 1.0
	v_fmac_f64_e32 v[64:65], v[58:59], v[64:65]
	v_fma_f64 v[58:59], -v[52:53], v[64:65], 1.0
	v_fmac_f64_e32 v[64:65], v[58:59], v[64:65]
	v_mul_f64 v[58:59], v[60:61], v[64:65]
	v_mul_f64 v[62:63], v[52:53], v[58:59]
	v_fma_f64 v[66:67], v[58:59], v[52:53], -v[62:63]
	v_fmac_f64_e32 v[66:67], v[58:59], v[50:51]
	v_add_f64 v[68:69], v[62:63], v[66:67]
	v_add_f64 v[70:71], v[60:61], -v[68:69]
	v_add_f64 v[60:61], v[60:61], -v[70:71]
	;; [unrolled: 1-line block ×4, first 2 shown]
	v_add_f64 v[56:57], v[56:57], v[60:61]
	v_add_f64 v[60:61], v[62:63], -v[66:67]
	v_add_f64 v[56:57], v[60:61], v[56:57]
	v_add_f64 v[60:61], v[70:71], v[56:57]
	v_add_f64 v[62:63], v[70:71], -v[60:61]
	v_add_f64 v[56:57], v[56:57], v[62:63]
	v_mul_f64 v[62:63], v[64:65], v[60:61]
	v_mul_f64 v[66:67], v[52:53], v[62:63]
	v_fma_f64 v[52:53], v[62:63], v[52:53], -v[66:67]
	v_fmac_f64_e32 v[52:53], v[62:63], v[50:51]
	v_add_f64 v[50:51], v[66:67], v[52:53]
	v_add_f64 v[68:69], v[60:61], -v[50:51]
	v_add_f64 v[60:61], v[60:61], -v[68:69]
	;; [unrolled: 1-line block ×4, first 2 shown]
	v_add_f64 v[50:51], v[56:57], v[50:51]
	v_add_f64 v[52:53], v[66:67], -v[52:53]
	v_add_f64 v[50:51], v[52:53], v[50:51]
	v_add_f64 v[52:53], v[58:59], v[62:63]
	;; [unrolled: 1-line block ×3, first 2 shown]
	v_add_f64 v[56:57], v[52:53], -v[58:59]
	v_mul_f64 v[50:51], v[64:65], v[50:51]
	v_add_f64 v[56:57], v[62:63], -v[56:57]
	v_add_f64 v[50:51], v[56:57], v[50:51]
	v_add_f64 v[56:57], v[52:53], v[50:51]
	v_add_f64 v[52:53], v[56:57], -v[52:53]
	s_mov_b32 s20, 0xbf559e2b
	v_add_f64 v[50:51], v[50:51], -v[52:53]
	v_mul_f64 v[52:53], v[56:57], v[56:57]
	v_mov_b32_e32 v58, 0x6b47b09a
	v_mov_b32_e32 v59, 0x3fc38538
	s_mov_b32 s21, 0x3fc3ab76
	v_fmac_f64_e32 v[58:59], s[20:21], v[52:53]
	v_mov_b32_e32 v60, 0xd7f4df2e
	v_mov_b32_e32 v61, 0x3fc7474d
	v_fmac_f64_e32 v[60:61], v[52:53], v[58:59]
	v_mov_b32_e32 v58, 0x16291751
	v_mov_b32_e32 v59, 0x3fcc71c0
	;; [unrolled: 3-line block ×5, first 2 shown]
	v_fmac_f64_e32 v[60:61], v[52:53], v[58:59]
	v_cvt_f64_i32_e32 v[58:59], v55
	s_mov_b32 s37, 0x3fe62e42
	v_mul_f64 v[62:63], v[58:59], s[36:37]
	v_fma_f64 v[64:65], v[58:59], s[36:37], -v[62:63]
	s_mov_b32 s41, 0x3c7abc9e
	v_fmac_f64_e32 v[64:65], s[40:41], v[58:59]
	v_add_f64 v[58:59], v[62:63], v[64:65]
	v_add_f64 v[62:63], v[58:59], -v[62:63]
	v_mul_f64 v[52:53], v[56:57], v[52:53]
	v_add_f64 v[62:63], v[64:65], -v[62:63]
	v_ldexp_f64 v[64:65], v[56:57], 1
	v_mul_f64 v[52:53], v[52:53], v[60:61]
	v_add_f64 v[56:57], v[64:65], v[52:53]
	v_add_f64 v[60:61], v[56:57], -v[64:65]
	v_ldexp_f64 v[50:51], v[50:51], 1
	v_add_f64 v[52:53], v[52:53], -v[60:61]
	v_add_f64 v[50:51], v[50:51], v[52:53]
	v_add_f64 v[52:53], v[56:57], v[50:51]
	v_add_f64 v[56:57], v[52:53], -v[56:57]
	v_add_f64 v[50:51], v[50:51], -v[56:57]
	v_add_f64 v[56:57], v[58:59], v[52:53]
	v_add_f64 v[60:61], v[56:57], -v[58:59]
	v_add_f64 v[64:65], v[56:57], -v[60:61]
	;; [unrolled: 1-line block ×4, first 2 shown]
	v_add_f64 v[52:53], v[52:53], v[58:59]
	v_add_f64 v[58:59], v[62:63], v[50:51]
	v_add_f64 v[60:61], v[58:59], -v[62:63]
	v_add_f64 v[52:53], v[58:59], v[52:53]
	v_add_f64 v[64:65], v[58:59], -v[60:61]
	;; [unrolled: 2-line block ×3, first 2 shown]
	v_add_f64 v[50:51], v[50:51], -v[60:61]
	v_add_f64 v[56:57], v[58:59], -v[56:57]
	v_add_f64 v[50:51], v[50:51], v[62:63]
	v_add_f64 v[52:53], v[52:53], -v[56:57]
	s_mov_b32 s20, 0
	v_add_f64 v[50:51], v[50:51], v[52:53]
	s_mov_b32 s21, 0x7ff00000
	v_add_f64 v[50:51], v[58:59], v[50:51]
	v_cmp_eq_f64_e64 s[20:21], s[20:21], v[48:49]
	v_cndmask_b32_e64 v50, v50, v48, s[20:21]
	v_cndmask_b32_e64 v51, v51, v49, s[20:21]
	v_mov_b32_e32 v52, 0x7ff80000
	v_cmp_ngt_f64_e64 s[20:21], -1.0, v[48:49]
	v_cndmask_b32_e64 v51, v52, v51, s[20:21]
	v_cmp_nge_f64_e64 s[20:21], -1.0, v[48:49]
	v_cndmask_b32_e64 v50, 0, v50, s[20:21]
	v_mov_b32_e32 v52, 0xfff00000
	v_cmp_neq_f64_e64 s[20:21], -1.0, v[48:49]
	v_cndmask_b32_e64 v51, v52, v51, s[20:21]
	v_add_f64 v[48:49], v[46:47], v[50:51]
.LBB68_225:
	s_or_b64 exec, exec, s[26:27]
	v_pk_mov_b32 v[46:47], v[48:49], v[48:49] op_sel:[0,1]
.LBB68_226:
	s_or_b64 exec, exec, s[24:25]
	v_or_b32_e32 v48, 63, v0
	v_lshrrev_b32_e32 v55, 6, v0
	v_cmp_eq_u32_e64 s[20:21], v48, v0
	s_and_saveexec_b64 s[22:23], s[20:21]
	s_cbranch_execz .LBB68_228
; %bb.227:
	v_lshlrev_b32_e32 v48, 3, v55
	ds_write_b64 v48, v[46:47]
.LBB68_228:
	s_or_b64 exec, exec, s[22:23]
	v_cmp_gt_u32_e64 s[20:21], 2, v0
	s_waitcnt lgkmcnt(0)
	s_barrier
	s_and_saveexec_b64 s[24:25], s[20:21]
	s_cbranch_execz .LBB68_234
; %bb.229:
	s_movk_i32 s20, 0xffb8
	v_mad_i32_i24 v48, v0, s20, v1
	ds_read_b64 v[48:49], v48
	v_and_b32_e32 v52, 1, v54
	v_mul_i32_i24_e32 v56, 0xffffffb8, v0
	v_cmp_eq_u32_e64 s[20:21], 1, v52
	s_waitcnt lgkmcnt(0)
	v_mov_b32_dpp v50, v48 row_shr:1 row_mask:0xf bank_mask:0xf
	v_mov_b32_dpp v51, v49 row_shr:1 row_mask:0xf bank_mask:0xf
	s_and_saveexec_b64 s[26:27], s[20:21]
	s_cbranch_execz .LBB68_233
; %bb.230:
	v_max_f64 v[58:59], v[50:51], v[50:51]
	v_max_f64 v[60:61], v[48:49], v[48:49]
	v_min_f64 v[52:53], v[58:59], v[60:61]
	v_cmp_u_f64_e64 s[20:21], v[50:51], v[50:51]
	v_max_f64 v[58:59], v[58:59], v[60:61]
	v_cndmask_b32_e64 v52, v52, v50, s[20:21]
	v_cndmask_b32_e64 v53, v53, v51, s[20:21]
	v_cmp_u_f64_e64 s[22:23], v[48:49], v[48:49]
	v_cndmask_b32_e64 v57, v58, v50, s[20:21]
	v_cndmask_b32_e64 v58, v59, v51, s[20:21]
	;; [unrolled: 1-line block ×6, first 2 shown]
	s_movk_i32 s22, 0x1f8
	v_cmp_neq_f64_e64 s[20:21], v[52:53], v[48:49]
	v_cmp_class_f64_e64 s[22:23], v[52:53], s22
	s_or_b64 s[20:21], s[20:21], s[22:23]
	s_and_saveexec_b64 s[36:37], s[20:21]
	s_cbranch_execz .LBB68_232
; %bb.231:
	s_mov_b32 s20, 0x652b82fe
	v_add_f64 v[50:51], v[52:53], -v[48:49]
	s_mov_b32 s21, 0x3ff71547
	v_mul_f64 v[52:53], v[50:51], s[20:21]
	v_rndne_f64_e32 v[52:53], v[52:53]
	s_mov_b32 s41, 0xbfe62e42
	s_mov_b32 s40, 0xfefa39ef
	v_fma_f64 v[58:59], s[40:41], v[52:53], v[50:51]
	s_mov_b32 s49, 0xbc7abc9e
	s_mov_b32 s48, 0x3b39803f
	;; [unrolled: 1-line block ×3, first 2 shown]
	v_fmac_f64_e32 v[58:59], s[48:49], v[52:53]
	v_mov_b32_e32 v60, 0xfca7ab0c
	v_mov_b32_e32 v61, 0x3e928af3
	s_mov_b32 s21, 0x3e5ade15
	v_fmac_f64_e32 v[60:61], s[20:21], v[58:59]
	v_mov_b32_e32 v62, 0x623fde64
	v_mov_b32_e32 v63, 0x3ec71dee
	v_fmac_f64_e32 v[62:63], v[58:59], v[60:61]
	v_mov_b32_e32 v60, 0x7c89e6b0
	v_mov_b32_e32 v61, 0x3efa0199
	;; [unrolled: 3-line block ×8, first 2 shown]
	v_fmac_f64_e32 v[60:61], v[58:59], v[62:63]
	v_fma_f64 v[60:61], v[58:59], v[60:61], 1.0
	s_mov_b32 s20, 0
	s_mov_b32 s22, 0
	v_fma_f64 v[58:59], v[58:59], v[60:61], 1.0
	v_cvt_i32_f64_e32 v52, v[52:53]
	s_mov_b32 s21, 0x40900000
	s_mov_b32 s23, 0xc090cc00
	v_ldexp_f64 v[52:53], v[58:59], v52
	v_mov_b32_e32 v57, 0x7ff00000
	v_cmp_nlt_f64_e64 s[20:21], s[20:21], v[50:51]
	v_cmp_ngt_f64_e64 s[22:23], s[22:23], v[50:51]
	v_cndmask_b32_e64 v53, v57, v53, s[20:21]
	s_and_b64 s[20:21], s[22:23], s[20:21]
	v_cndmask_b32_e64 v51, 0, v53, s[22:23]
	v_cndmask_b32_e64 v50, 0, v52, s[20:21]
	v_add_f64 v[52:53], v[50:51], 1.0
	v_add_f64 v[58:59], v[52:53], -1.0
	v_add_f64 v[60:61], v[58:59], -v[52:53]
	v_add_f64 v[60:61], v[60:61], 1.0
	v_add_f64 v[58:59], v[50:51], -v[58:59]
	s_mov_b32 s20, 0x55555555
	v_add_f64 v[58:59], v[58:59], v[60:61]
	v_frexp_mant_f64_e32 v[60:61], v[52:53]
	s_mov_b32 s21, 0x3fe55555
	v_frexp_exp_i32_f64_e32 v57, v[52:53]
	v_cmp_gt_f64_e64 s[20:21], s[20:21], v[60:61]
	v_subbrev_co_u32_e64 v57, s[20:21], 0, v57, s[20:21]
	v_sub_u32_e32 v60, 0, v57
	v_ldexp_f64 v[52:53], v[52:53], v60
	v_ldexp_f64 v[58:59], v[58:59], v60
	v_add_f64 v[60:61], v[52:53], -1.0
	v_add_f64 v[66:67], v[52:53], 1.0
	v_add_f64 v[62:63], v[60:61], 1.0
	v_add_f64 v[68:69], v[66:67], -1.0
	v_add_f64 v[62:63], v[52:53], -v[62:63]
	v_add_f64 v[52:53], v[52:53], -v[68:69]
	v_add_f64 v[52:53], v[58:59], v[52:53]
	v_add_f64 v[62:63], v[58:59], v[62:63]
	;; [unrolled: 1-line block ×3, first 2 shown]
	v_rcp_f64_e32 v[68:69], v[58:59]
	v_add_f64 v[64:65], v[60:61], v[62:63]
	v_add_f64 v[60:61], v[64:65], -v[60:61]
	v_add_f64 v[60:61], v[62:63], -v[60:61]
	;; [unrolled: 1-line block ×4, first 2 shown]
	v_fma_f64 v[62:63], -v[58:59], v[68:69], 1.0
	v_fmac_f64_e32 v[68:69], v[62:63], v[68:69]
	v_fma_f64 v[62:63], -v[58:59], v[68:69], 1.0
	v_fmac_f64_e32 v[68:69], v[62:63], v[68:69]
	v_mul_f64 v[62:63], v[64:65], v[68:69]
	v_mul_f64 v[66:67], v[58:59], v[62:63]
	v_fma_f64 v[70:71], v[62:63], v[58:59], -v[66:67]
	v_fmac_f64_e32 v[70:71], v[62:63], v[52:53]
	v_add_f64 v[72:73], v[66:67], v[70:71]
	v_add_f64 v[74:75], v[64:65], -v[72:73]
	v_add_f64 v[64:65], v[64:65], -v[74:75]
	;; [unrolled: 1-line block ×4, first 2 shown]
	v_add_f64 v[60:61], v[60:61], v[64:65]
	v_add_f64 v[64:65], v[66:67], -v[70:71]
	v_add_f64 v[60:61], v[64:65], v[60:61]
	v_add_f64 v[64:65], v[74:75], v[60:61]
	v_add_f64 v[66:67], v[74:75], -v[64:65]
	v_add_f64 v[60:61], v[60:61], v[66:67]
	v_mul_f64 v[66:67], v[68:69], v[64:65]
	v_mul_f64 v[70:71], v[58:59], v[66:67]
	v_fma_f64 v[58:59], v[66:67], v[58:59], -v[70:71]
	v_fmac_f64_e32 v[58:59], v[66:67], v[52:53]
	v_add_f64 v[52:53], v[70:71], v[58:59]
	v_add_f64 v[72:73], v[64:65], -v[52:53]
	v_add_f64 v[64:65], v[64:65], -v[72:73]
	;; [unrolled: 1-line block ×4, first 2 shown]
	v_add_f64 v[52:53], v[60:61], v[52:53]
	v_add_f64 v[58:59], v[70:71], -v[58:59]
	v_add_f64 v[52:53], v[58:59], v[52:53]
	v_add_f64 v[58:59], v[62:63], v[66:67]
	;; [unrolled: 1-line block ×3, first 2 shown]
	v_add_f64 v[60:61], v[58:59], -v[62:63]
	v_mul_f64 v[52:53], v[68:69], v[52:53]
	v_add_f64 v[60:61], v[66:67], -v[60:61]
	v_add_f64 v[52:53], v[60:61], v[52:53]
	v_add_f64 v[60:61], v[58:59], v[52:53]
	v_add_f64 v[58:59], v[60:61], -v[58:59]
	s_mov_b32 s20, 0xbf559e2b
	v_add_f64 v[52:53], v[52:53], -v[58:59]
	v_mul_f64 v[58:59], v[60:61], v[60:61]
	v_mov_b32_e32 v62, 0x6b47b09a
	v_mov_b32_e32 v63, 0x3fc38538
	s_mov_b32 s21, 0x3fc3ab76
	v_fmac_f64_e32 v[62:63], s[20:21], v[58:59]
	v_mov_b32_e32 v64, 0xd7f4df2e
	v_mov_b32_e32 v65, 0x3fc7474d
	v_fmac_f64_e32 v[64:65], v[58:59], v[62:63]
	v_mov_b32_e32 v62, 0x16291751
	v_mov_b32_e32 v63, 0x3fcc71c0
	;; [unrolled: 3-line block ×5, first 2 shown]
	v_fmac_f64_e32 v[64:65], v[58:59], v[62:63]
	v_cvt_f64_i32_e32 v[62:63], v57
	s_mov_b32 s41, 0x3fe62e42
	v_mul_f64 v[66:67], v[62:63], s[40:41]
	v_fma_f64 v[68:69], v[62:63], s[40:41], -v[66:67]
	s_mov_b32 s49, 0x3c7abc9e
	v_fmac_f64_e32 v[68:69], s[48:49], v[62:63]
	v_add_f64 v[62:63], v[66:67], v[68:69]
	v_add_f64 v[66:67], v[62:63], -v[66:67]
	v_mul_f64 v[58:59], v[60:61], v[58:59]
	v_add_f64 v[66:67], v[68:69], -v[66:67]
	v_ldexp_f64 v[68:69], v[60:61], 1
	v_mul_f64 v[58:59], v[58:59], v[64:65]
	v_add_f64 v[60:61], v[68:69], v[58:59]
	v_add_f64 v[64:65], v[60:61], -v[68:69]
	v_ldexp_f64 v[52:53], v[52:53], 1
	v_add_f64 v[58:59], v[58:59], -v[64:65]
	v_add_f64 v[52:53], v[52:53], v[58:59]
	v_add_f64 v[58:59], v[60:61], v[52:53]
	v_add_f64 v[60:61], v[58:59], -v[60:61]
	v_add_f64 v[52:53], v[52:53], -v[60:61]
	v_add_f64 v[60:61], v[62:63], v[58:59]
	v_add_f64 v[64:65], v[60:61], -v[62:63]
	v_add_f64 v[68:69], v[60:61], -v[64:65]
	;; [unrolled: 1-line block ×4, first 2 shown]
	v_add_f64 v[58:59], v[58:59], v[62:63]
	v_add_f64 v[62:63], v[66:67], v[52:53]
	v_add_f64 v[64:65], v[62:63], -v[66:67]
	v_add_f64 v[58:59], v[62:63], v[58:59]
	v_add_f64 v[68:69], v[62:63], -v[64:65]
	;; [unrolled: 2-line block ×3, first 2 shown]
	v_add_f64 v[52:53], v[52:53], -v[64:65]
	v_add_f64 v[60:61], v[62:63], -v[60:61]
	v_add_f64 v[52:53], v[52:53], v[66:67]
	v_add_f64 v[58:59], v[58:59], -v[60:61]
	s_mov_b32 s20, 0
	v_add_f64 v[52:53], v[52:53], v[58:59]
	s_mov_b32 s21, 0x7ff00000
	v_add_f64 v[52:53], v[62:63], v[52:53]
	v_cmp_eq_f64_e64 s[20:21], s[20:21], v[50:51]
	v_cndmask_b32_e64 v52, v52, v50, s[20:21]
	v_cndmask_b32_e64 v53, v53, v51, s[20:21]
	v_mov_b32_e32 v57, 0x7ff80000
	v_cmp_ngt_f64_e64 s[20:21], -1.0, v[50:51]
	v_cndmask_b32_e64 v53, v57, v53, s[20:21]
	v_cmp_nge_f64_e64 s[20:21], -1.0, v[50:51]
	v_cndmask_b32_e64 v52, 0, v52, s[20:21]
	v_mov_b32_e32 v57, 0xfff00000
	v_cmp_neq_f64_e64 s[20:21], -1.0, v[50:51]
	v_cndmask_b32_e64 v53, v57, v53, s[20:21]
	v_add_f64 v[50:51], v[48:49], v[52:53]
.LBB68_232:
	s_or_b64 exec, exec, s[36:37]
	v_pk_mov_b32 v[48:49], v[50:51], v[50:51] op_sel:[0,1]
.LBB68_233:
	s_or_b64 exec, exec, s[26:27]
	v_add_u32_e32 v50, v1, v56
	ds_write_b64 v50, v[48:49]
.LBB68_234:
	s_or_b64 exec, exec, s[24:25]
	v_cmp_lt_u32_e64 s[20:21], 63, v0
	s_waitcnt lgkmcnt(0)
	s_barrier
	s_waitcnt lgkmcnt(0)
                                        ; implicit-def: $vgpr48_vgpr49
	s_and_saveexec_b64 s[24:25], s[20:21]
	s_cbranch_execz .LBB68_238
; %bb.235:
	v_lshl_add_u32 v48, v55, 3, -8
	ds_read_b64 v[48:49], v48
	v_max_f64 v[50:51], v[46:47], v[46:47]
	v_cmp_u_f64_e64 s[22:23], v[46:47], v[46:47]
	s_waitcnt lgkmcnt(0)
	v_max_f64 v[56:57], v[48:49], v[48:49]
	v_min_f64 v[52:53], v[56:57], v[50:51]
	v_cmp_u_f64_e64 s[20:21], v[48:49], v[48:49]
	v_max_f64 v[50:51], v[56:57], v[50:51]
	v_cndmask_b32_e64 v52, v52, v48, s[20:21]
	v_cndmask_b32_e64 v53, v53, v49, s[20:21]
	;; [unrolled: 1-line block ×8, first 2 shown]
	s_movk_i32 s22, 0x1f8
	v_cmp_neq_f64_e64 s[20:21], v[52:53], v[50:51]
	v_cmp_class_f64_e64 s[22:23], v[52:53], s22
	s_or_b64 s[20:21], s[20:21], s[22:23]
	v_pk_mov_b32 v[46:47], v[48:49], v[48:49] op_sel:[0,1]
	s_and_saveexec_b64 s[26:27], s[20:21]
	s_cbranch_execz .LBB68_237
; %bb.236:
	s_mov_b32 s20, 0x652b82fe
	v_add_f64 v[46:47], v[52:53], -v[50:51]
	s_mov_b32 s21, 0x3ff71547
	v_mul_f64 v[52:53], v[46:47], s[20:21]
	v_rndne_f64_e32 v[52:53], v[52:53]
	s_mov_b32 s37, 0xbfe62e42
	s_mov_b32 s36, 0xfefa39ef
	v_fma_f64 v[56:57], s[36:37], v[52:53], v[46:47]
	s_mov_b32 s41, 0xbc7abc9e
	s_mov_b32 s40, 0x3b39803f
	;; [unrolled: 1-line block ×3, first 2 shown]
	v_fmac_f64_e32 v[56:57], s[40:41], v[52:53]
	v_mov_b32_e32 v58, 0xfca7ab0c
	v_mov_b32_e32 v59, 0x3e928af3
	s_mov_b32 s21, 0x3e5ade15
	v_fmac_f64_e32 v[58:59], s[20:21], v[56:57]
	v_mov_b32_e32 v60, 0x623fde64
	v_mov_b32_e32 v61, 0x3ec71dee
	v_fmac_f64_e32 v[60:61], v[56:57], v[58:59]
	v_mov_b32_e32 v58, 0x7c89e6b0
	v_mov_b32_e32 v59, 0x3efa0199
	;; [unrolled: 3-line block ×8, first 2 shown]
	v_fmac_f64_e32 v[58:59], v[56:57], v[60:61]
	v_fma_f64 v[58:59], v[56:57], v[58:59], 1.0
	s_mov_b32 s20, 0
	s_mov_b32 s22, 0
	v_fma_f64 v[56:57], v[56:57], v[58:59], 1.0
	v_cvt_i32_f64_e32 v52, v[52:53]
	s_mov_b32 s21, 0x40900000
	s_mov_b32 s23, 0xc090cc00
	v_ldexp_f64 v[52:53], v[56:57], v52
	v_mov_b32_e32 v55, 0x7ff00000
	v_cmp_nlt_f64_e64 s[20:21], s[20:21], v[46:47]
	v_cmp_ngt_f64_e64 s[22:23], s[22:23], v[46:47]
	v_cndmask_b32_e64 v53, v55, v53, s[20:21]
	s_and_b64 s[20:21], s[22:23], s[20:21]
	v_cndmask_b32_e64 v47, 0, v53, s[22:23]
	v_cndmask_b32_e64 v46, 0, v52, s[20:21]
	v_add_f64 v[52:53], v[46:47], 1.0
	v_add_f64 v[56:57], v[52:53], -1.0
	v_add_f64 v[58:59], v[56:57], -v[52:53]
	v_add_f64 v[58:59], v[58:59], 1.0
	v_add_f64 v[56:57], v[46:47], -v[56:57]
	s_mov_b32 s20, 0x55555555
	v_add_f64 v[56:57], v[56:57], v[58:59]
	v_frexp_mant_f64_e32 v[58:59], v[52:53]
	s_mov_b32 s21, 0x3fe55555
	v_frexp_exp_i32_f64_e32 v55, v[52:53]
	v_cmp_gt_f64_e64 s[20:21], s[20:21], v[58:59]
	v_subbrev_co_u32_e64 v55, s[20:21], 0, v55, s[20:21]
	v_sub_u32_e32 v58, 0, v55
	v_ldexp_f64 v[52:53], v[52:53], v58
	v_ldexp_f64 v[56:57], v[56:57], v58
	v_add_f64 v[58:59], v[52:53], -1.0
	v_add_f64 v[64:65], v[52:53], 1.0
	v_add_f64 v[60:61], v[58:59], 1.0
	v_add_f64 v[66:67], v[64:65], -1.0
	v_add_f64 v[60:61], v[52:53], -v[60:61]
	v_add_f64 v[52:53], v[52:53], -v[66:67]
	v_add_f64 v[52:53], v[56:57], v[52:53]
	v_add_f64 v[60:61], v[56:57], v[60:61]
	;; [unrolled: 1-line block ×3, first 2 shown]
	v_rcp_f64_e32 v[66:67], v[56:57]
	v_add_f64 v[62:63], v[58:59], v[60:61]
	v_add_f64 v[58:59], v[62:63], -v[58:59]
	v_add_f64 v[58:59], v[60:61], -v[58:59]
	;; [unrolled: 1-line block ×4, first 2 shown]
	v_fma_f64 v[60:61], -v[56:57], v[66:67], 1.0
	v_fmac_f64_e32 v[66:67], v[60:61], v[66:67]
	v_fma_f64 v[60:61], -v[56:57], v[66:67], 1.0
	v_fmac_f64_e32 v[66:67], v[60:61], v[66:67]
	v_mul_f64 v[60:61], v[62:63], v[66:67]
	v_mul_f64 v[64:65], v[56:57], v[60:61]
	v_fma_f64 v[68:69], v[60:61], v[56:57], -v[64:65]
	v_fmac_f64_e32 v[68:69], v[60:61], v[52:53]
	v_add_f64 v[70:71], v[64:65], v[68:69]
	v_add_f64 v[72:73], v[62:63], -v[70:71]
	v_add_f64 v[62:63], v[62:63], -v[72:73]
	;; [unrolled: 1-line block ×4, first 2 shown]
	v_add_f64 v[58:59], v[58:59], v[62:63]
	v_add_f64 v[62:63], v[64:65], -v[68:69]
	v_add_f64 v[58:59], v[62:63], v[58:59]
	v_add_f64 v[62:63], v[72:73], v[58:59]
	v_add_f64 v[64:65], v[72:73], -v[62:63]
	v_add_f64 v[58:59], v[58:59], v[64:65]
	v_mul_f64 v[64:65], v[66:67], v[62:63]
	v_mul_f64 v[68:69], v[56:57], v[64:65]
	v_fma_f64 v[56:57], v[64:65], v[56:57], -v[68:69]
	v_fmac_f64_e32 v[56:57], v[64:65], v[52:53]
	v_add_f64 v[52:53], v[68:69], v[56:57]
	v_add_f64 v[70:71], v[62:63], -v[52:53]
	v_add_f64 v[62:63], v[62:63], -v[70:71]
	;; [unrolled: 1-line block ×4, first 2 shown]
	v_add_f64 v[52:53], v[58:59], v[52:53]
	v_add_f64 v[56:57], v[68:69], -v[56:57]
	v_add_f64 v[52:53], v[56:57], v[52:53]
	v_add_f64 v[56:57], v[60:61], v[64:65]
	;; [unrolled: 1-line block ×3, first 2 shown]
	v_add_f64 v[58:59], v[56:57], -v[60:61]
	v_mul_f64 v[52:53], v[66:67], v[52:53]
	v_add_f64 v[58:59], v[64:65], -v[58:59]
	v_add_f64 v[52:53], v[58:59], v[52:53]
	v_add_f64 v[58:59], v[56:57], v[52:53]
	v_add_f64 v[56:57], v[58:59], -v[56:57]
	s_mov_b32 s20, 0xbf559e2b
	v_add_f64 v[52:53], v[52:53], -v[56:57]
	v_mul_f64 v[56:57], v[58:59], v[58:59]
	v_mov_b32_e32 v60, 0x6b47b09a
	v_mov_b32_e32 v61, 0x3fc38538
	s_mov_b32 s21, 0x3fc3ab76
	v_fmac_f64_e32 v[60:61], s[20:21], v[56:57]
	v_mov_b32_e32 v62, 0xd7f4df2e
	v_mov_b32_e32 v63, 0x3fc7474d
	v_fmac_f64_e32 v[62:63], v[56:57], v[60:61]
	v_mov_b32_e32 v60, 0x16291751
	v_mov_b32_e32 v61, 0x3fcc71c0
	v_fmac_f64_e32 v[60:61], v[56:57], v[62:63]
	v_mov_b32_e32 v62, 0x9b27acf1
	v_mov_b32_e32 v63, 0x3fd24924
	v_fmac_f64_e32 v[62:63], v[56:57], v[60:61]
	v_mov_b32_e32 v60, 0x998ef7b6
	v_mov_b32_e32 v61, 0x3fd99999
	v_fmac_f64_e32 v[60:61], v[56:57], v[62:63]
	v_mov_b32_e32 v62, 0x55555780
	v_mov_b32_e32 v63, 0x3fe55555
	v_fmac_f64_e32 v[62:63], v[56:57], v[60:61]
	v_cvt_f64_i32_e32 v[60:61], v55
	s_mov_b32 s37, 0x3fe62e42
	v_mul_f64 v[64:65], v[60:61], s[36:37]
	v_fma_f64 v[66:67], v[60:61], s[36:37], -v[64:65]
	s_mov_b32 s41, 0x3c7abc9e
	v_fmac_f64_e32 v[66:67], s[40:41], v[60:61]
	v_add_f64 v[60:61], v[64:65], v[66:67]
	v_add_f64 v[64:65], v[60:61], -v[64:65]
	v_mul_f64 v[56:57], v[58:59], v[56:57]
	v_add_f64 v[64:65], v[66:67], -v[64:65]
	v_ldexp_f64 v[66:67], v[58:59], 1
	v_mul_f64 v[56:57], v[56:57], v[62:63]
	v_add_f64 v[58:59], v[66:67], v[56:57]
	v_add_f64 v[62:63], v[58:59], -v[66:67]
	v_ldexp_f64 v[52:53], v[52:53], 1
	v_add_f64 v[56:57], v[56:57], -v[62:63]
	v_add_f64 v[52:53], v[52:53], v[56:57]
	v_add_f64 v[56:57], v[58:59], v[52:53]
	v_add_f64 v[58:59], v[56:57], -v[58:59]
	v_add_f64 v[52:53], v[52:53], -v[58:59]
	v_add_f64 v[58:59], v[60:61], v[56:57]
	v_add_f64 v[62:63], v[58:59], -v[60:61]
	v_add_f64 v[66:67], v[58:59], -v[62:63]
	;; [unrolled: 1-line block ×4, first 2 shown]
	v_add_f64 v[56:57], v[56:57], v[60:61]
	v_add_f64 v[60:61], v[64:65], v[52:53]
	v_add_f64 v[62:63], v[60:61], -v[64:65]
	v_add_f64 v[56:57], v[60:61], v[56:57]
	v_add_f64 v[66:67], v[60:61], -v[62:63]
	v_add_f64 v[60:61], v[58:59], v[56:57]
	v_add_f64 v[64:65], v[64:65], -v[66:67]
	v_add_f64 v[52:53], v[52:53], -v[62:63]
	v_add_f64 v[58:59], v[60:61], -v[58:59]
	v_add_f64 v[52:53], v[52:53], v[64:65]
	v_add_f64 v[56:57], v[56:57], -v[58:59]
	s_mov_b32 s20, 0
	v_add_f64 v[52:53], v[52:53], v[56:57]
	s_mov_b32 s21, 0x7ff00000
	v_add_f64 v[52:53], v[60:61], v[52:53]
	v_cmp_eq_f64_e64 s[20:21], s[20:21], v[46:47]
	v_cndmask_b32_e64 v52, v52, v46, s[20:21]
	v_cndmask_b32_e64 v53, v53, v47, s[20:21]
	v_mov_b32_e32 v55, 0x7ff80000
	v_cmp_ngt_f64_e64 s[20:21], -1.0, v[46:47]
	v_cndmask_b32_e64 v53, v55, v53, s[20:21]
	v_cmp_nge_f64_e64 s[20:21], -1.0, v[46:47]
	v_cndmask_b32_e64 v52, 0, v52, s[20:21]
	v_mov_b32_e32 v55, 0xfff00000
	v_cmp_neq_f64_e64 s[20:21], -1.0, v[46:47]
	v_cndmask_b32_e64 v53, v55, v53, s[20:21]
	v_add_f64 v[46:47], v[50:51], v[52:53]
.LBB68_237:
	s_or_b64 exec, exec, s[26:27]
.LBB68_238:
	s_or_b64 exec, exec, s[24:25]
	v_add_u32_e32 v50, -1, v54
	v_and_b32_e32 v51, 64, v54
	v_cmp_lt_i32_e64 s[20:21], v50, v51
	v_cndmask_b32_e64 v50, v50, v54, s[20:21]
	v_lshlrev_b32_e32 v50, 2, v50
	ds_bpermute_b32 v46, v50, v46
	ds_bpermute_b32 v47, v50, v47
	s_and_saveexec_b64 s[20:21], s[0:1]
	s_cbranch_execz .LBB68_242
; %bb.239:
	v_cmp_eq_u32_e64 s[0:1], 0, v54
	s_waitcnt lgkmcnt(0)
	v_cndmask_b32_e64 v47, v47, v49, s[0:1]
	v_cndmask_b32_e64 v46, v46, v48, s[0:1]
	v_max_f64 v[44:45], v[46:47], v[46:47]
	v_min_f64 v[26:27], v[44:45], v[24:25]
	v_cmp_u_f64_e64 s[0:1], v[46:47], v[46:47]
	v_max_f64 v[24:25], v[44:45], v[24:25]
	v_cndmask_b32_e64 v26, v26, v46, s[0:1]
	v_cndmask_b32_e64 v27, v27, v47, s[0:1]
	;; [unrolled: 1-line block ×8, first 2 shown]
	s_movk_i32 s18, 0x1f8
	v_cmp_neq_f64_e64 s[0:1], v[26:27], v[2:3]
	v_cmp_class_f64_e64 s[18:19], v[26:27], s18
	s_or_b64 s[0:1], s[0:1], s[18:19]
	s_and_saveexec_b64 s[22:23], s[0:1]
	s_cbranch_execz .LBB68_241
; %bb.240:
	s_mov_b32 s0, 0x652b82fe
	v_add_f64 v[24:25], v[26:27], -v[2:3]
	s_mov_b32 s1, 0x3ff71547
	v_mul_f64 v[26:27], v[24:25], s[0:1]
	v_rndne_f64_e32 v[26:27], v[26:27]
	s_mov_b32 s25, 0xbfe62e42
	s_mov_b32 s24, 0xfefa39ef
	v_fma_f64 v[44:45], s[24:25], v[26:27], v[24:25]
	s_mov_b32 s27, 0xbc7abc9e
	s_mov_b32 s26, 0x3b39803f
	;; [unrolled: 1-line block ×3, first 2 shown]
	v_fmac_f64_e32 v[44:45], s[26:27], v[26:27]
	v_mov_b32_e32 v46, 0xfca7ab0c
	v_mov_b32_e32 v47, 0x3e928af3
	s_mov_b32 s1, 0x3e5ade15
	v_fmac_f64_e32 v[46:47], s[0:1], v[44:45]
	v_mov_b32_e32 v48, 0x623fde64
	v_mov_b32_e32 v49, 0x3ec71dee
	v_fmac_f64_e32 v[48:49], v[44:45], v[46:47]
	v_mov_b32_e32 v46, 0x7c89e6b0
	v_mov_b32_e32 v47, 0x3efa0199
	;; [unrolled: 3-line block ×8, first 2 shown]
	v_fmac_f64_e32 v[46:47], v[44:45], v[48:49]
	v_fma_f64 v[46:47], v[44:45], v[46:47], 1.0
	s_mov_b32 s0, 0
	s_mov_b32 s18, 0
	v_fma_f64 v[44:45], v[44:45], v[46:47], 1.0
	v_cvt_i32_f64_e32 v26, v[26:27]
	s_mov_b32 s1, 0x40900000
	s_mov_b32 s19, 0xc090cc00
	v_ldexp_f64 v[26:27], v[44:45], v26
	v_mov_b32_e32 v44, 0x7ff00000
	v_cmp_nlt_f64_e64 s[0:1], s[0:1], v[24:25]
	v_cmp_ngt_f64_e64 s[18:19], s[18:19], v[24:25]
	v_cndmask_b32_e64 v27, v44, v27, s[0:1]
	s_and_b64 s[0:1], s[18:19], s[0:1]
	v_cndmask_b32_e64 v25, 0, v27, s[18:19]
	v_cndmask_b32_e64 v24, 0, v26, s[0:1]
	v_add_f64 v[26:27], v[24:25], 1.0
	v_add_f64 v[44:45], v[26:27], -1.0
	v_add_f64 v[46:47], v[44:45], -v[26:27]
	v_add_f64 v[46:47], v[46:47], 1.0
	v_add_f64 v[44:45], v[24:25], -v[44:45]
	s_mov_b32 s0, 0x55555555
	v_add_f64 v[44:45], v[44:45], v[46:47]
	v_frexp_mant_f64_e32 v[46:47], v[26:27]
	s_mov_b32 s1, 0x3fe55555
	v_frexp_exp_i32_f64_e32 v48, v[26:27]
	v_cmp_gt_f64_e64 s[0:1], s[0:1], v[46:47]
	v_subbrev_co_u32_e64 v62, s[0:1], 0, v48, s[0:1]
	v_sub_u32_e32 v46, 0, v62
	v_ldexp_f64 v[26:27], v[26:27], v46
	v_ldexp_f64 v[44:45], v[44:45], v46
	v_add_f64 v[46:47], v[26:27], -1.0
	v_add_f64 v[52:53], v[26:27], 1.0
	v_add_f64 v[48:49], v[46:47], 1.0
	v_add_f64 v[54:55], v[52:53], -1.0
	v_add_f64 v[48:49], v[26:27], -v[48:49]
	v_add_f64 v[26:27], v[26:27], -v[54:55]
	v_add_f64 v[26:27], v[44:45], v[26:27]
	v_add_f64 v[48:49], v[44:45], v[48:49]
	;; [unrolled: 1-line block ×3, first 2 shown]
	v_rcp_f64_e32 v[54:55], v[44:45]
	v_add_f64 v[50:51], v[46:47], v[48:49]
	v_add_f64 v[46:47], v[50:51], -v[46:47]
	v_add_f64 v[46:47], v[48:49], -v[46:47]
	v_add_f64 v[48:49], v[44:45], -v[52:53]
	v_add_f64 v[26:27], v[26:27], -v[48:49]
	v_fma_f64 v[48:49], -v[44:45], v[54:55], 1.0
	v_fmac_f64_e32 v[54:55], v[48:49], v[54:55]
	v_fma_f64 v[48:49], -v[44:45], v[54:55], 1.0
	v_fmac_f64_e32 v[54:55], v[48:49], v[54:55]
	v_mul_f64 v[48:49], v[50:51], v[54:55]
	v_mul_f64 v[52:53], v[44:45], v[48:49]
	v_fma_f64 v[56:57], v[48:49], v[44:45], -v[52:53]
	v_fmac_f64_e32 v[56:57], v[48:49], v[26:27]
	v_add_f64 v[58:59], v[52:53], v[56:57]
	v_add_f64 v[60:61], v[50:51], -v[58:59]
	v_add_f64 v[50:51], v[50:51], -v[60:61]
	;; [unrolled: 1-line block ×4, first 2 shown]
	v_add_f64 v[46:47], v[46:47], v[50:51]
	v_add_f64 v[50:51], v[52:53], -v[56:57]
	v_add_f64 v[46:47], v[50:51], v[46:47]
	v_add_f64 v[50:51], v[60:61], v[46:47]
	v_add_f64 v[52:53], v[60:61], -v[50:51]
	v_add_f64 v[46:47], v[46:47], v[52:53]
	v_mul_f64 v[52:53], v[54:55], v[50:51]
	v_mul_f64 v[56:57], v[44:45], v[52:53]
	v_fma_f64 v[44:45], v[52:53], v[44:45], -v[56:57]
	v_fmac_f64_e32 v[44:45], v[52:53], v[26:27]
	v_add_f64 v[26:27], v[56:57], v[44:45]
	v_add_f64 v[58:59], v[50:51], -v[26:27]
	v_add_f64 v[50:51], v[50:51], -v[58:59]
	;; [unrolled: 1-line block ×4, first 2 shown]
	v_add_f64 v[26:27], v[46:47], v[26:27]
	v_add_f64 v[44:45], v[56:57], -v[44:45]
	v_add_f64 v[26:27], v[44:45], v[26:27]
	v_add_f64 v[44:45], v[48:49], v[52:53]
	;; [unrolled: 1-line block ×3, first 2 shown]
	v_add_f64 v[46:47], v[44:45], -v[48:49]
	v_mul_f64 v[26:27], v[54:55], v[26:27]
	v_add_f64 v[46:47], v[52:53], -v[46:47]
	v_add_f64 v[26:27], v[46:47], v[26:27]
	v_add_f64 v[46:47], v[44:45], v[26:27]
	v_add_f64 v[44:45], v[46:47], -v[44:45]
	s_mov_b32 s0, 0xbf559e2b
	v_add_f64 v[26:27], v[26:27], -v[44:45]
	v_mul_f64 v[44:45], v[46:47], v[46:47]
	v_mov_b32_e32 v48, 0x6b47b09a
	v_mov_b32_e32 v49, 0x3fc38538
	s_mov_b32 s1, 0x3fc3ab76
	v_fmac_f64_e32 v[48:49], s[0:1], v[44:45]
	v_mov_b32_e32 v50, 0xd7f4df2e
	v_mov_b32_e32 v51, 0x3fc7474d
	v_fmac_f64_e32 v[50:51], v[44:45], v[48:49]
	v_mov_b32_e32 v48, 0x16291751
	v_mov_b32_e32 v49, 0x3fcc71c0
	;; [unrolled: 3-line block ×5, first 2 shown]
	v_fmac_f64_e32 v[50:51], v[44:45], v[48:49]
	v_cvt_f64_i32_e32 v[48:49], v62
	s_mov_b32 s25, 0x3fe62e42
	v_mul_f64 v[52:53], v[48:49], s[24:25]
	v_fma_f64 v[54:55], v[48:49], s[24:25], -v[52:53]
	s_mov_b32 s27, 0x3c7abc9e
	v_fmac_f64_e32 v[54:55], s[26:27], v[48:49]
	v_add_f64 v[48:49], v[52:53], v[54:55]
	v_add_f64 v[52:53], v[48:49], -v[52:53]
	v_mul_f64 v[44:45], v[46:47], v[44:45]
	v_add_f64 v[52:53], v[54:55], -v[52:53]
	v_ldexp_f64 v[54:55], v[46:47], 1
	v_mul_f64 v[44:45], v[44:45], v[50:51]
	v_add_f64 v[46:47], v[54:55], v[44:45]
	v_add_f64 v[50:51], v[46:47], -v[54:55]
	v_ldexp_f64 v[26:27], v[26:27], 1
	v_add_f64 v[44:45], v[44:45], -v[50:51]
	v_add_f64 v[26:27], v[26:27], v[44:45]
	v_add_f64 v[44:45], v[46:47], v[26:27]
	v_add_f64 v[46:47], v[44:45], -v[46:47]
	v_add_f64 v[26:27], v[26:27], -v[46:47]
	v_add_f64 v[46:47], v[48:49], v[44:45]
	v_add_f64 v[50:51], v[46:47], -v[48:49]
	v_add_f64 v[54:55], v[46:47], -v[50:51]
	;; [unrolled: 1-line block ×4, first 2 shown]
	v_add_f64 v[44:45], v[44:45], v[48:49]
	v_add_f64 v[48:49], v[52:53], v[26:27]
	v_add_f64 v[50:51], v[48:49], -v[52:53]
	v_add_f64 v[44:45], v[48:49], v[44:45]
	v_add_f64 v[54:55], v[48:49], -v[50:51]
	;; [unrolled: 2-line block ×3, first 2 shown]
	v_add_f64 v[26:27], v[26:27], -v[50:51]
	v_add_f64 v[46:47], v[48:49], -v[46:47]
	v_add_f64 v[26:27], v[26:27], v[52:53]
	v_add_f64 v[44:45], v[44:45], -v[46:47]
	s_mov_b32 s0, 0
	v_add_f64 v[26:27], v[26:27], v[44:45]
	s_mov_b32 s1, 0x7ff00000
	v_add_f64 v[26:27], v[48:49], v[26:27]
	v_cmp_eq_f64_e64 s[0:1], s[0:1], v[24:25]
	v_cndmask_b32_e64 v26, v26, v24, s[0:1]
	v_cndmask_b32_e64 v27, v27, v25, s[0:1]
	v_mov_b32_e32 v44, 0x7ff80000
	v_cmp_ngt_f64_e64 s[0:1], -1.0, v[24:25]
	v_cndmask_b32_e64 v27, v44, v27, s[0:1]
	v_cmp_nge_f64_e64 s[0:1], -1.0, v[24:25]
	v_cndmask_b32_e64 v26, 0, v26, s[0:1]
	v_mov_b32_e32 v44, 0xfff00000
	v_cmp_neq_f64_e64 s[0:1], -1.0, v[24:25]
	v_cndmask_b32_e64 v27, v44, v27, s[0:1]
	v_add_f64 v[46:47], v[2:3], v[26:27]
.LBB68_241:
	s_or_b64 exec, exec, s[22:23]
	v_max_f64 v[2:3], v[46:47], v[46:47]
	v_min_f64 v[26:27], v[2:3], v[42:43]
	v_max_f64 v[44:45], v[2:3], v[42:43]
	v_pk_mov_b32 v[2:3], v[46:47], v[46:47] op_sel:[0,1]
	;;#ASMSTART
	;;#ASMEND
.LBB68_242:
	s_or_b64 exec, exec, s[20:21]
	v_cmp_u_f64_e64 s[0:1], v[2:3], v[2:3]
	v_cndmask_b32_e64 v24, v26, v2, s[0:1]
	v_cndmask_b32_e64 v25, v27, v3, s[0:1]
	v_cndmask_b32_e32 v27, v25, v5, vcc
	v_cndmask_b32_e32 v26, v24, v4, vcc
	v_cndmask_b32_e64 v24, v44, v2, s[0:1]
	v_cndmask_b32_e64 v25, v45, v3, s[0:1]
	v_cndmask_b32_e32 v5, v25, v5, vcc
	v_cndmask_b32_e32 v4, v24, v4, vcc
	s_movk_i32 s24, 0x1f8
	v_cmp_neq_f64_e32 vcc, v[26:27], v[4:5]
	v_cmp_class_f64_e64 s[0:1], v[26:27], s24
	s_or_b64 s[0:1], vcc, s[0:1]
	v_pk_mov_b32 v[24:25], v[2:3], v[2:3] op_sel:[0,1]
	s_and_saveexec_b64 s[18:19], s[0:1]
	s_cbranch_execz .LBB68_244
; %bb.243:
	s_mov_b32 s0, 0x652b82fe
	v_add_f64 v[24:25], v[26:27], -v[4:5]
	s_mov_b32 s1, 0x3ff71547
	v_mul_f64 v[26:27], v[24:25], s[0:1]
	v_rndne_f64_e32 v[26:27], v[26:27]
	s_mov_b32 s21, 0xbfe62e42
	s_mov_b32 s20, 0xfefa39ef
	v_fma_f64 v[42:43], s[20:21], v[26:27], v[24:25]
	s_mov_b32 s23, 0xbc7abc9e
	s_mov_b32 s22, 0x3b39803f
	;; [unrolled: 1-line block ×3, first 2 shown]
	v_fmac_f64_e32 v[42:43], s[22:23], v[26:27]
	v_mov_b32_e32 v44, 0xfca7ab0c
	v_mov_b32_e32 v45, 0x3e928af3
	s_mov_b32 s1, 0x3e5ade15
	v_fmac_f64_e32 v[44:45], s[0:1], v[42:43]
	s_waitcnt lgkmcnt(1)
	v_mov_b32_e32 v46, 0x623fde64
	s_waitcnt lgkmcnt(0)
	v_mov_b32_e32 v47, 0x3ec71dee
	v_fmac_f64_e32 v[46:47], v[42:43], v[44:45]
	v_mov_b32_e32 v44, 0x7c89e6b0
	v_mov_b32_e32 v45, 0x3efa0199
	v_fmac_f64_e32 v[44:45], v[42:43], v[46:47]
	v_mov_b32_e32 v46, 0x14761f6e
	;; [unrolled: 3-line block ×7, first 2 shown]
	v_mov_b32_e32 v45, 0x3fe00000
	s_mov_b32 s0, 0
	v_fmac_f64_e32 v[44:45], v[42:43], v[46:47]
	s_mov_b32 s1, 0x40900000
	v_fma_f64 v[44:45], v[42:43], v[44:45], 1.0
	v_cmp_nlt_f64_e32 vcc, s[0:1], v[24:25]
	s_mov_b32 s0, 0
	v_fma_f64 v[42:43], v[42:43], v[44:45], 1.0
	v_cvt_i32_f64_e32 v26, v[26:27]
	s_mov_b32 s1, 0xc090cc00
	v_ldexp_f64 v[26:27], v[42:43], v26
	v_mov_b32_e32 v42, 0x7ff00000
	v_cmp_ngt_f64_e64 s[0:1], s[0:1], v[24:25]
	v_cndmask_b32_e32 v27, v42, v27, vcc
	s_and_b64 vcc, s[0:1], vcc
	v_cndmask_b32_e64 v25, 0, v27, s[0:1]
	v_cndmask_b32_e32 v24, 0, v26, vcc
	v_add_f64 v[26:27], v[24:25], 1.0
	v_add_f64 v[42:43], v[26:27], -1.0
	v_add_f64 v[44:45], v[42:43], -v[26:27]
	v_add_f64 v[44:45], v[44:45], 1.0
	v_add_f64 v[42:43], v[24:25], -v[42:43]
	s_mov_b32 s0, 0x55555555
	v_add_f64 v[42:43], v[42:43], v[44:45]
	v_frexp_mant_f64_e32 v[44:45], v[26:27]
	s_mov_b32 s1, 0x3fe55555
	v_frexp_exp_i32_f64_e32 v46, v[26:27]
	v_cmp_gt_f64_e32 vcc, s[0:1], v[44:45]
	v_subbrev_co_u32_e32 v60, vcc, 0, v46, vcc
	v_sub_u32_e32 v44, 0, v60
	v_ldexp_f64 v[26:27], v[26:27], v44
	v_ldexp_f64 v[42:43], v[42:43], v44
	v_add_f64 v[44:45], v[26:27], -1.0
	v_add_f64 v[50:51], v[26:27], 1.0
	v_add_f64 v[46:47], v[44:45], 1.0
	v_add_f64 v[52:53], v[50:51], -1.0
	v_add_f64 v[46:47], v[26:27], -v[46:47]
	v_add_f64 v[26:27], v[26:27], -v[52:53]
	v_add_f64 v[26:27], v[42:43], v[26:27]
	v_add_f64 v[46:47], v[42:43], v[46:47]
	v_add_f64 v[42:43], v[50:51], v[26:27]
	v_rcp_f64_e32 v[52:53], v[42:43]
	v_add_f64 v[48:49], v[44:45], v[46:47]
	v_add_f64 v[44:45], v[48:49], -v[44:45]
	v_add_f64 v[44:45], v[46:47], -v[44:45]
	;; [unrolled: 1-line block ×4, first 2 shown]
	v_fma_f64 v[46:47], -v[42:43], v[52:53], 1.0
	v_fmac_f64_e32 v[52:53], v[46:47], v[52:53]
	v_fma_f64 v[46:47], -v[42:43], v[52:53], 1.0
	v_fmac_f64_e32 v[52:53], v[46:47], v[52:53]
	v_mul_f64 v[46:47], v[48:49], v[52:53]
	v_mul_f64 v[50:51], v[42:43], v[46:47]
	v_fma_f64 v[54:55], v[46:47], v[42:43], -v[50:51]
	v_fmac_f64_e32 v[54:55], v[46:47], v[26:27]
	v_add_f64 v[56:57], v[50:51], v[54:55]
	v_add_f64 v[58:59], v[48:49], -v[56:57]
	v_add_f64 v[48:49], v[48:49], -v[58:59]
	;; [unrolled: 1-line block ×4, first 2 shown]
	v_add_f64 v[44:45], v[44:45], v[48:49]
	v_add_f64 v[48:49], v[50:51], -v[54:55]
	v_add_f64 v[44:45], v[48:49], v[44:45]
	v_add_f64 v[48:49], v[58:59], v[44:45]
	v_add_f64 v[50:51], v[58:59], -v[48:49]
	v_add_f64 v[44:45], v[44:45], v[50:51]
	v_mul_f64 v[50:51], v[52:53], v[48:49]
	v_mul_f64 v[54:55], v[42:43], v[50:51]
	v_fma_f64 v[42:43], v[50:51], v[42:43], -v[54:55]
	v_fmac_f64_e32 v[42:43], v[50:51], v[26:27]
	v_add_f64 v[26:27], v[54:55], v[42:43]
	v_add_f64 v[56:57], v[48:49], -v[26:27]
	v_add_f64 v[48:49], v[48:49], -v[56:57]
	;; [unrolled: 1-line block ×4, first 2 shown]
	v_add_f64 v[26:27], v[44:45], v[26:27]
	v_add_f64 v[42:43], v[54:55], -v[42:43]
	v_add_f64 v[26:27], v[42:43], v[26:27]
	v_add_f64 v[42:43], v[46:47], v[50:51]
	v_add_f64 v[26:27], v[56:57], v[26:27]
	v_add_f64 v[44:45], v[42:43], -v[46:47]
	v_mul_f64 v[26:27], v[52:53], v[26:27]
	v_add_f64 v[44:45], v[50:51], -v[44:45]
	v_add_f64 v[26:27], v[44:45], v[26:27]
	v_add_f64 v[44:45], v[42:43], v[26:27]
	v_add_f64 v[42:43], v[44:45], -v[42:43]
	s_mov_b32 s0, 0xbf559e2b
	v_add_f64 v[26:27], v[26:27], -v[42:43]
	v_mul_f64 v[42:43], v[44:45], v[44:45]
	v_mov_b32_e32 v46, 0x6b47b09a
	v_mov_b32_e32 v47, 0x3fc38538
	s_mov_b32 s1, 0x3fc3ab76
	v_fmac_f64_e32 v[46:47], s[0:1], v[42:43]
	v_mov_b32_e32 v48, 0xd7f4df2e
	v_mov_b32_e32 v49, 0x3fc7474d
	v_fmac_f64_e32 v[48:49], v[42:43], v[46:47]
	v_mov_b32_e32 v46, 0x16291751
	v_mov_b32_e32 v47, 0x3fcc71c0
	;; [unrolled: 3-line block ×5, first 2 shown]
	v_fmac_f64_e32 v[48:49], v[42:43], v[46:47]
	v_cvt_f64_i32_e32 v[46:47], v60
	s_mov_b32 s21, 0x3fe62e42
	v_mul_f64 v[50:51], v[46:47], s[20:21]
	v_fma_f64 v[52:53], v[46:47], s[20:21], -v[50:51]
	s_mov_b32 s23, 0x3c7abc9e
	v_fmac_f64_e32 v[52:53], s[22:23], v[46:47]
	v_add_f64 v[46:47], v[50:51], v[52:53]
	v_add_f64 v[50:51], v[46:47], -v[50:51]
	v_mul_f64 v[42:43], v[44:45], v[42:43]
	v_add_f64 v[50:51], v[52:53], -v[50:51]
	v_ldexp_f64 v[52:53], v[44:45], 1
	v_mul_f64 v[42:43], v[42:43], v[48:49]
	v_add_f64 v[44:45], v[52:53], v[42:43]
	v_add_f64 v[48:49], v[44:45], -v[52:53]
	v_ldexp_f64 v[26:27], v[26:27], 1
	v_add_f64 v[42:43], v[42:43], -v[48:49]
	v_add_f64 v[26:27], v[26:27], v[42:43]
	v_add_f64 v[42:43], v[44:45], v[26:27]
	v_add_f64 v[44:45], v[42:43], -v[44:45]
	v_add_f64 v[26:27], v[26:27], -v[44:45]
	v_add_f64 v[44:45], v[46:47], v[42:43]
	v_add_f64 v[48:49], v[44:45], -v[46:47]
	v_add_f64 v[52:53], v[44:45], -v[48:49]
	v_add_f64 v[46:47], v[46:47], -v[52:53]
	v_add_f64 v[42:43], v[42:43], -v[48:49]
	v_add_f64 v[42:43], v[42:43], v[46:47]
	v_add_f64 v[46:47], v[50:51], v[26:27]
	v_add_f64 v[48:49], v[46:47], -v[50:51]
	v_add_f64 v[42:43], v[46:47], v[42:43]
	v_add_f64 v[52:53], v[46:47], -v[48:49]
	;; [unrolled: 2-line block ×3, first 2 shown]
	v_add_f64 v[26:27], v[26:27], -v[48:49]
	v_add_f64 v[44:45], v[46:47], -v[44:45]
	v_add_f64 v[26:27], v[26:27], v[50:51]
	v_add_f64 v[42:43], v[42:43], -v[44:45]
	s_mov_b32 s0, 0
	v_add_f64 v[26:27], v[26:27], v[42:43]
	s_mov_b32 s1, 0x7ff00000
	v_add_f64 v[26:27], v[46:47], v[26:27]
	v_cmp_eq_f64_e32 vcc, s[0:1], v[24:25]
	v_cndmask_b32_e32 v26, v26, v24, vcc
	v_cndmask_b32_e32 v27, v27, v25, vcc
	v_mov_b32_e32 v42, 0x7ff80000
	v_cmp_ngt_f64_e32 vcc, -1.0, v[24:25]
	v_cndmask_b32_e32 v27, v42, v27, vcc
	v_cmp_nge_f64_e32 vcc, -1.0, v[24:25]
	v_cndmask_b32_e32 v26, 0, v26, vcc
	v_mov_b32_e32 v42, 0xfff00000
	v_cmp_neq_f64_e32 vcc, -1.0, v[24:25]
	v_cndmask_b32_e32 v27, v42, v27, vcc
	v_add_f64 v[24:25], v[4:5], v[26:27]
.LBB68_244:
	s_or_b64 exec, exec, s[18:19]
	v_max_f64 v[4:5], v[24:25], v[24:25]
	v_min_f64 v[26:27], v[4:5], v[22:23]
	v_cmp_u_f64_e32 vcc, v[24:25], v[24:25]
	v_max_f64 v[4:5], v[4:5], v[22:23]
	v_cndmask_b32_e32 v26, v26, v24, vcc
	v_cndmask_b32_e32 v27, v27, v25, vcc
	;; [unrolled: 1-line block ×4, first 2 shown]
	v_cndmask_b32_e64 v43, v27, v19, s[2:3]
	v_cndmask_b32_e64 v42, v26, v18, s[2:3]
	v_cndmask_b32_e64 v5, v5, v19, s[2:3]
	v_cndmask_b32_e64 v4, v4, v18, s[2:3]
	v_cmp_neq_f64_e32 vcc, v[42:43], v[4:5]
	v_cmp_class_f64_e64 s[0:1], v[42:43], s24
	s_or_b64 s[0:1], vcc, s[0:1]
	v_pk_mov_b32 v[26:27], v[24:25], v[24:25] op_sel:[0,1]
	s_and_saveexec_b64 s[2:3], s[0:1]
	s_cbranch_execz .LBB68_246
; %bb.245:
	s_mov_b32 s0, 0x652b82fe
	v_add_f64 v[18:19], v[42:43], -v[4:5]
	s_mov_b32 s1, 0x3ff71547
	v_mul_f64 v[22:23], v[18:19], s[0:1]
	v_rndne_f64_e32 v[22:23], v[22:23]
	s_mov_b32 s19, 0xbfe62e42
	s_mov_b32 s18, 0xfefa39ef
	v_fma_f64 v[26:27], s[18:19], v[22:23], v[18:19]
	s_mov_b32 s21, 0xbc7abc9e
	s_mov_b32 s20, 0x3b39803f
	;; [unrolled: 1-line block ×3, first 2 shown]
	v_fmac_f64_e32 v[26:27], s[20:21], v[22:23]
	v_mov_b32_e32 v42, 0xfca7ab0c
	v_mov_b32_e32 v43, 0x3e928af3
	s_mov_b32 s1, 0x3e5ade15
	v_fmac_f64_e32 v[42:43], s[0:1], v[26:27]
	v_mov_b32_e32 v44, 0x623fde64
	v_mov_b32_e32 v45, 0x3ec71dee
	v_fmac_f64_e32 v[44:45], v[26:27], v[42:43]
	v_mov_b32_e32 v42, 0x7c89e6b0
	v_mov_b32_e32 v43, 0x3efa0199
	;; [unrolled: 3-line block ×8, first 2 shown]
	s_mov_b32 s0, 0
	v_fmac_f64_e32 v[42:43], v[26:27], v[44:45]
	s_mov_b32 s1, 0x40900000
	v_fma_f64 v[42:43], v[26:27], v[42:43], 1.0
	v_cmp_nlt_f64_e32 vcc, s[0:1], v[18:19]
	s_mov_b32 s0, 0
	v_fma_f64 v[26:27], v[26:27], v[42:43], 1.0
	v_cvt_i32_f64_e32 v22, v[22:23]
	s_mov_b32 s1, 0xc090cc00
	v_ldexp_f64 v[22:23], v[26:27], v22
	v_mov_b32_e32 v26, 0x7ff00000
	v_cmp_ngt_f64_e64 s[0:1], s[0:1], v[18:19]
	v_cndmask_b32_e32 v23, v26, v23, vcc
	s_and_b64 vcc, s[0:1], vcc
	v_cndmask_b32_e64 v19, 0, v23, s[0:1]
	v_cndmask_b32_e32 v18, 0, v22, vcc
	v_add_f64 v[22:23], v[18:19], 1.0
	v_add_f64 v[26:27], v[22:23], -1.0
	v_add_f64 v[42:43], v[26:27], -v[22:23]
	v_add_f64 v[42:43], v[42:43], 1.0
	v_add_f64 v[26:27], v[18:19], -v[26:27]
	s_mov_b32 s0, 0x55555555
	v_add_f64 v[26:27], v[26:27], v[42:43]
	v_frexp_mant_f64_e32 v[42:43], v[22:23]
	s_mov_b32 s1, 0x3fe55555
	v_frexp_exp_i32_f64_e32 v44, v[22:23]
	v_cmp_gt_f64_e32 vcc, s[0:1], v[42:43]
	v_subbrev_co_u32_e32 v58, vcc, 0, v44, vcc
	v_sub_u32_e32 v42, 0, v58
	v_ldexp_f64 v[22:23], v[22:23], v42
	v_ldexp_f64 v[26:27], v[26:27], v42
	v_add_f64 v[42:43], v[22:23], -1.0
	v_add_f64 v[48:49], v[22:23], 1.0
	v_add_f64 v[44:45], v[42:43], 1.0
	v_add_f64 v[50:51], v[48:49], -1.0
	v_add_f64 v[44:45], v[22:23], -v[44:45]
	v_add_f64 v[22:23], v[22:23], -v[50:51]
	v_add_f64 v[22:23], v[26:27], v[22:23]
	v_add_f64 v[44:45], v[26:27], v[44:45]
	;; [unrolled: 1-line block ×3, first 2 shown]
	v_rcp_f64_e32 v[50:51], v[26:27]
	s_waitcnt lgkmcnt(0)
	v_add_f64 v[46:47], v[42:43], v[44:45]
	v_add_f64 v[42:43], v[46:47], -v[42:43]
	v_add_f64 v[42:43], v[44:45], -v[42:43]
	;; [unrolled: 1-line block ×4, first 2 shown]
	v_fma_f64 v[44:45], -v[26:27], v[50:51], 1.0
	v_fmac_f64_e32 v[50:51], v[44:45], v[50:51]
	v_fma_f64 v[44:45], -v[26:27], v[50:51], 1.0
	v_fmac_f64_e32 v[50:51], v[44:45], v[50:51]
	v_mul_f64 v[44:45], v[46:47], v[50:51]
	v_mul_f64 v[48:49], v[26:27], v[44:45]
	v_fma_f64 v[52:53], v[44:45], v[26:27], -v[48:49]
	v_fmac_f64_e32 v[52:53], v[44:45], v[22:23]
	v_add_f64 v[54:55], v[48:49], v[52:53]
	v_add_f64 v[56:57], v[46:47], -v[54:55]
	v_add_f64 v[46:47], v[46:47], -v[56:57]
	;; [unrolled: 1-line block ×4, first 2 shown]
	v_add_f64 v[42:43], v[42:43], v[46:47]
	v_add_f64 v[46:47], v[48:49], -v[52:53]
	v_add_f64 v[42:43], v[46:47], v[42:43]
	v_add_f64 v[46:47], v[56:57], v[42:43]
	v_add_f64 v[48:49], v[56:57], -v[46:47]
	v_add_f64 v[42:43], v[42:43], v[48:49]
	v_mul_f64 v[48:49], v[50:51], v[46:47]
	v_mul_f64 v[52:53], v[26:27], v[48:49]
	v_fma_f64 v[26:27], v[48:49], v[26:27], -v[52:53]
	v_fmac_f64_e32 v[26:27], v[48:49], v[22:23]
	v_add_f64 v[22:23], v[52:53], v[26:27]
	v_add_f64 v[54:55], v[46:47], -v[22:23]
	v_add_f64 v[46:47], v[46:47], -v[54:55]
	;; [unrolled: 1-line block ×4, first 2 shown]
	v_add_f64 v[22:23], v[42:43], v[22:23]
	v_add_f64 v[26:27], v[52:53], -v[26:27]
	v_add_f64 v[22:23], v[26:27], v[22:23]
	v_add_f64 v[26:27], v[44:45], v[48:49]
	;; [unrolled: 1-line block ×3, first 2 shown]
	v_add_f64 v[42:43], v[26:27], -v[44:45]
	v_mul_f64 v[22:23], v[50:51], v[22:23]
	v_add_f64 v[42:43], v[48:49], -v[42:43]
	v_add_f64 v[22:23], v[42:43], v[22:23]
	v_add_f64 v[42:43], v[26:27], v[22:23]
	v_add_f64 v[26:27], v[42:43], -v[26:27]
	s_mov_b32 s0, 0xbf559e2b
	v_add_f64 v[22:23], v[22:23], -v[26:27]
	v_mul_f64 v[26:27], v[42:43], v[42:43]
	v_mov_b32_e32 v44, 0x6b47b09a
	v_mov_b32_e32 v45, 0x3fc38538
	s_mov_b32 s1, 0x3fc3ab76
	v_fmac_f64_e32 v[44:45], s[0:1], v[26:27]
	v_mov_b32_e32 v46, 0xd7f4df2e
	v_mov_b32_e32 v47, 0x3fc7474d
	v_fmac_f64_e32 v[46:47], v[26:27], v[44:45]
	v_mov_b32_e32 v44, 0x16291751
	v_mov_b32_e32 v45, 0x3fcc71c0
	;; [unrolled: 3-line block ×5, first 2 shown]
	v_fmac_f64_e32 v[46:47], v[26:27], v[44:45]
	v_cvt_f64_i32_e32 v[44:45], v58
	s_mov_b32 s19, 0x3fe62e42
	v_mul_f64 v[48:49], v[44:45], s[18:19]
	v_fma_f64 v[50:51], v[44:45], s[18:19], -v[48:49]
	s_mov_b32 s21, 0x3c7abc9e
	v_fmac_f64_e32 v[50:51], s[20:21], v[44:45]
	v_add_f64 v[44:45], v[48:49], v[50:51]
	v_add_f64 v[48:49], v[44:45], -v[48:49]
	v_mul_f64 v[26:27], v[42:43], v[26:27]
	v_add_f64 v[48:49], v[50:51], -v[48:49]
	v_ldexp_f64 v[50:51], v[42:43], 1
	v_mul_f64 v[26:27], v[26:27], v[46:47]
	v_add_f64 v[42:43], v[50:51], v[26:27]
	v_add_f64 v[46:47], v[42:43], -v[50:51]
	v_ldexp_f64 v[22:23], v[22:23], 1
	v_add_f64 v[26:27], v[26:27], -v[46:47]
	v_add_f64 v[22:23], v[22:23], v[26:27]
	v_add_f64 v[26:27], v[42:43], v[22:23]
	v_add_f64 v[42:43], v[26:27], -v[42:43]
	v_add_f64 v[22:23], v[22:23], -v[42:43]
	v_add_f64 v[42:43], v[44:45], v[26:27]
	v_add_f64 v[46:47], v[42:43], -v[44:45]
	v_add_f64 v[50:51], v[42:43], -v[46:47]
	;; [unrolled: 1-line block ×4, first 2 shown]
	v_add_f64 v[26:27], v[26:27], v[44:45]
	v_add_f64 v[44:45], v[48:49], v[22:23]
	v_add_f64 v[46:47], v[44:45], -v[48:49]
	v_add_f64 v[26:27], v[44:45], v[26:27]
	v_add_f64 v[50:51], v[44:45], -v[46:47]
	;; [unrolled: 2-line block ×3, first 2 shown]
	v_add_f64 v[22:23], v[22:23], -v[46:47]
	v_add_f64 v[42:43], v[44:45], -v[42:43]
	v_add_f64 v[22:23], v[22:23], v[48:49]
	v_add_f64 v[26:27], v[26:27], -v[42:43]
	s_mov_b32 s0, 0
	v_add_f64 v[22:23], v[22:23], v[26:27]
	s_mov_b32 s1, 0x7ff00000
	v_add_f64 v[22:23], v[44:45], v[22:23]
	v_cmp_eq_f64_e32 vcc, s[0:1], v[18:19]
	v_cndmask_b32_e32 v22, v22, v18, vcc
	v_cndmask_b32_e32 v23, v23, v19, vcc
	v_mov_b32_e32 v26, 0x7ff80000
	v_cmp_ngt_f64_e32 vcc, -1.0, v[18:19]
	v_cndmask_b32_e32 v23, v26, v23, vcc
	v_cmp_nge_f64_e32 vcc, -1.0, v[18:19]
	v_cndmask_b32_e32 v22, 0, v22, vcc
	v_mov_b32_e32 v26, 0xfff00000
	v_cmp_neq_f64_e32 vcc, -1.0, v[18:19]
	v_cndmask_b32_e32 v23, v26, v23, vcc
	v_add_f64 v[26:27], v[4:5], v[22:23]
.LBB68_246:
	s_or_b64 exec, exec, s[2:3]
	v_max_f64 v[4:5], v[26:27], v[26:27]
	v_min_f64 v[18:19], v[4:5], v[28:29]
	v_cmp_u_f64_e32 vcc, v[26:27], v[26:27]
	v_max_f64 v[4:5], v[4:5], v[28:29]
	v_cndmask_b32_e32 v18, v18, v26, vcc
	v_cndmask_b32_e32 v19, v19, v27, vcc
	;; [unrolled: 1-line block ×4, first 2 shown]
	v_cndmask_b32_e64 v19, v19, v21, s[4:5]
	v_cndmask_b32_e64 v18, v18, v20, s[4:5]
	;; [unrolled: 1-line block ×4, first 2 shown]
	s_movk_i32 s20, 0x1f8
	v_cmp_neq_f64_e32 vcc, v[18:19], v[4:5]
	v_cmp_class_f64_e64 s[0:1], v[18:19], s20
	s_or_b64 s[0:1], vcc, s[0:1]
	v_pk_mov_b32 v[28:29], v[26:27], v[26:27] op_sel:[0,1]
	s_and_saveexec_b64 s[2:3], s[0:1]
	s_cbranch_execz .LBB68_248
; %bb.247:
	s_mov_b32 s0, 0x652b82fe
	v_add_f64 v[18:19], v[18:19], -v[4:5]
	s_mov_b32 s1, 0x3ff71547
	v_mul_f64 v[20:21], v[18:19], s[0:1]
	v_rndne_f64_e32 v[20:21], v[20:21]
	s_mov_b32 s5, 0xbfe62e42
	s_mov_b32 s4, 0xfefa39ef
	v_fma_f64 v[22:23], s[4:5], v[20:21], v[18:19]
	s_mov_b32 s19, 0xbc7abc9e
	s_mov_b32 s18, 0x3b39803f
	;; [unrolled: 1-line block ×3, first 2 shown]
	v_fmac_f64_e32 v[22:23], s[18:19], v[20:21]
	v_mov_b32_e32 v28, 0xfca7ab0c
	v_mov_b32_e32 v29, 0x3e928af3
	s_mov_b32 s1, 0x3e5ade15
	v_fmac_f64_e32 v[28:29], s[0:1], v[22:23]
	v_mov_b32_e32 v42, 0x623fde64
	v_mov_b32_e32 v43, 0x3ec71dee
	v_fmac_f64_e32 v[42:43], v[22:23], v[28:29]
	v_mov_b32_e32 v28, 0x7c89e6b0
	v_mov_b32_e32 v29, 0x3efa0199
	;; [unrolled: 3-line block ×8, first 2 shown]
	s_mov_b32 s0, 0
	v_fmac_f64_e32 v[28:29], v[22:23], v[42:43]
	s_mov_b32 s1, 0x40900000
	v_fma_f64 v[28:29], v[22:23], v[28:29], 1.0
	v_cmp_nlt_f64_e32 vcc, s[0:1], v[18:19]
	s_mov_b32 s0, 0
	v_fma_f64 v[22:23], v[22:23], v[28:29], 1.0
	v_cvt_i32_f64_e32 v20, v[20:21]
	s_mov_b32 s1, 0xc090cc00
	v_ldexp_f64 v[20:21], v[22:23], v20
	v_mov_b32_e32 v22, 0x7ff00000
	v_cmp_ngt_f64_e64 s[0:1], s[0:1], v[18:19]
	v_cndmask_b32_e32 v21, v22, v21, vcc
	s_and_b64 vcc, s[0:1], vcc
	v_cndmask_b32_e64 v19, 0, v21, s[0:1]
	v_cndmask_b32_e32 v18, 0, v20, vcc
	v_add_f64 v[20:21], v[18:19], 1.0
	v_add_f64 v[22:23], v[20:21], -1.0
	v_add_f64 v[28:29], v[22:23], -v[20:21]
	v_add_f64 v[28:29], v[28:29], 1.0
	v_add_f64 v[22:23], v[18:19], -v[22:23]
	s_mov_b32 s0, 0x55555555
	v_add_f64 v[22:23], v[22:23], v[28:29]
	v_frexp_mant_f64_e32 v[28:29], v[20:21]
	s_mov_b32 s1, 0x3fe55555
	v_frexp_exp_i32_f64_e32 v42, v[20:21]
	v_cmp_gt_f64_e32 vcc, s[0:1], v[28:29]
	v_subbrev_co_u32_e32 v56, vcc, 0, v42, vcc
	v_sub_u32_e32 v28, 0, v56
	v_ldexp_f64 v[20:21], v[20:21], v28
	v_ldexp_f64 v[22:23], v[22:23], v28
	v_add_f64 v[28:29], v[20:21], -1.0
	s_waitcnt lgkmcnt(0)
	v_add_f64 v[46:47], v[20:21], 1.0
	v_add_f64 v[42:43], v[28:29], 1.0
	v_add_f64 v[48:49], v[46:47], -1.0
	v_add_f64 v[42:43], v[20:21], -v[42:43]
	v_add_f64 v[20:21], v[20:21], -v[48:49]
	v_add_f64 v[20:21], v[22:23], v[20:21]
	v_add_f64 v[42:43], v[22:23], v[42:43]
	;; [unrolled: 1-line block ×3, first 2 shown]
	v_rcp_f64_e32 v[48:49], v[22:23]
	v_add_f64 v[44:45], v[28:29], v[42:43]
	v_add_f64 v[28:29], v[44:45], -v[28:29]
	v_add_f64 v[28:29], v[42:43], -v[28:29]
	;; [unrolled: 1-line block ×4, first 2 shown]
	v_fma_f64 v[42:43], -v[22:23], v[48:49], 1.0
	v_fmac_f64_e32 v[48:49], v[42:43], v[48:49]
	v_fma_f64 v[42:43], -v[22:23], v[48:49], 1.0
	v_fmac_f64_e32 v[48:49], v[42:43], v[48:49]
	v_mul_f64 v[42:43], v[44:45], v[48:49]
	v_mul_f64 v[46:47], v[22:23], v[42:43]
	v_fma_f64 v[50:51], v[42:43], v[22:23], -v[46:47]
	v_fmac_f64_e32 v[50:51], v[42:43], v[20:21]
	v_add_f64 v[52:53], v[46:47], v[50:51]
	v_add_f64 v[54:55], v[44:45], -v[52:53]
	v_add_f64 v[44:45], v[44:45], -v[54:55]
	;; [unrolled: 1-line block ×4, first 2 shown]
	v_add_f64 v[28:29], v[28:29], v[44:45]
	v_add_f64 v[44:45], v[46:47], -v[50:51]
	v_add_f64 v[28:29], v[44:45], v[28:29]
	v_add_f64 v[44:45], v[54:55], v[28:29]
	v_add_f64 v[46:47], v[54:55], -v[44:45]
	v_add_f64 v[28:29], v[28:29], v[46:47]
	v_mul_f64 v[46:47], v[48:49], v[44:45]
	v_mul_f64 v[50:51], v[22:23], v[46:47]
	v_fma_f64 v[22:23], v[46:47], v[22:23], -v[50:51]
	v_fmac_f64_e32 v[22:23], v[46:47], v[20:21]
	v_add_f64 v[20:21], v[50:51], v[22:23]
	v_add_f64 v[52:53], v[44:45], -v[20:21]
	v_add_f64 v[44:45], v[44:45], -v[52:53]
	;; [unrolled: 1-line block ×4, first 2 shown]
	v_add_f64 v[20:21], v[28:29], v[20:21]
	v_add_f64 v[22:23], v[50:51], -v[22:23]
	v_add_f64 v[20:21], v[22:23], v[20:21]
	v_add_f64 v[22:23], v[42:43], v[46:47]
	;; [unrolled: 1-line block ×3, first 2 shown]
	v_add_f64 v[28:29], v[22:23], -v[42:43]
	v_mul_f64 v[20:21], v[48:49], v[20:21]
	v_add_f64 v[28:29], v[46:47], -v[28:29]
	v_add_f64 v[20:21], v[28:29], v[20:21]
	v_add_f64 v[28:29], v[22:23], v[20:21]
	v_add_f64 v[22:23], v[28:29], -v[22:23]
	s_mov_b32 s0, 0xbf559e2b
	v_add_f64 v[20:21], v[20:21], -v[22:23]
	v_mul_f64 v[22:23], v[28:29], v[28:29]
	v_mov_b32_e32 v42, 0x6b47b09a
	v_mov_b32_e32 v43, 0x3fc38538
	s_mov_b32 s1, 0x3fc3ab76
	v_fmac_f64_e32 v[42:43], s[0:1], v[22:23]
	v_mov_b32_e32 v44, 0xd7f4df2e
	v_mov_b32_e32 v45, 0x3fc7474d
	v_fmac_f64_e32 v[44:45], v[22:23], v[42:43]
	v_mov_b32_e32 v42, 0x16291751
	v_mov_b32_e32 v43, 0x3fcc71c0
	;; [unrolled: 3-line block ×5, first 2 shown]
	v_fmac_f64_e32 v[44:45], v[22:23], v[42:43]
	v_cvt_f64_i32_e32 v[42:43], v56
	s_mov_b32 s5, 0x3fe62e42
	v_mul_f64 v[46:47], v[42:43], s[4:5]
	v_fma_f64 v[48:49], v[42:43], s[4:5], -v[46:47]
	s_mov_b32 s19, 0x3c7abc9e
	v_fmac_f64_e32 v[48:49], s[18:19], v[42:43]
	v_add_f64 v[42:43], v[46:47], v[48:49]
	v_add_f64 v[46:47], v[42:43], -v[46:47]
	v_mul_f64 v[22:23], v[28:29], v[22:23]
	v_add_f64 v[46:47], v[48:49], -v[46:47]
	v_ldexp_f64 v[48:49], v[28:29], 1
	v_mul_f64 v[22:23], v[22:23], v[44:45]
	v_add_f64 v[28:29], v[48:49], v[22:23]
	v_add_f64 v[44:45], v[28:29], -v[48:49]
	v_ldexp_f64 v[20:21], v[20:21], 1
	v_add_f64 v[22:23], v[22:23], -v[44:45]
	v_add_f64 v[20:21], v[20:21], v[22:23]
	v_add_f64 v[22:23], v[28:29], v[20:21]
	v_add_f64 v[28:29], v[22:23], -v[28:29]
	v_add_f64 v[20:21], v[20:21], -v[28:29]
	v_add_f64 v[28:29], v[42:43], v[22:23]
	v_add_f64 v[44:45], v[28:29], -v[42:43]
	v_add_f64 v[48:49], v[28:29], -v[44:45]
	;; [unrolled: 1-line block ×4, first 2 shown]
	v_add_f64 v[22:23], v[22:23], v[42:43]
	v_add_f64 v[42:43], v[46:47], v[20:21]
	v_add_f64 v[44:45], v[42:43], -v[46:47]
	v_add_f64 v[22:23], v[42:43], v[22:23]
	v_add_f64 v[48:49], v[42:43], -v[44:45]
	;; [unrolled: 2-line block ×3, first 2 shown]
	v_add_f64 v[20:21], v[20:21], -v[44:45]
	v_add_f64 v[28:29], v[42:43], -v[28:29]
	v_add_f64 v[20:21], v[20:21], v[46:47]
	v_add_f64 v[22:23], v[22:23], -v[28:29]
	s_mov_b32 s0, 0
	v_add_f64 v[20:21], v[20:21], v[22:23]
	s_mov_b32 s1, 0x7ff00000
	v_add_f64 v[20:21], v[42:43], v[20:21]
	v_cmp_eq_f64_e32 vcc, s[0:1], v[18:19]
	v_cndmask_b32_e32 v20, v20, v18, vcc
	v_cndmask_b32_e32 v21, v21, v19, vcc
	v_mov_b32_e32 v22, 0x7ff80000
	v_cmp_ngt_f64_e32 vcc, -1.0, v[18:19]
	v_cndmask_b32_e32 v21, v22, v21, vcc
	v_cmp_nge_f64_e32 vcc, -1.0, v[18:19]
	v_cndmask_b32_e32 v20, 0, v20, vcc
	v_mov_b32_e32 v22, 0xfff00000
	v_cmp_neq_f64_e32 vcc, -1.0, v[18:19]
	v_cndmask_b32_e32 v21, v22, v21, vcc
	v_add_f64 v[28:29], v[4:5], v[20:21]
.LBB68_248:
	s_or_b64 exec, exec, s[2:3]
	v_max_f64 v[4:5], v[28:29], v[28:29]
	v_min_f64 v[18:19], v[4:5], v[30:31]
	v_cmp_u_f64_e32 vcc, v[28:29], v[28:29]
	v_max_f64 v[4:5], v[4:5], v[30:31]
	v_cndmask_b32_e32 v18, v18, v28, vcc
	v_cndmask_b32_e32 v19, v19, v29, vcc
	;; [unrolled: 1-line block ×4, first 2 shown]
	v_cndmask_b32_e64 v19, v19, v15, s[6:7]
	v_cndmask_b32_e64 v18, v18, v14, s[6:7]
	;; [unrolled: 1-line block ×4, first 2 shown]
	v_cmp_neq_f64_e32 vcc, v[18:19], v[4:5]
	v_cmp_class_f64_e64 s[0:1], v[18:19], s20
	s_or_b64 s[0:1], vcc, s[0:1]
	v_pk_mov_b32 v[30:31], v[28:29], v[28:29] op_sel:[0,1]
	s_and_saveexec_b64 s[2:3], s[0:1]
	s_cbranch_execz .LBB68_250
; %bb.249:
	s_mov_b32 s0, 0x652b82fe
	v_add_f64 v[14:15], v[18:19], -v[4:5]
	s_mov_b32 s1, 0x3ff71547
	v_mul_f64 v[18:19], v[14:15], s[0:1]
	v_rndne_f64_e32 v[18:19], v[18:19]
	s_mov_b32 s5, 0xbfe62e42
	s_mov_b32 s4, 0xfefa39ef
	v_fma_f64 v[20:21], s[4:5], v[18:19], v[14:15]
	s_mov_b32 s7, 0xbc7abc9e
	s_mov_b32 s6, 0x3b39803f
	s_mov_b32 s0, 0x6a5dcb37
	v_fmac_f64_e32 v[20:21], s[6:7], v[18:19]
	v_mov_b32_e32 v22, 0xfca7ab0c
	v_mov_b32_e32 v23, 0x3e928af3
	s_mov_b32 s1, 0x3e5ade15
	v_fmac_f64_e32 v[22:23], s[0:1], v[20:21]
	v_mov_b32_e32 v30, 0x623fde64
	v_mov_b32_e32 v31, 0x3ec71dee
	v_fmac_f64_e32 v[30:31], v[20:21], v[22:23]
	v_mov_b32_e32 v22, 0x7c89e6b0
	v_mov_b32_e32 v23, 0x3efa0199
	;; [unrolled: 3-line block ×8, first 2 shown]
	s_mov_b32 s0, 0
	v_fmac_f64_e32 v[22:23], v[20:21], v[30:31]
	s_mov_b32 s1, 0x40900000
	v_fma_f64 v[22:23], v[20:21], v[22:23], 1.0
	v_cmp_nlt_f64_e32 vcc, s[0:1], v[14:15]
	s_mov_b32 s0, 0
	v_fma_f64 v[20:21], v[20:21], v[22:23], 1.0
	v_cvt_i32_f64_e32 v18, v[18:19]
	s_mov_b32 s1, 0xc090cc00
	v_ldexp_f64 v[18:19], v[20:21], v18
	v_mov_b32_e32 v20, 0x7ff00000
	v_cmp_ngt_f64_e64 s[0:1], s[0:1], v[14:15]
	v_cndmask_b32_e32 v19, v20, v19, vcc
	s_and_b64 vcc, s[0:1], vcc
	v_cndmask_b32_e64 v15, 0, v19, s[0:1]
	v_cndmask_b32_e32 v14, 0, v18, vcc
	v_add_f64 v[18:19], v[14:15], 1.0
	v_add_f64 v[20:21], v[18:19], -1.0
	v_add_f64 v[22:23], v[20:21], -v[18:19]
	v_add_f64 v[22:23], v[22:23], 1.0
	v_add_f64 v[20:21], v[14:15], -v[20:21]
	s_mov_b32 s0, 0x55555555
	v_add_f64 v[20:21], v[20:21], v[22:23]
	v_frexp_mant_f64_e32 v[22:23], v[18:19]
	s_mov_b32 s1, 0x3fe55555
	v_frexp_exp_i32_f64_e32 v30, v[18:19]
	v_cmp_gt_f64_e32 vcc, s[0:1], v[22:23]
	v_subbrev_co_u32_e32 v54, vcc, 0, v30, vcc
	v_sub_u32_e32 v22, 0, v54
	v_ldexp_f64 v[18:19], v[18:19], v22
	v_ldexp_f64 v[20:21], v[20:21], v22
	v_add_f64 v[22:23], v[18:19], -1.0
	v_add_f64 v[44:45], v[18:19], 1.0
	v_add_f64 v[30:31], v[22:23], 1.0
	s_waitcnt lgkmcnt(0)
	v_add_f64 v[46:47], v[44:45], -1.0
	v_add_f64 v[30:31], v[18:19], -v[30:31]
	v_add_f64 v[18:19], v[18:19], -v[46:47]
	v_add_f64 v[18:19], v[20:21], v[18:19]
	v_add_f64 v[30:31], v[20:21], v[30:31]
	;; [unrolled: 1-line block ×3, first 2 shown]
	v_rcp_f64_e32 v[46:47], v[20:21]
	v_add_f64 v[42:43], v[22:23], v[30:31]
	v_add_f64 v[22:23], v[42:43], -v[22:23]
	v_add_f64 v[22:23], v[30:31], -v[22:23]
	v_add_f64 v[30:31], v[20:21], -v[44:45]
	v_add_f64 v[18:19], v[18:19], -v[30:31]
	v_fma_f64 v[30:31], -v[20:21], v[46:47], 1.0
	v_fmac_f64_e32 v[46:47], v[30:31], v[46:47]
	v_fma_f64 v[30:31], -v[20:21], v[46:47], 1.0
	v_fmac_f64_e32 v[46:47], v[30:31], v[46:47]
	v_mul_f64 v[30:31], v[42:43], v[46:47]
	v_mul_f64 v[44:45], v[20:21], v[30:31]
	v_fma_f64 v[48:49], v[30:31], v[20:21], -v[44:45]
	v_fmac_f64_e32 v[48:49], v[30:31], v[18:19]
	v_add_f64 v[50:51], v[44:45], v[48:49]
	v_add_f64 v[52:53], v[42:43], -v[50:51]
	v_add_f64 v[42:43], v[42:43], -v[52:53]
	;; [unrolled: 1-line block ×4, first 2 shown]
	v_add_f64 v[22:23], v[22:23], v[42:43]
	v_add_f64 v[42:43], v[44:45], -v[48:49]
	v_add_f64 v[22:23], v[42:43], v[22:23]
	v_add_f64 v[42:43], v[52:53], v[22:23]
	v_add_f64 v[44:45], v[52:53], -v[42:43]
	v_add_f64 v[22:23], v[22:23], v[44:45]
	v_mul_f64 v[44:45], v[46:47], v[42:43]
	v_mul_f64 v[48:49], v[20:21], v[44:45]
	v_fma_f64 v[20:21], v[44:45], v[20:21], -v[48:49]
	v_fmac_f64_e32 v[20:21], v[44:45], v[18:19]
	v_add_f64 v[18:19], v[48:49], v[20:21]
	v_add_f64 v[50:51], v[42:43], -v[18:19]
	v_add_f64 v[42:43], v[42:43], -v[50:51]
	;; [unrolled: 1-line block ×4, first 2 shown]
	v_add_f64 v[18:19], v[22:23], v[18:19]
	v_add_f64 v[20:21], v[48:49], -v[20:21]
	v_add_f64 v[18:19], v[20:21], v[18:19]
	v_add_f64 v[20:21], v[30:31], v[44:45]
	;; [unrolled: 1-line block ×3, first 2 shown]
	v_add_f64 v[22:23], v[20:21], -v[30:31]
	v_mul_f64 v[18:19], v[46:47], v[18:19]
	v_add_f64 v[22:23], v[44:45], -v[22:23]
	v_add_f64 v[18:19], v[22:23], v[18:19]
	v_add_f64 v[22:23], v[20:21], v[18:19]
	v_add_f64 v[20:21], v[22:23], -v[20:21]
	s_mov_b32 s0, 0xbf559e2b
	v_add_f64 v[18:19], v[18:19], -v[20:21]
	v_mul_f64 v[20:21], v[22:23], v[22:23]
	v_mov_b32_e32 v30, 0x6b47b09a
	v_mov_b32_e32 v31, 0x3fc38538
	s_mov_b32 s1, 0x3fc3ab76
	v_fmac_f64_e32 v[30:31], s[0:1], v[20:21]
	v_mov_b32_e32 v42, 0xd7f4df2e
	v_mov_b32_e32 v43, 0x3fc7474d
	v_fmac_f64_e32 v[42:43], v[20:21], v[30:31]
	v_mov_b32_e32 v30, 0x16291751
	v_mov_b32_e32 v31, 0x3fcc71c0
	;; [unrolled: 3-line block ×5, first 2 shown]
	v_fmac_f64_e32 v[42:43], v[20:21], v[30:31]
	v_cvt_f64_i32_e32 v[30:31], v54
	s_mov_b32 s5, 0x3fe62e42
	v_mul_f64 v[44:45], v[30:31], s[4:5]
	v_fma_f64 v[46:47], v[30:31], s[4:5], -v[44:45]
	s_mov_b32 s7, 0x3c7abc9e
	v_fmac_f64_e32 v[46:47], s[6:7], v[30:31]
	v_add_f64 v[30:31], v[44:45], v[46:47]
	v_add_f64 v[44:45], v[30:31], -v[44:45]
	v_mul_f64 v[20:21], v[22:23], v[20:21]
	v_add_f64 v[44:45], v[46:47], -v[44:45]
	v_ldexp_f64 v[46:47], v[22:23], 1
	v_mul_f64 v[20:21], v[20:21], v[42:43]
	v_add_f64 v[22:23], v[46:47], v[20:21]
	v_add_f64 v[42:43], v[22:23], -v[46:47]
	v_ldexp_f64 v[18:19], v[18:19], 1
	v_add_f64 v[20:21], v[20:21], -v[42:43]
	v_add_f64 v[18:19], v[18:19], v[20:21]
	v_add_f64 v[20:21], v[22:23], v[18:19]
	v_add_f64 v[22:23], v[20:21], -v[22:23]
	v_add_f64 v[18:19], v[18:19], -v[22:23]
	v_add_f64 v[22:23], v[30:31], v[20:21]
	v_add_f64 v[42:43], v[22:23], -v[30:31]
	v_add_f64 v[46:47], v[22:23], -v[42:43]
	;; [unrolled: 1-line block ×4, first 2 shown]
	v_add_f64 v[20:21], v[20:21], v[30:31]
	v_add_f64 v[30:31], v[44:45], v[18:19]
	v_add_f64 v[42:43], v[30:31], -v[44:45]
	v_add_f64 v[20:21], v[30:31], v[20:21]
	v_add_f64 v[46:47], v[30:31], -v[42:43]
	;; [unrolled: 2-line block ×3, first 2 shown]
	v_add_f64 v[18:19], v[18:19], -v[42:43]
	v_add_f64 v[22:23], v[30:31], -v[22:23]
	v_add_f64 v[18:19], v[18:19], v[44:45]
	v_add_f64 v[20:21], v[20:21], -v[22:23]
	s_mov_b32 s0, 0
	v_add_f64 v[18:19], v[18:19], v[20:21]
	s_mov_b32 s1, 0x7ff00000
	v_add_f64 v[18:19], v[30:31], v[18:19]
	v_cmp_eq_f64_e32 vcc, s[0:1], v[14:15]
	v_cndmask_b32_e32 v18, v18, v14, vcc
	v_cndmask_b32_e32 v19, v19, v15, vcc
	v_mov_b32_e32 v20, 0x7ff80000
	v_cmp_ngt_f64_e32 vcc, -1.0, v[14:15]
	v_cndmask_b32_e32 v19, v20, v19, vcc
	v_cmp_nge_f64_e32 vcc, -1.0, v[14:15]
	v_cndmask_b32_e32 v18, 0, v18, vcc
	v_mov_b32_e32 v20, 0xfff00000
	v_cmp_neq_f64_e32 vcc, -1.0, v[14:15]
	v_cndmask_b32_e32 v19, v20, v19, vcc
	v_add_f64 v[30:31], v[4:5], v[18:19]
.LBB68_250:
	s_or_b64 exec, exec, s[2:3]
	v_max_f64 v[4:5], v[30:31], v[30:31]
	v_min_f64 v[14:15], v[4:5], v[32:33]
	v_cmp_u_f64_e32 vcc, v[30:31], v[30:31]
	v_max_f64 v[4:5], v[4:5], v[32:33]
	v_cndmask_b32_e32 v14, v14, v30, vcc
	v_cndmask_b32_e32 v15, v15, v31, vcc
	;; [unrolled: 1-line block ×4, first 2 shown]
	v_cndmask_b32_e64 v15, v15, v17, s[8:9]
	v_cndmask_b32_e64 v14, v14, v16, s[8:9]
	;; [unrolled: 1-line block ×4, first 2 shown]
	s_movk_i32 s8, 0x1f8
	v_cmp_neq_f64_e32 vcc, v[14:15], v[4:5]
	v_cmp_class_f64_e64 s[0:1], v[14:15], s8
	s_or_b64 s[0:1], vcc, s[0:1]
	v_pk_mov_b32 v[32:33], v[30:31], v[30:31] op_sel:[0,1]
	s_and_saveexec_b64 s[2:3], s[0:1]
	s_cbranch_execz .LBB68_252
; %bb.251:
	s_mov_b32 s0, 0x652b82fe
	v_add_f64 v[14:15], v[14:15], -v[4:5]
	s_mov_b32 s1, 0x3ff71547
	v_mul_f64 v[16:17], v[14:15], s[0:1]
	v_rndne_f64_e32 v[16:17], v[16:17]
	s_mov_b32 s5, 0xbfe62e42
	s_mov_b32 s4, 0xfefa39ef
	v_fma_f64 v[18:19], s[4:5], v[16:17], v[14:15]
	s_mov_b32 s7, 0xbc7abc9e
	s_mov_b32 s6, 0x3b39803f
	;; [unrolled: 1-line block ×3, first 2 shown]
	v_fmac_f64_e32 v[18:19], s[6:7], v[16:17]
	v_mov_b32_e32 v20, 0xfca7ab0c
	v_mov_b32_e32 v21, 0x3e928af3
	s_mov_b32 s1, 0x3e5ade15
	v_fmac_f64_e32 v[20:21], s[0:1], v[18:19]
	v_mov_b32_e32 v22, 0x623fde64
	v_mov_b32_e32 v23, 0x3ec71dee
	v_fmac_f64_e32 v[22:23], v[18:19], v[20:21]
	v_mov_b32_e32 v20, 0x7c89e6b0
	v_mov_b32_e32 v21, 0x3efa0199
	;; [unrolled: 3-line block ×8, first 2 shown]
	s_mov_b32 s0, 0
	v_fmac_f64_e32 v[20:21], v[18:19], v[22:23]
	s_mov_b32 s1, 0x40900000
	v_fma_f64 v[20:21], v[18:19], v[20:21], 1.0
	v_cmp_nlt_f64_e32 vcc, s[0:1], v[14:15]
	s_mov_b32 s0, 0
	v_fma_f64 v[18:19], v[18:19], v[20:21], 1.0
	v_cvt_i32_f64_e32 v16, v[16:17]
	s_mov_b32 s1, 0xc090cc00
	v_ldexp_f64 v[16:17], v[18:19], v16
	v_mov_b32_e32 v18, 0x7ff00000
	v_cmp_ngt_f64_e64 s[0:1], s[0:1], v[14:15]
	v_cndmask_b32_e32 v17, v18, v17, vcc
	s_and_b64 vcc, s[0:1], vcc
	v_cndmask_b32_e64 v15, 0, v17, s[0:1]
	v_cndmask_b32_e32 v14, 0, v16, vcc
	v_add_f64 v[16:17], v[14:15], 1.0
	v_add_f64 v[18:19], v[16:17], -1.0
	v_add_f64 v[20:21], v[18:19], -v[16:17]
	v_add_f64 v[20:21], v[20:21], 1.0
	v_add_f64 v[18:19], v[14:15], -v[18:19]
	s_mov_b32 s0, 0x55555555
	v_add_f64 v[18:19], v[18:19], v[20:21]
	v_frexp_mant_f64_e32 v[20:21], v[16:17]
	s_mov_b32 s1, 0x3fe55555
	v_frexp_exp_i32_f64_e32 v22, v[16:17]
	v_cmp_gt_f64_e32 vcc, s[0:1], v[20:21]
	v_subbrev_co_u32_e32 v52, vcc, 0, v22, vcc
	v_sub_u32_e32 v20, 0, v52
	v_ldexp_f64 v[16:17], v[16:17], v20
	v_ldexp_f64 v[18:19], v[18:19], v20
	v_add_f64 v[20:21], v[16:17], -1.0
	v_add_f64 v[42:43], v[16:17], 1.0
	v_add_f64 v[22:23], v[20:21], 1.0
	v_add_f64 v[44:45], v[42:43], -1.0
	v_add_f64 v[22:23], v[16:17], -v[22:23]
	v_add_f64 v[16:17], v[16:17], -v[44:45]
	v_add_f64 v[16:17], v[18:19], v[16:17]
	v_add_f64 v[22:23], v[18:19], v[22:23]
	;; [unrolled: 1-line block ×3, first 2 shown]
	v_rcp_f64_e32 v[44:45], v[18:19]
	v_add_f64 v[32:33], v[20:21], v[22:23]
	v_add_f64 v[20:21], v[32:33], -v[20:21]
	v_add_f64 v[20:21], v[22:23], -v[20:21]
	;; [unrolled: 1-line block ×4, first 2 shown]
	v_fma_f64 v[22:23], -v[18:19], v[44:45], 1.0
	v_fmac_f64_e32 v[44:45], v[22:23], v[44:45]
	v_fma_f64 v[22:23], -v[18:19], v[44:45], 1.0
	v_fmac_f64_e32 v[44:45], v[22:23], v[44:45]
	v_mul_f64 v[22:23], v[32:33], v[44:45]
	v_mul_f64 v[42:43], v[18:19], v[22:23]
	s_waitcnt lgkmcnt(0)
	v_fma_f64 v[46:47], v[22:23], v[18:19], -v[42:43]
	v_fmac_f64_e32 v[46:47], v[22:23], v[16:17]
	v_add_f64 v[48:49], v[42:43], v[46:47]
	v_add_f64 v[50:51], v[32:33], -v[48:49]
	v_add_f64 v[32:33], v[32:33], -v[50:51]
	;; [unrolled: 1-line block ×4, first 2 shown]
	v_add_f64 v[20:21], v[20:21], v[32:33]
	v_add_f64 v[32:33], v[42:43], -v[46:47]
	v_add_f64 v[20:21], v[32:33], v[20:21]
	v_add_f64 v[32:33], v[50:51], v[20:21]
	v_add_f64 v[42:43], v[50:51], -v[32:33]
	v_add_f64 v[20:21], v[20:21], v[42:43]
	v_mul_f64 v[42:43], v[44:45], v[32:33]
	v_mul_f64 v[46:47], v[18:19], v[42:43]
	v_fma_f64 v[18:19], v[42:43], v[18:19], -v[46:47]
	v_fmac_f64_e32 v[18:19], v[42:43], v[16:17]
	v_add_f64 v[16:17], v[46:47], v[18:19]
	v_add_f64 v[48:49], v[32:33], -v[16:17]
	v_add_f64 v[32:33], v[32:33], -v[48:49]
	;; [unrolled: 1-line block ×4, first 2 shown]
	v_add_f64 v[16:17], v[20:21], v[16:17]
	v_add_f64 v[18:19], v[46:47], -v[18:19]
	v_add_f64 v[16:17], v[18:19], v[16:17]
	v_add_f64 v[18:19], v[22:23], v[42:43]
	;; [unrolled: 1-line block ×3, first 2 shown]
	v_add_f64 v[20:21], v[18:19], -v[22:23]
	v_mul_f64 v[16:17], v[44:45], v[16:17]
	v_add_f64 v[20:21], v[42:43], -v[20:21]
	v_add_f64 v[16:17], v[20:21], v[16:17]
	v_add_f64 v[20:21], v[18:19], v[16:17]
	v_add_f64 v[18:19], v[20:21], -v[18:19]
	s_mov_b32 s0, 0xbf559e2b
	v_add_f64 v[16:17], v[16:17], -v[18:19]
	v_mul_f64 v[18:19], v[20:21], v[20:21]
	v_mov_b32_e32 v22, 0x6b47b09a
	v_mov_b32_e32 v23, 0x3fc38538
	s_mov_b32 s1, 0x3fc3ab76
	v_fmac_f64_e32 v[22:23], s[0:1], v[18:19]
	v_mov_b32_e32 v32, 0xd7f4df2e
	v_mov_b32_e32 v33, 0x3fc7474d
	v_fmac_f64_e32 v[32:33], v[18:19], v[22:23]
	v_mov_b32_e32 v22, 0x16291751
	v_mov_b32_e32 v23, 0x3fcc71c0
	;; [unrolled: 3-line block ×5, first 2 shown]
	v_fmac_f64_e32 v[32:33], v[18:19], v[22:23]
	v_cvt_f64_i32_e32 v[22:23], v52
	s_mov_b32 s5, 0x3fe62e42
	v_mul_f64 v[42:43], v[22:23], s[4:5]
	v_fma_f64 v[44:45], v[22:23], s[4:5], -v[42:43]
	s_mov_b32 s7, 0x3c7abc9e
	v_fmac_f64_e32 v[44:45], s[6:7], v[22:23]
	v_add_f64 v[22:23], v[42:43], v[44:45]
	v_add_f64 v[42:43], v[22:23], -v[42:43]
	v_mul_f64 v[18:19], v[20:21], v[18:19]
	v_add_f64 v[42:43], v[44:45], -v[42:43]
	v_ldexp_f64 v[44:45], v[20:21], 1
	v_mul_f64 v[18:19], v[18:19], v[32:33]
	v_add_f64 v[20:21], v[44:45], v[18:19]
	v_add_f64 v[32:33], v[20:21], -v[44:45]
	v_ldexp_f64 v[16:17], v[16:17], 1
	v_add_f64 v[18:19], v[18:19], -v[32:33]
	v_add_f64 v[16:17], v[16:17], v[18:19]
	v_add_f64 v[18:19], v[20:21], v[16:17]
	v_add_f64 v[20:21], v[18:19], -v[20:21]
	v_add_f64 v[16:17], v[16:17], -v[20:21]
	v_add_f64 v[20:21], v[22:23], v[18:19]
	v_add_f64 v[32:33], v[20:21], -v[22:23]
	v_add_f64 v[44:45], v[20:21], -v[32:33]
	;; [unrolled: 1-line block ×4, first 2 shown]
	v_add_f64 v[18:19], v[18:19], v[22:23]
	v_add_f64 v[22:23], v[42:43], v[16:17]
	v_add_f64 v[32:33], v[22:23], -v[42:43]
	v_add_f64 v[18:19], v[22:23], v[18:19]
	v_add_f64 v[44:45], v[22:23], -v[32:33]
	;; [unrolled: 2-line block ×3, first 2 shown]
	v_add_f64 v[16:17], v[16:17], -v[32:33]
	v_add_f64 v[20:21], v[22:23], -v[20:21]
	v_add_f64 v[16:17], v[16:17], v[42:43]
	v_add_f64 v[18:19], v[18:19], -v[20:21]
	s_mov_b32 s0, 0
	v_add_f64 v[16:17], v[16:17], v[18:19]
	s_mov_b32 s1, 0x7ff00000
	v_add_f64 v[16:17], v[22:23], v[16:17]
	v_cmp_eq_f64_e32 vcc, s[0:1], v[14:15]
	v_cndmask_b32_e32 v16, v16, v14, vcc
	v_cndmask_b32_e32 v17, v17, v15, vcc
	v_mov_b32_e32 v18, 0x7ff80000
	v_cmp_ngt_f64_e32 vcc, -1.0, v[14:15]
	v_cndmask_b32_e32 v17, v18, v17, vcc
	v_cmp_nge_f64_e32 vcc, -1.0, v[14:15]
	v_cndmask_b32_e32 v16, 0, v16, vcc
	v_mov_b32_e32 v18, 0xfff00000
	v_cmp_neq_f64_e32 vcc, -1.0, v[14:15]
	v_cndmask_b32_e32 v17, v18, v17, vcc
	v_add_f64 v[32:33], v[4:5], v[16:17]
.LBB68_252:
	s_or_b64 exec, exec, s[2:3]
	v_max_f64 v[4:5], v[32:33], v[32:33]
	v_min_f64 v[14:15], v[4:5], v[34:35]
	v_cmp_u_f64_e32 vcc, v[32:33], v[32:33]
	v_max_f64 v[4:5], v[4:5], v[34:35]
	v_cndmask_b32_e32 v14, v14, v32, vcc
	v_cndmask_b32_e32 v15, v15, v33, vcc
	;; [unrolled: 1-line block ×4, first 2 shown]
	v_cndmask_b32_e64 v15, v15, v11, s[10:11]
	v_cndmask_b32_e64 v14, v14, v10, s[10:11]
	v_cndmask_b32_e64 v5, v5, v11, s[10:11]
	v_cndmask_b32_e64 v4, v4, v10, s[10:11]
	v_cmp_neq_f64_e32 vcc, v[14:15], v[4:5]
	v_cmp_class_f64_e64 s[0:1], v[14:15], s8
	s_or_b64 s[0:1], vcc, s[0:1]
	v_pk_mov_b32 v[34:35], v[32:33], v[32:33] op_sel:[0,1]
	s_and_saveexec_b64 s[2:3], s[0:1]
	s_cbranch_execz .LBB68_254
; %bb.253:
	s_mov_b32 s0, 0x652b82fe
	v_add_f64 v[10:11], v[14:15], -v[4:5]
	s_mov_b32 s1, 0x3ff71547
	v_mul_f64 v[14:15], v[10:11], s[0:1]
	v_rndne_f64_e32 v[14:15], v[14:15]
	s_mov_b32 s5, 0xbfe62e42
	s_mov_b32 s4, 0xfefa39ef
	v_fma_f64 v[16:17], s[4:5], v[14:15], v[10:11]
	s_mov_b32 s7, 0xbc7abc9e
	s_mov_b32 s6, 0x3b39803f
	;; [unrolled: 1-line block ×3, first 2 shown]
	v_fmac_f64_e32 v[16:17], s[6:7], v[14:15]
	v_mov_b32_e32 v18, 0xfca7ab0c
	v_mov_b32_e32 v19, 0x3e928af3
	s_mov_b32 s1, 0x3e5ade15
	v_fmac_f64_e32 v[18:19], s[0:1], v[16:17]
	v_mov_b32_e32 v20, 0x623fde64
	v_mov_b32_e32 v21, 0x3ec71dee
	v_fmac_f64_e32 v[20:21], v[16:17], v[18:19]
	v_mov_b32_e32 v18, 0x7c89e6b0
	v_mov_b32_e32 v19, 0x3efa0199
	;; [unrolled: 3-line block ×8, first 2 shown]
	s_mov_b32 s0, 0
	v_fmac_f64_e32 v[18:19], v[16:17], v[20:21]
	s_mov_b32 s1, 0x40900000
	v_fma_f64 v[18:19], v[16:17], v[18:19], 1.0
	v_cmp_nlt_f64_e32 vcc, s[0:1], v[10:11]
	s_mov_b32 s0, 0
	v_fma_f64 v[16:17], v[16:17], v[18:19], 1.0
	v_cvt_i32_f64_e32 v14, v[14:15]
	s_mov_b32 s1, 0xc090cc00
	v_ldexp_f64 v[14:15], v[16:17], v14
	v_mov_b32_e32 v16, 0x7ff00000
	v_cmp_ngt_f64_e64 s[0:1], s[0:1], v[10:11]
	v_cndmask_b32_e32 v15, v16, v15, vcc
	s_and_b64 vcc, s[0:1], vcc
	v_cndmask_b32_e64 v11, 0, v15, s[0:1]
	v_cndmask_b32_e32 v10, 0, v14, vcc
	v_add_f64 v[14:15], v[10:11], 1.0
	v_add_f64 v[16:17], v[14:15], -1.0
	v_add_f64 v[18:19], v[16:17], -v[14:15]
	v_add_f64 v[18:19], v[18:19], 1.0
	v_add_f64 v[16:17], v[10:11], -v[16:17]
	s_mov_b32 s0, 0x55555555
	v_add_f64 v[16:17], v[16:17], v[18:19]
	v_frexp_mant_f64_e32 v[18:19], v[14:15]
	s_mov_b32 s1, 0x3fe55555
	v_frexp_exp_i32_f64_e32 v20, v[14:15]
	v_cmp_gt_f64_e32 vcc, s[0:1], v[18:19]
	v_subbrev_co_u32_e32 v50, vcc, 0, v20, vcc
	v_sub_u32_e32 v18, 0, v50
	v_ldexp_f64 v[14:15], v[14:15], v18
	v_ldexp_f64 v[16:17], v[16:17], v18
	v_add_f64 v[18:19], v[14:15], -1.0
	v_add_f64 v[34:35], v[14:15], 1.0
	v_add_f64 v[20:21], v[18:19], 1.0
	v_add_f64 v[42:43], v[34:35], -1.0
	v_add_f64 v[20:21], v[14:15], -v[20:21]
	v_add_f64 v[14:15], v[14:15], -v[42:43]
	v_add_f64 v[14:15], v[16:17], v[14:15]
	v_add_f64 v[20:21], v[16:17], v[20:21]
	;; [unrolled: 1-line block ×3, first 2 shown]
	v_rcp_f64_e32 v[42:43], v[16:17]
	v_add_f64 v[22:23], v[18:19], v[20:21]
	v_add_f64 v[18:19], v[22:23], -v[18:19]
	v_add_f64 v[18:19], v[20:21], -v[18:19]
	;; [unrolled: 1-line block ×4, first 2 shown]
	v_fma_f64 v[20:21], -v[16:17], v[42:43], 1.0
	v_fmac_f64_e32 v[42:43], v[20:21], v[42:43]
	v_fma_f64 v[20:21], -v[16:17], v[42:43], 1.0
	v_fmac_f64_e32 v[42:43], v[20:21], v[42:43]
	v_mul_f64 v[20:21], v[22:23], v[42:43]
	v_mul_f64 v[34:35], v[16:17], v[20:21]
	v_fma_f64 v[44:45], v[20:21], v[16:17], -v[34:35]
	v_fmac_f64_e32 v[44:45], v[20:21], v[14:15]
	s_waitcnt lgkmcnt(0)
	v_add_f64 v[46:47], v[34:35], v[44:45]
	v_add_f64 v[48:49], v[22:23], -v[46:47]
	v_add_f64 v[22:23], v[22:23], -v[48:49]
	;; [unrolled: 1-line block ×4, first 2 shown]
	v_add_f64 v[18:19], v[18:19], v[22:23]
	v_add_f64 v[22:23], v[34:35], -v[44:45]
	v_add_f64 v[18:19], v[22:23], v[18:19]
	v_add_f64 v[22:23], v[48:49], v[18:19]
	v_add_f64 v[34:35], v[48:49], -v[22:23]
	v_add_f64 v[18:19], v[18:19], v[34:35]
	v_mul_f64 v[34:35], v[42:43], v[22:23]
	v_mul_f64 v[44:45], v[16:17], v[34:35]
	v_fma_f64 v[16:17], v[34:35], v[16:17], -v[44:45]
	v_fmac_f64_e32 v[16:17], v[34:35], v[14:15]
	v_add_f64 v[14:15], v[44:45], v[16:17]
	v_add_f64 v[46:47], v[22:23], -v[14:15]
	v_add_f64 v[22:23], v[22:23], -v[46:47]
	;; [unrolled: 1-line block ×4, first 2 shown]
	v_add_f64 v[14:15], v[18:19], v[14:15]
	v_add_f64 v[16:17], v[44:45], -v[16:17]
	v_add_f64 v[14:15], v[16:17], v[14:15]
	v_add_f64 v[16:17], v[20:21], v[34:35]
	;; [unrolled: 1-line block ×3, first 2 shown]
	v_add_f64 v[18:19], v[16:17], -v[20:21]
	v_mul_f64 v[14:15], v[42:43], v[14:15]
	v_add_f64 v[18:19], v[34:35], -v[18:19]
	v_add_f64 v[14:15], v[18:19], v[14:15]
	v_add_f64 v[18:19], v[16:17], v[14:15]
	v_add_f64 v[16:17], v[18:19], -v[16:17]
	s_mov_b32 s0, 0xbf559e2b
	v_add_f64 v[14:15], v[14:15], -v[16:17]
	v_mul_f64 v[16:17], v[18:19], v[18:19]
	v_mov_b32_e32 v20, 0x6b47b09a
	v_mov_b32_e32 v21, 0x3fc38538
	s_mov_b32 s1, 0x3fc3ab76
	v_fmac_f64_e32 v[20:21], s[0:1], v[16:17]
	v_mov_b32_e32 v22, 0xd7f4df2e
	v_mov_b32_e32 v23, 0x3fc7474d
	v_fmac_f64_e32 v[22:23], v[16:17], v[20:21]
	v_mov_b32_e32 v20, 0x16291751
	v_mov_b32_e32 v21, 0x3fcc71c0
	;; [unrolled: 3-line block ×5, first 2 shown]
	v_fmac_f64_e32 v[22:23], v[16:17], v[20:21]
	v_cvt_f64_i32_e32 v[20:21], v50
	s_mov_b32 s5, 0x3fe62e42
	v_mul_f64 v[34:35], v[20:21], s[4:5]
	v_fma_f64 v[42:43], v[20:21], s[4:5], -v[34:35]
	s_mov_b32 s7, 0x3c7abc9e
	v_fmac_f64_e32 v[42:43], s[6:7], v[20:21]
	v_add_f64 v[20:21], v[34:35], v[42:43]
	v_add_f64 v[34:35], v[20:21], -v[34:35]
	v_mul_f64 v[16:17], v[18:19], v[16:17]
	v_add_f64 v[34:35], v[42:43], -v[34:35]
	v_ldexp_f64 v[42:43], v[18:19], 1
	v_mul_f64 v[16:17], v[16:17], v[22:23]
	v_add_f64 v[18:19], v[42:43], v[16:17]
	v_add_f64 v[22:23], v[18:19], -v[42:43]
	v_ldexp_f64 v[14:15], v[14:15], 1
	v_add_f64 v[16:17], v[16:17], -v[22:23]
	v_add_f64 v[14:15], v[14:15], v[16:17]
	v_add_f64 v[16:17], v[18:19], v[14:15]
	v_add_f64 v[18:19], v[16:17], -v[18:19]
	v_add_f64 v[14:15], v[14:15], -v[18:19]
	v_add_f64 v[18:19], v[20:21], v[16:17]
	v_add_f64 v[22:23], v[18:19], -v[20:21]
	v_add_f64 v[42:43], v[18:19], -v[22:23]
	;; [unrolled: 1-line block ×4, first 2 shown]
	v_add_f64 v[16:17], v[16:17], v[20:21]
	v_add_f64 v[20:21], v[34:35], v[14:15]
	v_add_f64 v[22:23], v[20:21], -v[34:35]
	v_add_f64 v[16:17], v[20:21], v[16:17]
	v_add_f64 v[42:43], v[20:21], -v[22:23]
	;; [unrolled: 2-line block ×3, first 2 shown]
	v_add_f64 v[14:15], v[14:15], -v[22:23]
	v_add_f64 v[18:19], v[20:21], -v[18:19]
	v_add_f64 v[14:15], v[14:15], v[34:35]
	v_add_f64 v[16:17], v[16:17], -v[18:19]
	s_mov_b32 s0, 0
	v_add_f64 v[14:15], v[14:15], v[16:17]
	s_mov_b32 s1, 0x7ff00000
	v_add_f64 v[14:15], v[20:21], v[14:15]
	v_cmp_eq_f64_e32 vcc, s[0:1], v[10:11]
	v_cndmask_b32_e32 v14, v14, v10, vcc
	v_cndmask_b32_e32 v15, v15, v11, vcc
	v_mov_b32_e32 v16, 0x7ff80000
	v_cmp_ngt_f64_e32 vcc, -1.0, v[10:11]
	v_cndmask_b32_e32 v15, v16, v15, vcc
	v_cmp_nge_f64_e32 vcc, -1.0, v[10:11]
	v_cndmask_b32_e32 v14, 0, v14, vcc
	v_mov_b32_e32 v16, 0xfff00000
	v_cmp_neq_f64_e32 vcc, -1.0, v[10:11]
	v_cndmask_b32_e32 v15, v16, v15, vcc
	v_add_f64 v[34:35], v[4:5], v[14:15]
.LBB68_254:
	s_or_b64 exec, exec, s[2:3]
	v_max_f64 v[4:5], v[34:35], v[34:35]
	v_min_f64 v[10:11], v[4:5], v[36:37]
	v_cmp_u_f64_e32 vcc, v[34:35], v[34:35]
	v_max_f64 v[4:5], v[4:5], v[36:37]
	v_cndmask_b32_e32 v10, v10, v34, vcc
	v_cndmask_b32_e32 v11, v11, v35, vcc
	;; [unrolled: 1-line block ×4, first 2 shown]
	v_cndmask_b32_e64 v11, v11, v13, s[12:13]
	v_cndmask_b32_e64 v10, v10, v12, s[12:13]
	;; [unrolled: 1-line block ×4, first 2 shown]
	v_cmp_neq_f64_e32 vcc, v[10:11], v[4:5]
	v_cmp_class_f64_e64 s[0:1], v[10:11], s8
	s_or_b64 s[0:1], vcc, s[0:1]
	v_pk_mov_b32 v[36:37], v[34:35], v[34:35] op_sel:[0,1]
	s_and_saveexec_b64 s[2:3], s[0:1]
	s_cbranch_execz .LBB68_256
; %bb.255:
	s_mov_b32 s0, 0x652b82fe
	v_add_f64 v[10:11], v[10:11], -v[4:5]
	s_mov_b32 s1, 0x3ff71547
	v_mul_f64 v[12:13], v[10:11], s[0:1]
	v_rndne_f64_e32 v[12:13], v[12:13]
	s_mov_b32 s5, 0xbfe62e42
	s_mov_b32 s4, 0xfefa39ef
	v_fma_f64 v[14:15], s[4:5], v[12:13], v[10:11]
	s_mov_b32 s7, 0xbc7abc9e
	s_mov_b32 s6, 0x3b39803f
	;; [unrolled: 1-line block ×3, first 2 shown]
	v_fmac_f64_e32 v[14:15], s[6:7], v[12:13]
	v_mov_b32_e32 v16, 0xfca7ab0c
	v_mov_b32_e32 v17, 0x3e928af3
	s_mov_b32 s1, 0x3e5ade15
	v_fmac_f64_e32 v[16:17], s[0:1], v[14:15]
	v_mov_b32_e32 v18, 0x623fde64
	v_mov_b32_e32 v19, 0x3ec71dee
	v_fmac_f64_e32 v[18:19], v[14:15], v[16:17]
	v_mov_b32_e32 v16, 0x7c89e6b0
	v_mov_b32_e32 v17, 0x3efa0199
	v_fmac_f64_e32 v[16:17], v[14:15], v[18:19]
	v_mov_b32_e32 v18, 0x14761f6e
	v_mov_b32_e32 v19, 0x3f2a01a0
	v_fmac_f64_e32 v[18:19], v[14:15], v[16:17]
	v_mov_b32_e32 v16, 0x1852b7b0
	v_mov_b32_e32 v17, 0x3f56c16c
	v_fmac_f64_e32 v[16:17], v[14:15], v[18:19]
	v_mov_b32_e32 v18, 0x11122322
	v_mov_b32_e32 v19, 0x3f811111
	v_fmac_f64_e32 v[18:19], v[14:15], v[16:17]
	v_mov_b32_e32 v16, 0x555502a1
	v_mov_b32_e32 v17, 0x3fa55555
	v_fmac_f64_e32 v[16:17], v[14:15], v[18:19]
	v_mov_b32_e32 v18, 0x55555511
	v_mov_b32_e32 v19, 0x3fc55555
	v_fmac_f64_e32 v[18:19], v[14:15], v[16:17]
	v_mov_b32_e32 v16, 11
	v_mov_b32_e32 v17, 0x3fe00000
	s_mov_b32 s0, 0
	v_fmac_f64_e32 v[16:17], v[14:15], v[18:19]
	s_mov_b32 s1, 0x40900000
	v_fma_f64 v[16:17], v[14:15], v[16:17], 1.0
	v_cmp_nlt_f64_e32 vcc, s[0:1], v[10:11]
	s_mov_b32 s0, 0
	v_fma_f64 v[14:15], v[14:15], v[16:17], 1.0
	v_cvt_i32_f64_e32 v12, v[12:13]
	s_mov_b32 s1, 0xc090cc00
	v_ldexp_f64 v[12:13], v[14:15], v12
	v_mov_b32_e32 v14, 0x7ff00000
	v_cmp_ngt_f64_e64 s[0:1], s[0:1], v[10:11]
	v_cndmask_b32_e32 v13, v14, v13, vcc
	s_and_b64 vcc, s[0:1], vcc
	v_cndmask_b32_e64 v11, 0, v13, s[0:1]
	v_cndmask_b32_e32 v10, 0, v12, vcc
	v_add_f64 v[12:13], v[10:11], 1.0
	v_add_f64 v[14:15], v[12:13], -1.0
	v_add_f64 v[16:17], v[14:15], -v[12:13]
	v_add_f64 v[16:17], v[16:17], 1.0
	v_add_f64 v[14:15], v[10:11], -v[14:15]
	s_mov_b32 s0, 0x55555555
	v_add_f64 v[14:15], v[14:15], v[16:17]
	v_frexp_mant_f64_e32 v[16:17], v[12:13]
	s_mov_b32 s1, 0x3fe55555
	v_frexp_exp_i32_f64_e32 v18, v[12:13]
	v_cmp_gt_f64_e32 vcc, s[0:1], v[16:17]
	v_subbrev_co_u32_e32 v48, vcc, 0, v18, vcc
	v_sub_u32_e32 v16, 0, v48
	v_ldexp_f64 v[12:13], v[12:13], v16
	v_ldexp_f64 v[14:15], v[14:15], v16
	v_add_f64 v[16:17], v[12:13], -1.0
	v_add_f64 v[22:23], v[12:13], 1.0
	v_add_f64 v[18:19], v[16:17], 1.0
	v_add_f64 v[36:37], v[22:23], -1.0
	v_add_f64 v[18:19], v[12:13], -v[18:19]
	v_add_f64 v[12:13], v[12:13], -v[36:37]
	v_add_f64 v[12:13], v[14:15], v[12:13]
	v_add_f64 v[18:19], v[14:15], v[18:19]
	;; [unrolled: 1-line block ×3, first 2 shown]
	v_rcp_f64_e32 v[36:37], v[14:15]
	v_add_f64 v[20:21], v[16:17], v[18:19]
	v_add_f64 v[16:17], v[20:21], -v[16:17]
	v_add_f64 v[16:17], v[18:19], -v[16:17]
	;; [unrolled: 1-line block ×4, first 2 shown]
	v_fma_f64 v[18:19], -v[14:15], v[36:37], 1.0
	v_fmac_f64_e32 v[36:37], v[18:19], v[36:37]
	v_fma_f64 v[18:19], -v[14:15], v[36:37], 1.0
	v_fmac_f64_e32 v[36:37], v[18:19], v[36:37]
	v_mul_f64 v[18:19], v[20:21], v[36:37]
	v_mul_f64 v[22:23], v[14:15], v[18:19]
	v_fma_f64 v[42:43], v[18:19], v[14:15], -v[22:23]
	v_fmac_f64_e32 v[42:43], v[18:19], v[12:13]
	v_add_f64 v[44:45], v[22:23], v[42:43]
	s_waitcnt lgkmcnt(0)
	v_add_f64 v[46:47], v[20:21], -v[44:45]
	v_add_f64 v[20:21], v[20:21], -v[46:47]
	;; [unrolled: 1-line block ×4, first 2 shown]
	v_add_f64 v[16:17], v[16:17], v[20:21]
	v_add_f64 v[20:21], v[22:23], -v[42:43]
	v_add_f64 v[16:17], v[20:21], v[16:17]
	v_add_f64 v[20:21], v[46:47], v[16:17]
	v_add_f64 v[22:23], v[46:47], -v[20:21]
	v_add_f64 v[16:17], v[16:17], v[22:23]
	v_mul_f64 v[22:23], v[36:37], v[20:21]
	v_mul_f64 v[42:43], v[14:15], v[22:23]
	v_fma_f64 v[14:15], v[22:23], v[14:15], -v[42:43]
	v_fmac_f64_e32 v[14:15], v[22:23], v[12:13]
	v_add_f64 v[12:13], v[42:43], v[14:15]
	v_add_f64 v[44:45], v[20:21], -v[12:13]
	v_add_f64 v[20:21], v[20:21], -v[44:45]
	v_add_f64 v[42:43], v[12:13], -v[42:43]
	v_add_f64 v[12:13], v[20:21], -v[12:13]
	v_add_f64 v[12:13], v[16:17], v[12:13]
	v_add_f64 v[14:15], v[42:43], -v[14:15]
	v_add_f64 v[12:13], v[14:15], v[12:13]
	v_add_f64 v[14:15], v[18:19], v[22:23]
	;; [unrolled: 1-line block ×3, first 2 shown]
	v_add_f64 v[16:17], v[14:15], -v[18:19]
	v_mul_f64 v[12:13], v[36:37], v[12:13]
	v_add_f64 v[16:17], v[22:23], -v[16:17]
	v_add_f64 v[12:13], v[16:17], v[12:13]
	v_add_f64 v[16:17], v[14:15], v[12:13]
	v_add_f64 v[14:15], v[16:17], -v[14:15]
	s_mov_b32 s0, 0xbf559e2b
	v_add_f64 v[12:13], v[12:13], -v[14:15]
	v_mul_f64 v[14:15], v[16:17], v[16:17]
	v_mov_b32_e32 v18, 0x6b47b09a
	v_mov_b32_e32 v19, 0x3fc38538
	s_mov_b32 s1, 0x3fc3ab76
	v_fmac_f64_e32 v[18:19], s[0:1], v[14:15]
	v_mov_b32_e32 v20, 0xd7f4df2e
	v_mov_b32_e32 v21, 0x3fc7474d
	v_fmac_f64_e32 v[20:21], v[14:15], v[18:19]
	v_mov_b32_e32 v18, 0x16291751
	v_mov_b32_e32 v19, 0x3fcc71c0
	v_fmac_f64_e32 v[18:19], v[14:15], v[20:21]
	v_mov_b32_e32 v20, 0x9b27acf1
	v_mov_b32_e32 v21, 0x3fd24924
	v_fmac_f64_e32 v[20:21], v[14:15], v[18:19]
	v_mov_b32_e32 v18, 0x998ef7b6
	v_mov_b32_e32 v19, 0x3fd99999
	v_fmac_f64_e32 v[18:19], v[14:15], v[20:21]
	v_mov_b32_e32 v20, 0x55555780
	v_mov_b32_e32 v21, 0x3fe55555
	v_fmac_f64_e32 v[20:21], v[14:15], v[18:19]
	v_cvt_f64_i32_e32 v[18:19], v48
	s_mov_b32 s5, 0x3fe62e42
	v_mul_f64 v[22:23], v[18:19], s[4:5]
	v_fma_f64 v[36:37], v[18:19], s[4:5], -v[22:23]
	s_mov_b32 s7, 0x3c7abc9e
	v_fmac_f64_e32 v[36:37], s[6:7], v[18:19]
	v_add_f64 v[18:19], v[22:23], v[36:37]
	v_add_f64 v[22:23], v[18:19], -v[22:23]
	v_mul_f64 v[14:15], v[16:17], v[14:15]
	v_add_f64 v[22:23], v[36:37], -v[22:23]
	v_ldexp_f64 v[36:37], v[16:17], 1
	v_mul_f64 v[14:15], v[14:15], v[20:21]
	v_add_f64 v[16:17], v[36:37], v[14:15]
	v_add_f64 v[20:21], v[16:17], -v[36:37]
	v_ldexp_f64 v[12:13], v[12:13], 1
	v_add_f64 v[14:15], v[14:15], -v[20:21]
	v_add_f64 v[12:13], v[12:13], v[14:15]
	v_add_f64 v[14:15], v[16:17], v[12:13]
	v_add_f64 v[16:17], v[14:15], -v[16:17]
	v_add_f64 v[12:13], v[12:13], -v[16:17]
	v_add_f64 v[16:17], v[18:19], v[14:15]
	v_add_f64 v[20:21], v[16:17], -v[18:19]
	v_add_f64 v[36:37], v[16:17], -v[20:21]
	;; [unrolled: 1-line block ×4, first 2 shown]
	v_add_f64 v[14:15], v[14:15], v[18:19]
	v_add_f64 v[18:19], v[22:23], v[12:13]
	v_add_f64 v[20:21], v[18:19], -v[22:23]
	v_add_f64 v[14:15], v[18:19], v[14:15]
	v_add_f64 v[36:37], v[18:19], -v[20:21]
	;; [unrolled: 2-line block ×3, first 2 shown]
	v_add_f64 v[12:13], v[12:13], -v[20:21]
	v_add_f64 v[16:17], v[18:19], -v[16:17]
	v_add_f64 v[12:13], v[12:13], v[22:23]
	v_add_f64 v[14:15], v[14:15], -v[16:17]
	s_mov_b32 s0, 0
	v_add_f64 v[12:13], v[12:13], v[14:15]
	s_mov_b32 s1, 0x7ff00000
	v_add_f64 v[12:13], v[18:19], v[12:13]
	v_cmp_eq_f64_e32 vcc, s[0:1], v[10:11]
	v_cndmask_b32_e32 v12, v12, v10, vcc
	v_cndmask_b32_e32 v13, v13, v11, vcc
	v_mov_b32_e32 v14, 0x7ff80000
	v_cmp_ngt_f64_e32 vcc, -1.0, v[10:11]
	v_cndmask_b32_e32 v13, v14, v13, vcc
	v_cmp_nge_f64_e32 vcc, -1.0, v[10:11]
	v_cndmask_b32_e32 v12, 0, v12, vcc
	v_mov_b32_e32 v14, 0xfff00000
	v_cmp_neq_f64_e32 vcc, -1.0, v[10:11]
	v_cndmask_b32_e32 v13, v14, v13, vcc
	v_add_f64 v[36:37], v[4:5], v[12:13]
.LBB68_256:
	s_or_b64 exec, exec, s[2:3]
	v_max_f64 v[4:5], v[36:37], v[36:37]
	v_min_f64 v[10:11], v[4:5], v[38:39]
	v_cmp_u_f64_e32 vcc, v[36:37], v[36:37]
	v_max_f64 v[4:5], v[4:5], v[38:39]
	v_cndmask_b32_e32 v10, v10, v36, vcc
	v_cndmask_b32_e32 v11, v11, v37, vcc
	;; [unrolled: 1-line block ×4, first 2 shown]
	v_cndmask_b32_e64 v11, v11, v7, s[14:15]
	v_cndmask_b32_e64 v10, v10, v6, s[14:15]
	;; [unrolled: 1-line block ×4, first 2 shown]
	v_cmp_neq_f64_e32 vcc, v[10:11], v[4:5]
	v_cmp_class_f64_e64 s[0:1], v[10:11], s8
	s_or_b64 s[0:1], vcc, s[0:1]
	v_pk_mov_b32 v[38:39], v[36:37], v[36:37] op_sel:[0,1]
	s_and_saveexec_b64 s[2:3], s[0:1]
	s_cbranch_execz .LBB68_258
; %bb.257:
	s_mov_b32 s0, 0x652b82fe
	v_add_f64 v[6:7], v[10:11], -v[4:5]
	s_mov_b32 s1, 0x3ff71547
	v_mul_f64 v[10:11], v[6:7], s[0:1]
	v_rndne_f64_e32 v[10:11], v[10:11]
	s_mov_b32 s5, 0xbfe62e42
	s_mov_b32 s4, 0xfefa39ef
	v_fma_f64 v[12:13], s[4:5], v[10:11], v[6:7]
	s_mov_b32 s7, 0xbc7abc9e
	s_mov_b32 s6, 0x3b39803f
	;; [unrolled: 1-line block ×3, first 2 shown]
	v_fmac_f64_e32 v[12:13], s[6:7], v[10:11]
	v_mov_b32_e32 v14, 0xfca7ab0c
	v_mov_b32_e32 v15, 0x3e928af3
	s_mov_b32 s1, 0x3e5ade15
	v_fmac_f64_e32 v[14:15], s[0:1], v[12:13]
	v_mov_b32_e32 v16, 0x623fde64
	v_mov_b32_e32 v17, 0x3ec71dee
	v_fmac_f64_e32 v[16:17], v[12:13], v[14:15]
	v_mov_b32_e32 v14, 0x7c89e6b0
	v_mov_b32_e32 v15, 0x3efa0199
	;; [unrolled: 3-line block ×8, first 2 shown]
	s_mov_b32 s0, 0
	v_fmac_f64_e32 v[14:15], v[12:13], v[16:17]
	s_mov_b32 s1, 0x40900000
	v_fma_f64 v[14:15], v[12:13], v[14:15], 1.0
	v_cmp_nlt_f64_e32 vcc, s[0:1], v[6:7]
	s_mov_b32 s0, 0
	v_fma_f64 v[12:13], v[12:13], v[14:15], 1.0
	v_cvt_i32_f64_e32 v10, v[10:11]
	s_mov_b32 s1, 0xc090cc00
	v_ldexp_f64 v[10:11], v[12:13], v10
	v_mov_b32_e32 v12, 0x7ff00000
	v_cmp_ngt_f64_e64 s[0:1], s[0:1], v[6:7]
	v_cndmask_b32_e32 v11, v12, v11, vcc
	s_and_b64 vcc, s[0:1], vcc
	v_cndmask_b32_e64 v7, 0, v11, s[0:1]
	v_cndmask_b32_e32 v6, 0, v10, vcc
	v_add_f64 v[10:11], v[6:7], 1.0
	v_add_f64 v[12:13], v[10:11], -1.0
	v_add_f64 v[14:15], v[12:13], -v[10:11]
	v_add_f64 v[14:15], v[14:15], 1.0
	v_add_f64 v[12:13], v[6:7], -v[12:13]
	s_mov_b32 s0, 0x55555555
	v_add_f64 v[12:13], v[12:13], v[14:15]
	v_frexp_mant_f64_e32 v[14:15], v[10:11]
	s_mov_b32 s1, 0x3fe55555
	v_frexp_exp_i32_f64_e32 v16, v[10:11]
	v_cmp_gt_f64_e32 vcc, s[0:1], v[14:15]
	s_waitcnt lgkmcnt(1)
	v_subbrev_co_u32_e32 v46, vcc, 0, v16, vcc
	v_sub_u32_e32 v14, 0, v46
	v_ldexp_f64 v[10:11], v[10:11], v14
	v_ldexp_f64 v[12:13], v[12:13], v14
	v_add_f64 v[14:15], v[10:11], -1.0
	v_add_f64 v[20:21], v[10:11], 1.0
	v_add_f64 v[16:17], v[14:15], 1.0
	v_add_f64 v[22:23], v[20:21], -1.0
	v_add_f64 v[16:17], v[10:11], -v[16:17]
	v_add_f64 v[10:11], v[10:11], -v[22:23]
	v_add_f64 v[10:11], v[12:13], v[10:11]
	v_add_f64 v[16:17], v[12:13], v[16:17]
	;; [unrolled: 1-line block ×3, first 2 shown]
	v_rcp_f64_e32 v[22:23], v[12:13]
	v_add_f64 v[18:19], v[14:15], v[16:17]
	v_add_f64 v[14:15], v[18:19], -v[14:15]
	v_add_f64 v[14:15], v[16:17], -v[14:15]
	;; [unrolled: 1-line block ×4, first 2 shown]
	v_fma_f64 v[16:17], -v[12:13], v[22:23], 1.0
	v_fmac_f64_e32 v[22:23], v[16:17], v[22:23]
	v_fma_f64 v[16:17], -v[12:13], v[22:23], 1.0
	v_fmac_f64_e32 v[22:23], v[16:17], v[22:23]
	v_mul_f64 v[16:17], v[18:19], v[22:23]
	v_mul_f64 v[20:21], v[12:13], v[16:17]
	v_fma_f64 v[38:39], v[16:17], v[12:13], -v[20:21]
	v_fmac_f64_e32 v[38:39], v[16:17], v[10:11]
	v_add_f64 v[42:43], v[20:21], v[38:39]
	v_add_f64 v[44:45], v[18:19], -v[42:43]
	v_add_f64 v[18:19], v[18:19], -v[44:45]
	;; [unrolled: 1-line block ×4, first 2 shown]
	v_add_f64 v[14:15], v[14:15], v[18:19]
	v_add_f64 v[18:19], v[20:21], -v[38:39]
	v_add_f64 v[14:15], v[18:19], v[14:15]
	v_add_f64 v[18:19], v[44:45], v[14:15]
	v_add_f64 v[20:21], v[44:45], -v[18:19]
	v_add_f64 v[14:15], v[14:15], v[20:21]
	v_mul_f64 v[20:21], v[22:23], v[18:19]
	v_mul_f64 v[38:39], v[12:13], v[20:21]
	v_fma_f64 v[12:13], v[20:21], v[12:13], -v[38:39]
	v_fmac_f64_e32 v[12:13], v[20:21], v[10:11]
	v_add_f64 v[10:11], v[38:39], v[12:13]
	v_add_f64 v[42:43], v[18:19], -v[10:11]
	v_add_f64 v[18:19], v[18:19], -v[42:43]
	v_add_f64 v[38:39], v[10:11], -v[38:39]
	v_add_f64 v[10:11], v[18:19], -v[10:11]
	v_add_f64 v[10:11], v[14:15], v[10:11]
	v_add_f64 v[12:13], v[38:39], -v[12:13]
	v_add_f64 v[10:11], v[12:13], v[10:11]
	v_add_f64 v[12:13], v[16:17], v[20:21]
	;; [unrolled: 1-line block ×3, first 2 shown]
	v_add_f64 v[14:15], v[12:13], -v[16:17]
	v_mul_f64 v[10:11], v[22:23], v[10:11]
	v_add_f64 v[14:15], v[20:21], -v[14:15]
	v_add_f64 v[10:11], v[14:15], v[10:11]
	v_add_f64 v[14:15], v[12:13], v[10:11]
	v_add_f64 v[12:13], v[14:15], -v[12:13]
	s_mov_b32 s0, 0xbf559e2b
	v_add_f64 v[10:11], v[10:11], -v[12:13]
	v_mul_f64 v[12:13], v[14:15], v[14:15]
	v_mov_b32_e32 v16, 0x6b47b09a
	v_mov_b32_e32 v17, 0x3fc38538
	s_mov_b32 s1, 0x3fc3ab76
	v_fmac_f64_e32 v[16:17], s[0:1], v[12:13]
	v_mov_b32_e32 v18, 0xd7f4df2e
	v_mov_b32_e32 v19, 0x3fc7474d
	v_fmac_f64_e32 v[18:19], v[12:13], v[16:17]
	v_mov_b32_e32 v16, 0x16291751
	v_mov_b32_e32 v17, 0x3fcc71c0
	;; [unrolled: 3-line block ×5, first 2 shown]
	v_fmac_f64_e32 v[18:19], v[12:13], v[16:17]
	v_cvt_f64_i32_e32 v[16:17], v46
	s_mov_b32 s5, 0x3fe62e42
	v_mul_f64 v[20:21], v[16:17], s[4:5]
	v_fma_f64 v[22:23], v[16:17], s[4:5], -v[20:21]
	s_mov_b32 s7, 0x3c7abc9e
	v_fmac_f64_e32 v[22:23], s[6:7], v[16:17]
	v_add_f64 v[16:17], v[20:21], v[22:23]
	v_add_f64 v[20:21], v[16:17], -v[20:21]
	v_mul_f64 v[12:13], v[14:15], v[12:13]
	v_add_f64 v[20:21], v[22:23], -v[20:21]
	v_ldexp_f64 v[22:23], v[14:15], 1
	v_mul_f64 v[12:13], v[12:13], v[18:19]
	v_add_f64 v[14:15], v[22:23], v[12:13]
	v_add_f64 v[18:19], v[14:15], -v[22:23]
	v_ldexp_f64 v[10:11], v[10:11], 1
	v_add_f64 v[12:13], v[12:13], -v[18:19]
	v_add_f64 v[10:11], v[10:11], v[12:13]
	v_add_f64 v[12:13], v[14:15], v[10:11]
	v_add_f64 v[14:15], v[12:13], -v[14:15]
	v_add_f64 v[10:11], v[10:11], -v[14:15]
	v_add_f64 v[14:15], v[16:17], v[12:13]
	v_add_f64 v[18:19], v[14:15], -v[16:17]
	v_add_f64 v[22:23], v[14:15], -v[18:19]
	;; [unrolled: 1-line block ×4, first 2 shown]
	v_add_f64 v[12:13], v[12:13], v[16:17]
	v_add_f64 v[16:17], v[20:21], v[10:11]
	v_add_f64 v[18:19], v[16:17], -v[20:21]
	v_add_f64 v[12:13], v[16:17], v[12:13]
	v_add_f64 v[22:23], v[16:17], -v[18:19]
	;; [unrolled: 2-line block ×3, first 2 shown]
	v_add_f64 v[10:11], v[10:11], -v[18:19]
	v_add_f64 v[14:15], v[16:17], -v[14:15]
	v_add_f64 v[10:11], v[10:11], v[20:21]
	v_add_f64 v[12:13], v[12:13], -v[14:15]
	s_mov_b32 s0, 0
	v_add_f64 v[10:11], v[10:11], v[12:13]
	s_mov_b32 s1, 0x7ff00000
	v_add_f64 v[10:11], v[16:17], v[10:11]
	v_cmp_eq_f64_e32 vcc, s[0:1], v[6:7]
	v_cndmask_b32_e32 v10, v10, v6, vcc
	v_cndmask_b32_e32 v11, v11, v7, vcc
	v_mov_b32_e32 v12, 0x7ff80000
	v_cmp_ngt_f64_e32 vcc, -1.0, v[6:7]
	v_cndmask_b32_e32 v11, v12, v11, vcc
	v_cmp_nge_f64_e32 vcc, -1.0, v[6:7]
	v_cndmask_b32_e32 v10, 0, v10, vcc
	v_mov_b32_e32 v12, 0xfff00000
	v_cmp_neq_f64_e32 vcc, -1.0, v[6:7]
	v_cndmask_b32_e32 v11, v12, v11, vcc
	v_add_f64 v[38:39], v[4:5], v[10:11]
.LBB68_258:
	s_or_b64 exec, exec, s[2:3]
	v_max_f64 v[4:5], v[38:39], v[38:39]
	v_min_f64 v[6:7], v[4:5], v[40:41]
	v_cmp_u_f64_e32 vcc, v[38:39], v[38:39]
	v_max_f64 v[4:5], v[4:5], v[40:41]
	v_cndmask_b32_e32 v6, v6, v38, vcc
	v_cndmask_b32_e32 v7, v7, v39, vcc
	;; [unrolled: 1-line block ×4, first 2 shown]
	v_cndmask_b32_e64 v7, v7, v9, s[16:17]
	v_cndmask_b32_e64 v6, v6, v8, s[16:17]
	;; [unrolled: 1-line block ×4, first 2 shown]
	s_movk_i32 s0, 0x1f8
	v_cmp_neq_f64_e32 vcc, v[6:7], v[4:5]
	v_cmp_class_f64_e64 s[0:1], v[6:7], s0
	s_or_b64 s[0:1], vcc, s[0:1]
	v_pk_mov_b32 v[40:41], v[38:39], v[38:39] op_sel:[0,1]
	s_and_saveexec_b64 s[2:3], s[0:1]
	s_cbranch_execz .LBB68_260
; %bb.259:
	s_mov_b32 s0, 0x652b82fe
	v_add_f64 v[6:7], v[6:7], -v[4:5]
	s_mov_b32 s1, 0x3ff71547
	v_mul_f64 v[8:9], v[6:7], s[0:1]
	v_rndne_f64_e32 v[8:9], v[8:9]
	s_mov_b32 s5, 0xbfe62e42
	s_mov_b32 s4, 0xfefa39ef
	v_fma_f64 v[10:11], s[4:5], v[8:9], v[6:7]
	s_mov_b32 s7, 0xbc7abc9e
	s_mov_b32 s6, 0x3b39803f
	;; [unrolled: 1-line block ×3, first 2 shown]
	v_fmac_f64_e32 v[10:11], s[6:7], v[8:9]
	v_mov_b32_e32 v12, 0xfca7ab0c
	v_mov_b32_e32 v13, 0x3e928af3
	s_mov_b32 s1, 0x3e5ade15
	v_fmac_f64_e32 v[12:13], s[0:1], v[10:11]
	v_mov_b32_e32 v14, 0x623fde64
	v_mov_b32_e32 v15, 0x3ec71dee
	v_fmac_f64_e32 v[14:15], v[10:11], v[12:13]
	v_mov_b32_e32 v12, 0x7c89e6b0
	v_mov_b32_e32 v13, 0x3efa0199
	v_fmac_f64_e32 v[12:13], v[10:11], v[14:15]
	v_mov_b32_e32 v14, 0x14761f6e
	v_mov_b32_e32 v15, 0x3f2a01a0
	v_fmac_f64_e32 v[14:15], v[10:11], v[12:13]
	v_mov_b32_e32 v12, 0x1852b7b0
	v_mov_b32_e32 v13, 0x3f56c16c
	v_fmac_f64_e32 v[12:13], v[10:11], v[14:15]
	v_mov_b32_e32 v14, 0x11122322
	v_mov_b32_e32 v15, 0x3f811111
	v_fmac_f64_e32 v[14:15], v[10:11], v[12:13]
	v_mov_b32_e32 v12, 0x555502a1
	v_mov_b32_e32 v13, 0x3fa55555
	v_fmac_f64_e32 v[12:13], v[10:11], v[14:15]
	v_mov_b32_e32 v14, 0x55555511
	v_mov_b32_e32 v15, 0x3fc55555
	v_fmac_f64_e32 v[14:15], v[10:11], v[12:13]
	v_mov_b32_e32 v12, 11
	v_mov_b32_e32 v13, 0x3fe00000
	s_mov_b32 s0, 0
	v_fmac_f64_e32 v[12:13], v[10:11], v[14:15]
	s_mov_b32 s1, 0x40900000
	v_fma_f64 v[12:13], v[10:11], v[12:13], 1.0
	v_cmp_nlt_f64_e32 vcc, s[0:1], v[6:7]
	s_mov_b32 s0, 0
	v_fma_f64 v[10:11], v[10:11], v[12:13], 1.0
	v_cvt_i32_f64_e32 v8, v[8:9]
	s_mov_b32 s1, 0xc090cc00
	v_ldexp_f64 v[8:9], v[10:11], v8
	v_mov_b32_e32 v10, 0x7ff00000
	v_cmp_ngt_f64_e64 s[0:1], s[0:1], v[6:7]
	v_cndmask_b32_e32 v9, v10, v9, vcc
	s_and_b64 vcc, s[0:1], vcc
	v_cndmask_b32_e64 v7, 0, v9, s[0:1]
	v_cndmask_b32_e32 v6, 0, v8, vcc
	v_add_f64 v[8:9], v[6:7], 1.0
	v_add_f64 v[10:11], v[8:9], -1.0
	v_add_f64 v[12:13], v[10:11], -v[8:9]
	v_add_f64 v[12:13], v[12:13], 1.0
	v_add_f64 v[10:11], v[6:7], -v[10:11]
	s_mov_b32 s0, 0x55555555
	v_add_f64 v[10:11], v[10:11], v[12:13]
	v_frexp_mant_f64_e32 v[12:13], v[8:9]
	s_mov_b32 s1, 0x3fe55555
	v_frexp_exp_i32_f64_e32 v14, v[8:9]
	v_cmp_gt_f64_e32 vcc, s[0:1], v[12:13]
	v_subbrev_co_u32_e32 v44, vcc, 0, v14, vcc
	v_sub_u32_e32 v12, 0, v44
	v_ldexp_f64 v[8:9], v[8:9], v12
	v_ldexp_f64 v[10:11], v[10:11], v12
	v_add_f64 v[12:13], v[8:9], -1.0
	v_add_f64 v[18:19], v[8:9], 1.0
	v_add_f64 v[14:15], v[12:13], 1.0
	v_add_f64 v[20:21], v[18:19], -1.0
	v_add_f64 v[14:15], v[8:9], -v[14:15]
	v_add_f64 v[8:9], v[8:9], -v[20:21]
	v_add_f64 v[8:9], v[10:11], v[8:9]
	v_add_f64 v[14:15], v[10:11], v[14:15]
	;; [unrolled: 1-line block ×3, first 2 shown]
	v_rcp_f64_e32 v[20:21], v[10:11]
	v_add_f64 v[16:17], v[12:13], v[14:15]
	v_add_f64 v[12:13], v[16:17], -v[12:13]
	v_add_f64 v[12:13], v[14:15], -v[12:13]
	;; [unrolled: 1-line block ×4, first 2 shown]
	v_fma_f64 v[14:15], -v[10:11], v[20:21], 1.0
	v_fmac_f64_e32 v[20:21], v[14:15], v[20:21]
	v_fma_f64 v[14:15], -v[10:11], v[20:21], 1.0
	v_fmac_f64_e32 v[20:21], v[14:15], v[20:21]
	v_mul_f64 v[14:15], v[16:17], v[20:21]
	v_mul_f64 v[18:19], v[10:11], v[14:15]
	v_fma_f64 v[22:23], v[14:15], v[10:11], -v[18:19]
	v_fmac_f64_e32 v[22:23], v[14:15], v[8:9]
	v_add_f64 v[40:41], v[18:19], v[22:23]
	v_add_f64 v[42:43], v[16:17], -v[40:41]
	v_add_f64 v[16:17], v[16:17], -v[42:43]
	;; [unrolled: 1-line block ×4, first 2 shown]
	v_add_f64 v[12:13], v[12:13], v[16:17]
	v_add_f64 v[16:17], v[18:19], -v[22:23]
	v_add_f64 v[12:13], v[16:17], v[12:13]
	v_add_f64 v[16:17], v[42:43], v[12:13]
	v_add_f64 v[18:19], v[42:43], -v[16:17]
	v_add_f64 v[12:13], v[12:13], v[18:19]
	v_mul_f64 v[18:19], v[20:21], v[16:17]
	v_mul_f64 v[22:23], v[10:11], v[18:19]
	v_fma_f64 v[10:11], v[18:19], v[10:11], -v[22:23]
	v_fmac_f64_e32 v[10:11], v[18:19], v[8:9]
	v_add_f64 v[8:9], v[22:23], v[10:11]
	v_add_f64 v[40:41], v[16:17], -v[8:9]
	v_add_f64 v[16:17], v[16:17], -v[40:41]
	;; [unrolled: 1-line block ×4, first 2 shown]
	v_add_f64 v[8:9], v[12:13], v[8:9]
	v_add_f64 v[10:11], v[22:23], -v[10:11]
	v_add_f64 v[8:9], v[10:11], v[8:9]
	v_add_f64 v[10:11], v[14:15], v[18:19]
	;; [unrolled: 1-line block ×3, first 2 shown]
	v_add_f64 v[12:13], v[10:11], -v[14:15]
	v_mul_f64 v[8:9], v[20:21], v[8:9]
	v_add_f64 v[12:13], v[18:19], -v[12:13]
	v_add_f64 v[8:9], v[12:13], v[8:9]
	v_add_f64 v[12:13], v[10:11], v[8:9]
	v_add_f64 v[10:11], v[12:13], -v[10:11]
	s_mov_b32 s0, 0xbf559e2b
	v_add_f64 v[8:9], v[8:9], -v[10:11]
	v_mul_f64 v[10:11], v[12:13], v[12:13]
	v_mov_b32_e32 v14, 0x6b47b09a
	v_mov_b32_e32 v15, 0x3fc38538
	s_mov_b32 s1, 0x3fc3ab76
	v_fmac_f64_e32 v[14:15], s[0:1], v[10:11]
	v_mov_b32_e32 v16, 0xd7f4df2e
	v_mov_b32_e32 v17, 0x3fc7474d
	v_fmac_f64_e32 v[16:17], v[10:11], v[14:15]
	v_mov_b32_e32 v14, 0x16291751
	v_mov_b32_e32 v15, 0x3fcc71c0
	;; [unrolled: 3-line block ×5, first 2 shown]
	v_fmac_f64_e32 v[16:17], v[10:11], v[14:15]
	v_cvt_f64_i32_e32 v[14:15], v44
	s_mov_b32 s5, 0x3fe62e42
	v_mul_f64 v[18:19], v[14:15], s[4:5]
	v_fma_f64 v[20:21], v[14:15], s[4:5], -v[18:19]
	s_mov_b32 s7, 0x3c7abc9e
	v_fmac_f64_e32 v[20:21], s[6:7], v[14:15]
	v_add_f64 v[14:15], v[18:19], v[20:21]
	v_add_f64 v[18:19], v[14:15], -v[18:19]
	v_mul_f64 v[10:11], v[12:13], v[10:11]
	v_add_f64 v[18:19], v[20:21], -v[18:19]
	v_ldexp_f64 v[20:21], v[12:13], 1
	v_mul_f64 v[10:11], v[10:11], v[16:17]
	v_add_f64 v[12:13], v[20:21], v[10:11]
	v_add_f64 v[16:17], v[12:13], -v[20:21]
	v_ldexp_f64 v[8:9], v[8:9], 1
	v_add_f64 v[10:11], v[10:11], -v[16:17]
	v_add_f64 v[8:9], v[8:9], v[10:11]
	v_add_f64 v[10:11], v[12:13], v[8:9]
	v_add_f64 v[12:13], v[10:11], -v[12:13]
	v_add_f64 v[8:9], v[8:9], -v[12:13]
	v_add_f64 v[12:13], v[14:15], v[10:11]
	v_add_f64 v[16:17], v[12:13], -v[14:15]
	v_add_f64 v[20:21], v[12:13], -v[16:17]
	;; [unrolled: 1-line block ×4, first 2 shown]
	v_add_f64 v[10:11], v[10:11], v[14:15]
	v_add_f64 v[14:15], v[18:19], v[8:9]
	v_add_f64 v[16:17], v[14:15], -v[18:19]
	v_add_f64 v[10:11], v[14:15], v[10:11]
	v_add_f64 v[20:21], v[14:15], -v[16:17]
	v_add_f64 v[14:15], v[12:13], v[10:11]
	v_add_f64 v[18:19], v[18:19], -v[20:21]
	v_add_f64 v[8:9], v[8:9], -v[16:17]
	v_add_f64 v[12:13], v[14:15], -v[12:13]
	v_add_f64 v[8:9], v[8:9], v[18:19]
	v_add_f64 v[10:11], v[10:11], -v[12:13]
	s_mov_b32 s0, 0
	v_add_f64 v[8:9], v[8:9], v[10:11]
	s_mov_b32 s1, 0x7ff00000
	v_add_f64 v[8:9], v[14:15], v[8:9]
	v_cmp_eq_f64_e32 vcc, s[0:1], v[6:7]
	v_cndmask_b32_e32 v8, v8, v6, vcc
	v_cndmask_b32_e32 v9, v9, v7, vcc
	v_mov_b32_e32 v10, 0x7ff80000
	v_cmp_ngt_f64_e32 vcc, -1.0, v[6:7]
	v_cndmask_b32_e32 v9, v10, v9, vcc
	v_cmp_nge_f64_e32 vcc, -1.0, v[6:7]
	v_cndmask_b32_e32 v8, 0, v8, vcc
	v_mov_b32_e32 v10, 0xfff00000
	v_cmp_neq_f64_e32 vcc, -1.0, v[6:7]
	v_cndmask_b32_e32 v9, v10, v9, vcc
	v_add_f64 v[40:41], v[4:5], v[8:9]
.LBB68_260:
	s_or_b64 exec, exec, s[2:3]
	s_movk_i32 s0, 0x7f
	v_cmp_eq_u32_e32 vcc, s0, v0
	s_and_saveexec_b64 s[0:1], vcc
	s_cbranch_execz .LBB68_262
; %bb.261:
	s_add_u32 s2, s34, 0x400
	s_addc_u32 s3, s35, 0
	v_mov_b32_e32 v6, 2
	v_mov_b32_e32 v7, 0
	;; [unrolled: 1-line block ×4, first 2 shown]
	v_pk_mov_b32 v[8:9], s[2:3], s[2:3] op_sel:[0,1]
	;;#ASMSTART
	global_store_dwordx4 v[8:9], v[4:7] off	
s_waitcnt vmcnt(0)
	;;#ASMEND
.LBB68_262:
	s_or_b64 exec, exec, s[0:1]
	v_pk_mov_b32 v[22:23], v[2:3], v[2:3] op_sel:[0,1]
.LBB68_263:
	s_add_u32 s0, s28, s44
	s_addc_u32 s1, s29, s45
	s_add_u32 s0, s0, s46
	s_addc_u32 s1, s1, s47
	s_mov_b64 s[2:3], -1
	s_and_b64 vcc, exec, s[30:31]
	s_waitcnt lgkmcnt(0)
	s_barrier
	s_cbranch_vccz .LBB68_265
; %bb.264:
	ds_write_b128 v1, v[22:25]
	ds_write_b128 v1, v[26:29] offset:16
	ds_write_b128 v1, v[30:33] offset:32
	;; [unrolled: 1-line block ×4, first 2 shown]
	s_waitcnt lgkmcnt(0)
	s_barrier
	ds_read2st64_b64 v[2:5], v92 offset1:2
	ds_read2st64_b64 v[6:9], v92 offset0:4 offset1:6
	ds_read2st64_b64 v[10:13], v92 offset0:8 offset1:10
	ds_read2st64_b64 v[14:17], v92 offset0:12 offset1:14
	ds_read2st64_b64 v[18:21], v92 offset0:16 offset1:18
	v_mov_b32_e32 v42, s1
	v_add_co_u32_e32 v43, vcc, s0, v92
	v_addc_co_u32_e32 v42, vcc, 0, v42, vcc
	s_movk_i32 s2, 0x1000
	s_waitcnt lgkmcnt(4)
	global_store_dwordx2 v92, v[2:3], s[0:1]
	global_store_dwordx2 v92, v[4:5], s[0:1] offset:1024
	s_waitcnt lgkmcnt(3)
	global_store_dwordx2 v92, v[6:7], s[0:1] offset:2048
	global_store_dwordx2 v92, v[8:9], s[0:1] offset:3072
	v_add_co_u32_e32 v2, vcc, s2, v43
	v_addc_co_u32_e32 v3, vcc, 0, v42, vcc
	s_waitcnt lgkmcnt(2)
	global_store_dwordx2 v[2:3], v[10:11], off
	global_store_dwordx2 v[2:3], v[12:13], off offset:1024
	s_waitcnt lgkmcnt(1)
	global_store_dwordx2 v[2:3], v[14:15], off offset:2048
	global_store_dwordx2 v[2:3], v[16:17], off offset:3072
	v_add_co_u32_e32 v2, vcc, 0x2000, v43
	v_addc_co_u32_e32 v3, vcc, 0, v42, vcc
	s_waitcnt lgkmcnt(0)
	global_store_dwordx2 v[2:3], v[18:19], off
	global_store_dwordx2 v[2:3], v[20:21], off offset:1024
	s_mov_b64 s[2:3], 0
.LBB68_265:
	s_andn2_b64 vcc, exec, s[2:3]
	s_cbranch_vccnz .LBB68_321
; %bb.266:
	ds_write_b128 v1, v[22:25]
	ds_write_b128 v1, v[26:29] offset:16
	ds_write_b128 v1, v[30:33] offset:32
	;; [unrolled: 1-line block ×4, first 2 shown]
	s_waitcnt lgkmcnt(0)
	s_barrier
	ds_read2st64_b64 v[2:5], v92 offset1:2
	ds_read2st64_b64 v[10:13], v92 offset0:4 offset1:6
	ds_read2st64_b64 v[6:9], v92 offset0:8 offset1:10
	;; [unrolled: 1-line block ×4, first 2 shown]
	v_mov_b32_e32 v23, s1
	v_add_co_u32_e32 v22, vcc, s0, v92
	v_addc_co_u32_e32 v23, vcc, 0, v23, vcc
	v_mov_b32_e32 v1, 0
	v_cmp_gt_u32_e32 vcc, s33, v0
	s_and_saveexec_b64 s[0:1], vcc
	s_cbranch_execz .LBB68_268
; %bb.267:
	s_waitcnt lgkmcnt(4)
	global_store_dwordx2 v[22:23], v[2:3], off
.LBB68_268:
	s_or_b64 exec, exec, s[0:1]
	v_or_b32_e32 v24, 0x80, v0
	v_cmp_gt_u32_e32 vcc, s33, v24
	s_and_saveexec_b64 s[0:1], vcc
	s_cbranch_execz .LBB68_270
; %bb.269:
	s_waitcnt lgkmcnt(4)
	global_store_dwordx2 v[22:23], v[4:5], off offset:1024
.LBB68_270:
	s_or_b64 exec, exec, s[0:1]
	v_or_b32_e32 v24, 0x100, v0
	v_cmp_gt_u32_e32 vcc, s33, v24
	s_and_saveexec_b64 s[0:1], vcc
	s_cbranch_execz .LBB68_272
; %bb.271:
	s_waitcnt lgkmcnt(3)
	global_store_dwordx2 v[22:23], v[10:11], off offset:2048
.LBB68_272:
	s_or_b64 exec, exec, s[0:1]
	v_or_b32_e32 v24, 0x180, v0
	v_cmp_gt_u32_e32 vcc, s33, v24
	s_and_saveexec_b64 s[0:1], vcc
	s_cbranch_execz .LBB68_274
; %bb.273:
	s_waitcnt lgkmcnt(3)
	global_store_dwordx2 v[22:23], v[12:13], off offset:3072
.LBB68_274:
	s_or_b64 exec, exec, s[0:1]
	v_or_b32_e32 v24, 0x200, v0
	v_cmp_gt_u32_e32 vcc, s33, v24
	s_and_saveexec_b64 s[0:1], vcc
	s_cbranch_execz .LBB68_276
; %bb.275:
	v_add_co_u32_e32 v24, vcc, 0x1000, v22
	v_addc_co_u32_e32 v25, vcc, 0, v23, vcc
	s_waitcnt lgkmcnt(2)
	global_store_dwordx2 v[24:25], v[6:7], off
.LBB68_276:
	s_or_b64 exec, exec, s[0:1]
	v_or_b32_e32 v24, 0x280, v0
	v_cmp_gt_u32_e32 vcc, s33, v24
	s_and_saveexec_b64 s[0:1], vcc
	s_cbranch_execz .LBB68_278
; %bb.277:
	v_add_co_u32_e32 v24, vcc, 0x1000, v22
	v_addc_co_u32_e32 v25, vcc, 0, v23, vcc
	s_waitcnt lgkmcnt(2)
	global_store_dwordx2 v[24:25], v[8:9], off offset:1024
.LBB68_278:
	s_or_b64 exec, exec, s[0:1]
	v_or_b32_e32 v24, 0x300, v0
	v_cmp_gt_u32_e32 vcc, s33, v24
	s_and_saveexec_b64 s[0:1], vcc
	s_cbranch_execz .LBB68_280
; %bb.279:
	v_add_co_u32_e32 v24, vcc, 0x1000, v22
	v_addc_co_u32_e32 v25, vcc, 0, v23, vcc
	s_waitcnt lgkmcnt(1)
	global_store_dwordx2 v[24:25], v[14:15], off offset:2048
.LBB68_280:
	s_or_b64 exec, exec, s[0:1]
	v_or_b32_e32 v24, 0x380, v0
	v_cmp_gt_u32_e32 vcc, s33, v24
	s_and_saveexec_b64 s[0:1], vcc
	s_cbranch_execz .LBB68_282
; %bb.281:
	v_add_co_u32_e32 v24, vcc, 0x1000, v22
	v_addc_co_u32_e32 v25, vcc, 0, v23, vcc
	s_waitcnt lgkmcnt(1)
	global_store_dwordx2 v[24:25], v[16:17], off offset:3072
.LBB68_282:
	s_or_b64 exec, exec, s[0:1]
	v_or_b32_e32 v24, 0x400, v0
	v_cmp_gt_u32_e32 vcc, s33, v24
	s_and_saveexec_b64 s[0:1], vcc
	s_cbranch_execz .LBB68_284
; %bb.283:
	v_add_co_u32_e32 v24, vcc, 0x2000, v22
	v_addc_co_u32_e32 v25, vcc, 0, v23, vcc
	s_waitcnt lgkmcnt(0)
	global_store_dwordx2 v[24:25], v[18:19], off
.LBB68_284:
	s_or_b64 exec, exec, s[0:1]
	v_or_b32_e32 v24, 0x480, v0
	v_cmp_gt_u32_e32 vcc, s33, v24
	s_and_saveexec_b64 s[0:1], vcc
	s_cbranch_execz .LBB68_286
; %bb.285:
	v_add_co_u32_e32 v22, vcc, 0x2000, v22
	v_addc_co_u32_e32 v23, vcc, 0, v23, vcc
	s_waitcnt lgkmcnt(0)
	global_store_dwordx2 v[22:23], v[20:21], off offset:1024
.LBB68_286:
	s_or_b64 exec, exec, s[0:1]
	v_cmp_lt_u64_e64 s[0:1], s[42:43], 2
	s_and_b64 vcc, exec, s[0:1]
	s_cbranch_vccnz .LBB68_321
; %bb.287:
	s_add_u32 s0, s33, -1
	s_addc_u32 s1, s76, -1
	s_add_u32 s2, 0, 0x99986000
	s_addc_u32 s3, 0, 0x59
	s_add_i32 s3, s3, 0x19999940
	s_mul_hi_u32 s7, s2, -10
	s_sub_i32 s7, s7, s2
	s_mul_i32 s8, s3, -10
	s_mul_i32 s4, s2, -10
	s_add_i32 s7, s7, s8
	s_mul_hi_u32 s5, s3, s4
	s_mul_i32 s6, s3, s4
	s_mul_i32 s9, s2, s7
	s_mul_hi_u32 s4, s2, s4
	s_mul_hi_u32 s8, s2, s7
	s_add_u32 s4, s4, s9
	s_addc_u32 s8, 0, s8
	s_add_u32 s4, s4, s6
	s_mul_hi_u32 s9, s3, s7
	s_addc_u32 s4, s8, s5
	s_addc_u32 s5, s9, 0
	s_mul_i32 s6, s3, s7
	s_add_u32 s4, s4, s6
	v_mov_b32_e32 v22, s4
	s_addc_u32 s5, 0, s5
	v_add_co_u32_e32 v22, vcc, s2, v22
	s_cmp_lg_u64 vcc, 0
	s_addc_u32 s2, s3, s5
	v_readfirstlane_b32 s5, v22
	s_mul_i32 s4, s0, s2
	s_mul_hi_u32 s6, s0, s5
	s_mul_hi_u32 s3, s0, s2
	s_add_u32 s4, s6, s4
	s_addc_u32 s3, 0, s3
	s_mul_hi_u32 s7, s1, s5
	s_mul_i32 s5, s1, s5
	s_add_u32 s4, s4, s5
	s_mul_hi_u32 s6, s1, s2
	s_addc_u32 s3, s3, s7
	s_addc_u32 s4, s6, 0
	s_mul_i32 s2, s1, s2
	s_add_u32 s2, s3, s2
	s_addc_u32 s3, 0, s4
	s_add_u32 s4, s2, 1
	s_addc_u32 s5, s3, 0
	s_add_u32 s6, s2, 2
	s_mul_i32 s8, s3, 10
	s_mul_hi_u32 s9, s2, 10
	s_addc_u32 s7, s3, 0
	s_add_i32 s9, s9, s8
	s_mul_i32 s8, s2, 10
	v_mov_b32_e32 v22, s8
	v_sub_co_u32_e32 v22, vcc, s0, v22
	s_cmp_lg_u64 vcc, 0
	s_subb_u32 s8, s1, s9
	v_subrev_co_u32_e32 v23, vcc, 10, v22
	s_cmp_lg_u64 vcc, 0
	s_subb_u32 s9, s8, 0
	v_readfirstlane_b32 s10, v23
	s_cmp_gt_u32 s10, 9
	s_cselect_b32 s10, -1, 0
	s_cmp_eq_u32 s9, 0
	s_cselect_b32 s9, s10, -1
	s_cmp_lg_u32 s9, 0
	s_cselect_b32 s4, s6, s4
	v_readfirstlane_b32 s6, v22
	s_cselect_b32 s5, s7, s5
	s_cmp_gt_u32 s6, 9
	s_cselect_b32 s6, -1, 0
	s_cmp_eq_u32 s8, 0
	s_cselect_b32 s6, s6, -1
	s_cmp_lg_u32 s6, 0
	s_cselect_b32 s3, s5, s3
	s_cselect_b32 s2, s4, s2
	v_cmp_eq_u64_e32 vcc, s[2:3], v[0:1]
	s_and_saveexec_b64 s[2:3], vcc
	s_cbranch_execz .LBB68_321
; %bb.288:
	v_mul_hi_u32_u24_e32 v1, 10, v0
	v_mov_b32_e32 v22, s1
	v_sub_co_u32_e32 v0, vcc, s0, v93
	v_subb_co_u32_e32 v1, vcc, v22, v1, vcc
	v_cmp_lt_i64_e32 vcc, 4, v[0:1]
	s_and_saveexec_b64 s[0:1], vcc
	s_xor_b64 s[0:1], exec, s[0:1]
	s_cbranch_execz .LBB68_306
; %bb.289:
	v_cmp_lt_i64_e32 vcc, 6, v[0:1]
	s_and_saveexec_b64 s[2:3], vcc
	s_xor_b64 s[2:3], exec, s[2:3]
	s_cbranch_execz .LBB68_299
; %bb.290:
	;; [unrolled: 5-line block ×4, first 2 shown]
	v_mov_b32_e32 v0, 0
	s_waitcnt lgkmcnt(0)
	global_store_dwordx2 v0, v[20:21], s[38:39]
                                        ; implicit-def: $vgpr18_vgpr19_vgpr20_vgpr21
.LBB68_293:
	s_andn2_saveexec_b64 s[6:7], s[6:7]
	s_cbranch_execz .LBB68_295
; %bb.294:
	v_mov_b32_e32 v0, 0
	s_waitcnt lgkmcnt(0)
	global_store_dwordx2 v0, v[18:19], s[38:39]
.LBB68_295:
	s_or_b64 exec, exec, s[6:7]
                                        ; implicit-def: $vgpr14_vgpr15_vgpr16_vgpr17
.LBB68_296:
	s_andn2_saveexec_b64 s[4:5], s[4:5]
	s_cbranch_execz .LBB68_298
; %bb.297:
	v_mov_b32_e32 v0, 0
	s_waitcnt lgkmcnt(1)
	global_store_dwordx2 v0, v[16:17], s[38:39]
.LBB68_298:
	s_or_b64 exec, exec, s[4:5]
                                        ; implicit-def: $vgpr6_vgpr7_vgpr8_vgpr9
                                        ; implicit-def: $vgpr0_vgpr1
                                        ; implicit-def: $vgpr14_vgpr15_vgpr16_vgpr17
.LBB68_299:
	s_andn2_saveexec_b64 s[2:3], s[2:3]
	s_cbranch_execz .LBB68_305
; %bb.300:
	v_cmp_lt_i64_e32 vcc, 5, v[0:1]
	s_and_saveexec_b64 s[4:5], vcc
	s_xor_b64 s[4:5], exec, s[4:5]
	s_cbranch_execz .LBB68_302
; %bb.301:
	v_mov_b32_e32 v0, 0
	s_waitcnt lgkmcnt(1)
	global_store_dwordx2 v0, v[14:15], s[38:39]
                                        ; implicit-def: $vgpr6_vgpr7_vgpr8_vgpr9
.LBB68_302:
	s_andn2_saveexec_b64 s[4:5], s[4:5]
	s_cbranch_execz .LBB68_304
; %bb.303:
	v_mov_b32_e32 v0, 0
	s_waitcnt lgkmcnt(2)
	global_store_dwordx2 v0, v[8:9], s[38:39]
.LBB68_304:
	s_or_b64 exec, exec, s[4:5]
.LBB68_305:
	s_or_b64 exec, exec, s[2:3]
                                        ; implicit-def: $vgpr0_vgpr1
                                        ; implicit-def: $vgpr10_vgpr11_vgpr12_vgpr13
                                        ; implicit-def: $vgpr2_vgpr3_vgpr4_vgpr5
                                        ; implicit-def: $vgpr6_vgpr7_vgpr8_vgpr9
.LBB68_306:
	s_andn2_saveexec_b64 s[0:1], s[0:1]
	s_cbranch_execz .LBB68_321
; %bb.307:
	v_cmp_lt_i64_e32 vcc, 2, v[0:1]
	s_and_saveexec_b64 s[0:1], vcc
	s_xor_b64 s[0:1], exec, s[0:1]
	s_cbranch_execz .LBB68_313
; %bb.308:
	v_cmp_lt_i64_e32 vcc, 3, v[0:1]
	s_and_saveexec_b64 s[2:3], vcc
	s_xor_b64 s[2:3], exec, s[2:3]
	s_cbranch_execz .LBB68_310
; %bb.309:
	v_mov_b32_e32 v0, 0
	s_waitcnt lgkmcnt(2)
	global_store_dwordx2 v0, v[6:7], s[38:39]
                                        ; implicit-def: $vgpr10_vgpr11_vgpr12_vgpr13
.LBB68_310:
	s_andn2_saveexec_b64 s[2:3], s[2:3]
	s_cbranch_execz .LBB68_312
; %bb.311:
	v_mov_b32_e32 v0, 0
	s_waitcnt lgkmcnt(3)
	global_store_dwordx2 v0, v[12:13], s[38:39]
.LBB68_312:
	s_or_b64 exec, exec, s[2:3]
                                        ; implicit-def: $vgpr0_vgpr1
                                        ; implicit-def: $vgpr10_vgpr11_vgpr12_vgpr13
                                        ; implicit-def: $vgpr2_vgpr3_vgpr4_vgpr5
.LBB68_313:
	s_andn2_saveexec_b64 s[0:1], s[0:1]
	s_cbranch_execz .LBB68_321
; %bb.314:
	v_cmp_lt_i64_e32 vcc, 1, v[0:1]
	s_and_saveexec_b64 s[0:1], vcc
	s_xor_b64 s[0:1], exec, s[0:1]
	s_cbranch_execz .LBB68_316
; %bb.315:
	v_mov_b32_e32 v0, 0
	s_waitcnt lgkmcnt(3)
	global_store_dwordx2 v0, v[10:11], s[38:39]
                                        ; implicit-def: $vgpr2_vgpr3_vgpr4_vgpr5
                                        ; implicit-def: $vgpr0_vgpr1
.LBB68_316:
	s_andn2_saveexec_b64 s[0:1], s[0:1]
	s_cbranch_execz .LBB68_321
; %bb.317:
	v_cmp_ne_u64_e32 vcc, 1, v[0:1]
	s_and_saveexec_b64 s[0:1], vcc
	s_xor_b64 s[0:1], exec, s[0:1]
	s_cbranch_execz .LBB68_319
; %bb.318:
	v_mov_b32_e32 v0, 0
	s_waitcnt lgkmcnt(4)
	global_store_dwordx2 v0, v[2:3], s[38:39]
                                        ; implicit-def: $vgpr2_vgpr3_vgpr4_vgpr5
.LBB68_319:
	s_andn2_saveexec_b64 s[0:1], s[0:1]
	s_cbranch_execz .LBB68_321
; %bb.320:
	v_mov_b32_e32 v0, 0
	s_waitcnt lgkmcnt(4)
	global_store_dwordx2 v0, v[4:5], s[38:39]
.LBB68_321:
	s_endpgm
	.section	.rodata,"a",@progbits
	.p2align	6, 0x0
	.amdhsa_kernel _ZN7rocprim17ROCPRIM_400000_NS6detail17trampoline_kernelINS0_14default_configENS1_20scan_config_selectorIdEEZZNS1_9scan_implILNS1_25lookback_scan_determinismE0ELb0ELb0ES3_PKdPddZZZN2at6native31launch_logcumsumexp_cuda_kernelERKNSB_10TensorBaseESF_lENKUlvE_clEvENKUlvE_clEvEUlddE_dEEDaPvRmT3_T4_T5_mT6_P12ihipStream_tbENKUlT_T0_E_clISt17integral_constantIbLb0EESV_IbLb1EEEEDaSR_SS_EUlSR_E_NS1_11comp_targetILNS1_3genE4ELNS1_11target_archE910ELNS1_3gpuE8ELNS1_3repE0EEENS1_30default_config_static_selectorELNS0_4arch9wavefront6targetE1EEEvT1_
		.amdhsa_group_segment_fixed_size 10240
		.amdhsa_private_segment_fixed_size 0
		.amdhsa_kernarg_size 104
		.amdhsa_user_sgpr_count 6
		.amdhsa_user_sgpr_private_segment_buffer 1
		.amdhsa_user_sgpr_dispatch_ptr 0
		.amdhsa_user_sgpr_queue_ptr 0
		.amdhsa_user_sgpr_kernarg_segment_ptr 1
		.amdhsa_user_sgpr_dispatch_id 0
		.amdhsa_user_sgpr_flat_scratch_init 0
		.amdhsa_user_sgpr_kernarg_preload_length 0
		.amdhsa_user_sgpr_kernarg_preload_offset 0
		.amdhsa_user_sgpr_private_segment_size 0
		.amdhsa_uses_dynamic_stack 0
		.amdhsa_system_sgpr_private_segment_wavefront_offset 0
		.amdhsa_system_sgpr_workgroup_id_x 1
		.amdhsa_system_sgpr_workgroup_id_y 0
		.amdhsa_system_sgpr_workgroup_id_z 0
		.amdhsa_system_sgpr_workgroup_info 0
		.amdhsa_system_vgpr_workitem_id 0
		.amdhsa_next_free_vgpr 129
		.amdhsa_next_free_sgpr 79
		.amdhsa_accum_offset 132
		.amdhsa_reserve_vcc 1
		.amdhsa_reserve_flat_scratch 0
		.amdhsa_float_round_mode_32 0
		.amdhsa_float_round_mode_16_64 0
		.amdhsa_float_denorm_mode_32 3
		.amdhsa_float_denorm_mode_16_64 3
		.amdhsa_dx10_clamp 1
		.amdhsa_ieee_mode 1
		.amdhsa_fp16_overflow 0
		.amdhsa_tg_split 0
		.amdhsa_exception_fp_ieee_invalid_op 0
		.amdhsa_exception_fp_denorm_src 0
		.amdhsa_exception_fp_ieee_div_zero 0
		.amdhsa_exception_fp_ieee_overflow 0
		.amdhsa_exception_fp_ieee_underflow 0
		.amdhsa_exception_fp_ieee_inexact 0
		.amdhsa_exception_int_div_zero 0
	.end_amdhsa_kernel
	.section	.text._ZN7rocprim17ROCPRIM_400000_NS6detail17trampoline_kernelINS0_14default_configENS1_20scan_config_selectorIdEEZZNS1_9scan_implILNS1_25lookback_scan_determinismE0ELb0ELb0ES3_PKdPddZZZN2at6native31launch_logcumsumexp_cuda_kernelERKNSB_10TensorBaseESF_lENKUlvE_clEvENKUlvE_clEvEUlddE_dEEDaPvRmT3_T4_T5_mT6_P12ihipStream_tbENKUlT_T0_E_clISt17integral_constantIbLb0EESV_IbLb1EEEEDaSR_SS_EUlSR_E_NS1_11comp_targetILNS1_3genE4ELNS1_11target_archE910ELNS1_3gpuE8ELNS1_3repE0EEENS1_30default_config_static_selectorELNS0_4arch9wavefront6targetE1EEEvT1_,"axG",@progbits,_ZN7rocprim17ROCPRIM_400000_NS6detail17trampoline_kernelINS0_14default_configENS1_20scan_config_selectorIdEEZZNS1_9scan_implILNS1_25lookback_scan_determinismE0ELb0ELb0ES3_PKdPddZZZN2at6native31launch_logcumsumexp_cuda_kernelERKNSB_10TensorBaseESF_lENKUlvE_clEvENKUlvE_clEvEUlddE_dEEDaPvRmT3_T4_T5_mT6_P12ihipStream_tbENKUlT_T0_E_clISt17integral_constantIbLb0EESV_IbLb1EEEEDaSR_SS_EUlSR_E_NS1_11comp_targetILNS1_3genE4ELNS1_11target_archE910ELNS1_3gpuE8ELNS1_3repE0EEENS1_30default_config_static_selectorELNS0_4arch9wavefront6targetE1EEEvT1_,comdat
.Lfunc_end68:
	.size	_ZN7rocprim17ROCPRIM_400000_NS6detail17trampoline_kernelINS0_14default_configENS1_20scan_config_selectorIdEEZZNS1_9scan_implILNS1_25lookback_scan_determinismE0ELb0ELb0ES3_PKdPddZZZN2at6native31launch_logcumsumexp_cuda_kernelERKNSB_10TensorBaseESF_lENKUlvE_clEvENKUlvE_clEvEUlddE_dEEDaPvRmT3_T4_T5_mT6_P12ihipStream_tbENKUlT_T0_E_clISt17integral_constantIbLb0EESV_IbLb1EEEEDaSR_SS_EUlSR_E_NS1_11comp_targetILNS1_3genE4ELNS1_11target_archE910ELNS1_3gpuE8ELNS1_3repE0EEENS1_30default_config_static_selectorELNS0_4arch9wavefront6targetE1EEEvT1_, .Lfunc_end68-_ZN7rocprim17ROCPRIM_400000_NS6detail17trampoline_kernelINS0_14default_configENS1_20scan_config_selectorIdEEZZNS1_9scan_implILNS1_25lookback_scan_determinismE0ELb0ELb0ES3_PKdPddZZZN2at6native31launch_logcumsumexp_cuda_kernelERKNSB_10TensorBaseESF_lENKUlvE_clEvENKUlvE_clEvEUlddE_dEEDaPvRmT3_T4_T5_mT6_P12ihipStream_tbENKUlT_T0_E_clISt17integral_constantIbLb0EESV_IbLb1EEEEDaSR_SS_EUlSR_E_NS1_11comp_targetILNS1_3genE4ELNS1_11target_archE910ELNS1_3gpuE8ELNS1_3repE0EEENS1_30default_config_static_selectorELNS0_4arch9wavefront6targetE1EEEvT1_
                                        ; -- End function
	.section	.AMDGPU.csdata,"",@progbits
; Kernel info:
; codeLenInByte = 111948
; NumSgprs: 83
; NumVgprs: 129
; NumAgprs: 0
; TotalNumVgprs: 129
; ScratchSize: 0
; MemoryBound: 0
; FloatMode: 240
; IeeeMode: 1
; LDSByteSize: 10240 bytes/workgroup (compile time only)
; SGPRBlocks: 10
; VGPRBlocks: 16
; NumSGPRsForWavesPerEU: 83
; NumVGPRsForWavesPerEU: 129
; AccumOffset: 132
; Occupancy: 3
; WaveLimiterHint : 1
; COMPUTE_PGM_RSRC2:SCRATCH_EN: 0
; COMPUTE_PGM_RSRC2:USER_SGPR: 6
; COMPUTE_PGM_RSRC2:TRAP_HANDLER: 0
; COMPUTE_PGM_RSRC2:TGID_X_EN: 1
; COMPUTE_PGM_RSRC2:TGID_Y_EN: 0
; COMPUTE_PGM_RSRC2:TGID_Z_EN: 0
; COMPUTE_PGM_RSRC2:TIDIG_COMP_CNT: 0
; COMPUTE_PGM_RSRC3_GFX90A:ACCUM_OFFSET: 32
; COMPUTE_PGM_RSRC3_GFX90A:TG_SPLIT: 0
	.section	.text._ZN7rocprim17ROCPRIM_400000_NS6detail17trampoline_kernelINS0_14default_configENS1_20scan_config_selectorIdEEZZNS1_9scan_implILNS1_25lookback_scan_determinismE0ELb0ELb0ES3_PKdPddZZZN2at6native31launch_logcumsumexp_cuda_kernelERKNSB_10TensorBaseESF_lENKUlvE_clEvENKUlvE_clEvEUlddE_dEEDaPvRmT3_T4_T5_mT6_P12ihipStream_tbENKUlT_T0_E_clISt17integral_constantIbLb0EESV_IbLb1EEEEDaSR_SS_EUlSR_E_NS1_11comp_targetILNS1_3genE3ELNS1_11target_archE908ELNS1_3gpuE7ELNS1_3repE0EEENS1_30default_config_static_selectorELNS0_4arch9wavefront6targetE1EEEvT1_,"axG",@progbits,_ZN7rocprim17ROCPRIM_400000_NS6detail17trampoline_kernelINS0_14default_configENS1_20scan_config_selectorIdEEZZNS1_9scan_implILNS1_25lookback_scan_determinismE0ELb0ELb0ES3_PKdPddZZZN2at6native31launch_logcumsumexp_cuda_kernelERKNSB_10TensorBaseESF_lENKUlvE_clEvENKUlvE_clEvEUlddE_dEEDaPvRmT3_T4_T5_mT6_P12ihipStream_tbENKUlT_T0_E_clISt17integral_constantIbLb0EESV_IbLb1EEEEDaSR_SS_EUlSR_E_NS1_11comp_targetILNS1_3genE3ELNS1_11target_archE908ELNS1_3gpuE7ELNS1_3repE0EEENS1_30default_config_static_selectorELNS0_4arch9wavefront6targetE1EEEvT1_,comdat
	.globl	_ZN7rocprim17ROCPRIM_400000_NS6detail17trampoline_kernelINS0_14default_configENS1_20scan_config_selectorIdEEZZNS1_9scan_implILNS1_25lookback_scan_determinismE0ELb0ELb0ES3_PKdPddZZZN2at6native31launch_logcumsumexp_cuda_kernelERKNSB_10TensorBaseESF_lENKUlvE_clEvENKUlvE_clEvEUlddE_dEEDaPvRmT3_T4_T5_mT6_P12ihipStream_tbENKUlT_T0_E_clISt17integral_constantIbLb0EESV_IbLb1EEEEDaSR_SS_EUlSR_E_NS1_11comp_targetILNS1_3genE3ELNS1_11target_archE908ELNS1_3gpuE7ELNS1_3repE0EEENS1_30default_config_static_selectorELNS0_4arch9wavefront6targetE1EEEvT1_ ; -- Begin function _ZN7rocprim17ROCPRIM_400000_NS6detail17trampoline_kernelINS0_14default_configENS1_20scan_config_selectorIdEEZZNS1_9scan_implILNS1_25lookback_scan_determinismE0ELb0ELb0ES3_PKdPddZZZN2at6native31launch_logcumsumexp_cuda_kernelERKNSB_10TensorBaseESF_lENKUlvE_clEvENKUlvE_clEvEUlddE_dEEDaPvRmT3_T4_T5_mT6_P12ihipStream_tbENKUlT_T0_E_clISt17integral_constantIbLb0EESV_IbLb1EEEEDaSR_SS_EUlSR_E_NS1_11comp_targetILNS1_3genE3ELNS1_11target_archE908ELNS1_3gpuE7ELNS1_3repE0EEENS1_30default_config_static_selectorELNS0_4arch9wavefront6targetE1EEEvT1_
	.p2align	8
	.type	_ZN7rocprim17ROCPRIM_400000_NS6detail17trampoline_kernelINS0_14default_configENS1_20scan_config_selectorIdEEZZNS1_9scan_implILNS1_25lookback_scan_determinismE0ELb0ELb0ES3_PKdPddZZZN2at6native31launch_logcumsumexp_cuda_kernelERKNSB_10TensorBaseESF_lENKUlvE_clEvENKUlvE_clEvEUlddE_dEEDaPvRmT3_T4_T5_mT6_P12ihipStream_tbENKUlT_T0_E_clISt17integral_constantIbLb0EESV_IbLb1EEEEDaSR_SS_EUlSR_E_NS1_11comp_targetILNS1_3genE3ELNS1_11target_archE908ELNS1_3gpuE7ELNS1_3repE0EEENS1_30default_config_static_selectorELNS0_4arch9wavefront6targetE1EEEvT1_,@function
_ZN7rocprim17ROCPRIM_400000_NS6detail17trampoline_kernelINS0_14default_configENS1_20scan_config_selectorIdEEZZNS1_9scan_implILNS1_25lookback_scan_determinismE0ELb0ELb0ES3_PKdPddZZZN2at6native31launch_logcumsumexp_cuda_kernelERKNSB_10TensorBaseESF_lENKUlvE_clEvENKUlvE_clEvEUlddE_dEEDaPvRmT3_T4_T5_mT6_P12ihipStream_tbENKUlT_T0_E_clISt17integral_constantIbLb0EESV_IbLb1EEEEDaSR_SS_EUlSR_E_NS1_11comp_targetILNS1_3genE3ELNS1_11target_archE908ELNS1_3gpuE7ELNS1_3repE0EEENS1_30default_config_static_selectorELNS0_4arch9wavefront6targetE1EEEvT1_: ; @_ZN7rocprim17ROCPRIM_400000_NS6detail17trampoline_kernelINS0_14default_configENS1_20scan_config_selectorIdEEZZNS1_9scan_implILNS1_25lookback_scan_determinismE0ELb0ELb0ES3_PKdPddZZZN2at6native31launch_logcumsumexp_cuda_kernelERKNSB_10TensorBaseESF_lENKUlvE_clEvENKUlvE_clEvEUlddE_dEEDaPvRmT3_T4_T5_mT6_P12ihipStream_tbENKUlT_T0_E_clISt17integral_constantIbLb0EESV_IbLb1EEEEDaSR_SS_EUlSR_E_NS1_11comp_targetILNS1_3genE3ELNS1_11target_archE908ELNS1_3gpuE7ELNS1_3repE0EEENS1_30default_config_static_selectorELNS0_4arch9wavefront6targetE1EEEvT1_
; %bb.0:
	.section	.rodata,"a",@progbits
	.p2align	6, 0x0
	.amdhsa_kernel _ZN7rocprim17ROCPRIM_400000_NS6detail17trampoline_kernelINS0_14default_configENS1_20scan_config_selectorIdEEZZNS1_9scan_implILNS1_25lookback_scan_determinismE0ELb0ELb0ES3_PKdPddZZZN2at6native31launch_logcumsumexp_cuda_kernelERKNSB_10TensorBaseESF_lENKUlvE_clEvENKUlvE_clEvEUlddE_dEEDaPvRmT3_T4_T5_mT6_P12ihipStream_tbENKUlT_T0_E_clISt17integral_constantIbLb0EESV_IbLb1EEEEDaSR_SS_EUlSR_E_NS1_11comp_targetILNS1_3genE3ELNS1_11target_archE908ELNS1_3gpuE7ELNS1_3repE0EEENS1_30default_config_static_selectorELNS0_4arch9wavefront6targetE1EEEvT1_
		.amdhsa_group_segment_fixed_size 0
		.amdhsa_private_segment_fixed_size 0
		.amdhsa_kernarg_size 104
		.amdhsa_user_sgpr_count 6
		.amdhsa_user_sgpr_private_segment_buffer 1
		.amdhsa_user_sgpr_dispatch_ptr 0
		.amdhsa_user_sgpr_queue_ptr 0
		.amdhsa_user_sgpr_kernarg_segment_ptr 1
		.amdhsa_user_sgpr_dispatch_id 0
		.amdhsa_user_sgpr_flat_scratch_init 0
		.amdhsa_user_sgpr_kernarg_preload_length 0
		.amdhsa_user_sgpr_kernarg_preload_offset 0
		.amdhsa_user_sgpr_private_segment_size 0
		.amdhsa_uses_dynamic_stack 0
		.amdhsa_system_sgpr_private_segment_wavefront_offset 0
		.amdhsa_system_sgpr_workgroup_id_x 1
		.amdhsa_system_sgpr_workgroup_id_y 0
		.amdhsa_system_sgpr_workgroup_id_z 0
		.amdhsa_system_sgpr_workgroup_info 0
		.amdhsa_system_vgpr_workitem_id 0
		.amdhsa_next_free_vgpr 1
		.amdhsa_next_free_sgpr 0
		.amdhsa_accum_offset 4
		.amdhsa_reserve_vcc 0
		.amdhsa_reserve_flat_scratch 0
		.amdhsa_float_round_mode_32 0
		.amdhsa_float_round_mode_16_64 0
		.amdhsa_float_denorm_mode_32 3
		.amdhsa_float_denorm_mode_16_64 3
		.amdhsa_dx10_clamp 1
		.amdhsa_ieee_mode 1
		.amdhsa_fp16_overflow 0
		.amdhsa_tg_split 0
		.amdhsa_exception_fp_ieee_invalid_op 0
		.amdhsa_exception_fp_denorm_src 0
		.amdhsa_exception_fp_ieee_div_zero 0
		.amdhsa_exception_fp_ieee_overflow 0
		.amdhsa_exception_fp_ieee_underflow 0
		.amdhsa_exception_fp_ieee_inexact 0
		.amdhsa_exception_int_div_zero 0
	.end_amdhsa_kernel
	.section	.text._ZN7rocprim17ROCPRIM_400000_NS6detail17trampoline_kernelINS0_14default_configENS1_20scan_config_selectorIdEEZZNS1_9scan_implILNS1_25lookback_scan_determinismE0ELb0ELb0ES3_PKdPddZZZN2at6native31launch_logcumsumexp_cuda_kernelERKNSB_10TensorBaseESF_lENKUlvE_clEvENKUlvE_clEvEUlddE_dEEDaPvRmT3_T4_T5_mT6_P12ihipStream_tbENKUlT_T0_E_clISt17integral_constantIbLb0EESV_IbLb1EEEEDaSR_SS_EUlSR_E_NS1_11comp_targetILNS1_3genE3ELNS1_11target_archE908ELNS1_3gpuE7ELNS1_3repE0EEENS1_30default_config_static_selectorELNS0_4arch9wavefront6targetE1EEEvT1_,"axG",@progbits,_ZN7rocprim17ROCPRIM_400000_NS6detail17trampoline_kernelINS0_14default_configENS1_20scan_config_selectorIdEEZZNS1_9scan_implILNS1_25lookback_scan_determinismE0ELb0ELb0ES3_PKdPddZZZN2at6native31launch_logcumsumexp_cuda_kernelERKNSB_10TensorBaseESF_lENKUlvE_clEvENKUlvE_clEvEUlddE_dEEDaPvRmT3_T4_T5_mT6_P12ihipStream_tbENKUlT_T0_E_clISt17integral_constantIbLb0EESV_IbLb1EEEEDaSR_SS_EUlSR_E_NS1_11comp_targetILNS1_3genE3ELNS1_11target_archE908ELNS1_3gpuE7ELNS1_3repE0EEENS1_30default_config_static_selectorELNS0_4arch9wavefront6targetE1EEEvT1_,comdat
.Lfunc_end69:
	.size	_ZN7rocprim17ROCPRIM_400000_NS6detail17trampoline_kernelINS0_14default_configENS1_20scan_config_selectorIdEEZZNS1_9scan_implILNS1_25lookback_scan_determinismE0ELb0ELb0ES3_PKdPddZZZN2at6native31launch_logcumsumexp_cuda_kernelERKNSB_10TensorBaseESF_lENKUlvE_clEvENKUlvE_clEvEUlddE_dEEDaPvRmT3_T4_T5_mT6_P12ihipStream_tbENKUlT_T0_E_clISt17integral_constantIbLb0EESV_IbLb1EEEEDaSR_SS_EUlSR_E_NS1_11comp_targetILNS1_3genE3ELNS1_11target_archE908ELNS1_3gpuE7ELNS1_3repE0EEENS1_30default_config_static_selectorELNS0_4arch9wavefront6targetE1EEEvT1_, .Lfunc_end69-_ZN7rocprim17ROCPRIM_400000_NS6detail17trampoline_kernelINS0_14default_configENS1_20scan_config_selectorIdEEZZNS1_9scan_implILNS1_25lookback_scan_determinismE0ELb0ELb0ES3_PKdPddZZZN2at6native31launch_logcumsumexp_cuda_kernelERKNSB_10TensorBaseESF_lENKUlvE_clEvENKUlvE_clEvEUlddE_dEEDaPvRmT3_T4_T5_mT6_P12ihipStream_tbENKUlT_T0_E_clISt17integral_constantIbLb0EESV_IbLb1EEEEDaSR_SS_EUlSR_E_NS1_11comp_targetILNS1_3genE3ELNS1_11target_archE908ELNS1_3gpuE7ELNS1_3repE0EEENS1_30default_config_static_selectorELNS0_4arch9wavefront6targetE1EEEvT1_
                                        ; -- End function
	.section	.AMDGPU.csdata,"",@progbits
; Kernel info:
; codeLenInByte = 0
; NumSgprs: 4
; NumVgprs: 0
; NumAgprs: 0
; TotalNumVgprs: 0
; ScratchSize: 0
; MemoryBound: 0
; FloatMode: 240
; IeeeMode: 1
; LDSByteSize: 0 bytes/workgroup (compile time only)
; SGPRBlocks: 0
; VGPRBlocks: 0
; NumSGPRsForWavesPerEU: 4
; NumVGPRsForWavesPerEU: 1
; AccumOffset: 4
; Occupancy: 8
; WaveLimiterHint : 0
; COMPUTE_PGM_RSRC2:SCRATCH_EN: 0
; COMPUTE_PGM_RSRC2:USER_SGPR: 6
; COMPUTE_PGM_RSRC2:TRAP_HANDLER: 0
; COMPUTE_PGM_RSRC2:TGID_X_EN: 1
; COMPUTE_PGM_RSRC2:TGID_Y_EN: 0
; COMPUTE_PGM_RSRC2:TGID_Z_EN: 0
; COMPUTE_PGM_RSRC2:TIDIG_COMP_CNT: 0
; COMPUTE_PGM_RSRC3_GFX90A:ACCUM_OFFSET: 0
; COMPUTE_PGM_RSRC3_GFX90A:TG_SPLIT: 0
	.section	.text._ZN7rocprim17ROCPRIM_400000_NS6detail17trampoline_kernelINS0_14default_configENS1_20scan_config_selectorIdEEZZNS1_9scan_implILNS1_25lookback_scan_determinismE0ELb0ELb0ES3_PKdPddZZZN2at6native31launch_logcumsumexp_cuda_kernelERKNSB_10TensorBaseESF_lENKUlvE_clEvENKUlvE_clEvEUlddE_dEEDaPvRmT3_T4_T5_mT6_P12ihipStream_tbENKUlT_T0_E_clISt17integral_constantIbLb0EESV_IbLb1EEEEDaSR_SS_EUlSR_E_NS1_11comp_targetILNS1_3genE2ELNS1_11target_archE906ELNS1_3gpuE6ELNS1_3repE0EEENS1_30default_config_static_selectorELNS0_4arch9wavefront6targetE1EEEvT1_,"axG",@progbits,_ZN7rocprim17ROCPRIM_400000_NS6detail17trampoline_kernelINS0_14default_configENS1_20scan_config_selectorIdEEZZNS1_9scan_implILNS1_25lookback_scan_determinismE0ELb0ELb0ES3_PKdPddZZZN2at6native31launch_logcumsumexp_cuda_kernelERKNSB_10TensorBaseESF_lENKUlvE_clEvENKUlvE_clEvEUlddE_dEEDaPvRmT3_T4_T5_mT6_P12ihipStream_tbENKUlT_T0_E_clISt17integral_constantIbLb0EESV_IbLb1EEEEDaSR_SS_EUlSR_E_NS1_11comp_targetILNS1_3genE2ELNS1_11target_archE906ELNS1_3gpuE6ELNS1_3repE0EEENS1_30default_config_static_selectorELNS0_4arch9wavefront6targetE1EEEvT1_,comdat
	.globl	_ZN7rocprim17ROCPRIM_400000_NS6detail17trampoline_kernelINS0_14default_configENS1_20scan_config_selectorIdEEZZNS1_9scan_implILNS1_25lookback_scan_determinismE0ELb0ELb0ES3_PKdPddZZZN2at6native31launch_logcumsumexp_cuda_kernelERKNSB_10TensorBaseESF_lENKUlvE_clEvENKUlvE_clEvEUlddE_dEEDaPvRmT3_T4_T5_mT6_P12ihipStream_tbENKUlT_T0_E_clISt17integral_constantIbLb0EESV_IbLb1EEEEDaSR_SS_EUlSR_E_NS1_11comp_targetILNS1_3genE2ELNS1_11target_archE906ELNS1_3gpuE6ELNS1_3repE0EEENS1_30default_config_static_selectorELNS0_4arch9wavefront6targetE1EEEvT1_ ; -- Begin function _ZN7rocprim17ROCPRIM_400000_NS6detail17trampoline_kernelINS0_14default_configENS1_20scan_config_selectorIdEEZZNS1_9scan_implILNS1_25lookback_scan_determinismE0ELb0ELb0ES3_PKdPddZZZN2at6native31launch_logcumsumexp_cuda_kernelERKNSB_10TensorBaseESF_lENKUlvE_clEvENKUlvE_clEvEUlddE_dEEDaPvRmT3_T4_T5_mT6_P12ihipStream_tbENKUlT_T0_E_clISt17integral_constantIbLb0EESV_IbLb1EEEEDaSR_SS_EUlSR_E_NS1_11comp_targetILNS1_3genE2ELNS1_11target_archE906ELNS1_3gpuE6ELNS1_3repE0EEENS1_30default_config_static_selectorELNS0_4arch9wavefront6targetE1EEEvT1_
	.p2align	8
	.type	_ZN7rocprim17ROCPRIM_400000_NS6detail17trampoline_kernelINS0_14default_configENS1_20scan_config_selectorIdEEZZNS1_9scan_implILNS1_25lookback_scan_determinismE0ELb0ELb0ES3_PKdPddZZZN2at6native31launch_logcumsumexp_cuda_kernelERKNSB_10TensorBaseESF_lENKUlvE_clEvENKUlvE_clEvEUlddE_dEEDaPvRmT3_T4_T5_mT6_P12ihipStream_tbENKUlT_T0_E_clISt17integral_constantIbLb0EESV_IbLb1EEEEDaSR_SS_EUlSR_E_NS1_11comp_targetILNS1_3genE2ELNS1_11target_archE906ELNS1_3gpuE6ELNS1_3repE0EEENS1_30default_config_static_selectorELNS0_4arch9wavefront6targetE1EEEvT1_,@function
_ZN7rocprim17ROCPRIM_400000_NS6detail17trampoline_kernelINS0_14default_configENS1_20scan_config_selectorIdEEZZNS1_9scan_implILNS1_25lookback_scan_determinismE0ELb0ELb0ES3_PKdPddZZZN2at6native31launch_logcumsumexp_cuda_kernelERKNSB_10TensorBaseESF_lENKUlvE_clEvENKUlvE_clEvEUlddE_dEEDaPvRmT3_T4_T5_mT6_P12ihipStream_tbENKUlT_T0_E_clISt17integral_constantIbLb0EESV_IbLb1EEEEDaSR_SS_EUlSR_E_NS1_11comp_targetILNS1_3genE2ELNS1_11target_archE906ELNS1_3gpuE6ELNS1_3repE0EEENS1_30default_config_static_selectorELNS0_4arch9wavefront6targetE1EEEvT1_: ; @_ZN7rocprim17ROCPRIM_400000_NS6detail17trampoline_kernelINS0_14default_configENS1_20scan_config_selectorIdEEZZNS1_9scan_implILNS1_25lookback_scan_determinismE0ELb0ELb0ES3_PKdPddZZZN2at6native31launch_logcumsumexp_cuda_kernelERKNSB_10TensorBaseESF_lENKUlvE_clEvENKUlvE_clEvEUlddE_dEEDaPvRmT3_T4_T5_mT6_P12ihipStream_tbENKUlT_T0_E_clISt17integral_constantIbLb0EESV_IbLb1EEEEDaSR_SS_EUlSR_E_NS1_11comp_targetILNS1_3genE2ELNS1_11target_archE906ELNS1_3gpuE6ELNS1_3repE0EEENS1_30default_config_static_selectorELNS0_4arch9wavefront6targetE1EEEvT1_
; %bb.0:
	.section	.rodata,"a",@progbits
	.p2align	6, 0x0
	.amdhsa_kernel _ZN7rocprim17ROCPRIM_400000_NS6detail17trampoline_kernelINS0_14default_configENS1_20scan_config_selectorIdEEZZNS1_9scan_implILNS1_25lookback_scan_determinismE0ELb0ELb0ES3_PKdPddZZZN2at6native31launch_logcumsumexp_cuda_kernelERKNSB_10TensorBaseESF_lENKUlvE_clEvENKUlvE_clEvEUlddE_dEEDaPvRmT3_T4_T5_mT6_P12ihipStream_tbENKUlT_T0_E_clISt17integral_constantIbLb0EESV_IbLb1EEEEDaSR_SS_EUlSR_E_NS1_11comp_targetILNS1_3genE2ELNS1_11target_archE906ELNS1_3gpuE6ELNS1_3repE0EEENS1_30default_config_static_selectorELNS0_4arch9wavefront6targetE1EEEvT1_
		.amdhsa_group_segment_fixed_size 0
		.amdhsa_private_segment_fixed_size 0
		.amdhsa_kernarg_size 104
		.amdhsa_user_sgpr_count 6
		.amdhsa_user_sgpr_private_segment_buffer 1
		.amdhsa_user_sgpr_dispatch_ptr 0
		.amdhsa_user_sgpr_queue_ptr 0
		.amdhsa_user_sgpr_kernarg_segment_ptr 1
		.amdhsa_user_sgpr_dispatch_id 0
		.amdhsa_user_sgpr_flat_scratch_init 0
		.amdhsa_user_sgpr_kernarg_preload_length 0
		.amdhsa_user_sgpr_kernarg_preload_offset 0
		.amdhsa_user_sgpr_private_segment_size 0
		.amdhsa_uses_dynamic_stack 0
		.amdhsa_system_sgpr_private_segment_wavefront_offset 0
		.amdhsa_system_sgpr_workgroup_id_x 1
		.amdhsa_system_sgpr_workgroup_id_y 0
		.amdhsa_system_sgpr_workgroup_id_z 0
		.amdhsa_system_sgpr_workgroup_info 0
		.amdhsa_system_vgpr_workitem_id 0
		.amdhsa_next_free_vgpr 1
		.amdhsa_next_free_sgpr 0
		.amdhsa_accum_offset 4
		.amdhsa_reserve_vcc 0
		.amdhsa_reserve_flat_scratch 0
		.amdhsa_float_round_mode_32 0
		.amdhsa_float_round_mode_16_64 0
		.amdhsa_float_denorm_mode_32 3
		.amdhsa_float_denorm_mode_16_64 3
		.amdhsa_dx10_clamp 1
		.amdhsa_ieee_mode 1
		.amdhsa_fp16_overflow 0
		.amdhsa_tg_split 0
		.amdhsa_exception_fp_ieee_invalid_op 0
		.amdhsa_exception_fp_denorm_src 0
		.amdhsa_exception_fp_ieee_div_zero 0
		.amdhsa_exception_fp_ieee_overflow 0
		.amdhsa_exception_fp_ieee_underflow 0
		.amdhsa_exception_fp_ieee_inexact 0
		.amdhsa_exception_int_div_zero 0
	.end_amdhsa_kernel
	.section	.text._ZN7rocprim17ROCPRIM_400000_NS6detail17trampoline_kernelINS0_14default_configENS1_20scan_config_selectorIdEEZZNS1_9scan_implILNS1_25lookback_scan_determinismE0ELb0ELb0ES3_PKdPddZZZN2at6native31launch_logcumsumexp_cuda_kernelERKNSB_10TensorBaseESF_lENKUlvE_clEvENKUlvE_clEvEUlddE_dEEDaPvRmT3_T4_T5_mT6_P12ihipStream_tbENKUlT_T0_E_clISt17integral_constantIbLb0EESV_IbLb1EEEEDaSR_SS_EUlSR_E_NS1_11comp_targetILNS1_3genE2ELNS1_11target_archE906ELNS1_3gpuE6ELNS1_3repE0EEENS1_30default_config_static_selectorELNS0_4arch9wavefront6targetE1EEEvT1_,"axG",@progbits,_ZN7rocprim17ROCPRIM_400000_NS6detail17trampoline_kernelINS0_14default_configENS1_20scan_config_selectorIdEEZZNS1_9scan_implILNS1_25lookback_scan_determinismE0ELb0ELb0ES3_PKdPddZZZN2at6native31launch_logcumsumexp_cuda_kernelERKNSB_10TensorBaseESF_lENKUlvE_clEvENKUlvE_clEvEUlddE_dEEDaPvRmT3_T4_T5_mT6_P12ihipStream_tbENKUlT_T0_E_clISt17integral_constantIbLb0EESV_IbLb1EEEEDaSR_SS_EUlSR_E_NS1_11comp_targetILNS1_3genE2ELNS1_11target_archE906ELNS1_3gpuE6ELNS1_3repE0EEENS1_30default_config_static_selectorELNS0_4arch9wavefront6targetE1EEEvT1_,comdat
.Lfunc_end70:
	.size	_ZN7rocprim17ROCPRIM_400000_NS6detail17trampoline_kernelINS0_14default_configENS1_20scan_config_selectorIdEEZZNS1_9scan_implILNS1_25lookback_scan_determinismE0ELb0ELb0ES3_PKdPddZZZN2at6native31launch_logcumsumexp_cuda_kernelERKNSB_10TensorBaseESF_lENKUlvE_clEvENKUlvE_clEvEUlddE_dEEDaPvRmT3_T4_T5_mT6_P12ihipStream_tbENKUlT_T0_E_clISt17integral_constantIbLb0EESV_IbLb1EEEEDaSR_SS_EUlSR_E_NS1_11comp_targetILNS1_3genE2ELNS1_11target_archE906ELNS1_3gpuE6ELNS1_3repE0EEENS1_30default_config_static_selectorELNS0_4arch9wavefront6targetE1EEEvT1_, .Lfunc_end70-_ZN7rocprim17ROCPRIM_400000_NS6detail17trampoline_kernelINS0_14default_configENS1_20scan_config_selectorIdEEZZNS1_9scan_implILNS1_25lookback_scan_determinismE0ELb0ELb0ES3_PKdPddZZZN2at6native31launch_logcumsumexp_cuda_kernelERKNSB_10TensorBaseESF_lENKUlvE_clEvENKUlvE_clEvEUlddE_dEEDaPvRmT3_T4_T5_mT6_P12ihipStream_tbENKUlT_T0_E_clISt17integral_constantIbLb0EESV_IbLb1EEEEDaSR_SS_EUlSR_E_NS1_11comp_targetILNS1_3genE2ELNS1_11target_archE906ELNS1_3gpuE6ELNS1_3repE0EEENS1_30default_config_static_selectorELNS0_4arch9wavefront6targetE1EEEvT1_
                                        ; -- End function
	.section	.AMDGPU.csdata,"",@progbits
; Kernel info:
; codeLenInByte = 0
; NumSgprs: 4
; NumVgprs: 0
; NumAgprs: 0
; TotalNumVgprs: 0
; ScratchSize: 0
; MemoryBound: 0
; FloatMode: 240
; IeeeMode: 1
; LDSByteSize: 0 bytes/workgroup (compile time only)
; SGPRBlocks: 0
; VGPRBlocks: 0
; NumSGPRsForWavesPerEU: 4
; NumVGPRsForWavesPerEU: 1
; AccumOffset: 4
; Occupancy: 8
; WaveLimiterHint : 0
; COMPUTE_PGM_RSRC2:SCRATCH_EN: 0
; COMPUTE_PGM_RSRC2:USER_SGPR: 6
; COMPUTE_PGM_RSRC2:TRAP_HANDLER: 0
; COMPUTE_PGM_RSRC2:TGID_X_EN: 1
; COMPUTE_PGM_RSRC2:TGID_Y_EN: 0
; COMPUTE_PGM_RSRC2:TGID_Z_EN: 0
; COMPUTE_PGM_RSRC2:TIDIG_COMP_CNT: 0
; COMPUTE_PGM_RSRC3_GFX90A:ACCUM_OFFSET: 0
; COMPUTE_PGM_RSRC3_GFX90A:TG_SPLIT: 0
	.section	.text._ZN7rocprim17ROCPRIM_400000_NS6detail17trampoline_kernelINS0_14default_configENS1_20scan_config_selectorIdEEZZNS1_9scan_implILNS1_25lookback_scan_determinismE0ELb0ELb0ES3_PKdPddZZZN2at6native31launch_logcumsumexp_cuda_kernelERKNSB_10TensorBaseESF_lENKUlvE_clEvENKUlvE_clEvEUlddE_dEEDaPvRmT3_T4_T5_mT6_P12ihipStream_tbENKUlT_T0_E_clISt17integral_constantIbLb0EESV_IbLb1EEEEDaSR_SS_EUlSR_E_NS1_11comp_targetILNS1_3genE10ELNS1_11target_archE1201ELNS1_3gpuE5ELNS1_3repE0EEENS1_30default_config_static_selectorELNS0_4arch9wavefront6targetE1EEEvT1_,"axG",@progbits,_ZN7rocprim17ROCPRIM_400000_NS6detail17trampoline_kernelINS0_14default_configENS1_20scan_config_selectorIdEEZZNS1_9scan_implILNS1_25lookback_scan_determinismE0ELb0ELb0ES3_PKdPddZZZN2at6native31launch_logcumsumexp_cuda_kernelERKNSB_10TensorBaseESF_lENKUlvE_clEvENKUlvE_clEvEUlddE_dEEDaPvRmT3_T4_T5_mT6_P12ihipStream_tbENKUlT_T0_E_clISt17integral_constantIbLb0EESV_IbLb1EEEEDaSR_SS_EUlSR_E_NS1_11comp_targetILNS1_3genE10ELNS1_11target_archE1201ELNS1_3gpuE5ELNS1_3repE0EEENS1_30default_config_static_selectorELNS0_4arch9wavefront6targetE1EEEvT1_,comdat
	.globl	_ZN7rocprim17ROCPRIM_400000_NS6detail17trampoline_kernelINS0_14default_configENS1_20scan_config_selectorIdEEZZNS1_9scan_implILNS1_25lookback_scan_determinismE0ELb0ELb0ES3_PKdPddZZZN2at6native31launch_logcumsumexp_cuda_kernelERKNSB_10TensorBaseESF_lENKUlvE_clEvENKUlvE_clEvEUlddE_dEEDaPvRmT3_T4_T5_mT6_P12ihipStream_tbENKUlT_T0_E_clISt17integral_constantIbLb0EESV_IbLb1EEEEDaSR_SS_EUlSR_E_NS1_11comp_targetILNS1_3genE10ELNS1_11target_archE1201ELNS1_3gpuE5ELNS1_3repE0EEENS1_30default_config_static_selectorELNS0_4arch9wavefront6targetE1EEEvT1_ ; -- Begin function _ZN7rocprim17ROCPRIM_400000_NS6detail17trampoline_kernelINS0_14default_configENS1_20scan_config_selectorIdEEZZNS1_9scan_implILNS1_25lookback_scan_determinismE0ELb0ELb0ES3_PKdPddZZZN2at6native31launch_logcumsumexp_cuda_kernelERKNSB_10TensorBaseESF_lENKUlvE_clEvENKUlvE_clEvEUlddE_dEEDaPvRmT3_T4_T5_mT6_P12ihipStream_tbENKUlT_T0_E_clISt17integral_constantIbLb0EESV_IbLb1EEEEDaSR_SS_EUlSR_E_NS1_11comp_targetILNS1_3genE10ELNS1_11target_archE1201ELNS1_3gpuE5ELNS1_3repE0EEENS1_30default_config_static_selectorELNS0_4arch9wavefront6targetE1EEEvT1_
	.p2align	8
	.type	_ZN7rocprim17ROCPRIM_400000_NS6detail17trampoline_kernelINS0_14default_configENS1_20scan_config_selectorIdEEZZNS1_9scan_implILNS1_25lookback_scan_determinismE0ELb0ELb0ES3_PKdPddZZZN2at6native31launch_logcumsumexp_cuda_kernelERKNSB_10TensorBaseESF_lENKUlvE_clEvENKUlvE_clEvEUlddE_dEEDaPvRmT3_T4_T5_mT6_P12ihipStream_tbENKUlT_T0_E_clISt17integral_constantIbLb0EESV_IbLb1EEEEDaSR_SS_EUlSR_E_NS1_11comp_targetILNS1_3genE10ELNS1_11target_archE1201ELNS1_3gpuE5ELNS1_3repE0EEENS1_30default_config_static_selectorELNS0_4arch9wavefront6targetE1EEEvT1_,@function
_ZN7rocprim17ROCPRIM_400000_NS6detail17trampoline_kernelINS0_14default_configENS1_20scan_config_selectorIdEEZZNS1_9scan_implILNS1_25lookback_scan_determinismE0ELb0ELb0ES3_PKdPddZZZN2at6native31launch_logcumsumexp_cuda_kernelERKNSB_10TensorBaseESF_lENKUlvE_clEvENKUlvE_clEvEUlddE_dEEDaPvRmT3_T4_T5_mT6_P12ihipStream_tbENKUlT_T0_E_clISt17integral_constantIbLb0EESV_IbLb1EEEEDaSR_SS_EUlSR_E_NS1_11comp_targetILNS1_3genE10ELNS1_11target_archE1201ELNS1_3gpuE5ELNS1_3repE0EEENS1_30default_config_static_selectorELNS0_4arch9wavefront6targetE1EEEvT1_: ; @_ZN7rocprim17ROCPRIM_400000_NS6detail17trampoline_kernelINS0_14default_configENS1_20scan_config_selectorIdEEZZNS1_9scan_implILNS1_25lookback_scan_determinismE0ELb0ELb0ES3_PKdPddZZZN2at6native31launch_logcumsumexp_cuda_kernelERKNSB_10TensorBaseESF_lENKUlvE_clEvENKUlvE_clEvEUlddE_dEEDaPvRmT3_T4_T5_mT6_P12ihipStream_tbENKUlT_T0_E_clISt17integral_constantIbLb0EESV_IbLb1EEEEDaSR_SS_EUlSR_E_NS1_11comp_targetILNS1_3genE10ELNS1_11target_archE1201ELNS1_3gpuE5ELNS1_3repE0EEENS1_30default_config_static_selectorELNS0_4arch9wavefront6targetE1EEEvT1_
; %bb.0:
	.section	.rodata,"a",@progbits
	.p2align	6, 0x0
	.amdhsa_kernel _ZN7rocprim17ROCPRIM_400000_NS6detail17trampoline_kernelINS0_14default_configENS1_20scan_config_selectorIdEEZZNS1_9scan_implILNS1_25lookback_scan_determinismE0ELb0ELb0ES3_PKdPddZZZN2at6native31launch_logcumsumexp_cuda_kernelERKNSB_10TensorBaseESF_lENKUlvE_clEvENKUlvE_clEvEUlddE_dEEDaPvRmT3_T4_T5_mT6_P12ihipStream_tbENKUlT_T0_E_clISt17integral_constantIbLb0EESV_IbLb1EEEEDaSR_SS_EUlSR_E_NS1_11comp_targetILNS1_3genE10ELNS1_11target_archE1201ELNS1_3gpuE5ELNS1_3repE0EEENS1_30default_config_static_selectorELNS0_4arch9wavefront6targetE1EEEvT1_
		.amdhsa_group_segment_fixed_size 0
		.amdhsa_private_segment_fixed_size 0
		.amdhsa_kernarg_size 104
		.amdhsa_user_sgpr_count 6
		.amdhsa_user_sgpr_private_segment_buffer 1
		.amdhsa_user_sgpr_dispatch_ptr 0
		.amdhsa_user_sgpr_queue_ptr 0
		.amdhsa_user_sgpr_kernarg_segment_ptr 1
		.amdhsa_user_sgpr_dispatch_id 0
		.amdhsa_user_sgpr_flat_scratch_init 0
		.amdhsa_user_sgpr_kernarg_preload_length 0
		.amdhsa_user_sgpr_kernarg_preload_offset 0
		.amdhsa_user_sgpr_private_segment_size 0
		.amdhsa_uses_dynamic_stack 0
		.amdhsa_system_sgpr_private_segment_wavefront_offset 0
		.amdhsa_system_sgpr_workgroup_id_x 1
		.amdhsa_system_sgpr_workgroup_id_y 0
		.amdhsa_system_sgpr_workgroup_id_z 0
		.amdhsa_system_sgpr_workgroup_info 0
		.amdhsa_system_vgpr_workitem_id 0
		.amdhsa_next_free_vgpr 1
		.amdhsa_next_free_sgpr 0
		.amdhsa_accum_offset 4
		.amdhsa_reserve_vcc 0
		.amdhsa_reserve_flat_scratch 0
		.amdhsa_float_round_mode_32 0
		.amdhsa_float_round_mode_16_64 0
		.amdhsa_float_denorm_mode_32 3
		.amdhsa_float_denorm_mode_16_64 3
		.amdhsa_dx10_clamp 1
		.amdhsa_ieee_mode 1
		.amdhsa_fp16_overflow 0
		.amdhsa_tg_split 0
		.amdhsa_exception_fp_ieee_invalid_op 0
		.amdhsa_exception_fp_denorm_src 0
		.amdhsa_exception_fp_ieee_div_zero 0
		.amdhsa_exception_fp_ieee_overflow 0
		.amdhsa_exception_fp_ieee_underflow 0
		.amdhsa_exception_fp_ieee_inexact 0
		.amdhsa_exception_int_div_zero 0
	.end_amdhsa_kernel
	.section	.text._ZN7rocprim17ROCPRIM_400000_NS6detail17trampoline_kernelINS0_14default_configENS1_20scan_config_selectorIdEEZZNS1_9scan_implILNS1_25lookback_scan_determinismE0ELb0ELb0ES3_PKdPddZZZN2at6native31launch_logcumsumexp_cuda_kernelERKNSB_10TensorBaseESF_lENKUlvE_clEvENKUlvE_clEvEUlddE_dEEDaPvRmT3_T4_T5_mT6_P12ihipStream_tbENKUlT_T0_E_clISt17integral_constantIbLb0EESV_IbLb1EEEEDaSR_SS_EUlSR_E_NS1_11comp_targetILNS1_3genE10ELNS1_11target_archE1201ELNS1_3gpuE5ELNS1_3repE0EEENS1_30default_config_static_selectorELNS0_4arch9wavefront6targetE1EEEvT1_,"axG",@progbits,_ZN7rocprim17ROCPRIM_400000_NS6detail17trampoline_kernelINS0_14default_configENS1_20scan_config_selectorIdEEZZNS1_9scan_implILNS1_25lookback_scan_determinismE0ELb0ELb0ES3_PKdPddZZZN2at6native31launch_logcumsumexp_cuda_kernelERKNSB_10TensorBaseESF_lENKUlvE_clEvENKUlvE_clEvEUlddE_dEEDaPvRmT3_T4_T5_mT6_P12ihipStream_tbENKUlT_T0_E_clISt17integral_constantIbLb0EESV_IbLb1EEEEDaSR_SS_EUlSR_E_NS1_11comp_targetILNS1_3genE10ELNS1_11target_archE1201ELNS1_3gpuE5ELNS1_3repE0EEENS1_30default_config_static_selectorELNS0_4arch9wavefront6targetE1EEEvT1_,comdat
.Lfunc_end71:
	.size	_ZN7rocprim17ROCPRIM_400000_NS6detail17trampoline_kernelINS0_14default_configENS1_20scan_config_selectorIdEEZZNS1_9scan_implILNS1_25lookback_scan_determinismE0ELb0ELb0ES3_PKdPddZZZN2at6native31launch_logcumsumexp_cuda_kernelERKNSB_10TensorBaseESF_lENKUlvE_clEvENKUlvE_clEvEUlddE_dEEDaPvRmT3_T4_T5_mT6_P12ihipStream_tbENKUlT_T0_E_clISt17integral_constantIbLb0EESV_IbLb1EEEEDaSR_SS_EUlSR_E_NS1_11comp_targetILNS1_3genE10ELNS1_11target_archE1201ELNS1_3gpuE5ELNS1_3repE0EEENS1_30default_config_static_selectorELNS0_4arch9wavefront6targetE1EEEvT1_, .Lfunc_end71-_ZN7rocprim17ROCPRIM_400000_NS6detail17trampoline_kernelINS0_14default_configENS1_20scan_config_selectorIdEEZZNS1_9scan_implILNS1_25lookback_scan_determinismE0ELb0ELb0ES3_PKdPddZZZN2at6native31launch_logcumsumexp_cuda_kernelERKNSB_10TensorBaseESF_lENKUlvE_clEvENKUlvE_clEvEUlddE_dEEDaPvRmT3_T4_T5_mT6_P12ihipStream_tbENKUlT_T0_E_clISt17integral_constantIbLb0EESV_IbLb1EEEEDaSR_SS_EUlSR_E_NS1_11comp_targetILNS1_3genE10ELNS1_11target_archE1201ELNS1_3gpuE5ELNS1_3repE0EEENS1_30default_config_static_selectorELNS0_4arch9wavefront6targetE1EEEvT1_
                                        ; -- End function
	.section	.AMDGPU.csdata,"",@progbits
; Kernel info:
; codeLenInByte = 0
; NumSgprs: 4
; NumVgprs: 0
; NumAgprs: 0
; TotalNumVgprs: 0
; ScratchSize: 0
; MemoryBound: 0
; FloatMode: 240
; IeeeMode: 1
; LDSByteSize: 0 bytes/workgroup (compile time only)
; SGPRBlocks: 0
; VGPRBlocks: 0
; NumSGPRsForWavesPerEU: 4
; NumVGPRsForWavesPerEU: 1
; AccumOffset: 4
; Occupancy: 8
; WaveLimiterHint : 0
; COMPUTE_PGM_RSRC2:SCRATCH_EN: 0
; COMPUTE_PGM_RSRC2:USER_SGPR: 6
; COMPUTE_PGM_RSRC2:TRAP_HANDLER: 0
; COMPUTE_PGM_RSRC2:TGID_X_EN: 1
; COMPUTE_PGM_RSRC2:TGID_Y_EN: 0
; COMPUTE_PGM_RSRC2:TGID_Z_EN: 0
; COMPUTE_PGM_RSRC2:TIDIG_COMP_CNT: 0
; COMPUTE_PGM_RSRC3_GFX90A:ACCUM_OFFSET: 0
; COMPUTE_PGM_RSRC3_GFX90A:TG_SPLIT: 0
	.section	.text._ZN7rocprim17ROCPRIM_400000_NS6detail17trampoline_kernelINS0_14default_configENS1_20scan_config_selectorIdEEZZNS1_9scan_implILNS1_25lookback_scan_determinismE0ELb0ELb0ES3_PKdPddZZZN2at6native31launch_logcumsumexp_cuda_kernelERKNSB_10TensorBaseESF_lENKUlvE_clEvENKUlvE_clEvEUlddE_dEEDaPvRmT3_T4_T5_mT6_P12ihipStream_tbENKUlT_T0_E_clISt17integral_constantIbLb0EESV_IbLb1EEEEDaSR_SS_EUlSR_E_NS1_11comp_targetILNS1_3genE10ELNS1_11target_archE1200ELNS1_3gpuE4ELNS1_3repE0EEENS1_30default_config_static_selectorELNS0_4arch9wavefront6targetE1EEEvT1_,"axG",@progbits,_ZN7rocprim17ROCPRIM_400000_NS6detail17trampoline_kernelINS0_14default_configENS1_20scan_config_selectorIdEEZZNS1_9scan_implILNS1_25lookback_scan_determinismE0ELb0ELb0ES3_PKdPddZZZN2at6native31launch_logcumsumexp_cuda_kernelERKNSB_10TensorBaseESF_lENKUlvE_clEvENKUlvE_clEvEUlddE_dEEDaPvRmT3_T4_T5_mT6_P12ihipStream_tbENKUlT_T0_E_clISt17integral_constantIbLb0EESV_IbLb1EEEEDaSR_SS_EUlSR_E_NS1_11comp_targetILNS1_3genE10ELNS1_11target_archE1200ELNS1_3gpuE4ELNS1_3repE0EEENS1_30default_config_static_selectorELNS0_4arch9wavefront6targetE1EEEvT1_,comdat
	.globl	_ZN7rocprim17ROCPRIM_400000_NS6detail17trampoline_kernelINS0_14default_configENS1_20scan_config_selectorIdEEZZNS1_9scan_implILNS1_25lookback_scan_determinismE0ELb0ELb0ES3_PKdPddZZZN2at6native31launch_logcumsumexp_cuda_kernelERKNSB_10TensorBaseESF_lENKUlvE_clEvENKUlvE_clEvEUlddE_dEEDaPvRmT3_T4_T5_mT6_P12ihipStream_tbENKUlT_T0_E_clISt17integral_constantIbLb0EESV_IbLb1EEEEDaSR_SS_EUlSR_E_NS1_11comp_targetILNS1_3genE10ELNS1_11target_archE1200ELNS1_3gpuE4ELNS1_3repE0EEENS1_30default_config_static_selectorELNS0_4arch9wavefront6targetE1EEEvT1_ ; -- Begin function _ZN7rocprim17ROCPRIM_400000_NS6detail17trampoline_kernelINS0_14default_configENS1_20scan_config_selectorIdEEZZNS1_9scan_implILNS1_25lookback_scan_determinismE0ELb0ELb0ES3_PKdPddZZZN2at6native31launch_logcumsumexp_cuda_kernelERKNSB_10TensorBaseESF_lENKUlvE_clEvENKUlvE_clEvEUlddE_dEEDaPvRmT3_T4_T5_mT6_P12ihipStream_tbENKUlT_T0_E_clISt17integral_constantIbLb0EESV_IbLb1EEEEDaSR_SS_EUlSR_E_NS1_11comp_targetILNS1_3genE10ELNS1_11target_archE1200ELNS1_3gpuE4ELNS1_3repE0EEENS1_30default_config_static_selectorELNS0_4arch9wavefront6targetE1EEEvT1_
	.p2align	8
	.type	_ZN7rocprim17ROCPRIM_400000_NS6detail17trampoline_kernelINS0_14default_configENS1_20scan_config_selectorIdEEZZNS1_9scan_implILNS1_25lookback_scan_determinismE0ELb0ELb0ES3_PKdPddZZZN2at6native31launch_logcumsumexp_cuda_kernelERKNSB_10TensorBaseESF_lENKUlvE_clEvENKUlvE_clEvEUlddE_dEEDaPvRmT3_T4_T5_mT6_P12ihipStream_tbENKUlT_T0_E_clISt17integral_constantIbLb0EESV_IbLb1EEEEDaSR_SS_EUlSR_E_NS1_11comp_targetILNS1_3genE10ELNS1_11target_archE1200ELNS1_3gpuE4ELNS1_3repE0EEENS1_30default_config_static_selectorELNS0_4arch9wavefront6targetE1EEEvT1_,@function
_ZN7rocprim17ROCPRIM_400000_NS6detail17trampoline_kernelINS0_14default_configENS1_20scan_config_selectorIdEEZZNS1_9scan_implILNS1_25lookback_scan_determinismE0ELb0ELb0ES3_PKdPddZZZN2at6native31launch_logcumsumexp_cuda_kernelERKNSB_10TensorBaseESF_lENKUlvE_clEvENKUlvE_clEvEUlddE_dEEDaPvRmT3_T4_T5_mT6_P12ihipStream_tbENKUlT_T0_E_clISt17integral_constantIbLb0EESV_IbLb1EEEEDaSR_SS_EUlSR_E_NS1_11comp_targetILNS1_3genE10ELNS1_11target_archE1200ELNS1_3gpuE4ELNS1_3repE0EEENS1_30default_config_static_selectorELNS0_4arch9wavefront6targetE1EEEvT1_: ; @_ZN7rocprim17ROCPRIM_400000_NS6detail17trampoline_kernelINS0_14default_configENS1_20scan_config_selectorIdEEZZNS1_9scan_implILNS1_25lookback_scan_determinismE0ELb0ELb0ES3_PKdPddZZZN2at6native31launch_logcumsumexp_cuda_kernelERKNSB_10TensorBaseESF_lENKUlvE_clEvENKUlvE_clEvEUlddE_dEEDaPvRmT3_T4_T5_mT6_P12ihipStream_tbENKUlT_T0_E_clISt17integral_constantIbLb0EESV_IbLb1EEEEDaSR_SS_EUlSR_E_NS1_11comp_targetILNS1_3genE10ELNS1_11target_archE1200ELNS1_3gpuE4ELNS1_3repE0EEENS1_30default_config_static_selectorELNS0_4arch9wavefront6targetE1EEEvT1_
; %bb.0:
	.section	.rodata,"a",@progbits
	.p2align	6, 0x0
	.amdhsa_kernel _ZN7rocprim17ROCPRIM_400000_NS6detail17trampoline_kernelINS0_14default_configENS1_20scan_config_selectorIdEEZZNS1_9scan_implILNS1_25lookback_scan_determinismE0ELb0ELb0ES3_PKdPddZZZN2at6native31launch_logcumsumexp_cuda_kernelERKNSB_10TensorBaseESF_lENKUlvE_clEvENKUlvE_clEvEUlddE_dEEDaPvRmT3_T4_T5_mT6_P12ihipStream_tbENKUlT_T0_E_clISt17integral_constantIbLb0EESV_IbLb1EEEEDaSR_SS_EUlSR_E_NS1_11comp_targetILNS1_3genE10ELNS1_11target_archE1200ELNS1_3gpuE4ELNS1_3repE0EEENS1_30default_config_static_selectorELNS0_4arch9wavefront6targetE1EEEvT1_
		.amdhsa_group_segment_fixed_size 0
		.amdhsa_private_segment_fixed_size 0
		.amdhsa_kernarg_size 104
		.amdhsa_user_sgpr_count 6
		.amdhsa_user_sgpr_private_segment_buffer 1
		.amdhsa_user_sgpr_dispatch_ptr 0
		.amdhsa_user_sgpr_queue_ptr 0
		.amdhsa_user_sgpr_kernarg_segment_ptr 1
		.amdhsa_user_sgpr_dispatch_id 0
		.amdhsa_user_sgpr_flat_scratch_init 0
		.amdhsa_user_sgpr_kernarg_preload_length 0
		.amdhsa_user_sgpr_kernarg_preload_offset 0
		.amdhsa_user_sgpr_private_segment_size 0
		.amdhsa_uses_dynamic_stack 0
		.amdhsa_system_sgpr_private_segment_wavefront_offset 0
		.amdhsa_system_sgpr_workgroup_id_x 1
		.amdhsa_system_sgpr_workgroup_id_y 0
		.amdhsa_system_sgpr_workgroup_id_z 0
		.amdhsa_system_sgpr_workgroup_info 0
		.amdhsa_system_vgpr_workitem_id 0
		.amdhsa_next_free_vgpr 1
		.amdhsa_next_free_sgpr 0
		.amdhsa_accum_offset 4
		.amdhsa_reserve_vcc 0
		.amdhsa_reserve_flat_scratch 0
		.amdhsa_float_round_mode_32 0
		.amdhsa_float_round_mode_16_64 0
		.amdhsa_float_denorm_mode_32 3
		.amdhsa_float_denorm_mode_16_64 3
		.amdhsa_dx10_clamp 1
		.amdhsa_ieee_mode 1
		.amdhsa_fp16_overflow 0
		.amdhsa_tg_split 0
		.amdhsa_exception_fp_ieee_invalid_op 0
		.amdhsa_exception_fp_denorm_src 0
		.amdhsa_exception_fp_ieee_div_zero 0
		.amdhsa_exception_fp_ieee_overflow 0
		.amdhsa_exception_fp_ieee_underflow 0
		.amdhsa_exception_fp_ieee_inexact 0
		.amdhsa_exception_int_div_zero 0
	.end_amdhsa_kernel
	.section	.text._ZN7rocprim17ROCPRIM_400000_NS6detail17trampoline_kernelINS0_14default_configENS1_20scan_config_selectorIdEEZZNS1_9scan_implILNS1_25lookback_scan_determinismE0ELb0ELb0ES3_PKdPddZZZN2at6native31launch_logcumsumexp_cuda_kernelERKNSB_10TensorBaseESF_lENKUlvE_clEvENKUlvE_clEvEUlddE_dEEDaPvRmT3_T4_T5_mT6_P12ihipStream_tbENKUlT_T0_E_clISt17integral_constantIbLb0EESV_IbLb1EEEEDaSR_SS_EUlSR_E_NS1_11comp_targetILNS1_3genE10ELNS1_11target_archE1200ELNS1_3gpuE4ELNS1_3repE0EEENS1_30default_config_static_selectorELNS0_4arch9wavefront6targetE1EEEvT1_,"axG",@progbits,_ZN7rocprim17ROCPRIM_400000_NS6detail17trampoline_kernelINS0_14default_configENS1_20scan_config_selectorIdEEZZNS1_9scan_implILNS1_25lookback_scan_determinismE0ELb0ELb0ES3_PKdPddZZZN2at6native31launch_logcumsumexp_cuda_kernelERKNSB_10TensorBaseESF_lENKUlvE_clEvENKUlvE_clEvEUlddE_dEEDaPvRmT3_T4_T5_mT6_P12ihipStream_tbENKUlT_T0_E_clISt17integral_constantIbLb0EESV_IbLb1EEEEDaSR_SS_EUlSR_E_NS1_11comp_targetILNS1_3genE10ELNS1_11target_archE1200ELNS1_3gpuE4ELNS1_3repE0EEENS1_30default_config_static_selectorELNS0_4arch9wavefront6targetE1EEEvT1_,comdat
.Lfunc_end72:
	.size	_ZN7rocprim17ROCPRIM_400000_NS6detail17trampoline_kernelINS0_14default_configENS1_20scan_config_selectorIdEEZZNS1_9scan_implILNS1_25lookback_scan_determinismE0ELb0ELb0ES3_PKdPddZZZN2at6native31launch_logcumsumexp_cuda_kernelERKNSB_10TensorBaseESF_lENKUlvE_clEvENKUlvE_clEvEUlddE_dEEDaPvRmT3_T4_T5_mT6_P12ihipStream_tbENKUlT_T0_E_clISt17integral_constantIbLb0EESV_IbLb1EEEEDaSR_SS_EUlSR_E_NS1_11comp_targetILNS1_3genE10ELNS1_11target_archE1200ELNS1_3gpuE4ELNS1_3repE0EEENS1_30default_config_static_selectorELNS0_4arch9wavefront6targetE1EEEvT1_, .Lfunc_end72-_ZN7rocprim17ROCPRIM_400000_NS6detail17trampoline_kernelINS0_14default_configENS1_20scan_config_selectorIdEEZZNS1_9scan_implILNS1_25lookback_scan_determinismE0ELb0ELb0ES3_PKdPddZZZN2at6native31launch_logcumsumexp_cuda_kernelERKNSB_10TensorBaseESF_lENKUlvE_clEvENKUlvE_clEvEUlddE_dEEDaPvRmT3_T4_T5_mT6_P12ihipStream_tbENKUlT_T0_E_clISt17integral_constantIbLb0EESV_IbLb1EEEEDaSR_SS_EUlSR_E_NS1_11comp_targetILNS1_3genE10ELNS1_11target_archE1200ELNS1_3gpuE4ELNS1_3repE0EEENS1_30default_config_static_selectorELNS0_4arch9wavefront6targetE1EEEvT1_
                                        ; -- End function
	.section	.AMDGPU.csdata,"",@progbits
; Kernel info:
; codeLenInByte = 0
; NumSgprs: 4
; NumVgprs: 0
; NumAgprs: 0
; TotalNumVgprs: 0
; ScratchSize: 0
; MemoryBound: 0
; FloatMode: 240
; IeeeMode: 1
; LDSByteSize: 0 bytes/workgroup (compile time only)
; SGPRBlocks: 0
; VGPRBlocks: 0
; NumSGPRsForWavesPerEU: 4
; NumVGPRsForWavesPerEU: 1
; AccumOffset: 4
; Occupancy: 8
; WaveLimiterHint : 0
; COMPUTE_PGM_RSRC2:SCRATCH_EN: 0
; COMPUTE_PGM_RSRC2:USER_SGPR: 6
; COMPUTE_PGM_RSRC2:TRAP_HANDLER: 0
; COMPUTE_PGM_RSRC2:TGID_X_EN: 1
; COMPUTE_PGM_RSRC2:TGID_Y_EN: 0
; COMPUTE_PGM_RSRC2:TGID_Z_EN: 0
; COMPUTE_PGM_RSRC2:TIDIG_COMP_CNT: 0
; COMPUTE_PGM_RSRC3_GFX90A:ACCUM_OFFSET: 0
; COMPUTE_PGM_RSRC3_GFX90A:TG_SPLIT: 0
	.section	.text._ZN7rocprim17ROCPRIM_400000_NS6detail17trampoline_kernelINS0_14default_configENS1_20scan_config_selectorIdEEZZNS1_9scan_implILNS1_25lookback_scan_determinismE0ELb0ELb0ES3_PKdPddZZZN2at6native31launch_logcumsumexp_cuda_kernelERKNSB_10TensorBaseESF_lENKUlvE_clEvENKUlvE_clEvEUlddE_dEEDaPvRmT3_T4_T5_mT6_P12ihipStream_tbENKUlT_T0_E_clISt17integral_constantIbLb0EESV_IbLb1EEEEDaSR_SS_EUlSR_E_NS1_11comp_targetILNS1_3genE9ELNS1_11target_archE1100ELNS1_3gpuE3ELNS1_3repE0EEENS1_30default_config_static_selectorELNS0_4arch9wavefront6targetE1EEEvT1_,"axG",@progbits,_ZN7rocprim17ROCPRIM_400000_NS6detail17trampoline_kernelINS0_14default_configENS1_20scan_config_selectorIdEEZZNS1_9scan_implILNS1_25lookback_scan_determinismE0ELb0ELb0ES3_PKdPddZZZN2at6native31launch_logcumsumexp_cuda_kernelERKNSB_10TensorBaseESF_lENKUlvE_clEvENKUlvE_clEvEUlddE_dEEDaPvRmT3_T4_T5_mT6_P12ihipStream_tbENKUlT_T0_E_clISt17integral_constantIbLb0EESV_IbLb1EEEEDaSR_SS_EUlSR_E_NS1_11comp_targetILNS1_3genE9ELNS1_11target_archE1100ELNS1_3gpuE3ELNS1_3repE0EEENS1_30default_config_static_selectorELNS0_4arch9wavefront6targetE1EEEvT1_,comdat
	.globl	_ZN7rocprim17ROCPRIM_400000_NS6detail17trampoline_kernelINS0_14default_configENS1_20scan_config_selectorIdEEZZNS1_9scan_implILNS1_25lookback_scan_determinismE0ELb0ELb0ES3_PKdPddZZZN2at6native31launch_logcumsumexp_cuda_kernelERKNSB_10TensorBaseESF_lENKUlvE_clEvENKUlvE_clEvEUlddE_dEEDaPvRmT3_T4_T5_mT6_P12ihipStream_tbENKUlT_T0_E_clISt17integral_constantIbLb0EESV_IbLb1EEEEDaSR_SS_EUlSR_E_NS1_11comp_targetILNS1_3genE9ELNS1_11target_archE1100ELNS1_3gpuE3ELNS1_3repE0EEENS1_30default_config_static_selectorELNS0_4arch9wavefront6targetE1EEEvT1_ ; -- Begin function _ZN7rocprim17ROCPRIM_400000_NS6detail17trampoline_kernelINS0_14default_configENS1_20scan_config_selectorIdEEZZNS1_9scan_implILNS1_25lookback_scan_determinismE0ELb0ELb0ES3_PKdPddZZZN2at6native31launch_logcumsumexp_cuda_kernelERKNSB_10TensorBaseESF_lENKUlvE_clEvENKUlvE_clEvEUlddE_dEEDaPvRmT3_T4_T5_mT6_P12ihipStream_tbENKUlT_T0_E_clISt17integral_constantIbLb0EESV_IbLb1EEEEDaSR_SS_EUlSR_E_NS1_11comp_targetILNS1_3genE9ELNS1_11target_archE1100ELNS1_3gpuE3ELNS1_3repE0EEENS1_30default_config_static_selectorELNS0_4arch9wavefront6targetE1EEEvT1_
	.p2align	8
	.type	_ZN7rocprim17ROCPRIM_400000_NS6detail17trampoline_kernelINS0_14default_configENS1_20scan_config_selectorIdEEZZNS1_9scan_implILNS1_25lookback_scan_determinismE0ELb0ELb0ES3_PKdPddZZZN2at6native31launch_logcumsumexp_cuda_kernelERKNSB_10TensorBaseESF_lENKUlvE_clEvENKUlvE_clEvEUlddE_dEEDaPvRmT3_T4_T5_mT6_P12ihipStream_tbENKUlT_T0_E_clISt17integral_constantIbLb0EESV_IbLb1EEEEDaSR_SS_EUlSR_E_NS1_11comp_targetILNS1_3genE9ELNS1_11target_archE1100ELNS1_3gpuE3ELNS1_3repE0EEENS1_30default_config_static_selectorELNS0_4arch9wavefront6targetE1EEEvT1_,@function
_ZN7rocprim17ROCPRIM_400000_NS6detail17trampoline_kernelINS0_14default_configENS1_20scan_config_selectorIdEEZZNS1_9scan_implILNS1_25lookback_scan_determinismE0ELb0ELb0ES3_PKdPddZZZN2at6native31launch_logcumsumexp_cuda_kernelERKNSB_10TensorBaseESF_lENKUlvE_clEvENKUlvE_clEvEUlddE_dEEDaPvRmT3_T4_T5_mT6_P12ihipStream_tbENKUlT_T0_E_clISt17integral_constantIbLb0EESV_IbLb1EEEEDaSR_SS_EUlSR_E_NS1_11comp_targetILNS1_3genE9ELNS1_11target_archE1100ELNS1_3gpuE3ELNS1_3repE0EEENS1_30default_config_static_selectorELNS0_4arch9wavefront6targetE1EEEvT1_: ; @_ZN7rocprim17ROCPRIM_400000_NS6detail17trampoline_kernelINS0_14default_configENS1_20scan_config_selectorIdEEZZNS1_9scan_implILNS1_25lookback_scan_determinismE0ELb0ELb0ES3_PKdPddZZZN2at6native31launch_logcumsumexp_cuda_kernelERKNSB_10TensorBaseESF_lENKUlvE_clEvENKUlvE_clEvEUlddE_dEEDaPvRmT3_T4_T5_mT6_P12ihipStream_tbENKUlT_T0_E_clISt17integral_constantIbLb0EESV_IbLb1EEEEDaSR_SS_EUlSR_E_NS1_11comp_targetILNS1_3genE9ELNS1_11target_archE1100ELNS1_3gpuE3ELNS1_3repE0EEENS1_30default_config_static_selectorELNS0_4arch9wavefront6targetE1EEEvT1_
; %bb.0:
	.section	.rodata,"a",@progbits
	.p2align	6, 0x0
	.amdhsa_kernel _ZN7rocprim17ROCPRIM_400000_NS6detail17trampoline_kernelINS0_14default_configENS1_20scan_config_selectorIdEEZZNS1_9scan_implILNS1_25lookback_scan_determinismE0ELb0ELb0ES3_PKdPddZZZN2at6native31launch_logcumsumexp_cuda_kernelERKNSB_10TensorBaseESF_lENKUlvE_clEvENKUlvE_clEvEUlddE_dEEDaPvRmT3_T4_T5_mT6_P12ihipStream_tbENKUlT_T0_E_clISt17integral_constantIbLb0EESV_IbLb1EEEEDaSR_SS_EUlSR_E_NS1_11comp_targetILNS1_3genE9ELNS1_11target_archE1100ELNS1_3gpuE3ELNS1_3repE0EEENS1_30default_config_static_selectorELNS0_4arch9wavefront6targetE1EEEvT1_
		.amdhsa_group_segment_fixed_size 0
		.amdhsa_private_segment_fixed_size 0
		.amdhsa_kernarg_size 104
		.amdhsa_user_sgpr_count 6
		.amdhsa_user_sgpr_private_segment_buffer 1
		.amdhsa_user_sgpr_dispatch_ptr 0
		.amdhsa_user_sgpr_queue_ptr 0
		.amdhsa_user_sgpr_kernarg_segment_ptr 1
		.amdhsa_user_sgpr_dispatch_id 0
		.amdhsa_user_sgpr_flat_scratch_init 0
		.amdhsa_user_sgpr_kernarg_preload_length 0
		.amdhsa_user_sgpr_kernarg_preload_offset 0
		.amdhsa_user_sgpr_private_segment_size 0
		.amdhsa_uses_dynamic_stack 0
		.amdhsa_system_sgpr_private_segment_wavefront_offset 0
		.amdhsa_system_sgpr_workgroup_id_x 1
		.amdhsa_system_sgpr_workgroup_id_y 0
		.amdhsa_system_sgpr_workgroup_id_z 0
		.amdhsa_system_sgpr_workgroup_info 0
		.amdhsa_system_vgpr_workitem_id 0
		.amdhsa_next_free_vgpr 1
		.amdhsa_next_free_sgpr 0
		.amdhsa_accum_offset 4
		.amdhsa_reserve_vcc 0
		.amdhsa_reserve_flat_scratch 0
		.amdhsa_float_round_mode_32 0
		.amdhsa_float_round_mode_16_64 0
		.amdhsa_float_denorm_mode_32 3
		.amdhsa_float_denorm_mode_16_64 3
		.amdhsa_dx10_clamp 1
		.amdhsa_ieee_mode 1
		.amdhsa_fp16_overflow 0
		.amdhsa_tg_split 0
		.amdhsa_exception_fp_ieee_invalid_op 0
		.amdhsa_exception_fp_denorm_src 0
		.amdhsa_exception_fp_ieee_div_zero 0
		.amdhsa_exception_fp_ieee_overflow 0
		.amdhsa_exception_fp_ieee_underflow 0
		.amdhsa_exception_fp_ieee_inexact 0
		.amdhsa_exception_int_div_zero 0
	.end_amdhsa_kernel
	.section	.text._ZN7rocprim17ROCPRIM_400000_NS6detail17trampoline_kernelINS0_14default_configENS1_20scan_config_selectorIdEEZZNS1_9scan_implILNS1_25lookback_scan_determinismE0ELb0ELb0ES3_PKdPddZZZN2at6native31launch_logcumsumexp_cuda_kernelERKNSB_10TensorBaseESF_lENKUlvE_clEvENKUlvE_clEvEUlddE_dEEDaPvRmT3_T4_T5_mT6_P12ihipStream_tbENKUlT_T0_E_clISt17integral_constantIbLb0EESV_IbLb1EEEEDaSR_SS_EUlSR_E_NS1_11comp_targetILNS1_3genE9ELNS1_11target_archE1100ELNS1_3gpuE3ELNS1_3repE0EEENS1_30default_config_static_selectorELNS0_4arch9wavefront6targetE1EEEvT1_,"axG",@progbits,_ZN7rocprim17ROCPRIM_400000_NS6detail17trampoline_kernelINS0_14default_configENS1_20scan_config_selectorIdEEZZNS1_9scan_implILNS1_25lookback_scan_determinismE0ELb0ELb0ES3_PKdPddZZZN2at6native31launch_logcumsumexp_cuda_kernelERKNSB_10TensorBaseESF_lENKUlvE_clEvENKUlvE_clEvEUlddE_dEEDaPvRmT3_T4_T5_mT6_P12ihipStream_tbENKUlT_T0_E_clISt17integral_constantIbLb0EESV_IbLb1EEEEDaSR_SS_EUlSR_E_NS1_11comp_targetILNS1_3genE9ELNS1_11target_archE1100ELNS1_3gpuE3ELNS1_3repE0EEENS1_30default_config_static_selectorELNS0_4arch9wavefront6targetE1EEEvT1_,comdat
.Lfunc_end73:
	.size	_ZN7rocprim17ROCPRIM_400000_NS6detail17trampoline_kernelINS0_14default_configENS1_20scan_config_selectorIdEEZZNS1_9scan_implILNS1_25lookback_scan_determinismE0ELb0ELb0ES3_PKdPddZZZN2at6native31launch_logcumsumexp_cuda_kernelERKNSB_10TensorBaseESF_lENKUlvE_clEvENKUlvE_clEvEUlddE_dEEDaPvRmT3_T4_T5_mT6_P12ihipStream_tbENKUlT_T0_E_clISt17integral_constantIbLb0EESV_IbLb1EEEEDaSR_SS_EUlSR_E_NS1_11comp_targetILNS1_3genE9ELNS1_11target_archE1100ELNS1_3gpuE3ELNS1_3repE0EEENS1_30default_config_static_selectorELNS0_4arch9wavefront6targetE1EEEvT1_, .Lfunc_end73-_ZN7rocprim17ROCPRIM_400000_NS6detail17trampoline_kernelINS0_14default_configENS1_20scan_config_selectorIdEEZZNS1_9scan_implILNS1_25lookback_scan_determinismE0ELb0ELb0ES3_PKdPddZZZN2at6native31launch_logcumsumexp_cuda_kernelERKNSB_10TensorBaseESF_lENKUlvE_clEvENKUlvE_clEvEUlddE_dEEDaPvRmT3_T4_T5_mT6_P12ihipStream_tbENKUlT_T0_E_clISt17integral_constantIbLb0EESV_IbLb1EEEEDaSR_SS_EUlSR_E_NS1_11comp_targetILNS1_3genE9ELNS1_11target_archE1100ELNS1_3gpuE3ELNS1_3repE0EEENS1_30default_config_static_selectorELNS0_4arch9wavefront6targetE1EEEvT1_
                                        ; -- End function
	.section	.AMDGPU.csdata,"",@progbits
; Kernel info:
; codeLenInByte = 0
; NumSgprs: 4
; NumVgprs: 0
; NumAgprs: 0
; TotalNumVgprs: 0
; ScratchSize: 0
; MemoryBound: 0
; FloatMode: 240
; IeeeMode: 1
; LDSByteSize: 0 bytes/workgroup (compile time only)
; SGPRBlocks: 0
; VGPRBlocks: 0
; NumSGPRsForWavesPerEU: 4
; NumVGPRsForWavesPerEU: 1
; AccumOffset: 4
; Occupancy: 8
; WaveLimiterHint : 0
; COMPUTE_PGM_RSRC2:SCRATCH_EN: 0
; COMPUTE_PGM_RSRC2:USER_SGPR: 6
; COMPUTE_PGM_RSRC2:TRAP_HANDLER: 0
; COMPUTE_PGM_RSRC2:TGID_X_EN: 1
; COMPUTE_PGM_RSRC2:TGID_Y_EN: 0
; COMPUTE_PGM_RSRC2:TGID_Z_EN: 0
; COMPUTE_PGM_RSRC2:TIDIG_COMP_CNT: 0
; COMPUTE_PGM_RSRC3_GFX90A:ACCUM_OFFSET: 0
; COMPUTE_PGM_RSRC3_GFX90A:TG_SPLIT: 0
	.section	.text._ZN7rocprim17ROCPRIM_400000_NS6detail17trampoline_kernelINS0_14default_configENS1_20scan_config_selectorIdEEZZNS1_9scan_implILNS1_25lookback_scan_determinismE0ELb0ELb0ES3_PKdPddZZZN2at6native31launch_logcumsumexp_cuda_kernelERKNSB_10TensorBaseESF_lENKUlvE_clEvENKUlvE_clEvEUlddE_dEEDaPvRmT3_T4_T5_mT6_P12ihipStream_tbENKUlT_T0_E_clISt17integral_constantIbLb0EESV_IbLb1EEEEDaSR_SS_EUlSR_E_NS1_11comp_targetILNS1_3genE8ELNS1_11target_archE1030ELNS1_3gpuE2ELNS1_3repE0EEENS1_30default_config_static_selectorELNS0_4arch9wavefront6targetE1EEEvT1_,"axG",@progbits,_ZN7rocprim17ROCPRIM_400000_NS6detail17trampoline_kernelINS0_14default_configENS1_20scan_config_selectorIdEEZZNS1_9scan_implILNS1_25lookback_scan_determinismE0ELb0ELb0ES3_PKdPddZZZN2at6native31launch_logcumsumexp_cuda_kernelERKNSB_10TensorBaseESF_lENKUlvE_clEvENKUlvE_clEvEUlddE_dEEDaPvRmT3_T4_T5_mT6_P12ihipStream_tbENKUlT_T0_E_clISt17integral_constantIbLb0EESV_IbLb1EEEEDaSR_SS_EUlSR_E_NS1_11comp_targetILNS1_3genE8ELNS1_11target_archE1030ELNS1_3gpuE2ELNS1_3repE0EEENS1_30default_config_static_selectorELNS0_4arch9wavefront6targetE1EEEvT1_,comdat
	.globl	_ZN7rocprim17ROCPRIM_400000_NS6detail17trampoline_kernelINS0_14default_configENS1_20scan_config_selectorIdEEZZNS1_9scan_implILNS1_25lookback_scan_determinismE0ELb0ELb0ES3_PKdPddZZZN2at6native31launch_logcumsumexp_cuda_kernelERKNSB_10TensorBaseESF_lENKUlvE_clEvENKUlvE_clEvEUlddE_dEEDaPvRmT3_T4_T5_mT6_P12ihipStream_tbENKUlT_T0_E_clISt17integral_constantIbLb0EESV_IbLb1EEEEDaSR_SS_EUlSR_E_NS1_11comp_targetILNS1_3genE8ELNS1_11target_archE1030ELNS1_3gpuE2ELNS1_3repE0EEENS1_30default_config_static_selectorELNS0_4arch9wavefront6targetE1EEEvT1_ ; -- Begin function _ZN7rocprim17ROCPRIM_400000_NS6detail17trampoline_kernelINS0_14default_configENS1_20scan_config_selectorIdEEZZNS1_9scan_implILNS1_25lookback_scan_determinismE0ELb0ELb0ES3_PKdPddZZZN2at6native31launch_logcumsumexp_cuda_kernelERKNSB_10TensorBaseESF_lENKUlvE_clEvENKUlvE_clEvEUlddE_dEEDaPvRmT3_T4_T5_mT6_P12ihipStream_tbENKUlT_T0_E_clISt17integral_constantIbLb0EESV_IbLb1EEEEDaSR_SS_EUlSR_E_NS1_11comp_targetILNS1_3genE8ELNS1_11target_archE1030ELNS1_3gpuE2ELNS1_3repE0EEENS1_30default_config_static_selectorELNS0_4arch9wavefront6targetE1EEEvT1_
	.p2align	8
	.type	_ZN7rocprim17ROCPRIM_400000_NS6detail17trampoline_kernelINS0_14default_configENS1_20scan_config_selectorIdEEZZNS1_9scan_implILNS1_25lookback_scan_determinismE0ELb0ELb0ES3_PKdPddZZZN2at6native31launch_logcumsumexp_cuda_kernelERKNSB_10TensorBaseESF_lENKUlvE_clEvENKUlvE_clEvEUlddE_dEEDaPvRmT3_T4_T5_mT6_P12ihipStream_tbENKUlT_T0_E_clISt17integral_constantIbLb0EESV_IbLb1EEEEDaSR_SS_EUlSR_E_NS1_11comp_targetILNS1_3genE8ELNS1_11target_archE1030ELNS1_3gpuE2ELNS1_3repE0EEENS1_30default_config_static_selectorELNS0_4arch9wavefront6targetE1EEEvT1_,@function
_ZN7rocprim17ROCPRIM_400000_NS6detail17trampoline_kernelINS0_14default_configENS1_20scan_config_selectorIdEEZZNS1_9scan_implILNS1_25lookback_scan_determinismE0ELb0ELb0ES3_PKdPddZZZN2at6native31launch_logcumsumexp_cuda_kernelERKNSB_10TensorBaseESF_lENKUlvE_clEvENKUlvE_clEvEUlddE_dEEDaPvRmT3_T4_T5_mT6_P12ihipStream_tbENKUlT_T0_E_clISt17integral_constantIbLb0EESV_IbLb1EEEEDaSR_SS_EUlSR_E_NS1_11comp_targetILNS1_3genE8ELNS1_11target_archE1030ELNS1_3gpuE2ELNS1_3repE0EEENS1_30default_config_static_selectorELNS0_4arch9wavefront6targetE1EEEvT1_: ; @_ZN7rocprim17ROCPRIM_400000_NS6detail17trampoline_kernelINS0_14default_configENS1_20scan_config_selectorIdEEZZNS1_9scan_implILNS1_25lookback_scan_determinismE0ELb0ELb0ES3_PKdPddZZZN2at6native31launch_logcumsumexp_cuda_kernelERKNSB_10TensorBaseESF_lENKUlvE_clEvENKUlvE_clEvEUlddE_dEEDaPvRmT3_T4_T5_mT6_P12ihipStream_tbENKUlT_T0_E_clISt17integral_constantIbLb0EESV_IbLb1EEEEDaSR_SS_EUlSR_E_NS1_11comp_targetILNS1_3genE8ELNS1_11target_archE1030ELNS1_3gpuE2ELNS1_3repE0EEENS1_30default_config_static_selectorELNS0_4arch9wavefront6targetE1EEEvT1_
; %bb.0:
	.section	.rodata,"a",@progbits
	.p2align	6, 0x0
	.amdhsa_kernel _ZN7rocprim17ROCPRIM_400000_NS6detail17trampoline_kernelINS0_14default_configENS1_20scan_config_selectorIdEEZZNS1_9scan_implILNS1_25lookback_scan_determinismE0ELb0ELb0ES3_PKdPddZZZN2at6native31launch_logcumsumexp_cuda_kernelERKNSB_10TensorBaseESF_lENKUlvE_clEvENKUlvE_clEvEUlddE_dEEDaPvRmT3_T4_T5_mT6_P12ihipStream_tbENKUlT_T0_E_clISt17integral_constantIbLb0EESV_IbLb1EEEEDaSR_SS_EUlSR_E_NS1_11comp_targetILNS1_3genE8ELNS1_11target_archE1030ELNS1_3gpuE2ELNS1_3repE0EEENS1_30default_config_static_selectorELNS0_4arch9wavefront6targetE1EEEvT1_
		.amdhsa_group_segment_fixed_size 0
		.amdhsa_private_segment_fixed_size 0
		.amdhsa_kernarg_size 104
		.amdhsa_user_sgpr_count 6
		.amdhsa_user_sgpr_private_segment_buffer 1
		.amdhsa_user_sgpr_dispatch_ptr 0
		.amdhsa_user_sgpr_queue_ptr 0
		.amdhsa_user_sgpr_kernarg_segment_ptr 1
		.amdhsa_user_sgpr_dispatch_id 0
		.amdhsa_user_sgpr_flat_scratch_init 0
		.amdhsa_user_sgpr_kernarg_preload_length 0
		.amdhsa_user_sgpr_kernarg_preload_offset 0
		.amdhsa_user_sgpr_private_segment_size 0
		.amdhsa_uses_dynamic_stack 0
		.amdhsa_system_sgpr_private_segment_wavefront_offset 0
		.amdhsa_system_sgpr_workgroup_id_x 1
		.amdhsa_system_sgpr_workgroup_id_y 0
		.amdhsa_system_sgpr_workgroup_id_z 0
		.amdhsa_system_sgpr_workgroup_info 0
		.amdhsa_system_vgpr_workitem_id 0
		.amdhsa_next_free_vgpr 1
		.amdhsa_next_free_sgpr 0
		.amdhsa_accum_offset 4
		.amdhsa_reserve_vcc 0
		.amdhsa_reserve_flat_scratch 0
		.amdhsa_float_round_mode_32 0
		.amdhsa_float_round_mode_16_64 0
		.amdhsa_float_denorm_mode_32 3
		.amdhsa_float_denorm_mode_16_64 3
		.amdhsa_dx10_clamp 1
		.amdhsa_ieee_mode 1
		.amdhsa_fp16_overflow 0
		.amdhsa_tg_split 0
		.amdhsa_exception_fp_ieee_invalid_op 0
		.amdhsa_exception_fp_denorm_src 0
		.amdhsa_exception_fp_ieee_div_zero 0
		.amdhsa_exception_fp_ieee_overflow 0
		.amdhsa_exception_fp_ieee_underflow 0
		.amdhsa_exception_fp_ieee_inexact 0
		.amdhsa_exception_int_div_zero 0
	.end_amdhsa_kernel
	.section	.text._ZN7rocprim17ROCPRIM_400000_NS6detail17trampoline_kernelINS0_14default_configENS1_20scan_config_selectorIdEEZZNS1_9scan_implILNS1_25lookback_scan_determinismE0ELb0ELb0ES3_PKdPddZZZN2at6native31launch_logcumsumexp_cuda_kernelERKNSB_10TensorBaseESF_lENKUlvE_clEvENKUlvE_clEvEUlddE_dEEDaPvRmT3_T4_T5_mT6_P12ihipStream_tbENKUlT_T0_E_clISt17integral_constantIbLb0EESV_IbLb1EEEEDaSR_SS_EUlSR_E_NS1_11comp_targetILNS1_3genE8ELNS1_11target_archE1030ELNS1_3gpuE2ELNS1_3repE0EEENS1_30default_config_static_selectorELNS0_4arch9wavefront6targetE1EEEvT1_,"axG",@progbits,_ZN7rocprim17ROCPRIM_400000_NS6detail17trampoline_kernelINS0_14default_configENS1_20scan_config_selectorIdEEZZNS1_9scan_implILNS1_25lookback_scan_determinismE0ELb0ELb0ES3_PKdPddZZZN2at6native31launch_logcumsumexp_cuda_kernelERKNSB_10TensorBaseESF_lENKUlvE_clEvENKUlvE_clEvEUlddE_dEEDaPvRmT3_T4_T5_mT6_P12ihipStream_tbENKUlT_T0_E_clISt17integral_constantIbLb0EESV_IbLb1EEEEDaSR_SS_EUlSR_E_NS1_11comp_targetILNS1_3genE8ELNS1_11target_archE1030ELNS1_3gpuE2ELNS1_3repE0EEENS1_30default_config_static_selectorELNS0_4arch9wavefront6targetE1EEEvT1_,comdat
.Lfunc_end74:
	.size	_ZN7rocprim17ROCPRIM_400000_NS6detail17trampoline_kernelINS0_14default_configENS1_20scan_config_selectorIdEEZZNS1_9scan_implILNS1_25lookback_scan_determinismE0ELb0ELb0ES3_PKdPddZZZN2at6native31launch_logcumsumexp_cuda_kernelERKNSB_10TensorBaseESF_lENKUlvE_clEvENKUlvE_clEvEUlddE_dEEDaPvRmT3_T4_T5_mT6_P12ihipStream_tbENKUlT_T0_E_clISt17integral_constantIbLb0EESV_IbLb1EEEEDaSR_SS_EUlSR_E_NS1_11comp_targetILNS1_3genE8ELNS1_11target_archE1030ELNS1_3gpuE2ELNS1_3repE0EEENS1_30default_config_static_selectorELNS0_4arch9wavefront6targetE1EEEvT1_, .Lfunc_end74-_ZN7rocprim17ROCPRIM_400000_NS6detail17trampoline_kernelINS0_14default_configENS1_20scan_config_selectorIdEEZZNS1_9scan_implILNS1_25lookback_scan_determinismE0ELb0ELb0ES3_PKdPddZZZN2at6native31launch_logcumsumexp_cuda_kernelERKNSB_10TensorBaseESF_lENKUlvE_clEvENKUlvE_clEvEUlddE_dEEDaPvRmT3_T4_T5_mT6_P12ihipStream_tbENKUlT_T0_E_clISt17integral_constantIbLb0EESV_IbLb1EEEEDaSR_SS_EUlSR_E_NS1_11comp_targetILNS1_3genE8ELNS1_11target_archE1030ELNS1_3gpuE2ELNS1_3repE0EEENS1_30default_config_static_selectorELNS0_4arch9wavefront6targetE1EEEvT1_
                                        ; -- End function
	.section	.AMDGPU.csdata,"",@progbits
; Kernel info:
; codeLenInByte = 0
; NumSgprs: 4
; NumVgprs: 0
; NumAgprs: 0
; TotalNumVgprs: 0
; ScratchSize: 0
; MemoryBound: 0
; FloatMode: 240
; IeeeMode: 1
; LDSByteSize: 0 bytes/workgroup (compile time only)
; SGPRBlocks: 0
; VGPRBlocks: 0
; NumSGPRsForWavesPerEU: 4
; NumVGPRsForWavesPerEU: 1
; AccumOffset: 4
; Occupancy: 8
; WaveLimiterHint : 0
; COMPUTE_PGM_RSRC2:SCRATCH_EN: 0
; COMPUTE_PGM_RSRC2:USER_SGPR: 6
; COMPUTE_PGM_RSRC2:TRAP_HANDLER: 0
; COMPUTE_PGM_RSRC2:TGID_X_EN: 1
; COMPUTE_PGM_RSRC2:TGID_Y_EN: 0
; COMPUTE_PGM_RSRC2:TGID_Z_EN: 0
; COMPUTE_PGM_RSRC2:TIDIG_COMP_CNT: 0
; COMPUTE_PGM_RSRC3_GFX90A:ACCUM_OFFSET: 0
; COMPUTE_PGM_RSRC3_GFX90A:TG_SPLIT: 0
	.section	.text._ZN7rocprim17ROCPRIM_400000_NS6detail17trampoline_kernelINS0_14default_configENS1_20scan_config_selectorIdEEZZNS1_9scan_implILNS1_25lookback_scan_determinismE0ELb0ELb0ES3_PKdPddZZZN2at6native31launch_logcumsumexp_cuda_kernelERKNSB_10TensorBaseESF_lENKUlvE_clEvENKUlvE_clEvEUlddE_dEEDaPvRmT3_T4_T5_mT6_P12ihipStream_tbENKUlT_T0_E_clISt17integral_constantIbLb0EESV_IbLb1EEEEDaSR_SS_EUlSR_E0_NS1_11comp_targetILNS1_3genE0ELNS1_11target_archE4294967295ELNS1_3gpuE0ELNS1_3repE0EEENS1_30default_config_static_selectorELNS0_4arch9wavefront6targetE1EEEvT1_,"axG",@progbits,_ZN7rocprim17ROCPRIM_400000_NS6detail17trampoline_kernelINS0_14default_configENS1_20scan_config_selectorIdEEZZNS1_9scan_implILNS1_25lookback_scan_determinismE0ELb0ELb0ES3_PKdPddZZZN2at6native31launch_logcumsumexp_cuda_kernelERKNSB_10TensorBaseESF_lENKUlvE_clEvENKUlvE_clEvEUlddE_dEEDaPvRmT3_T4_T5_mT6_P12ihipStream_tbENKUlT_T0_E_clISt17integral_constantIbLb0EESV_IbLb1EEEEDaSR_SS_EUlSR_E0_NS1_11comp_targetILNS1_3genE0ELNS1_11target_archE4294967295ELNS1_3gpuE0ELNS1_3repE0EEENS1_30default_config_static_selectorELNS0_4arch9wavefront6targetE1EEEvT1_,comdat
	.globl	_ZN7rocprim17ROCPRIM_400000_NS6detail17trampoline_kernelINS0_14default_configENS1_20scan_config_selectorIdEEZZNS1_9scan_implILNS1_25lookback_scan_determinismE0ELb0ELb0ES3_PKdPddZZZN2at6native31launch_logcumsumexp_cuda_kernelERKNSB_10TensorBaseESF_lENKUlvE_clEvENKUlvE_clEvEUlddE_dEEDaPvRmT3_T4_T5_mT6_P12ihipStream_tbENKUlT_T0_E_clISt17integral_constantIbLb0EESV_IbLb1EEEEDaSR_SS_EUlSR_E0_NS1_11comp_targetILNS1_3genE0ELNS1_11target_archE4294967295ELNS1_3gpuE0ELNS1_3repE0EEENS1_30default_config_static_selectorELNS0_4arch9wavefront6targetE1EEEvT1_ ; -- Begin function _ZN7rocprim17ROCPRIM_400000_NS6detail17trampoline_kernelINS0_14default_configENS1_20scan_config_selectorIdEEZZNS1_9scan_implILNS1_25lookback_scan_determinismE0ELb0ELb0ES3_PKdPddZZZN2at6native31launch_logcumsumexp_cuda_kernelERKNSB_10TensorBaseESF_lENKUlvE_clEvENKUlvE_clEvEUlddE_dEEDaPvRmT3_T4_T5_mT6_P12ihipStream_tbENKUlT_T0_E_clISt17integral_constantIbLb0EESV_IbLb1EEEEDaSR_SS_EUlSR_E0_NS1_11comp_targetILNS1_3genE0ELNS1_11target_archE4294967295ELNS1_3gpuE0ELNS1_3repE0EEENS1_30default_config_static_selectorELNS0_4arch9wavefront6targetE1EEEvT1_
	.p2align	8
	.type	_ZN7rocprim17ROCPRIM_400000_NS6detail17trampoline_kernelINS0_14default_configENS1_20scan_config_selectorIdEEZZNS1_9scan_implILNS1_25lookback_scan_determinismE0ELb0ELb0ES3_PKdPddZZZN2at6native31launch_logcumsumexp_cuda_kernelERKNSB_10TensorBaseESF_lENKUlvE_clEvENKUlvE_clEvEUlddE_dEEDaPvRmT3_T4_T5_mT6_P12ihipStream_tbENKUlT_T0_E_clISt17integral_constantIbLb0EESV_IbLb1EEEEDaSR_SS_EUlSR_E0_NS1_11comp_targetILNS1_3genE0ELNS1_11target_archE4294967295ELNS1_3gpuE0ELNS1_3repE0EEENS1_30default_config_static_selectorELNS0_4arch9wavefront6targetE1EEEvT1_,@function
_ZN7rocprim17ROCPRIM_400000_NS6detail17trampoline_kernelINS0_14default_configENS1_20scan_config_selectorIdEEZZNS1_9scan_implILNS1_25lookback_scan_determinismE0ELb0ELb0ES3_PKdPddZZZN2at6native31launch_logcumsumexp_cuda_kernelERKNSB_10TensorBaseESF_lENKUlvE_clEvENKUlvE_clEvEUlddE_dEEDaPvRmT3_T4_T5_mT6_P12ihipStream_tbENKUlT_T0_E_clISt17integral_constantIbLb0EESV_IbLb1EEEEDaSR_SS_EUlSR_E0_NS1_11comp_targetILNS1_3genE0ELNS1_11target_archE4294967295ELNS1_3gpuE0ELNS1_3repE0EEENS1_30default_config_static_selectorELNS0_4arch9wavefront6targetE1EEEvT1_: ; @_ZN7rocprim17ROCPRIM_400000_NS6detail17trampoline_kernelINS0_14default_configENS1_20scan_config_selectorIdEEZZNS1_9scan_implILNS1_25lookback_scan_determinismE0ELb0ELb0ES3_PKdPddZZZN2at6native31launch_logcumsumexp_cuda_kernelERKNSB_10TensorBaseESF_lENKUlvE_clEvENKUlvE_clEvEUlddE_dEEDaPvRmT3_T4_T5_mT6_P12ihipStream_tbENKUlT_T0_E_clISt17integral_constantIbLb0EESV_IbLb1EEEEDaSR_SS_EUlSR_E0_NS1_11comp_targetILNS1_3genE0ELNS1_11target_archE4294967295ELNS1_3gpuE0ELNS1_3repE0EEENS1_30default_config_static_selectorELNS0_4arch9wavefront6targetE1EEEvT1_
; %bb.0:
	.section	.rodata,"a",@progbits
	.p2align	6, 0x0
	.amdhsa_kernel _ZN7rocprim17ROCPRIM_400000_NS6detail17trampoline_kernelINS0_14default_configENS1_20scan_config_selectorIdEEZZNS1_9scan_implILNS1_25lookback_scan_determinismE0ELb0ELb0ES3_PKdPddZZZN2at6native31launch_logcumsumexp_cuda_kernelERKNSB_10TensorBaseESF_lENKUlvE_clEvENKUlvE_clEvEUlddE_dEEDaPvRmT3_T4_T5_mT6_P12ihipStream_tbENKUlT_T0_E_clISt17integral_constantIbLb0EESV_IbLb1EEEEDaSR_SS_EUlSR_E0_NS1_11comp_targetILNS1_3genE0ELNS1_11target_archE4294967295ELNS1_3gpuE0ELNS1_3repE0EEENS1_30default_config_static_selectorELNS0_4arch9wavefront6targetE1EEEvT1_
		.amdhsa_group_segment_fixed_size 0
		.amdhsa_private_segment_fixed_size 0
		.amdhsa_kernarg_size 40
		.amdhsa_user_sgpr_count 6
		.amdhsa_user_sgpr_private_segment_buffer 1
		.amdhsa_user_sgpr_dispatch_ptr 0
		.amdhsa_user_sgpr_queue_ptr 0
		.amdhsa_user_sgpr_kernarg_segment_ptr 1
		.amdhsa_user_sgpr_dispatch_id 0
		.amdhsa_user_sgpr_flat_scratch_init 0
		.amdhsa_user_sgpr_kernarg_preload_length 0
		.amdhsa_user_sgpr_kernarg_preload_offset 0
		.amdhsa_user_sgpr_private_segment_size 0
		.amdhsa_uses_dynamic_stack 0
		.amdhsa_system_sgpr_private_segment_wavefront_offset 0
		.amdhsa_system_sgpr_workgroup_id_x 1
		.amdhsa_system_sgpr_workgroup_id_y 0
		.amdhsa_system_sgpr_workgroup_id_z 0
		.amdhsa_system_sgpr_workgroup_info 0
		.amdhsa_system_vgpr_workitem_id 0
		.amdhsa_next_free_vgpr 1
		.amdhsa_next_free_sgpr 0
		.amdhsa_accum_offset 4
		.amdhsa_reserve_vcc 0
		.amdhsa_reserve_flat_scratch 0
		.amdhsa_float_round_mode_32 0
		.amdhsa_float_round_mode_16_64 0
		.amdhsa_float_denorm_mode_32 3
		.amdhsa_float_denorm_mode_16_64 3
		.amdhsa_dx10_clamp 1
		.amdhsa_ieee_mode 1
		.amdhsa_fp16_overflow 0
		.amdhsa_tg_split 0
		.amdhsa_exception_fp_ieee_invalid_op 0
		.amdhsa_exception_fp_denorm_src 0
		.amdhsa_exception_fp_ieee_div_zero 0
		.amdhsa_exception_fp_ieee_overflow 0
		.amdhsa_exception_fp_ieee_underflow 0
		.amdhsa_exception_fp_ieee_inexact 0
		.amdhsa_exception_int_div_zero 0
	.end_amdhsa_kernel
	.section	.text._ZN7rocprim17ROCPRIM_400000_NS6detail17trampoline_kernelINS0_14default_configENS1_20scan_config_selectorIdEEZZNS1_9scan_implILNS1_25lookback_scan_determinismE0ELb0ELb0ES3_PKdPddZZZN2at6native31launch_logcumsumexp_cuda_kernelERKNSB_10TensorBaseESF_lENKUlvE_clEvENKUlvE_clEvEUlddE_dEEDaPvRmT3_T4_T5_mT6_P12ihipStream_tbENKUlT_T0_E_clISt17integral_constantIbLb0EESV_IbLb1EEEEDaSR_SS_EUlSR_E0_NS1_11comp_targetILNS1_3genE0ELNS1_11target_archE4294967295ELNS1_3gpuE0ELNS1_3repE0EEENS1_30default_config_static_selectorELNS0_4arch9wavefront6targetE1EEEvT1_,"axG",@progbits,_ZN7rocprim17ROCPRIM_400000_NS6detail17trampoline_kernelINS0_14default_configENS1_20scan_config_selectorIdEEZZNS1_9scan_implILNS1_25lookback_scan_determinismE0ELb0ELb0ES3_PKdPddZZZN2at6native31launch_logcumsumexp_cuda_kernelERKNSB_10TensorBaseESF_lENKUlvE_clEvENKUlvE_clEvEUlddE_dEEDaPvRmT3_T4_T5_mT6_P12ihipStream_tbENKUlT_T0_E_clISt17integral_constantIbLb0EESV_IbLb1EEEEDaSR_SS_EUlSR_E0_NS1_11comp_targetILNS1_3genE0ELNS1_11target_archE4294967295ELNS1_3gpuE0ELNS1_3repE0EEENS1_30default_config_static_selectorELNS0_4arch9wavefront6targetE1EEEvT1_,comdat
.Lfunc_end75:
	.size	_ZN7rocprim17ROCPRIM_400000_NS6detail17trampoline_kernelINS0_14default_configENS1_20scan_config_selectorIdEEZZNS1_9scan_implILNS1_25lookback_scan_determinismE0ELb0ELb0ES3_PKdPddZZZN2at6native31launch_logcumsumexp_cuda_kernelERKNSB_10TensorBaseESF_lENKUlvE_clEvENKUlvE_clEvEUlddE_dEEDaPvRmT3_T4_T5_mT6_P12ihipStream_tbENKUlT_T0_E_clISt17integral_constantIbLb0EESV_IbLb1EEEEDaSR_SS_EUlSR_E0_NS1_11comp_targetILNS1_3genE0ELNS1_11target_archE4294967295ELNS1_3gpuE0ELNS1_3repE0EEENS1_30default_config_static_selectorELNS0_4arch9wavefront6targetE1EEEvT1_, .Lfunc_end75-_ZN7rocprim17ROCPRIM_400000_NS6detail17trampoline_kernelINS0_14default_configENS1_20scan_config_selectorIdEEZZNS1_9scan_implILNS1_25lookback_scan_determinismE0ELb0ELb0ES3_PKdPddZZZN2at6native31launch_logcumsumexp_cuda_kernelERKNSB_10TensorBaseESF_lENKUlvE_clEvENKUlvE_clEvEUlddE_dEEDaPvRmT3_T4_T5_mT6_P12ihipStream_tbENKUlT_T0_E_clISt17integral_constantIbLb0EESV_IbLb1EEEEDaSR_SS_EUlSR_E0_NS1_11comp_targetILNS1_3genE0ELNS1_11target_archE4294967295ELNS1_3gpuE0ELNS1_3repE0EEENS1_30default_config_static_selectorELNS0_4arch9wavefront6targetE1EEEvT1_
                                        ; -- End function
	.section	.AMDGPU.csdata,"",@progbits
; Kernel info:
; codeLenInByte = 0
; NumSgprs: 4
; NumVgprs: 0
; NumAgprs: 0
; TotalNumVgprs: 0
; ScratchSize: 0
; MemoryBound: 0
; FloatMode: 240
; IeeeMode: 1
; LDSByteSize: 0 bytes/workgroup (compile time only)
; SGPRBlocks: 0
; VGPRBlocks: 0
; NumSGPRsForWavesPerEU: 4
; NumVGPRsForWavesPerEU: 1
; AccumOffset: 4
; Occupancy: 8
; WaveLimiterHint : 0
; COMPUTE_PGM_RSRC2:SCRATCH_EN: 0
; COMPUTE_PGM_RSRC2:USER_SGPR: 6
; COMPUTE_PGM_RSRC2:TRAP_HANDLER: 0
; COMPUTE_PGM_RSRC2:TGID_X_EN: 1
; COMPUTE_PGM_RSRC2:TGID_Y_EN: 0
; COMPUTE_PGM_RSRC2:TGID_Z_EN: 0
; COMPUTE_PGM_RSRC2:TIDIG_COMP_CNT: 0
; COMPUTE_PGM_RSRC3_GFX90A:ACCUM_OFFSET: 0
; COMPUTE_PGM_RSRC3_GFX90A:TG_SPLIT: 0
	.section	.text._ZN7rocprim17ROCPRIM_400000_NS6detail17trampoline_kernelINS0_14default_configENS1_20scan_config_selectorIdEEZZNS1_9scan_implILNS1_25lookback_scan_determinismE0ELb0ELb0ES3_PKdPddZZZN2at6native31launch_logcumsumexp_cuda_kernelERKNSB_10TensorBaseESF_lENKUlvE_clEvENKUlvE_clEvEUlddE_dEEDaPvRmT3_T4_T5_mT6_P12ihipStream_tbENKUlT_T0_E_clISt17integral_constantIbLb0EESV_IbLb1EEEEDaSR_SS_EUlSR_E0_NS1_11comp_targetILNS1_3genE5ELNS1_11target_archE942ELNS1_3gpuE9ELNS1_3repE0EEENS1_30default_config_static_selectorELNS0_4arch9wavefront6targetE1EEEvT1_,"axG",@progbits,_ZN7rocprim17ROCPRIM_400000_NS6detail17trampoline_kernelINS0_14default_configENS1_20scan_config_selectorIdEEZZNS1_9scan_implILNS1_25lookback_scan_determinismE0ELb0ELb0ES3_PKdPddZZZN2at6native31launch_logcumsumexp_cuda_kernelERKNSB_10TensorBaseESF_lENKUlvE_clEvENKUlvE_clEvEUlddE_dEEDaPvRmT3_T4_T5_mT6_P12ihipStream_tbENKUlT_T0_E_clISt17integral_constantIbLb0EESV_IbLb1EEEEDaSR_SS_EUlSR_E0_NS1_11comp_targetILNS1_3genE5ELNS1_11target_archE942ELNS1_3gpuE9ELNS1_3repE0EEENS1_30default_config_static_selectorELNS0_4arch9wavefront6targetE1EEEvT1_,comdat
	.globl	_ZN7rocprim17ROCPRIM_400000_NS6detail17trampoline_kernelINS0_14default_configENS1_20scan_config_selectorIdEEZZNS1_9scan_implILNS1_25lookback_scan_determinismE0ELb0ELb0ES3_PKdPddZZZN2at6native31launch_logcumsumexp_cuda_kernelERKNSB_10TensorBaseESF_lENKUlvE_clEvENKUlvE_clEvEUlddE_dEEDaPvRmT3_T4_T5_mT6_P12ihipStream_tbENKUlT_T0_E_clISt17integral_constantIbLb0EESV_IbLb1EEEEDaSR_SS_EUlSR_E0_NS1_11comp_targetILNS1_3genE5ELNS1_11target_archE942ELNS1_3gpuE9ELNS1_3repE0EEENS1_30default_config_static_selectorELNS0_4arch9wavefront6targetE1EEEvT1_ ; -- Begin function _ZN7rocprim17ROCPRIM_400000_NS6detail17trampoline_kernelINS0_14default_configENS1_20scan_config_selectorIdEEZZNS1_9scan_implILNS1_25lookback_scan_determinismE0ELb0ELb0ES3_PKdPddZZZN2at6native31launch_logcumsumexp_cuda_kernelERKNSB_10TensorBaseESF_lENKUlvE_clEvENKUlvE_clEvEUlddE_dEEDaPvRmT3_T4_T5_mT6_P12ihipStream_tbENKUlT_T0_E_clISt17integral_constantIbLb0EESV_IbLb1EEEEDaSR_SS_EUlSR_E0_NS1_11comp_targetILNS1_3genE5ELNS1_11target_archE942ELNS1_3gpuE9ELNS1_3repE0EEENS1_30default_config_static_selectorELNS0_4arch9wavefront6targetE1EEEvT1_
	.p2align	8
	.type	_ZN7rocprim17ROCPRIM_400000_NS6detail17trampoline_kernelINS0_14default_configENS1_20scan_config_selectorIdEEZZNS1_9scan_implILNS1_25lookback_scan_determinismE0ELb0ELb0ES3_PKdPddZZZN2at6native31launch_logcumsumexp_cuda_kernelERKNSB_10TensorBaseESF_lENKUlvE_clEvENKUlvE_clEvEUlddE_dEEDaPvRmT3_T4_T5_mT6_P12ihipStream_tbENKUlT_T0_E_clISt17integral_constantIbLb0EESV_IbLb1EEEEDaSR_SS_EUlSR_E0_NS1_11comp_targetILNS1_3genE5ELNS1_11target_archE942ELNS1_3gpuE9ELNS1_3repE0EEENS1_30default_config_static_selectorELNS0_4arch9wavefront6targetE1EEEvT1_,@function
_ZN7rocprim17ROCPRIM_400000_NS6detail17trampoline_kernelINS0_14default_configENS1_20scan_config_selectorIdEEZZNS1_9scan_implILNS1_25lookback_scan_determinismE0ELb0ELb0ES3_PKdPddZZZN2at6native31launch_logcumsumexp_cuda_kernelERKNSB_10TensorBaseESF_lENKUlvE_clEvENKUlvE_clEvEUlddE_dEEDaPvRmT3_T4_T5_mT6_P12ihipStream_tbENKUlT_T0_E_clISt17integral_constantIbLb0EESV_IbLb1EEEEDaSR_SS_EUlSR_E0_NS1_11comp_targetILNS1_3genE5ELNS1_11target_archE942ELNS1_3gpuE9ELNS1_3repE0EEENS1_30default_config_static_selectorELNS0_4arch9wavefront6targetE1EEEvT1_: ; @_ZN7rocprim17ROCPRIM_400000_NS6detail17trampoline_kernelINS0_14default_configENS1_20scan_config_selectorIdEEZZNS1_9scan_implILNS1_25lookback_scan_determinismE0ELb0ELb0ES3_PKdPddZZZN2at6native31launch_logcumsumexp_cuda_kernelERKNSB_10TensorBaseESF_lENKUlvE_clEvENKUlvE_clEvEUlddE_dEEDaPvRmT3_T4_T5_mT6_P12ihipStream_tbENKUlT_T0_E_clISt17integral_constantIbLb0EESV_IbLb1EEEEDaSR_SS_EUlSR_E0_NS1_11comp_targetILNS1_3genE5ELNS1_11target_archE942ELNS1_3gpuE9ELNS1_3repE0EEENS1_30default_config_static_selectorELNS0_4arch9wavefront6targetE1EEEvT1_
; %bb.0:
	.section	.rodata,"a",@progbits
	.p2align	6, 0x0
	.amdhsa_kernel _ZN7rocprim17ROCPRIM_400000_NS6detail17trampoline_kernelINS0_14default_configENS1_20scan_config_selectorIdEEZZNS1_9scan_implILNS1_25lookback_scan_determinismE0ELb0ELb0ES3_PKdPddZZZN2at6native31launch_logcumsumexp_cuda_kernelERKNSB_10TensorBaseESF_lENKUlvE_clEvENKUlvE_clEvEUlddE_dEEDaPvRmT3_T4_T5_mT6_P12ihipStream_tbENKUlT_T0_E_clISt17integral_constantIbLb0EESV_IbLb1EEEEDaSR_SS_EUlSR_E0_NS1_11comp_targetILNS1_3genE5ELNS1_11target_archE942ELNS1_3gpuE9ELNS1_3repE0EEENS1_30default_config_static_selectorELNS0_4arch9wavefront6targetE1EEEvT1_
		.amdhsa_group_segment_fixed_size 0
		.amdhsa_private_segment_fixed_size 0
		.amdhsa_kernarg_size 40
		.amdhsa_user_sgpr_count 6
		.amdhsa_user_sgpr_private_segment_buffer 1
		.amdhsa_user_sgpr_dispatch_ptr 0
		.amdhsa_user_sgpr_queue_ptr 0
		.amdhsa_user_sgpr_kernarg_segment_ptr 1
		.amdhsa_user_sgpr_dispatch_id 0
		.amdhsa_user_sgpr_flat_scratch_init 0
		.amdhsa_user_sgpr_kernarg_preload_length 0
		.amdhsa_user_sgpr_kernarg_preload_offset 0
		.amdhsa_user_sgpr_private_segment_size 0
		.amdhsa_uses_dynamic_stack 0
		.amdhsa_system_sgpr_private_segment_wavefront_offset 0
		.amdhsa_system_sgpr_workgroup_id_x 1
		.amdhsa_system_sgpr_workgroup_id_y 0
		.amdhsa_system_sgpr_workgroup_id_z 0
		.amdhsa_system_sgpr_workgroup_info 0
		.amdhsa_system_vgpr_workitem_id 0
		.amdhsa_next_free_vgpr 1
		.amdhsa_next_free_sgpr 0
		.amdhsa_accum_offset 4
		.amdhsa_reserve_vcc 0
		.amdhsa_reserve_flat_scratch 0
		.amdhsa_float_round_mode_32 0
		.amdhsa_float_round_mode_16_64 0
		.amdhsa_float_denorm_mode_32 3
		.amdhsa_float_denorm_mode_16_64 3
		.amdhsa_dx10_clamp 1
		.amdhsa_ieee_mode 1
		.amdhsa_fp16_overflow 0
		.amdhsa_tg_split 0
		.amdhsa_exception_fp_ieee_invalid_op 0
		.amdhsa_exception_fp_denorm_src 0
		.amdhsa_exception_fp_ieee_div_zero 0
		.amdhsa_exception_fp_ieee_overflow 0
		.amdhsa_exception_fp_ieee_underflow 0
		.amdhsa_exception_fp_ieee_inexact 0
		.amdhsa_exception_int_div_zero 0
	.end_amdhsa_kernel
	.section	.text._ZN7rocprim17ROCPRIM_400000_NS6detail17trampoline_kernelINS0_14default_configENS1_20scan_config_selectorIdEEZZNS1_9scan_implILNS1_25lookback_scan_determinismE0ELb0ELb0ES3_PKdPddZZZN2at6native31launch_logcumsumexp_cuda_kernelERKNSB_10TensorBaseESF_lENKUlvE_clEvENKUlvE_clEvEUlddE_dEEDaPvRmT3_T4_T5_mT6_P12ihipStream_tbENKUlT_T0_E_clISt17integral_constantIbLb0EESV_IbLb1EEEEDaSR_SS_EUlSR_E0_NS1_11comp_targetILNS1_3genE5ELNS1_11target_archE942ELNS1_3gpuE9ELNS1_3repE0EEENS1_30default_config_static_selectorELNS0_4arch9wavefront6targetE1EEEvT1_,"axG",@progbits,_ZN7rocprim17ROCPRIM_400000_NS6detail17trampoline_kernelINS0_14default_configENS1_20scan_config_selectorIdEEZZNS1_9scan_implILNS1_25lookback_scan_determinismE0ELb0ELb0ES3_PKdPddZZZN2at6native31launch_logcumsumexp_cuda_kernelERKNSB_10TensorBaseESF_lENKUlvE_clEvENKUlvE_clEvEUlddE_dEEDaPvRmT3_T4_T5_mT6_P12ihipStream_tbENKUlT_T0_E_clISt17integral_constantIbLb0EESV_IbLb1EEEEDaSR_SS_EUlSR_E0_NS1_11comp_targetILNS1_3genE5ELNS1_11target_archE942ELNS1_3gpuE9ELNS1_3repE0EEENS1_30default_config_static_selectorELNS0_4arch9wavefront6targetE1EEEvT1_,comdat
.Lfunc_end76:
	.size	_ZN7rocprim17ROCPRIM_400000_NS6detail17trampoline_kernelINS0_14default_configENS1_20scan_config_selectorIdEEZZNS1_9scan_implILNS1_25lookback_scan_determinismE0ELb0ELb0ES3_PKdPddZZZN2at6native31launch_logcumsumexp_cuda_kernelERKNSB_10TensorBaseESF_lENKUlvE_clEvENKUlvE_clEvEUlddE_dEEDaPvRmT3_T4_T5_mT6_P12ihipStream_tbENKUlT_T0_E_clISt17integral_constantIbLb0EESV_IbLb1EEEEDaSR_SS_EUlSR_E0_NS1_11comp_targetILNS1_3genE5ELNS1_11target_archE942ELNS1_3gpuE9ELNS1_3repE0EEENS1_30default_config_static_selectorELNS0_4arch9wavefront6targetE1EEEvT1_, .Lfunc_end76-_ZN7rocprim17ROCPRIM_400000_NS6detail17trampoline_kernelINS0_14default_configENS1_20scan_config_selectorIdEEZZNS1_9scan_implILNS1_25lookback_scan_determinismE0ELb0ELb0ES3_PKdPddZZZN2at6native31launch_logcumsumexp_cuda_kernelERKNSB_10TensorBaseESF_lENKUlvE_clEvENKUlvE_clEvEUlddE_dEEDaPvRmT3_T4_T5_mT6_P12ihipStream_tbENKUlT_T0_E_clISt17integral_constantIbLb0EESV_IbLb1EEEEDaSR_SS_EUlSR_E0_NS1_11comp_targetILNS1_3genE5ELNS1_11target_archE942ELNS1_3gpuE9ELNS1_3repE0EEENS1_30default_config_static_selectorELNS0_4arch9wavefront6targetE1EEEvT1_
                                        ; -- End function
	.section	.AMDGPU.csdata,"",@progbits
; Kernel info:
; codeLenInByte = 0
; NumSgprs: 4
; NumVgprs: 0
; NumAgprs: 0
; TotalNumVgprs: 0
; ScratchSize: 0
; MemoryBound: 0
; FloatMode: 240
; IeeeMode: 1
; LDSByteSize: 0 bytes/workgroup (compile time only)
; SGPRBlocks: 0
; VGPRBlocks: 0
; NumSGPRsForWavesPerEU: 4
; NumVGPRsForWavesPerEU: 1
; AccumOffset: 4
; Occupancy: 8
; WaveLimiterHint : 0
; COMPUTE_PGM_RSRC2:SCRATCH_EN: 0
; COMPUTE_PGM_RSRC2:USER_SGPR: 6
; COMPUTE_PGM_RSRC2:TRAP_HANDLER: 0
; COMPUTE_PGM_RSRC2:TGID_X_EN: 1
; COMPUTE_PGM_RSRC2:TGID_Y_EN: 0
; COMPUTE_PGM_RSRC2:TGID_Z_EN: 0
; COMPUTE_PGM_RSRC2:TIDIG_COMP_CNT: 0
; COMPUTE_PGM_RSRC3_GFX90A:ACCUM_OFFSET: 0
; COMPUTE_PGM_RSRC3_GFX90A:TG_SPLIT: 0
	.section	.text._ZN7rocprim17ROCPRIM_400000_NS6detail17trampoline_kernelINS0_14default_configENS1_20scan_config_selectorIdEEZZNS1_9scan_implILNS1_25lookback_scan_determinismE0ELb0ELb0ES3_PKdPddZZZN2at6native31launch_logcumsumexp_cuda_kernelERKNSB_10TensorBaseESF_lENKUlvE_clEvENKUlvE_clEvEUlddE_dEEDaPvRmT3_T4_T5_mT6_P12ihipStream_tbENKUlT_T0_E_clISt17integral_constantIbLb0EESV_IbLb1EEEEDaSR_SS_EUlSR_E0_NS1_11comp_targetILNS1_3genE4ELNS1_11target_archE910ELNS1_3gpuE8ELNS1_3repE0EEENS1_30default_config_static_selectorELNS0_4arch9wavefront6targetE1EEEvT1_,"axG",@progbits,_ZN7rocprim17ROCPRIM_400000_NS6detail17trampoline_kernelINS0_14default_configENS1_20scan_config_selectorIdEEZZNS1_9scan_implILNS1_25lookback_scan_determinismE0ELb0ELb0ES3_PKdPddZZZN2at6native31launch_logcumsumexp_cuda_kernelERKNSB_10TensorBaseESF_lENKUlvE_clEvENKUlvE_clEvEUlddE_dEEDaPvRmT3_T4_T5_mT6_P12ihipStream_tbENKUlT_T0_E_clISt17integral_constantIbLb0EESV_IbLb1EEEEDaSR_SS_EUlSR_E0_NS1_11comp_targetILNS1_3genE4ELNS1_11target_archE910ELNS1_3gpuE8ELNS1_3repE0EEENS1_30default_config_static_selectorELNS0_4arch9wavefront6targetE1EEEvT1_,comdat
	.globl	_ZN7rocprim17ROCPRIM_400000_NS6detail17trampoline_kernelINS0_14default_configENS1_20scan_config_selectorIdEEZZNS1_9scan_implILNS1_25lookback_scan_determinismE0ELb0ELb0ES3_PKdPddZZZN2at6native31launch_logcumsumexp_cuda_kernelERKNSB_10TensorBaseESF_lENKUlvE_clEvENKUlvE_clEvEUlddE_dEEDaPvRmT3_T4_T5_mT6_P12ihipStream_tbENKUlT_T0_E_clISt17integral_constantIbLb0EESV_IbLb1EEEEDaSR_SS_EUlSR_E0_NS1_11comp_targetILNS1_3genE4ELNS1_11target_archE910ELNS1_3gpuE8ELNS1_3repE0EEENS1_30default_config_static_selectorELNS0_4arch9wavefront6targetE1EEEvT1_ ; -- Begin function _ZN7rocprim17ROCPRIM_400000_NS6detail17trampoline_kernelINS0_14default_configENS1_20scan_config_selectorIdEEZZNS1_9scan_implILNS1_25lookback_scan_determinismE0ELb0ELb0ES3_PKdPddZZZN2at6native31launch_logcumsumexp_cuda_kernelERKNSB_10TensorBaseESF_lENKUlvE_clEvENKUlvE_clEvEUlddE_dEEDaPvRmT3_T4_T5_mT6_P12ihipStream_tbENKUlT_T0_E_clISt17integral_constantIbLb0EESV_IbLb1EEEEDaSR_SS_EUlSR_E0_NS1_11comp_targetILNS1_3genE4ELNS1_11target_archE910ELNS1_3gpuE8ELNS1_3repE0EEENS1_30default_config_static_selectorELNS0_4arch9wavefront6targetE1EEEvT1_
	.p2align	8
	.type	_ZN7rocprim17ROCPRIM_400000_NS6detail17trampoline_kernelINS0_14default_configENS1_20scan_config_selectorIdEEZZNS1_9scan_implILNS1_25lookback_scan_determinismE0ELb0ELb0ES3_PKdPddZZZN2at6native31launch_logcumsumexp_cuda_kernelERKNSB_10TensorBaseESF_lENKUlvE_clEvENKUlvE_clEvEUlddE_dEEDaPvRmT3_T4_T5_mT6_P12ihipStream_tbENKUlT_T0_E_clISt17integral_constantIbLb0EESV_IbLb1EEEEDaSR_SS_EUlSR_E0_NS1_11comp_targetILNS1_3genE4ELNS1_11target_archE910ELNS1_3gpuE8ELNS1_3repE0EEENS1_30default_config_static_selectorELNS0_4arch9wavefront6targetE1EEEvT1_,@function
_ZN7rocprim17ROCPRIM_400000_NS6detail17trampoline_kernelINS0_14default_configENS1_20scan_config_selectorIdEEZZNS1_9scan_implILNS1_25lookback_scan_determinismE0ELb0ELb0ES3_PKdPddZZZN2at6native31launch_logcumsumexp_cuda_kernelERKNSB_10TensorBaseESF_lENKUlvE_clEvENKUlvE_clEvEUlddE_dEEDaPvRmT3_T4_T5_mT6_P12ihipStream_tbENKUlT_T0_E_clISt17integral_constantIbLb0EESV_IbLb1EEEEDaSR_SS_EUlSR_E0_NS1_11comp_targetILNS1_3genE4ELNS1_11target_archE910ELNS1_3gpuE8ELNS1_3repE0EEENS1_30default_config_static_selectorELNS0_4arch9wavefront6targetE1EEEvT1_: ; @_ZN7rocprim17ROCPRIM_400000_NS6detail17trampoline_kernelINS0_14default_configENS1_20scan_config_selectorIdEEZZNS1_9scan_implILNS1_25lookback_scan_determinismE0ELb0ELb0ES3_PKdPddZZZN2at6native31launch_logcumsumexp_cuda_kernelERKNSB_10TensorBaseESF_lENKUlvE_clEvENKUlvE_clEvEUlddE_dEEDaPvRmT3_T4_T5_mT6_P12ihipStream_tbENKUlT_T0_E_clISt17integral_constantIbLb0EESV_IbLb1EEEEDaSR_SS_EUlSR_E0_NS1_11comp_targetILNS1_3genE4ELNS1_11target_archE910ELNS1_3gpuE8ELNS1_3repE0EEENS1_30default_config_static_selectorELNS0_4arch9wavefront6targetE1EEEvT1_
; %bb.0:
	s_load_dwordx4 s[20:23], s[4:5], 0x0
	v_lshlrev_b32_e32 v54, 3, v0
	s_waitcnt lgkmcnt(0)
	s_load_dwordx2 s[18:19], s[20:21], 0x0
	v_cmp_gt_u32_e32 vcc, s22, v0
	s_waitcnt lgkmcnt(0)
	v_pk_mov_b32 v[2:3], s[18:19], s[18:19] op_sel:[0,1]
	s_and_saveexec_b64 s[0:1], vcc
	s_cbranch_execz .LBB77_2
; %bb.1:
	global_load_dwordx2 v[2:3], v54, s[20:21]
.LBB77_2:
	s_or_b64 exec, exec, s[0:1]
	v_or_b32_e32 v1, 0x80, v0
	v_cmp_gt_u32_e64 s[0:1], s22, v1
	v_pk_mov_b32 v[4:5], s[18:19], s[18:19] op_sel:[0,1]
	s_and_saveexec_b64 s[2:3], s[0:1]
	s_cbranch_execz .LBB77_4
; %bb.3:
	global_load_dwordx2 v[4:5], v54, s[20:21] offset:1024
.LBB77_4:
	s_or_b64 exec, exec, s[2:3]
	v_or_b32_e32 v1, 0x100, v0
	v_cmp_gt_u32_e64 s[2:3], s22, v1
	v_pk_mov_b32 v[6:7], s[18:19], s[18:19] op_sel:[0,1]
	s_and_saveexec_b64 s[6:7], s[2:3]
	s_cbranch_execz .LBB77_6
; %bb.5:
	global_load_dwordx2 v[6:7], v54, s[20:21] offset:2048
.LBB77_6:
	;; [unrolled: 9-line block ×3, first 2 shown]
	s_or_b64 exec, exec, s[6:7]
	v_or_b32_e32 v1, 0x200, v0
	v_cmp_gt_u32_e64 s[6:7], s22, v1
	v_pk_mov_b32 v[10:11], s[18:19], s[18:19] op_sel:[0,1]
	s_and_saveexec_b64 s[8:9], s[6:7]
	s_cbranch_execz .LBB77_10
; %bb.9:
	v_lshlrev_b32_e32 v1, 3, v1
	global_load_dwordx2 v[10:11], v1, s[20:21]
.LBB77_10:
	s_or_b64 exec, exec, s[8:9]
	v_or_b32_e32 v1, 0x280, v0
	v_cmp_gt_u32_e64 s[8:9], s22, v1
	v_pk_mov_b32 v[12:13], s[18:19], s[18:19] op_sel:[0,1]
	s_and_saveexec_b64 s[10:11], s[8:9]
	s_cbranch_execz .LBB77_12
; %bb.11:
	v_lshlrev_b32_e32 v1, 3, v1
	global_load_dwordx2 v[12:13], v1, s[20:21]
.LBB77_12:
	;; [unrolled: 10-line block ×6, first 2 shown]
	s_or_b64 exec, exec, s[18:19]
	s_movk_i32 s18, 0x48
	v_mad_u32_u24 v1, v0, s18, v54
	s_waitcnt vmcnt(0)
	ds_write2st64_b64 v54, v[2:3], v[4:5] offset1:2
	ds_write2st64_b64 v54, v[6:7], v[8:9] offset0:4 offset1:6
	ds_write2st64_b64 v54, v[10:11], v[12:13] offset0:8 offset1:10
	;; [unrolled: 1-line block ×4, first 2 shown]
	s_waitcnt lgkmcnt(0)
	s_barrier
	ds_read_b128 v[2:5], v1
	ds_read_b128 v[18:21], v1 offset:16
	ds_read_b128 v[14:17], v1 offset:32
	;; [unrolled: 1-line block ×4, first 2 shown]
	s_waitcnt lgkmcnt(4)
	v_max_f64 v[26:27], v[4:5], v[4:5]
	v_max_f64 v[40:41], v[2:3], v[2:3]
	v_min_f64 v[42:43], v[40:41], v[26:27]
	v_cmp_u_f64_e64 s[38:39], v[2:3], v[2:3]
	v_cndmask_b32_e64 v1, v42, v2, s[38:39]
	v_cndmask_b32_e64 v22, v43, v3, s[38:39]
	v_cmp_u_f64_e64 s[18:19], v[4:5], v[4:5]
	v_max_f64 v[44:45], v[40:41], v[26:27]
	v_cndmask_b32_e64 v25, v22, v5, s[18:19]
	v_cndmask_b32_e64 v24, v1, v4, s[18:19]
	;; [unrolled: 1-line block ×6, first 2 shown]
	s_movk_i32 s30, 0x1f8
	v_cmp_neq_f64_e64 s[20:21], v[24:25], v[22:23]
	v_cmp_class_f64_e64 s[22:23], v[24:25], s30
	s_or_b64 s[20:21], s[20:21], s[22:23]
	v_pk_mov_b32 v[46:47], v[2:3], v[2:3] op_sel:[0,1]
	s_waitcnt lgkmcnt(0)
	s_barrier
	s_and_saveexec_b64 s[24:25], s[20:21]
	s_cbranch_execz .LBB77_22
; %bb.21:
	s_mov_b32 s20, 0x652b82fe
	v_add_f64 v[24:25], v[24:25], -v[22:23]
	s_mov_b32 s21, 0x3ff71547
	v_mul_f64 v[28:29], v[24:25], s[20:21]
	v_rndne_f64_e32 v[28:29], v[28:29]
	s_mov_b32 s27, 0xbfe62e42
	s_mov_b32 s26, 0xfefa39ef
	v_fma_f64 v[30:31], s[26:27], v[28:29], v[24:25]
	s_mov_b32 s29, 0xbc7abc9e
	s_mov_b32 s28, 0x3b39803f
	;; [unrolled: 1-line block ×3, first 2 shown]
	v_fmac_f64_e32 v[30:31], s[28:29], v[28:29]
	v_mov_b32_e32 v32, 0xfca7ab0c
	v_mov_b32_e32 v33, 0x3e928af3
	s_mov_b32 s21, 0x3e5ade15
	v_fmac_f64_e32 v[32:33], s[20:21], v[30:31]
	v_mov_b32_e32 v34, 0x623fde64
	v_mov_b32_e32 v35, 0x3ec71dee
	v_fmac_f64_e32 v[34:35], v[30:31], v[32:33]
	v_mov_b32_e32 v32, 0x7c89e6b0
	v_mov_b32_e32 v33, 0x3efa0199
	;; [unrolled: 3-line block ×8, first 2 shown]
	v_fmac_f64_e32 v[32:33], v[30:31], v[34:35]
	v_fma_f64 v[32:33], v[30:31], v[32:33], 1.0
	s_mov_b32 s20, 0
	s_mov_b32 s22, 0
	v_fma_f64 v[30:31], v[30:31], v[32:33], 1.0
	v_cvt_i32_f64_e32 v1, v[28:29]
	s_mov_b32 s21, 0x40900000
	s_mov_b32 s23, 0xc090cc00
	v_ldexp_f64 v[28:29], v[30:31], v1
	v_mov_b32_e32 v1, 0x7ff00000
	v_cmp_nlt_f64_e64 s[20:21], s[20:21], v[24:25]
	v_cmp_ngt_f64_e64 s[22:23], s[22:23], v[24:25]
	v_cndmask_b32_e64 v1, v1, v29, s[20:21]
	s_and_b64 s[20:21], s[22:23], s[20:21]
	v_cndmask_b32_e64 v25, 0, v1, s[22:23]
	v_cndmask_b32_e64 v24, 0, v28, s[20:21]
	v_add_f64 v[28:29], v[24:25], 1.0
	v_add_f64 v[30:31], v[28:29], -1.0
	v_add_f64 v[32:33], v[30:31], -v[28:29]
	v_add_f64 v[32:33], v[32:33], 1.0
	v_add_f64 v[30:31], v[24:25], -v[30:31]
	s_mov_b32 s20, 0x55555555
	v_add_f64 v[30:31], v[30:31], v[32:33]
	v_frexp_mant_f64_e32 v[32:33], v[28:29]
	s_mov_b32 s21, 0x3fe55555
	v_frexp_exp_i32_f64_e32 v1, v[28:29]
	v_cmp_gt_f64_e64 s[20:21], s[20:21], v[32:33]
	v_subbrev_co_u32_e64 v1, s[20:21], 0, v1, s[20:21]
	v_sub_u32_e32 v32, 0, v1
	v_ldexp_f64 v[28:29], v[28:29], v32
	v_ldexp_f64 v[30:31], v[30:31], v32
	v_add_f64 v[32:33], v[28:29], -1.0
	v_add_f64 v[38:39], v[28:29], 1.0
	v_add_f64 v[34:35], v[32:33], 1.0
	v_add_f64 v[46:47], v[38:39], -1.0
	v_add_f64 v[34:35], v[28:29], -v[34:35]
	v_add_f64 v[28:29], v[28:29], -v[46:47]
	v_add_f64 v[28:29], v[30:31], v[28:29]
	v_add_f64 v[34:35], v[30:31], v[34:35]
	;; [unrolled: 1-line block ×3, first 2 shown]
	v_rcp_f64_e32 v[46:47], v[30:31]
	v_add_f64 v[36:37], v[32:33], v[34:35]
	v_add_f64 v[32:33], v[36:37], -v[32:33]
	v_add_f64 v[32:33], v[34:35], -v[32:33]
	;; [unrolled: 1-line block ×4, first 2 shown]
	v_fma_f64 v[34:35], -v[30:31], v[46:47], 1.0
	v_fmac_f64_e32 v[46:47], v[34:35], v[46:47]
	v_fma_f64 v[34:35], -v[30:31], v[46:47], 1.0
	v_fmac_f64_e32 v[46:47], v[34:35], v[46:47]
	v_mul_f64 v[34:35], v[36:37], v[46:47]
	v_mul_f64 v[38:39], v[30:31], v[34:35]
	v_fma_f64 v[48:49], v[34:35], v[30:31], -v[38:39]
	v_fmac_f64_e32 v[48:49], v[34:35], v[28:29]
	v_add_f64 v[50:51], v[38:39], v[48:49]
	v_add_f64 v[52:53], v[36:37], -v[50:51]
	v_add_f64 v[36:37], v[36:37], -v[52:53]
	;; [unrolled: 1-line block ×4, first 2 shown]
	v_add_f64 v[32:33], v[32:33], v[36:37]
	v_add_f64 v[36:37], v[38:39], -v[48:49]
	v_add_f64 v[32:33], v[36:37], v[32:33]
	v_add_f64 v[36:37], v[52:53], v[32:33]
	v_add_f64 v[38:39], v[52:53], -v[36:37]
	v_add_f64 v[32:33], v[32:33], v[38:39]
	v_mul_f64 v[38:39], v[46:47], v[36:37]
	v_mul_f64 v[48:49], v[30:31], v[38:39]
	v_fma_f64 v[30:31], v[38:39], v[30:31], -v[48:49]
	v_fmac_f64_e32 v[30:31], v[38:39], v[28:29]
	v_add_f64 v[28:29], v[48:49], v[30:31]
	v_add_f64 v[50:51], v[36:37], -v[28:29]
	v_add_f64 v[36:37], v[36:37], -v[50:51]
	;; [unrolled: 1-line block ×4, first 2 shown]
	v_add_f64 v[28:29], v[32:33], v[28:29]
	v_add_f64 v[30:31], v[48:49], -v[30:31]
	v_add_f64 v[28:29], v[30:31], v[28:29]
	v_add_f64 v[30:31], v[34:35], v[38:39]
	;; [unrolled: 1-line block ×3, first 2 shown]
	v_add_f64 v[32:33], v[30:31], -v[34:35]
	v_mul_f64 v[28:29], v[46:47], v[28:29]
	v_add_f64 v[32:33], v[38:39], -v[32:33]
	v_add_f64 v[28:29], v[32:33], v[28:29]
	v_add_f64 v[32:33], v[30:31], v[28:29]
	v_add_f64 v[30:31], v[32:33], -v[30:31]
	s_mov_b32 s20, 0xbf559e2b
	v_add_f64 v[28:29], v[28:29], -v[30:31]
	v_mul_f64 v[30:31], v[32:33], v[32:33]
	v_mov_b32_e32 v34, 0x6b47b09a
	v_mov_b32_e32 v35, 0x3fc38538
	s_mov_b32 s21, 0x3fc3ab76
	v_fmac_f64_e32 v[34:35], s[20:21], v[30:31]
	v_mov_b32_e32 v36, 0xd7f4df2e
	v_mov_b32_e32 v37, 0x3fc7474d
	v_fmac_f64_e32 v[36:37], v[30:31], v[34:35]
	v_mov_b32_e32 v34, 0x16291751
	v_mov_b32_e32 v35, 0x3fcc71c0
	;; [unrolled: 3-line block ×5, first 2 shown]
	v_fmac_f64_e32 v[36:37], v[30:31], v[34:35]
	v_cvt_f64_i32_e32 v[34:35], v1
	s_mov_b32 s27, 0x3fe62e42
	v_mul_f64 v[38:39], v[34:35], s[26:27]
	v_fma_f64 v[46:47], v[34:35], s[26:27], -v[38:39]
	s_mov_b32 s29, 0x3c7abc9e
	v_fmac_f64_e32 v[46:47], s[28:29], v[34:35]
	v_add_f64 v[34:35], v[38:39], v[46:47]
	v_add_f64 v[38:39], v[34:35], -v[38:39]
	v_mul_f64 v[30:31], v[32:33], v[30:31]
	v_add_f64 v[38:39], v[46:47], -v[38:39]
	v_ldexp_f64 v[46:47], v[32:33], 1
	v_mul_f64 v[30:31], v[30:31], v[36:37]
	v_add_f64 v[32:33], v[46:47], v[30:31]
	v_add_f64 v[36:37], v[32:33], -v[46:47]
	v_ldexp_f64 v[28:29], v[28:29], 1
	v_add_f64 v[30:31], v[30:31], -v[36:37]
	v_add_f64 v[28:29], v[28:29], v[30:31]
	v_add_f64 v[30:31], v[32:33], v[28:29]
	v_add_f64 v[32:33], v[30:31], -v[32:33]
	v_add_f64 v[28:29], v[28:29], -v[32:33]
	v_add_f64 v[32:33], v[34:35], v[30:31]
	v_add_f64 v[36:37], v[32:33], -v[34:35]
	v_add_f64 v[46:47], v[32:33], -v[36:37]
	;; [unrolled: 1-line block ×4, first 2 shown]
	v_add_f64 v[30:31], v[30:31], v[34:35]
	v_add_f64 v[34:35], v[38:39], v[28:29]
	v_add_f64 v[36:37], v[34:35], -v[38:39]
	v_add_f64 v[30:31], v[34:35], v[30:31]
	v_add_f64 v[46:47], v[34:35], -v[36:37]
	;; [unrolled: 2-line block ×3, first 2 shown]
	v_add_f64 v[28:29], v[28:29], -v[36:37]
	v_add_f64 v[32:33], v[34:35], -v[32:33]
	v_add_f64 v[28:29], v[28:29], v[38:39]
	v_add_f64 v[30:31], v[30:31], -v[32:33]
	s_mov_b32 s20, 0
	v_add_f64 v[28:29], v[28:29], v[30:31]
	s_mov_b32 s21, 0x7ff00000
	v_add_f64 v[28:29], v[34:35], v[28:29]
	v_cmp_eq_f64_e64 s[20:21], s[20:21], v[24:25]
	v_cndmask_b32_e64 v1, v28, v24, s[20:21]
	v_cndmask_b32_e64 v28, v29, v25, s[20:21]
	v_mov_b32_e32 v29, 0x7ff80000
	v_cmp_ngt_f64_e64 s[20:21], -1.0, v[24:25]
	v_cndmask_b32_e64 v29, v29, v28, s[20:21]
	v_cmp_nge_f64_e64 s[20:21], -1.0, v[24:25]
	v_cndmask_b32_e64 v28, 0, v1, s[20:21]
	v_mov_b32_e32 v1, 0xfff00000
	v_cmp_neq_f64_e64 s[20:21], -1.0, v[24:25]
	v_cndmask_b32_e64 v29, v1, v29, s[20:21]
	v_add_f64 v[46:47], v[22:23], v[28:29]
.LBB77_22:
	s_or_b64 exec, exec, s[24:25]
	v_max_f64 v[22:23], v[18:19], v[18:19]
	v_max_f64 v[24:25], v[46:47], v[46:47]
	v_min_f64 v[28:29], v[24:25], v[22:23]
	v_cmp_u_f64_e64 s[22:23], v[46:47], v[46:47]
	v_cndmask_b32_e64 v1, v28, v46, s[22:23]
	v_cndmask_b32_e64 v28, v29, v47, s[22:23]
	v_cmp_u_f64_e64 s[20:21], v[18:19], v[18:19]
	v_max_f64 v[24:25], v[24:25], v[22:23]
	v_cndmask_b32_e64 v29, v28, v19, s[20:21]
	v_cndmask_b32_e64 v28, v1, v18, s[20:21]
	v_cndmask_b32_e64 v1, v24, v46, s[22:23]
	v_cndmask_b32_e64 v24, v25, v47, s[22:23]
	v_cndmask_b32_e64 v25, v24, v19, s[20:21]
	v_cndmask_b32_e64 v24, v1, v18, s[20:21]
	v_cmp_neq_f64_e64 s[22:23], v[28:29], v[24:25]
	v_cmp_class_f64_e64 s[24:25], v[28:29], s30
	s_or_b64 s[22:23], s[22:23], s[24:25]
	s_and_saveexec_b64 s[26:27], s[22:23]
	s_cbranch_execz .LBB77_24
; %bb.23:
	s_mov_b32 s22, 0x652b82fe
	v_add_f64 v[28:29], v[28:29], -v[24:25]
	s_mov_b32 s23, 0x3ff71547
	v_mul_f64 v[30:31], v[28:29], s[22:23]
	v_rndne_f64_e32 v[30:31], v[30:31]
	s_mov_b32 s29, 0xbfe62e42
	s_mov_b32 s28, 0xfefa39ef
	v_fma_f64 v[32:33], s[28:29], v[30:31], v[28:29]
	s_mov_b32 s31, 0xbc7abc9e
	s_mov_b32 s30, 0x3b39803f
	;; [unrolled: 1-line block ×3, first 2 shown]
	v_fmac_f64_e32 v[32:33], s[30:31], v[30:31]
	v_mov_b32_e32 v34, 0xfca7ab0c
	v_mov_b32_e32 v35, 0x3e928af3
	s_mov_b32 s23, 0x3e5ade15
	v_fmac_f64_e32 v[34:35], s[22:23], v[32:33]
	v_mov_b32_e32 v36, 0x623fde64
	v_mov_b32_e32 v37, 0x3ec71dee
	v_fmac_f64_e32 v[36:37], v[32:33], v[34:35]
	v_mov_b32_e32 v34, 0x7c89e6b0
	v_mov_b32_e32 v35, 0x3efa0199
	;; [unrolled: 3-line block ×8, first 2 shown]
	v_fmac_f64_e32 v[34:35], v[32:33], v[36:37]
	v_fma_f64 v[34:35], v[32:33], v[34:35], 1.0
	s_mov_b32 s22, 0
	s_mov_b32 s24, 0
	v_fma_f64 v[32:33], v[32:33], v[34:35], 1.0
	v_cvt_i32_f64_e32 v1, v[30:31]
	s_mov_b32 s23, 0x40900000
	s_mov_b32 s25, 0xc090cc00
	v_ldexp_f64 v[30:31], v[32:33], v1
	v_mov_b32_e32 v1, 0x7ff00000
	v_cmp_nlt_f64_e64 s[22:23], s[22:23], v[28:29]
	v_cmp_ngt_f64_e64 s[24:25], s[24:25], v[28:29]
	v_cndmask_b32_e64 v1, v1, v31, s[22:23]
	s_and_b64 s[22:23], s[24:25], s[22:23]
	v_cndmask_b32_e64 v29, 0, v1, s[24:25]
	v_cndmask_b32_e64 v28, 0, v30, s[22:23]
	v_add_f64 v[30:31], v[28:29], 1.0
	v_add_f64 v[32:33], v[30:31], -1.0
	v_add_f64 v[34:35], v[32:33], -v[30:31]
	v_add_f64 v[34:35], v[34:35], 1.0
	v_add_f64 v[32:33], v[28:29], -v[32:33]
	s_mov_b32 s22, 0x55555555
	v_add_f64 v[32:33], v[32:33], v[34:35]
	v_frexp_mant_f64_e32 v[34:35], v[30:31]
	s_mov_b32 s23, 0x3fe55555
	v_frexp_exp_i32_f64_e32 v1, v[30:31]
	v_cmp_gt_f64_e64 s[22:23], s[22:23], v[34:35]
	v_subbrev_co_u32_e64 v1, s[22:23], 0, v1, s[22:23]
	v_sub_u32_e32 v34, 0, v1
	v_ldexp_f64 v[30:31], v[30:31], v34
	v_ldexp_f64 v[32:33], v[32:33], v34
	v_add_f64 v[34:35], v[30:31], -1.0
	v_add_f64 v[46:47], v[30:31], 1.0
	v_add_f64 v[36:37], v[34:35], 1.0
	v_add_f64 v[48:49], v[46:47], -1.0
	v_add_f64 v[36:37], v[30:31], -v[36:37]
	v_add_f64 v[30:31], v[30:31], -v[48:49]
	v_add_f64 v[30:31], v[32:33], v[30:31]
	v_add_f64 v[36:37], v[32:33], v[36:37]
	;; [unrolled: 1-line block ×3, first 2 shown]
	v_rcp_f64_e32 v[48:49], v[32:33]
	v_add_f64 v[38:39], v[34:35], v[36:37]
	v_add_f64 v[34:35], v[38:39], -v[34:35]
	v_add_f64 v[34:35], v[36:37], -v[34:35]
	;; [unrolled: 1-line block ×4, first 2 shown]
	v_fma_f64 v[36:37], -v[32:33], v[48:49], 1.0
	v_fmac_f64_e32 v[48:49], v[36:37], v[48:49]
	v_fma_f64 v[36:37], -v[32:33], v[48:49], 1.0
	v_fmac_f64_e32 v[48:49], v[36:37], v[48:49]
	v_mul_f64 v[36:37], v[38:39], v[48:49]
	v_mul_f64 v[46:47], v[32:33], v[36:37]
	v_fma_f64 v[50:51], v[36:37], v[32:33], -v[46:47]
	v_fmac_f64_e32 v[50:51], v[36:37], v[30:31]
	v_add_f64 v[52:53], v[46:47], v[50:51]
	v_add_f64 v[56:57], v[38:39], -v[52:53]
	v_add_f64 v[38:39], v[38:39], -v[56:57]
	;; [unrolled: 1-line block ×4, first 2 shown]
	v_add_f64 v[34:35], v[34:35], v[38:39]
	v_add_f64 v[38:39], v[46:47], -v[50:51]
	v_add_f64 v[34:35], v[38:39], v[34:35]
	v_add_f64 v[38:39], v[56:57], v[34:35]
	v_add_f64 v[46:47], v[56:57], -v[38:39]
	v_add_f64 v[34:35], v[34:35], v[46:47]
	v_mul_f64 v[46:47], v[48:49], v[38:39]
	v_mul_f64 v[50:51], v[32:33], v[46:47]
	v_fma_f64 v[32:33], v[46:47], v[32:33], -v[50:51]
	v_fmac_f64_e32 v[32:33], v[46:47], v[30:31]
	v_add_f64 v[30:31], v[50:51], v[32:33]
	v_add_f64 v[52:53], v[38:39], -v[30:31]
	v_add_f64 v[38:39], v[38:39], -v[52:53]
	;; [unrolled: 1-line block ×4, first 2 shown]
	v_add_f64 v[30:31], v[34:35], v[30:31]
	v_add_f64 v[32:33], v[50:51], -v[32:33]
	v_add_f64 v[30:31], v[32:33], v[30:31]
	v_add_f64 v[32:33], v[36:37], v[46:47]
	;; [unrolled: 1-line block ×3, first 2 shown]
	v_add_f64 v[34:35], v[32:33], -v[36:37]
	v_mul_f64 v[30:31], v[48:49], v[30:31]
	v_add_f64 v[34:35], v[46:47], -v[34:35]
	v_add_f64 v[30:31], v[34:35], v[30:31]
	v_add_f64 v[34:35], v[32:33], v[30:31]
	v_add_f64 v[32:33], v[34:35], -v[32:33]
	s_mov_b32 s22, 0xbf559e2b
	v_add_f64 v[30:31], v[30:31], -v[32:33]
	v_mul_f64 v[32:33], v[34:35], v[34:35]
	v_mov_b32_e32 v36, 0x6b47b09a
	v_mov_b32_e32 v37, 0x3fc38538
	s_mov_b32 s23, 0x3fc3ab76
	v_fmac_f64_e32 v[36:37], s[22:23], v[32:33]
	v_mov_b32_e32 v38, 0xd7f4df2e
	v_mov_b32_e32 v39, 0x3fc7474d
	v_fmac_f64_e32 v[38:39], v[32:33], v[36:37]
	v_mov_b32_e32 v36, 0x16291751
	v_mov_b32_e32 v37, 0x3fcc71c0
	;; [unrolled: 3-line block ×5, first 2 shown]
	v_fmac_f64_e32 v[38:39], v[32:33], v[36:37]
	v_cvt_f64_i32_e32 v[36:37], v1
	s_mov_b32 s29, 0x3fe62e42
	v_mul_f64 v[46:47], v[36:37], s[28:29]
	v_fma_f64 v[48:49], v[36:37], s[28:29], -v[46:47]
	s_mov_b32 s31, 0x3c7abc9e
	v_fmac_f64_e32 v[48:49], s[30:31], v[36:37]
	v_add_f64 v[36:37], v[46:47], v[48:49]
	v_add_f64 v[46:47], v[36:37], -v[46:47]
	v_mul_f64 v[32:33], v[34:35], v[32:33]
	v_add_f64 v[46:47], v[48:49], -v[46:47]
	v_ldexp_f64 v[48:49], v[34:35], 1
	v_mul_f64 v[32:33], v[32:33], v[38:39]
	v_add_f64 v[34:35], v[48:49], v[32:33]
	v_add_f64 v[38:39], v[34:35], -v[48:49]
	v_ldexp_f64 v[30:31], v[30:31], 1
	v_add_f64 v[32:33], v[32:33], -v[38:39]
	v_add_f64 v[30:31], v[30:31], v[32:33]
	v_add_f64 v[32:33], v[34:35], v[30:31]
	v_add_f64 v[34:35], v[32:33], -v[34:35]
	v_add_f64 v[30:31], v[30:31], -v[34:35]
	v_add_f64 v[34:35], v[36:37], v[32:33]
	v_add_f64 v[38:39], v[34:35], -v[36:37]
	v_add_f64 v[48:49], v[34:35], -v[38:39]
	;; [unrolled: 1-line block ×4, first 2 shown]
	v_add_f64 v[32:33], v[32:33], v[36:37]
	v_add_f64 v[36:37], v[46:47], v[30:31]
	v_add_f64 v[38:39], v[36:37], -v[46:47]
	v_add_f64 v[32:33], v[36:37], v[32:33]
	v_add_f64 v[48:49], v[36:37], -v[38:39]
	v_add_f64 v[36:37], v[34:35], v[32:33]
	v_add_f64 v[46:47], v[46:47], -v[48:49]
	v_add_f64 v[30:31], v[30:31], -v[38:39]
	v_add_f64 v[34:35], v[36:37], -v[34:35]
	v_add_f64 v[30:31], v[30:31], v[46:47]
	v_add_f64 v[32:33], v[32:33], -v[34:35]
	s_mov_b32 s22, 0
	v_add_f64 v[30:31], v[30:31], v[32:33]
	s_mov_b32 s23, 0x7ff00000
	v_add_f64 v[30:31], v[36:37], v[30:31]
	v_cmp_eq_f64_e64 s[22:23], s[22:23], v[28:29]
	v_cndmask_b32_e64 v1, v30, v28, s[22:23]
	v_cndmask_b32_e64 v30, v31, v29, s[22:23]
	v_mov_b32_e32 v31, 0x7ff80000
	v_cmp_ngt_f64_e64 s[22:23], -1.0, v[28:29]
	v_cndmask_b32_e64 v31, v31, v30, s[22:23]
	v_cmp_nge_f64_e64 s[22:23], -1.0, v[28:29]
	v_cndmask_b32_e64 v30, 0, v1, s[22:23]
	v_mov_b32_e32 v1, 0xfff00000
	v_cmp_neq_f64_e64 s[22:23], -1.0, v[28:29]
	v_cndmask_b32_e64 v31, v1, v31, s[22:23]
	v_add_f64 v[46:47], v[24:25], v[30:31]
.LBB77_24:
	s_or_b64 exec, exec, s[26:27]
	v_max_f64 v[24:25], v[20:21], v[20:21]
	v_max_f64 v[28:29], v[46:47], v[46:47]
	v_min_f64 v[30:31], v[28:29], v[24:25]
	v_cmp_u_f64_e64 s[24:25], v[46:47], v[46:47]
	v_cndmask_b32_e64 v1, v30, v46, s[24:25]
	v_cndmask_b32_e64 v30, v31, v47, s[24:25]
	v_cmp_u_f64_e64 s[22:23], v[20:21], v[20:21]
	v_max_f64 v[28:29], v[28:29], v[24:25]
	v_cndmask_b32_e64 v31, v30, v21, s[22:23]
	v_cndmask_b32_e64 v30, v1, v20, s[22:23]
	;; [unrolled: 1-line block ×6, first 2 shown]
	s_movk_i32 s33, 0x1f8
	v_cmp_neq_f64_e64 s[24:25], v[30:31], v[28:29]
	v_cmp_class_f64_e64 s[26:27], v[30:31], s33
	s_or_b64 s[24:25], s[24:25], s[26:27]
	s_and_saveexec_b64 s[28:29], s[24:25]
	s_cbranch_execz .LBB77_26
; %bb.25:
	s_mov_b32 s24, 0x652b82fe
	v_add_f64 v[30:31], v[30:31], -v[28:29]
	s_mov_b32 s25, 0x3ff71547
	v_mul_f64 v[32:33], v[30:31], s[24:25]
	v_rndne_f64_e32 v[32:33], v[32:33]
	s_mov_b32 s31, 0xbfe62e42
	s_mov_b32 s30, 0xfefa39ef
	v_fma_f64 v[34:35], s[30:31], v[32:33], v[30:31]
	s_mov_b32 s35, 0xbc7abc9e
	s_mov_b32 s34, 0x3b39803f
	;; [unrolled: 1-line block ×3, first 2 shown]
	v_fmac_f64_e32 v[34:35], s[34:35], v[32:33]
	v_mov_b32_e32 v36, 0xfca7ab0c
	v_mov_b32_e32 v37, 0x3e928af3
	s_mov_b32 s25, 0x3e5ade15
	v_fmac_f64_e32 v[36:37], s[24:25], v[34:35]
	v_mov_b32_e32 v38, 0x623fde64
	v_mov_b32_e32 v39, 0x3ec71dee
	v_fmac_f64_e32 v[38:39], v[34:35], v[36:37]
	v_mov_b32_e32 v36, 0x7c89e6b0
	v_mov_b32_e32 v37, 0x3efa0199
	;; [unrolled: 3-line block ×8, first 2 shown]
	v_fmac_f64_e32 v[36:37], v[34:35], v[38:39]
	v_fma_f64 v[36:37], v[34:35], v[36:37], 1.0
	s_mov_b32 s24, 0
	s_mov_b32 s26, 0
	v_fma_f64 v[34:35], v[34:35], v[36:37], 1.0
	v_cvt_i32_f64_e32 v1, v[32:33]
	s_mov_b32 s25, 0x40900000
	s_mov_b32 s27, 0xc090cc00
	v_ldexp_f64 v[32:33], v[34:35], v1
	v_mov_b32_e32 v1, 0x7ff00000
	v_cmp_nlt_f64_e64 s[24:25], s[24:25], v[30:31]
	v_cmp_ngt_f64_e64 s[26:27], s[26:27], v[30:31]
	v_cndmask_b32_e64 v1, v1, v33, s[24:25]
	s_and_b64 s[24:25], s[26:27], s[24:25]
	v_cndmask_b32_e64 v31, 0, v1, s[26:27]
	v_cndmask_b32_e64 v30, 0, v32, s[24:25]
	v_add_f64 v[32:33], v[30:31], 1.0
	v_add_f64 v[34:35], v[32:33], -1.0
	v_add_f64 v[36:37], v[34:35], -v[32:33]
	v_add_f64 v[36:37], v[36:37], 1.0
	v_add_f64 v[34:35], v[30:31], -v[34:35]
	s_mov_b32 s24, 0x55555555
	v_add_f64 v[34:35], v[34:35], v[36:37]
	v_frexp_mant_f64_e32 v[36:37], v[32:33]
	s_mov_b32 s25, 0x3fe55555
	v_frexp_exp_i32_f64_e32 v1, v[32:33]
	v_cmp_gt_f64_e64 s[24:25], s[24:25], v[36:37]
	v_subbrev_co_u32_e64 v1, s[24:25], 0, v1, s[24:25]
	v_sub_u32_e32 v36, 0, v1
	v_ldexp_f64 v[32:33], v[32:33], v36
	v_ldexp_f64 v[34:35], v[34:35], v36
	v_add_f64 v[36:37], v[32:33], -1.0
	v_add_f64 v[48:49], v[32:33], 1.0
	v_add_f64 v[38:39], v[36:37], 1.0
	v_add_f64 v[50:51], v[48:49], -1.0
	v_add_f64 v[38:39], v[32:33], -v[38:39]
	v_add_f64 v[32:33], v[32:33], -v[50:51]
	v_add_f64 v[32:33], v[34:35], v[32:33]
	v_add_f64 v[38:39], v[34:35], v[38:39]
	;; [unrolled: 1-line block ×3, first 2 shown]
	v_rcp_f64_e32 v[50:51], v[34:35]
	v_add_f64 v[46:47], v[36:37], v[38:39]
	v_add_f64 v[36:37], v[46:47], -v[36:37]
	v_add_f64 v[36:37], v[38:39], -v[36:37]
	;; [unrolled: 1-line block ×4, first 2 shown]
	v_fma_f64 v[38:39], -v[34:35], v[50:51], 1.0
	v_fmac_f64_e32 v[50:51], v[38:39], v[50:51]
	v_fma_f64 v[38:39], -v[34:35], v[50:51], 1.0
	v_fmac_f64_e32 v[50:51], v[38:39], v[50:51]
	v_mul_f64 v[38:39], v[46:47], v[50:51]
	v_mul_f64 v[48:49], v[34:35], v[38:39]
	v_fma_f64 v[52:53], v[38:39], v[34:35], -v[48:49]
	v_fmac_f64_e32 v[52:53], v[38:39], v[32:33]
	v_add_f64 v[56:57], v[48:49], v[52:53]
	v_add_f64 v[58:59], v[46:47], -v[56:57]
	v_add_f64 v[46:47], v[46:47], -v[58:59]
	;; [unrolled: 1-line block ×4, first 2 shown]
	v_add_f64 v[36:37], v[36:37], v[46:47]
	v_add_f64 v[46:47], v[48:49], -v[52:53]
	v_add_f64 v[36:37], v[46:47], v[36:37]
	v_add_f64 v[46:47], v[58:59], v[36:37]
	v_add_f64 v[48:49], v[58:59], -v[46:47]
	v_add_f64 v[36:37], v[36:37], v[48:49]
	v_mul_f64 v[48:49], v[50:51], v[46:47]
	v_mul_f64 v[52:53], v[34:35], v[48:49]
	v_fma_f64 v[34:35], v[48:49], v[34:35], -v[52:53]
	v_fmac_f64_e32 v[34:35], v[48:49], v[32:33]
	v_add_f64 v[32:33], v[52:53], v[34:35]
	v_add_f64 v[56:57], v[46:47], -v[32:33]
	v_add_f64 v[46:47], v[46:47], -v[56:57]
	;; [unrolled: 1-line block ×4, first 2 shown]
	v_add_f64 v[32:33], v[36:37], v[32:33]
	v_add_f64 v[34:35], v[52:53], -v[34:35]
	v_add_f64 v[32:33], v[34:35], v[32:33]
	v_add_f64 v[34:35], v[38:39], v[48:49]
	;; [unrolled: 1-line block ×3, first 2 shown]
	v_add_f64 v[36:37], v[34:35], -v[38:39]
	v_mul_f64 v[32:33], v[50:51], v[32:33]
	v_add_f64 v[36:37], v[48:49], -v[36:37]
	v_add_f64 v[32:33], v[36:37], v[32:33]
	v_add_f64 v[36:37], v[34:35], v[32:33]
	v_add_f64 v[34:35], v[36:37], -v[34:35]
	s_mov_b32 s24, 0xbf559e2b
	v_add_f64 v[32:33], v[32:33], -v[34:35]
	v_mul_f64 v[34:35], v[36:37], v[36:37]
	v_mov_b32_e32 v38, 0x6b47b09a
	v_mov_b32_e32 v39, 0x3fc38538
	s_mov_b32 s25, 0x3fc3ab76
	v_fmac_f64_e32 v[38:39], s[24:25], v[34:35]
	v_mov_b32_e32 v46, 0xd7f4df2e
	v_mov_b32_e32 v47, 0x3fc7474d
	v_fmac_f64_e32 v[46:47], v[34:35], v[38:39]
	v_mov_b32_e32 v38, 0x16291751
	v_mov_b32_e32 v39, 0x3fcc71c0
	;; [unrolled: 3-line block ×5, first 2 shown]
	v_fmac_f64_e32 v[46:47], v[34:35], v[38:39]
	v_cvt_f64_i32_e32 v[38:39], v1
	s_mov_b32 s31, 0x3fe62e42
	v_mul_f64 v[48:49], v[38:39], s[30:31]
	v_fma_f64 v[50:51], v[38:39], s[30:31], -v[48:49]
	s_mov_b32 s35, 0x3c7abc9e
	v_fmac_f64_e32 v[50:51], s[34:35], v[38:39]
	v_add_f64 v[38:39], v[48:49], v[50:51]
	v_add_f64 v[48:49], v[38:39], -v[48:49]
	v_mul_f64 v[34:35], v[36:37], v[34:35]
	v_add_f64 v[48:49], v[50:51], -v[48:49]
	v_ldexp_f64 v[50:51], v[36:37], 1
	v_mul_f64 v[34:35], v[34:35], v[46:47]
	v_add_f64 v[36:37], v[50:51], v[34:35]
	v_add_f64 v[46:47], v[36:37], -v[50:51]
	v_ldexp_f64 v[32:33], v[32:33], 1
	v_add_f64 v[34:35], v[34:35], -v[46:47]
	v_add_f64 v[32:33], v[32:33], v[34:35]
	v_add_f64 v[34:35], v[36:37], v[32:33]
	v_add_f64 v[36:37], v[34:35], -v[36:37]
	v_add_f64 v[32:33], v[32:33], -v[36:37]
	v_add_f64 v[36:37], v[38:39], v[34:35]
	v_add_f64 v[46:47], v[36:37], -v[38:39]
	v_add_f64 v[50:51], v[36:37], -v[46:47]
	;; [unrolled: 1-line block ×4, first 2 shown]
	v_add_f64 v[34:35], v[34:35], v[38:39]
	v_add_f64 v[38:39], v[48:49], v[32:33]
	v_add_f64 v[46:47], v[38:39], -v[48:49]
	v_add_f64 v[34:35], v[38:39], v[34:35]
	v_add_f64 v[50:51], v[38:39], -v[46:47]
	;; [unrolled: 2-line block ×3, first 2 shown]
	v_add_f64 v[32:33], v[32:33], -v[46:47]
	v_add_f64 v[36:37], v[38:39], -v[36:37]
	v_add_f64 v[32:33], v[32:33], v[48:49]
	v_add_f64 v[34:35], v[34:35], -v[36:37]
	s_mov_b32 s24, 0
	v_add_f64 v[32:33], v[32:33], v[34:35]
	s_mov_b32 s25, 0x7ff00000
	v_add_f64 v[32:33], v[38:39], v[32:33]
	v_cmp_eq_f64_e64 s[24:25], s[24:25], v[30:31]
	v_cndmask_b32_e64 v1, v32, v30, s[24:25]
	v_cndmask_b32_e64 v32, v33, v31, s[24:25]
	v_mov_b32_e32 v33, 0x7ff80000
	v_cmp_ngt_f64_e64 s[24:25], -1.0, v[30:31]
	v_cndmask_b32_e64 v33, v33, v32, s[24:25]
	v_cmp_nge_f64_e64 s[24:25], -1.0, v[30:31]
	v_cndmask_b32_e64 v32, 0, v1, s[24:25]
	v_mov_b32_e32 v1, 0xfff00000
	v_cmp_neq_f64_e64 s[24:25], -1.0, v[30:31]
	v_cndmask_b32_e64 v33, v1, v33, s[24:25]
	v_add_f64 v[46:47], v[28:29], v[32:33]
.LBB77_26:
	s_or_b64 exec, exec, s[28:29]
	v_max_f64 v[28:29], v[14:15], v[14:15]
	v_max_f64 v[30:31], v[46:47], v[46:47]
	v_min_f64 v[32:33], v[30:31], v[28:29]
	v_cmp_u_f64_e64 s[26:27], v[46:47], v[46:47]
	v_cndmask_b32_e64 v1, v32, v46, s[26:27]
	v_cndmask_b32_e64 v32, v33, v47, s[26:27]
	v_cmp_u_f64_e64 s[24:25], v[14:15], v[14:15]
	v_max_f64 v[30:31], v[30:31], v[28:29]
	v_cndmask_b32_e64 v33, v32, v15, s[24:25]
	v_cndmask_b32_e64 v32, v1, v14, s[24:25]
	;; [unrolled: 1-line block ×6, first 2 shown]
	v_cmp_neq_f64_e64 s[26:27], v[32:33], v[30:31]
	v_cmp_class_f64_e64 s[28:29], v[32:33], s33
	s_or_b64 s[26:27], s[26:27], s[28:29]
	s_and_saveexec_b64 s[30:31], s[26:27]
	s_cbranch_execz .LBB77_28
; %bb.27:
	s_mov_b32 s26, 0x652b82fe
	v_add_f64 v[32:33], v[32:33], -v[30:31]
	s_mov_b32 s27, 0x3ff71547
	v_mul_f64 v[34:35], v[32:33], s[26:27]
	v_rndne_f64_e32 v[34:35], v[34:35]
	s_mov_b32 s35, 0xbfe62e42
	s_mov_b32 s34, 0xfefa39ef
	v_fma_f64 v[36:37], s[34:35], v[34:35], v[32:33]
	s_mov_b32 s37, 0xbc7abc9e
	s_mov_b32 s36, 0x3b39803f
	;; [unrolled: 1-line block ×3, first 2 shown]
	v_fmac_f64_e32 v[36:37], s[36:37], v[34:35]
	v_mov_b32_e32 v38, 0xfca7ab0c
	v_mov_b32_e32 v39, 0x3e928af3
	s_mov_b32 s27, 0x3e5ade15
	v_fmac_f64_e32 v[38:39], s[26:27], v[36:37]
	v_mov_b32_e32 v46, 0x623fde64
	v_mov_b32_e32 v47, 0x3ec71dee
	v_fmac_f64_e32 v[46:47], v[36:37], v[38:39]
	v_mov_b32_e32 v38, 0x7c89e6b0
	v_mov_b32_e32 v39, 0x3efa0199
	;; [unrolled: 3-line block ×8, first 2 shown]
	v_fmac_f64_e32 v[38:39], v[36:37], v[46:47]
	v_fma_f64 v[38:39], v[36:37], v[38:39], 1.0
	s_mov_b32 s26, 0
	s_mov_b32 s28, 0
	v_fma_f64 v[36:37], v[36:37], v[38:39], 1.0
	v_cvt_i32_f64_e32 v1, v[34:35]
	s_mov_b32 s27, 0x40900000
	s_mov_b32 s29, 0xc090cc00
	v_ldexp_f64 v[34:35], v[36:37], v1
	v_mov_b32_e32 v1, 0x7ff00000
	v_cmp_nlt_f64_e64 s[26:27], s[26:27], v[32:33]
	v_cmp_ngt_f64_e64 s[28:29], s[28:29], v[32:33]
	v_cndmask_b32_e64 v1, v1, v35, s[26:27]
	s_and_b64 s[26:27], s[28:29], s[26:27]
	v_cndmask_b32_e64 v33, 0, v1, s[28:29]
	v_cndmask_b32_e64 v32, 0, v34, s[26:27]
	v_add_f64 v[34:35], v[32:33], 1.0
	v_add_f64 v[36:37], v[34:35], -1.0
	v_add_f64 v[38:39], v[36:37], -v[34:35]
	v_add_f64 v[38:39], v[38:39], 1.0
	v_add_f64 v[36:37], v[32:33], -v[36:37]
	s_mov_b32 s26, 0x55555555
	v_add_f64 v[36:37], v[36:37], v[38:39]
	v_frexp_mant_f64_e32 v[38:39], v[34:35]
	s_mov_b32 s27, 0x3fe55555
	v_frexp_exp_i32_f64_e32 v1, v[34:35]
	v_cmp_gt_f64_e64 s[26:27], s[26:27], v[38:39]
	v_subbrev_co_u32_e64 v1, s[26:27], 0, v1, s[26:27]
	v_sub_u32_e32 v38, 0, v1
	v_ldexp_f64 v[34:35], v[34:35], v38
	v_ldexp_f64 v[36:37], v[36:37], v38
	v_add_f64 v[38:39], v[34:35], -1.0
	v_add_f64 v[50:51], v[34:35], 1.0
	v_add_f64 v[46:47], v[38:39], 1.0
	v_add_f64 v[52:53], v[50:51], -1.0
	v_add_f64 v[46:47], v[34:35], -v[46:47]
	v_add_f64 v[34:35], v[34:35], -v[52:53]
	v_add_f64 v[34:35], v[36:37], v[34:35]
	v_add_f64 v[46:47], v[36:37], v[46:47]
	;; [unrolled: 1-line block ×3, first 2 shown]
	v_rcp_f64_e32 v[52:53], v[36:37]
	v_add_f64 v[48:49], v[38:39], v[46:47]
	v_add_f64 v[38:39], v[48:49], -v[38:39]
	v_add_f64 v[38:39], v[46:47], -v[38:39]
	;; [unrolled: 1-line block ×4, first 2 shown]
	v_fma_f64 v[46:47], -v[36:37], v[52:53], 1.0
	v_fmac_f64_e32 v[52:53], v[46:47], v[52:53]
	v_fma_f64 v[46:47], -v[36:37], v[52:53], 1.0
	v_fmac_f64_e32 v[52:53], v[46:47], v[52:53]
	v_mul_f64 v[46:47], v[48:49], v[52:53]
	v_mul_f64 v[50:51], v[36:37], v[46:47]
	v_fma_f64 v[56:57], v[46:47], v[36:37], -v[50:51]
	v_fmac_f64_e32 v[56:57], v[46:47], v[34:35]
	v_add_f64 v[58:59], v[50:51], v[56:57]
	v_add_f64 v[60:61], v[48:49], -v[58:59]
	v_add_f64 v[48:49], v[48:49], -v[60:61]
	;; [unrolled: 1-line block ×4, first 2 shown]
	v_add_f64 v[38:39], v[38:39], v[48:49]
	v_add_f64 v[48:49], v[50:51], -v[56:57]
	v_add_f64 v[38:39], v[48:49], v[38:39]
	v_add_f64 v[48:49], v[60:61], v[38:39]
	v_add_f64 v[50:51], v[60:61], -v[48:49]
	v_add_f64 v[38:39], v[38:39], v[50:51]
	v_mul_f64 v[50:51], v[52:53], v[48:49]
	v_mul_f64 v[56:57], v[36:37], v[50:51]
	v_fma_f64 v[36:37], v[50:51], v[36:37], -v[56:57]
	v_fmac_f64_e32 v[36:37], v[50:51], v[34:35]
	v_add_f64 v[34:35], v[56:57], v[36:37]
	v_add_f64 v[58:59], v[48:49], -v[34:35]
	v_add_f64 v[48:49], v[48:49], -v[58:59]
	;; [unrolled: 1-line block ×4, first 2 shown]
	v_add_f64 v[34:35], v[38:39], v[34:35]
	v_add_f64 v[36:37], v[56:57], -v[36:37]
	v_add_f64 v[34:35], v[36:37], v[34:35]
	v_add_f64 v[36:37], v[46:47], v[50:51]
	;; [unrolled: 1-line block ×3, first 2 shown]
	v_add_f64 v[38:39], v[36:37], -v[46:47]
	v_mul_f64 v[34:35], v[52:53], v[34:35]
	v_add_f64 v[38:39], v[50:51], -v[38:39]
	v_add_f64 v[34:35], v[38:39], v[34:35]
	v_add_f64 v[38:39], v[36:37], v[34:35]
	v_add_f64 v[36:37], v[38:39], -v[36:37]
	s_mov_b32 s26, 0xbf559e2b
	v_add_f64 v[34:35], v[34:35], -v[36:37]
	v_mul_f64 v[36:37], v[38:39], v[38:39]
	v_mov_b32_e32 v46, 0x6b47b09a
	v_mov_b32_e32 v47, 0x3fc38538
	s_mov_b32 s27, 0x3fc3ab76
	v_fmac_f64_e32 v[46:47], s[26:27], v[36:37]
	v_mov_b32_e32 v48, 0xd7f4df2e
	v_mov_b32_e32 v49, 0x3fc7474d
	v_fmac_f64_e32 v[48:49], v[36:37], v[46:47]
	v_mov_b32_e32 v46, 0x16291751
	v_mov_b32_e32 v47, 0x3fcc71c0
	;; [unrolled: 3-line block ×5, first 2 shown]
	v_fmac_f64_e32 v[48:49], v[36:37], v[46:47]
	v_cvt_f64_i32_e32 v[46:47], v1
	s_mov_b32 s35, 0x3fe62e42
	v_mul_f64 v[50:51], v[46:47], s[34:35]
	v_fma_f64 v[52:53], v[46:47], s[34:35], -v[50:51]
	s_mov_b32 s37, 0x3c7abc9e
	v_fmac_f64_e32 v[52:53], s[36:37], v[46:47]
	v_add_f64 v[46:47], v[50:51], v[52:53]
	v_add_f64 v[50:51], v[46:47], -v[50:51]
	v_mul_f64 v[36:37], v[38:39], v[36:37]
	v_add_f64 v[50:51], v[52:53], -v[50:51]
	v_ldexp_f64 v[52:53], v[38:39], 1
	v_mul_f64 v[36:37], v[36:37], v[48:49]
	v_add_f64 v[38:39], v[52:53], v[36:37]
	v_add_f64 v[48:49], v[38:39], -v[52:53]
	v_ldexp_f64 v[34:35], v[34:35], 1
	v_add_f64 v[36:37], v[36:37], -v[48:49]
	v_add_f64 v[34:35], v[34:35], v[36:37]
	v_add_f64 v[36:37], v[38:39], v[34:35]
	v_add_f64 v[38:39], v[36:37], -v[38:39]
	v_add_f64 v[34:35], v[34:35], -v[38:39]
	v_add_f64 v[38:39], v[46:47], v[36:37]
	v_add_f64 v[48:49], v[38:39], -v[46:47]
	v_add_f64 v[52:53], v[38:39], -v[48:49]
	;; [unrolled: 1-line block ×4, first 2 shown]
	v_add_f64 v[36:37], v[36:37], v[46:47]
	v_add_f64 v[46:47], v[50:51], v[34:35]
	v_add_f64 v[48:49], v[46:47], -v[50:51]
	v_add_f64 v[36:37], v[46:47], v[36:37]
	v_add_f64 v[52:53], v[46:47], -v[48:49]
	;; [unrolled: 2-line block ×3, first 2 shown]
	v_add_f64 v[34:35], v[34:35], -v[48:49]
	v_add_f64 v[38:39], v[46:47], -v[38:39]
	v_add_f64 v[34:35], v[34:35], v[50:51]
	v_add_f64 v[36:37], v[36:37], -v[38:39]
	s_mov_b32 s26, 0
	v_add_f64 v[34:35], v[34:35], v[36:37]
	s_mov_b32 s27, 0x7ff00000
	v_add_f64 v[34:35], v[46:47], v[34:35]
	v_cmp_eq_f64_e64 s[26:27], s[26:27], v[32:33]
	v_cndmask_b32_e64 v1, v34, v32, s[26:27]
	v_cndmask_b32_e64 v34, v35, v33, s[26:27]
	v_mov_b32_e32 v35, 0x7ff80000
	v_cmp_ngt_f64_e64 s[26:27], -1.0, v[32:33]
	v_cndmask_b32_e64 v35, v35, v34, s[26:27]
	v_cmp_nge_f64_e64 s[26:27], -1.0, v[32:33]
	v_cndmask_b32_e64 v34, 0, v1, s[26:27]
	v_mov_b32_e32 v1, 0xfff00000
	v_cmp_neq_f64_e64 s[26:27], -1.0, v[32:33]
	v_cndmask_b32_e64 v35, v1, v35, s[26:27]
	v_add_f64 v[46:47], v[30:31], v[34:35]
.LBB77_28:
	s_or_b64 exec, exec, s[30:31]
	v_max_f64 v[30:31], v[16:17], v[16:17]
	v_max_f64 v[32:33], v[46:47], v[46:47]
	v_min_f64 v[34:35], v[32:33], v[30:31]
	v_cmp_u_f64_e64 s[28:29], v[46:47], v[46:47]
	v_cndmask_b32_e64 v1, v34, v46, s[28:29]
	v_cndmask_b32_e64 v34, v35, v47, s[28:29]
	v_cmp_u_f64_e64 s[26:27], v[16:17], v[16:17]
	v_max_f64 v[32:33], v[32:33], v[30:31]
	v_cndmask_b32_e64 v35, v34, v17, s[26:27]
	v_cndmask_b32_e64 v34, v1, v16, s[26:27]
	v_cndmask_b32_e64 v1, v32, v46, s[28:29]
	v_cndmask_b32_e64 v32, v33, v47, s[28:29]
	v_cndmask_b32_e64 v33, v32, v17, s[26:27]
	v_cndmask_b32_e64 v32, v1, v16, s[26:27]
	v_cmp_neq_f64_e64 s[28:29], v[34:35], v[32:33]
	v_cmp_class_f64_e64 s[30:31], v[34:35], s33
	s_or_b64 s[28:29], s[28:29], s[30:31]
	s_and_saveexec_b64 s[34:35], s[28:29]
	s_cbranch_execz .LBB77_30
; %bb.29:
	s_mov_b32 s28, 0x652b82fe
	v_add_f64 v[34:35], v[34:35], -v[32:33]
	s_mov_b32 s29, 0x3ff71547
	v_mul_f64 v[36:37], v[34:35], s[28:29]
	v_rndne_f64_e32 v[36:37], v[36:37]
	s_mov_b32 s37, 0xbfe62e42
	s_mov_b32 s36, 0xfefa39ef
	v_fma_f64 v[38:39], s[36:37], v[36:37], v[34:35]
	s_mov_b32 s43, 0xbc7abc9e
	s_mov_b32 s42, 0x3b39803f
	;; [unrolled: 1-line block ×3, first 2 shown]
	v_fmac_f64_e32 v[38:39], s[42:43], v[36:37]
	v_mov_b32_e32 v46, 0xfca7ab0c
	v_mov_b32_e32 v47, 0x3e928af3
	s_mov_b32 s29, 0x3e5ade15
	v_fmac_f64_e32 v[46:47], s[28:29], v[38:39]
	v_mov_b32_e32 v48, 0x623fde64
	v_mov_b32_e32 v49, 0x3ec71dee
	v_fmac_f64_e32 v[48:49], v[38:39], v[46:47]
	v_mov_b32_e32 v46, 0x7c89e6b0
	v_mov_b32_e32 v47, 0x3efa0199
	v_fmac_f64_e32 v[46:47], v[38:39], v[48:49]
	v_mov_b32_e32 v48, 0x14761f6e
	v_mov_b32_e32 v49, 0x3f2a01a0
	v_fmac_f64_e32 v[48:49], v[38:39], v[46:47]
	v_mov_b32_e32 v46, 0x1852b7b0
	v_mov_b32_e32 v47, 0x3f56c16c
	v_fmac_f64_e32 v[46:47], v[38:39], v[48:49]
	v_mov_b32_e32 v48, 0x11122322
	v_mov_b32_e32 v49, 0x3f811111
	v_fmac_f64_e32 v[48:49], v[38:39], v[46:47]
	v_mov_b32_e32 v46, 0x555502a1
	v_mov_b32_e32 v47, 0x3fa55555
	v_fmac_f64_e32 v[46:47], v[38:39], v[48:49]
	v_mov_b32_e32 v48, 0x55555511
	v_mov_b32_e32 v49, 0x3fc55555
	v_fmac_f64_e32 v[48:49], v[38:39], v[46:47]
	v_mov_b32_e32 v46, 11
	v_mov_b32_e32 v47, 0x3fe00000
	v_fmac_f64_e32 v[46:47], v[38:39], v[48:49]
	v_fma_f64 v[46:47], v[38:39], v[46:47], 1.0
	s_mov_b32 s28, 0
	s_mov_b32 s30, 0
	v_fma_f64 v[38:39], v[38:39], v[46:47], 1.0
	v_cvt_i32_f64_e32 v1, v[36:37]
	s_mov_b32 s29, 0x40900000
	s_mov_b32 s31, 0xc090cc00
	v_ldexp_f64 v[36:37], v[38:39], v1
	v_mov_b32_e32 v1, 0x7ff00000
	v_cmp_nlt_f64_e64 s[28:29], s[28:29], v[34:35]
	v_cmp_ngt_f64_e64 s[30:31], s[30:31], v[34:35]
	v_cndmask_b32_e64 v1, v1, v37, s[28:29]
	s_and_b64 s[28:29], s[30:31], s[28:29]
	v_cndmask_b32_e64 v35, 0, v1, s[30:31]
	v_cndmask_b32_e64 v34, 0, v36, s[28:29]
	v_add_f64 v[36:37], v[34:35], 1.0
	v_add_f64 v[38:39], v[36:37], -1.0
	v_add_f64 v[46:47], v[38:39], -v[36:37]
	v_add_f64 v[46:47], v[46:47], 1.0
	v_add_f64 v[38:39], v[34:35], -v[38:39]
	s_mov_b32 s28, 0x55555555
	v_add_f64 v[38:39], v[38:39], v[46:47]
	v_frexp_mant_f64_e32 v[46:47], v[36:37]
	s_mov_b32 s29, 0x3fe55555
	v_frexp_exp_i32_f64_e32 v1, v[36:37]
	v_cmp_gt_f64_e64 s[28:29], s[28:29], v[46:47]
	v_subbrev_co_u32_e64 v1, s[28:29], 0, v1, s[28:29]
	v_sub_u32_e32 v46, 0, v1
	v_ldexp_f64 v[36:37], v[36:37], v46
	v_ldexp_f64 v[38:39], v[38:39], v46
	v_add_f64 v[46:47], v[36:37], -1.0
	v_add_f64 v[52:53], v[36:37], 1.0
	v_add_f64 v[48:49], v[46:47], 1.0
	v_add_f64 v[56:57], v[52:53], -1.0
	v_add_f64 v[48:49], v[36:37], -v[48:49]
	v_add_f64 v[36:37], v[36:37], -v[56:57]
	v_add_f64 v[36:37], v[38:39], v[36:37]
	v_add_f64 v[48:49], v[38:39], v[48:49]
	;; [unrolled: 1-line block ×3, first 2 shown]
	v_rcp_f64_e32 v[56:57], v[38:39]
	v_add_f64 v[50:51], v[46:47], v[48:49]
	v_add_f64 v[46:47], v[50:51], -v[46:47]
	v_add_f64 v[46:47], v[48:49], -v[46:47]
	;; [unrolled: 1-line block ×4, first 2 shown]
	v_fma_f64 v[48:49], -v[38:39], v[56:57], 1.0
	v_fmac_f64_e32 v[56:57], v[48:49], v[56:57]
	v_fma_f64 v[48:49], -v[38:39], v[56:57], 1.0
	v_fmac_f64_e32 v[56:57], v[48:49], v[56:57]
	v_mul_f64 v[48:49], v[50:51], v[56:57]
	v_mul_f64 v[52:53], v[38:39], v[48:49]
	v_fma_f64 v[58:59], v[48:49], v[38:39], -v[52:53]
	v_fmac_f64_e32 v[58:59], v[48:49], v[36:37]
	v_add_f64 v[60:61], v[52:53], v[58:59]
	v_add_f64 v[62:63], v[50:51], -v[60:61]
	v_add_f64 v[50:51], v[50:51], -v[62:63]
	;; [unrolled: 1-line block ×4, first 2 shown]
	v_add_f64 v[46:47], v[46:47], v[50:51]
	v_add_f64 v[50:51], v[52:53], -v[58:59]
	v_add_f64 v[46:47], v[50:51], v[46:47]
	v_add_f64 v[50:51], v[62:63], v[46:47]
	v_add_f64 v[52:53], v[62:63], -v[50:51]
	v_add_f64 v[46:47], v[46:47], v[52:53]
	v_mul_f64 v[52:53], v[56:57], v[50:51]
	v_mul_f64 v[58:59], v[38:39], v[52:53]
	v_fma_f64 v[38:39], v[52:53], v[38:39], -v[58:59]
	v_fmac_f64_e32 v[38:39], v[52:53], v[36:37]
	v_add_f64 v[36:37], v[58:59], v[38:39]
	v_add_f64 v[60:61], v[50:51], -v[36:37]
	v_add_f64 v[50:51], v[50:51], -v[60:61]
	;; [unrolled: 1-line block ×4, first 2 shown]
	v_add_f64 v[36:37], v[46:47], v[36:37]
	v_add_f64 v[38:39], v[58:59], -v[38:39]
	v_add_f64 v[36:37], v[38:39], v[36:37]
	v_add_f64 v[38:39], v[48:49], v[52:53]
	;; [unrolled: 1-line block ×3, first 2 shown]
	v_add_f64 v[46:47], v[38:39], -v[48:49]
	v_mul_f64 v[36:37], v[56:57], v[36:37]
	v_add_f64 v[46:47], v[52:53], -v[46:47]
	v_add_f64 v[36:37], v[46:47], v[36:37]
	v_add_f64 v[46:47], v[38:39], v[36:37]
	v_add_f64 v[38:39], v[46:47], -v[38:39]
	s_mov_b32 s28, 0xbf559e2b
	v_add_f64 v[36:37], v[36:37], -v[38:39]
	v_mul_f64 v[38:39], v[46:47], v[46:47]
	v_mov_b32_e32 v48, 0x6b47b09a
	v_mov_b32_e32 v49, 0x3fc38538
	s_mov_b32 s29, 0x3fc3ab76
	v_fmac_f64_e32 v[48:49], s[28:29], v[38:39]
	v_mov_b32_e32 v50, 0xd7f4df2e
	v_mov_b32_e32 v51, 0x3fc7474d
	v_fmac_f64_e32 v[50:51], v[38:39], v[48:49]
	v_mov_b32_e32 v48, 0x16291751
	v_mov_b32_e32 v49, 0x3fcc71c0
	;; [unrolled: 3-line block ×5, first 2 shown]
	v_fmac_f64_e32 v[50:51], v[38:39], v[48:49]
	v_cvt_f64_i32_e32 v[48:49], v1
	s_mov_b32 s37, 0x3fe62e42
	v_mul_f64 v[52:53], v[48:49], s[36:37]
	v_fma_f64 v[56:57], v[48:49], s[36:37], -v[52:53]
	s_mov_b32 s43, 0x3c7abc9e
	v_fmac_f64_e32 v[56:57], s[42:43], v[48:49]
	v_add_f64 v[48:49], v[52:53], v[56:57]
	v_add_f64 v[52:53], v[48:49], -v[52:53]
	v_mul_f64 v[38:39], v[46:47], v[38:39]
	v_add_f64 v[52:53], v[56:57], -v[52:53]
	v_ldexp_f64 v[56:57], v[46:47], 1
	v_mul_f64 v[38:39], v[38:39], v[50:51]
	v_add_f64 v[46:47], v[56:57], v[38:39]
	v_add_f64 v[50:51], v[46:47], -v[56:57]
	v_ldexp_f64 v[36:37], v[36:37], 1
	v_add_f64 v[38:39], v[38:39], -v[50:51]
	v_add_f64 v[36:37], v[36:37], v[38:39]
	v_add_f64 v[38:39], v[46:47], v[36:37]
	v_add_f64 v[46:47], v[38:39], -v[46:47]
	v_add_f64 v[36:37], v[36:37], -v[46:47]
	v_add_f64 v[46:47], v[48:49], v[38:39]
	v_add_f64 v[50:51], v[46:47], -v[48:49]
	v_add_f64 v[56:57], v[46:47], -v[50:51]
	;; [unrolled: 1-line block ×4, first 2 shown]
	v_add_f64 v[38:39], v[38:39], v[48:49]
	v_add_f64 v[48:49], v[52:53], v[36:37]
	v_add_f64 v[50:51], v[48:49], -v[52:53]
	v_add_f64 v[38:39], v[48:49], v[38:39]
	v_add_f64 v[56:57], v[48:49], -v[50:51]
	v_add_f64 v[48:49], v[46:47], v[38:39]
	v_add_f64 v[52:53], v[52:53], -v[56:57]
	v_add_f64 v[36:37], v[36:37], -v[50:51]
	v_add_f64 v[46:47], v[48:49], -v[46:47]
	v_add_f64 v[36:37], v[36:37], v[52:53]
	v_add_f64 v[38:39], v[38:39], -v[46:47]
	s_mov_b32 s28, 0
	v_add_f64 v[36:37], v[36:37], v[38:39]
	s_mov_b32 s29, 0x7ff00000
	v_add_f64 v[36:37], v[48:49], v[36:37]
	v_cmp_eq_f64_e64 s[28:29], s[28:29], v[34:35]
	v_cndmask_b32_e64 v1, v36, v34, s[28:29]
	v_cndmask_b32_e64 v36, v37, v35, s[28:29]
	v_mov_b32_e32 v37, 0x7ff80000
	v_cmp_ngt_f64_e64 s[28:29], -1.0, v[34:35]
	v_cndmask_b32_e64 v37, v37, v36, s[28:29]
	v_cmp_nge_f64_e64 s[28:29], -1.0, v[34:35]
	v_cndmask_b32_e64 v36, 0, v1, s[28:29]
	v_mov_b32_e32 v1, 0xfff00000
	v_cmp_neq_f64_e64 s[28:29], -1.0, v[34:35]
	v_cndmask_b32_e64 v37, v1, v37, s[28:29]
	v_add_f64 v[46:47], v[32:33], v[36:37]
.LBB77_30:
	s_or_b64 exec, exec, s[34:35]
	v_max_f64 v[32:33], v[10:11], v[10:11]
	v_max_f64 v[34:35], v[46:47], v[46:47]
	v_min_f64 v[36:37], v[34:35], v[32:33]
	v_cmp_u_f64_e64 s[30:31], v[46:47], v[46:47]
	v_cndmask_b32_e64 v1, v36, v46, s[30:31]
	v_cndmask_b32_e64 v36, v37, v47, s[30:31]
	v_cmp_u_f64_e64 s[28:29], v[10:11], v[10:11]
	v_max_f64 v[34:35], v[34:35], v[32:33]
	v_cndmask_b32_e64 v37, v36, v11, s[28:29]
	v_cndmask_b32_e64 v36, v1, v10, s[28:29]
	;; [unrolled: 1-line block ×6, first 2 shown]
	v_cmp_neq_f64_e64 s[30:31], v[36:37], v[34:35]
	v_cmp_class_f64_e64 s[34:35], v[36:37], s33
	s_or_b64 s[30:31], s[30:31], s[34:35]
	s_and_saveexec_b64 s[36:37], s[30:31]
	s_cbranch_execz .LBB77_32
; %bb.31:
	s_mov_b32 s30, 0x652b82fe
	v_add_f64 v[36:37], v[36:37], -v[34:35]
	s_mov_b32 s31, 0x3ff71547
	v_mul_f64 v[38:39], v[36:37], s[30:31]
	v_rndne_f64_e32 v[38:39], v[38:39]
	s_mov_b32 s43, 0xbfe62e42
	s_mov_b32 s42, 0xfefa39ef
	v_fma_f64 v[46:47], s[42:43], v[38:39], v[36:37]
	s_mov_b32 s45, 0xbc7abc9e
	s_mov_b32 s44, 0x3b39803f
	;; [unrolled: 1-line block ×3, first 2 shown]
	v_fmac_f64_e32 v[46:47], s[44:45], v[38:39]
	v_mov_b32_e32 v48, 0xfca7ab0c
	v_mov_b32_e32 v49, 0x3e928af3
	s_mov_b32 s31, 0x3e5ade15
	v_fmac_f64_e32 v[48:49], s[30:31], v[46:47]
	v_mov_b32_e32 v50, 0x623fde64
	v_mov_b32_e32 v51, 0x3ec71dee
	v_fmac_f64_e32 v[50:51], v[46:47], v[48:49]
	v_mov_b32_e32 v48, 0x7c89e6b0
	v_mov_b32_e32 v49, 0x3efa0199
	;; [unrolled: 3-line block ×8, first 2 shown]
	v_fmac_f64_e32 v[48:49], v[46:47], v[50:51]
	v_fma_f64 v[48:49], v[46:47], v[48:49], 1.0
	s_mov_b32 s30, 0
	s_mov_b32 s34, 0
	v_fma_f64 v[46:47], v[46:47], v[48:49], 1.0
	v_cvt_i32_f64_e32 v1, v[38:39]
	s_mov_b32 s31, 0x40900000
	s_mov_b32 s35, 0xc090cc00
	v_ldexp_f64 v[38:39], v[46:47], v1
	v_mov_b32_e32 v1, 0x7ff00000
	v_cmp_nlt_f64_e64 s[30:31], s[30:31], v[36:37]
	v_cmp_ngt_f64_e64 s[34:35], s[34:35], v[36:37]
	v_cndmask_b32_e64 v1, v1, v39, s[30:31]
	s_and_b64 s[30:31], s[34:35], s[30:31]
	v_cndmask_b32_e64 v37, 0, v1, s[34:35]
	v_cndmask_b32_e64 v36, 0, v38, s[30:31]
	v_add_f64 v[38:39], v[36:37], 1.0
	v_add_f64 v[46:47], v[38:39], -1.0
	v_add_f64 v[48:49], v[46:47], -v[38:39]
	v_add_f64 v[48:49], v[48:49], 1.0
	v_add_f64 v[46:47], v[36:37], -v[46:47]
	s_mov_b32 s30, 0x55555555
	v_add_f64 v[46:47], v[46:47], v[48:49]
	v_frexp_mant_f64_e32 v[48:49], v[38:39]
	s_mov_b32 s31, 0x3fe55555
	v_frexp_exp_i32_f64_e32 v1, v[38:39]
	v_cmp_gt_f64_e64 s[30:31], s[30:31], v[48:49]
	v_subbrev_co_u32_e64 v1, s[30:31], 0, v1, s[30:31]
	v_sub_u32_e32 v48, 0, v1
	v_ldexp_f64 v[38:39], v[38:39], v48
	v_ldexp_f64 v[46:47], v[46:47], v48
	v_add_f64 v[48:49], v[38:39], -1.0
	v_add_f64 v[56:57], v[38:39], 1.0
	v_add_f64 v[50:51], v[48:49], 1.0
	v_add_f64 v[58:59], v[56:57], -1.0
	v_add_f64 v[50:51], v[38:39], -v[50:51]
	v_add_f64 v[38:39], v[38:39], -v[58:59]
	v_add_f64 v[38:39], v[46:47], v[38:39]
	v_add_f64 v[50:51], v[46:47], v[50:51]
	;; [unrolled: 1-line block ×3, first 2 shown]
	v_rcp_f64_e32 v[58:59], v[46:47]
	v_add_f64 v[52:53], v[48:49], v[50:51]
	v_add_f64 v[48:49], v[52:53], -v[48:49]
	v_add_f64 v[48:49], v[50:51], -v[48:49]
	;; [unrolled: 1-line block ×4, first 2 shown]
	v_fma_f64 v[50:51], -v[46:47], v[58:59], 1.0
	v_fmac_f64_e32 v[58:59], v[50:51], v[58:59]
	v_fma_f64 v[50:51], -v[46:47], v[58:59], 1.0
	v_fmac_f64_e32 v[58:59], v[50:51], v[58:59]
	v_mul_f64 v[50:51], v[52:53], v[58:59]
	v_mul_f64 v[56:57], v[46:47], v[50:51]
	v_fma_f64 v[60:61], v[50:51], v[46:47], -v[56:57]
	v_fmac_f64_e32 v[60:61], v[50:51], v[38:39]
	v_add_f64 v[62:63], v[56:57], v[60:61]
	v_add_f64 v[64:65], v[52:53], -v[62:63]
	v_add_f64 v[52:53], v[52:53], -v[64:65]
	;; [unrolled: 1-line block ×4, first 2 shown]
	v_add_f64 v[48:49], v[48:49], v[52:53]
	v_add_f64 v[52:53], v[56:57], -v[60:61]
	v_add_f64 v[48:49], v[52:53], v[48:49]
	v_add_f64 v[52:53], v[64:65], v[48:49]
	v_add_f64 v[56:57], v[64:65], -v[52:53]
	v_add_f64 v[48:49], v[48:49], v[56:57]
	v_mul_f64 v[56:57], v[58:59], v[52:53]
	v_mul_f64 v[60:61], v[46:47], v[56:57]
	v_fma_f64 v[46:47], v[56:57], v[46:47], -v[60:61]
	v_fmac_f64_e32 v[46:47], v[56:57], v[38:39]
	v_add_f64 v[38:39], v[60:61], v[46:47]
	v_add_f64 v[62:63], v[52:53], -v[38:39]
	v_add_f64 v[52:53], v[52:53], -v[62:63]
	;; [unrolled: 1-line block ×4, first 2 shown]
	v_add_f64 v[38:39], v[48:49], v[38:39]
	v_add_f64 v[46:47], v[60:61], -v[46:47]
	v_add_f64 v[38:39], v[46:47], v[38:39]
	v_add_f64 v[46:47], v[50:51], v[56:57]
	;; [unrolled: 1-line block ×3, first 2 shown]
	v_add_f64 v[48:49], v[46:47], -v[50:51]
	v_mul_f64 v[38:39], v[58:59], v[38:39]
	v_add_f64 v[48:49], v[56:57], -v[48:49]
	v_add_f64 v[38:39], v[48:49], v[38:39]
	v_add_f64 v[48:49], v[46:47], v[38:39]
	v_add_f64 v[46:47], v[48:49], -v[46:47]
	s_mov_b32 s30, 0xbf559e2b
	v_add_f64 v[38:39], v[38:39], -v[46:47]
	v_mul_f64 v[46:47], v[48:49], v[48:49]
	v_mov_b32_e32 v50, 0x6b47b09a
	v_mov_b32_e32 v51, 0x3fc38538
	s_mov_b32 s31, 0x3fc3ab76
	v_fmac_f64_e32 v[50:51], s[30:31], v[46:47]
	v_mov_b32_e32 v52, 0xd7f4df2e
	v_mov_b32_e32 v53, 0x3fc7474d
	v_fmac_f64_e32 v[52:53], v[46:47], v[50:51]
	v_mov_b32_e32 v50, 0x16291751
	v_mov_b32_e32 v51, 0x3fcc71c0
	;; [unrolled: 3-line block ×5, first 2 shown]
	v_fmac_f64_e32 v[52:53], v[46:47], v[50:51]
	v_cvt_f64_i32_e32 v[50:51], v1
	s_mov_b32 s43, 0x3fe62e42
	v_mul_f64 v[56:57], v[50:51], s[42:43]
	v_fma_f64 v[58:59], v[50:51], s[42:43], -v[56:57]
	s_mov_b32 s45, 0x3c7abc9e
	v_fmac_f64_e32 v[58:59], s[44:45], v[50:51]
	v_add_f64 v[50:51], v[56:57], v[58:59]
	v_add_f64 v[56:57], v[50:51], -v[56:57]
	v_mul_f64 v[46:47], v[48:49], v[46:47]
	v_add_f64 v[56:57], v[58:59], -v[56:57]
	v_ldexp_f64 v[58:59], v[48:49], 1
	v_mul_f64 v[46:47], v[46:47], v[52:53]
	v_add_f64 v[48:49], v[58:59], v[46:47]
	v_add_f64 v[52:53], v[48:49], -v[58:59]
	v_ldexp_f64 v[38:39], v[38:39], 1
	v_add_f64 v[46:47], v[46:47], -v[52:53]
	v_add_f64 v[38:39], v[38:39], v[46:47]
	v_add_f64 v[46:47], v[48:49], v[38:39]
	v_add_f64 v[48:49], v[46:47], -v[48:49]
	v_add_f64 v[38:39], v[38:39], -v[48:49]
	v_add_f64 v[48:49], v[50:51], v[46:47]
	v_add_f64 v[52:53], v[48:49], -v[50:51]
	v_add_f64 v[58:59], v[48:49], -v[52:53]
	;; [unrolled: 1-line block ×4, first 2 shown]
	v_add_f64 v[46:47], v[46:47], v[50:51]
	v_add_f64 v[50:51], v[56:57], v[38:39]
	v_add_f64 v[52:53], v[50:51], -v[56:57]
	v_add_f64 v[46:47], v[50:51], v[46:47]
	v_add_f64 v[58:59], v[50:51], -v[52:53]
	;; [unrolled: 2-line block ×3, first 2 shown]
	v_add_f64 v[38:39], v[38:39], -v[52:53]
	v_add_f64 v[48:49], v[50:51], -v[48:49]
	v_add_f64 v[38:39], v[38:39], v[56:57]
	v_add_f64 v[46:47], v[46:47], -v[48:49]
	s_mov_b32 s30, 0
	v_add_f64 v[38:39], v[38:39], v[46:47]
	s_mov_b32 s31, 0x7ff00000
	v_add_f64 v[38:39], v[50:51], v[38:39]
	v_cmp_eq_f64_e64 s[30:31], s[30:31], v[36:37]
	v_cndmask_b32_e64 v1, v38, v36, s[30:31]
	v_cndmask_b32_e64 v38, v39, v37, s[30:31]
	v_mov_b32_e32 v39, 0x7ff80000
	v_cmp_ngt_f64_e64 s[30:31], -1.0, v[36:37]
	v_cndmask_b32_e64 v39, v39, v38, s[30:31]
	v_cmp_nge_f64_e64 s[30:31], -1.0, v[36:37]
	v_cndmask_b32_e64 v38, 0, v1, s[30:31]
	v_mov_b32_e32 v1, 0xfff00000
	v_cmp_neq_f64_e64 s[30:31], -1.0, v[36:37]
	v_cndmask_b32_e64 v39, v1, v39, s[30:31]
	v_add_f64 v[46:47], v[34:35], v[38:39]
.LBB77_32:
	s_or_b64 exec, exec, s[36:37]
	v_max_f64 v[34:35], v[12:13], v[12:13]
	v_max_f64 v[36:37], v[46:47], v[46:47]
	v_min_f64 v[38:39], v[36:37], v[34:35]
	v_cmp_u_f64_e64 s[34:35], v[46:47], v[46:47]
	v_cndmask_b32_e64 v1, v38, v46, s[34:35]
	v_cndmask_b32_e64 v38, v39, v47, s[34:35]
	v_cmp_u_f64_e64 s[30:31], v[12:13], v[12:13]
	v_max_f64 v[36:37], v[36:37], v[34:35]
	v_cndmask_b32_e64 v39, v38, v13, s[30:31]
	v_cndmask_b32_e64 v38, v1, v12, s[30:31]
	;; [unrolled: 1-line block ×6, first 2 shown]
	v_cmp_neq_f64_e64 s[34:35], v[38:39], v[36:37]
	v_cmp_class_f64_e64 s[36:37], v[38:39], s33
	s_or_b64 s[34:35], s[34:35], s[36:37]
	s_and_saveexec_b64 s[42:43], s[34:35]
	s_cbranch_execz .LBB77_34
; %bb.33:
	s_mov_b32 s34, 0x652b82fe
	v_add_f64 v[38:39], v[38:39], -v[36:37]
	s_mov_b32 s35, 0x3ff71547
	v_mul_f64 v[46:47], v[38:39], s[34:35]
	v_rndne_f64_e32 v[46:47], v[46:47]
	s_mov_b32 s45, 0xbfe62e42
	s_mov_b32 s44, 0xfefa39ef
	v_fma_f64 v[48:49], s[44:45], v[46:47], v[38:39]
	s_mov_b32 s47, 0xbc7abc9e
	s_mov_b32 s46, 0x3b39803f
	;; [unrolled: 1-line block ×3, first 2 shown]
	v_fmac_f64_e32 v[48:49], s[46:47], v[46:47]
	v_mov_b32_e32 v50, 0xfca7ab0c
	v_mov_b32_e32 v51, 0x3e928af3
	s_mov_b32 s35, 0x3e5ade15
	v_fmac_f64_e32 v[50:51], s[34:35], v[48:49]
	v_mov_b32_e32 v52, 0x623fde64
	v_mov_b32_e32 v53, 0x3ec71dee
	v_fmac_f64_e32 v[52:53], v[48:49], v[50:51]
	v_mov_b32_e32 v50, 0x7c89e6b0
	v_mov_b32_e32 v51, 0x3efa0199
	;; [unrolled: 3-line block ×8, first 2 shown]
	v_fmac_f64_e32 v[50:51], v[48:49], v[52:53]
	v_fma_f64 v[50:51], v[48:49], v[50:51], 1.0
	s_mov_b32 s34, 0
	s_mov_b32 s36, 0
	v_fma_f64 v[48:49], v[48:49], v[50:51], 1.0
	v_cvt_i32_f64_e32 v1, v[46:47]
	s_mov_b32 s35, 0x40900000
	s_mov_b32 s37, 0xc090cc00
	v_ldexp_f64 v[46:47], v[48:49], v1
	v_mov_b32_e32 v1, 0x7ff00000
	v_cmp_nlt_f64_e64 s[34:35], s[34:35], v[38:39]
	v_cmp_ngt_f64_e64 s[36:37], s[36:37], v[38:39]
	v_cndmask_b32_e64 v1, v1, v47, s[34:35]
	s_and_b64 s[34:35], s[36:37], s[34:35]
	v_cndmask_b32_e64 v39, 0, v1, s[36:37]
	v_cndmask_b32_e64 v38, 0, v46, s[34:35]
	v_add_f64 v[46:47], v[38:39], 1.0
	v_add_f64 v[48:49], v[46:47], -1.0
	v_add_f64 v[50:51], v[48:49], -v[46:47]
	v_add_f64 v[50:51], v[50:51], 1.0
	v_add_f64 v[48:49], v[38:39], -v[48:49]
	s_mov_b32 s34, 0x55555555
	v_add_f64 v[48:49], v[48:49], v[50:51]
	v_frexp_mant_f64_e32 v[50:51], v[46:47]
	s_mov_b32 s35, 0x3fe55555
	v_frexp_exp_i32_f64_e32 v1, v[46:47]
	v_cmp_gt_f64_e64 s[34:35], s[34:35], v[50:51]
	v_subbrev_co_u32_e64 v1, s[34:35], 0, v1, s[34:35]
	v_sub_u32_e32 v50, 0, v1
	v_ldexp_f64 v[46:47], v[46:47], v50
	v_ldexp_f64 v[48:49], v[48:49], v50
	v_add_f64 v[50:51], v[46:47], -1.0
	v_add_f64 v[58:59], v[46:47], 1.0
	v_add_f64 v[52:53], v[50:51], 1.0
	v_add_f64 v[60:61], v[58:59], -1.0
	v_add_f64 v[52:53], v[46:47], -v[52:53]
	v_add_f64 v[46:47], v[46:47], -v[60:61]
	v_add_f64 v[46:47], v[48:49], v[46:47]
	v_add_f64 v[52:53], v[48:49], v[52:53]
	;; [unrolled: 1-line block ×3, first 2 shown]
	v_rcp_f64_e32 v[60:61], v[48:49]
	v_add_f64 v[56:57], v[50:51], v[52:53]
	v_add_f64 v[50:51], v[56:57], -v[50:51]
	v_add_f64 v[50:51], v[52:53], -v[50:51]
	;; [unrolled: 1-line block ×4, first 2 shown]
	v_fma_f64 v[52:53], -v[48:49], v[60:61], 1.0
	v_fmac_f64_e32 v[60:61], v[52:53], v[60:61]
	v_fma_f64 v[52:53], -v[48:49], v[60:61], 1.0
	v_fmac_f64_e32 v[60:61], v[52:53], v[60:61]
	v_mul_f64 v[52:53], v[56:57], v[60:61]
	v_mul_f64 v[58:59], v[48:49], v[52:53]
	v_fma_f64 v[62:63], v[52:53], v[48:49], -v[58:59]
	v_fmac_f64_e32 v[62:63], v[52:53], v[46:47]
	v_add_f64 v[64:65], v[58:59], v[62:63]
	v_add_f64 v[66:67], v[56:57], -v[64:65]
	v_add_f64 v[56:57], v[56:57], -v[66:67]
	;; [unrolled: 1-line block ×4, first 2 shown]
	v_add_f64 v[50:51], v[50:51], v[56:57]
	v_add_f64 v[56:57], v[58:59], -v[62:63]
	v_add_f64 v[50:51], v[56:57], v[50:51]
	v_add_f64 v[56:57], v[66:67], v[50:51]
	v_add_f64 v[58:59], v[66:67], -v[56:57]
	v_add_f64 v[50:51], v[50:51], v[58:59]
	v_mul_f64 v[58:59], v[60:61], v[56:57]
	v_mul_f64 v[62:63], v[48:49], v[58:59]
	v_fma_f64 v[48:49], v[58:59], v[48:49], -v[62:63]
	v_fmac_f64_e32 v[48:49], v[58:59], v[46:47]
	v_add_f64 v[46:47], v[62:63], v[48:49]
	v_add_f64 v[64:65], v[56:57], -v[46:47]
	v_add_f64 v[56:57], v[56:57], -v[64:65]
	;; [unrolled: 1-line block ×4, first 2 shown]
	v_add_f64 v[46:47], v[50:51], v[46:47]
	v_add_f64 v[48:49], v[62:63], -v[48:49]
	v_add_f64 v[46:47], v[48:49], v[46:47]
	v_add_f64 v[48:49], v[52:53], v[58:59]
	;; [unrolled: 1-line block ×3, first 2 shown]
	v_add_f64 v[50:51], v[48:49], -v[52:53]
	v_mul_f64 v[46:47], v[60:61], v[46:47]
	v_add_f64 v[50:51], v[58:59], -v[50:51]
	v_add_f64 v[46:47], v[50:51], v[46:47]
	v_add_f64 v[50:51], v[48:49], v[46:47]
	v_add_f64 v[48:49], v[50:51], -v[48:49]
	s_mov_b32 s34, 0xbf559e2b
	v_add_f64 v[46:47], v[46:47], -v[48:49]
	v_mul_f64 v[48:49], v[50:51], v[50:51]
	v_mov_b32_e32 v52, 0x6b47b09a
	v_mov_b32_e32 v53, 0x3fc38538
	s_mov_b32 s35, 0x3fc3ab76
	v_fmac_f64_e32 v[52:53], s[34:35], v[48:49]
	v_mov_b32_e32 v56, 0xd7f4df2e
	v_mov_b32_e32 v57, 0x3fc7474d
	v_fmac_f64_e32 v[56:57], v[48:49], v[52:53]
	v_mov_b32_e32 v52, 0x16291751
	v_mov_b32_e32 v53, 0x3fcc71c0
	;; [unrolled: 3-line block ×5, first 2 shown]
	v_fmac_f64_e32 v[56:57], v[48:49], v[52:53]
	v_cvt_f64_i32_e32 v[52:53], v1
	s_mov_b32 s45, 0x3fe62e42
	v_mul_f64 v[58:59], v[52:53], s[44:45]
	v_fma_f64 v[60:61], v[52:53], s[44:45], -v[58:59]
	s_mov_b32 s47, 0x3c7abc9e
	v_fmac_f64_e32 v[60:61], s[46:47], v[52:53]
	v_add_f64 v[52:53], v[58:59], v[60:61]
	v_add_f64 v[58:59], v[52:53], -v[58:59]
	v_mul_f64 v[48:49], v[50:51], v[48:49]
	v_add_f64 v[58:59], v[60:61], -v[58:59]
	v_ldexp_f64 v[60:61], v[50:51], 1
	v_mul_f64 v[48:49], v[48:49], v[56:57]
	v_add_f64 v[50:51], v[60:61], v[48:49]
	v_add_f64 v[56:57], v[50:51], -v[60:61]
	v_ldexp_f64 v[46:47], v[46:47], 1
	v_add_f64 v[48:49], v[48:49], -v[56:57]
	v_add_f64 v[46:47], v[46:47], v[48:49]
	v_add_f64 v[48:49], v[50:51], v[46:47]
	v_add_f64 v[50:51], v[48:49], -v[50:51]
	v_add_f64 v[46:47], v[46:47], -v[50:51]
	v_add_f64 v[50:51], v[52:53], v[48:49]
	v_add_f64 v[56:57], v[50:51], -v[52:53]
	v_add_f64 v[60:61], v[50:51], -v[56:57]
	;; [unrolled: 1-line block ×4, first 2 shown]
	v_add_f64 v[48:49], v[48:49], v[52:53]
	v_add_f64 v[52:53], v[58:59], v[46:47]
	v_add_f64 v[56:57], v[52:53], -v[58:59]
	v_add_f64 v[48:49], v[52:53], v[48:49]
	v_add_f64 v[60:61], v[52:53], -v[56:57]
	;; [unrolled: 2-line block ×3, first 2 shown]
	v_add_f64 v[46:47], v[46:47], -v[56:57]
	v_add_f64 v[50:51], v[52:53], -v[50:51]
	v_add_f64 v[46:47], v[46:47], v[58:59]
	v_add_f64 v[48:49], v[48:49], -v[50:51]
	s_mov_b32 s34, 0
	v_add_f64 v[46:47], v[46:47], v[48:49]
	s_mov_b32 s35, 0x7ff00000
	v_add_f64 v[46:47], v[52:53], v[46:47]
	v_cmp_eq_f64_e64 s[34:35], s[34:35], v[38:39]
	v_cndmask_b32_e64 v1, v46, v38, s[34:35]
	v_cndmask_b32_e64 v46, v47, v39, s[34:35]
	v_mov_b32_e32 v47, 0x7ff80000
	v_cmp_ngt_f64_e64 s[34:35], -1.0, v[38:39]
	v_cndmask_b32_e64 v47, v47, v46, s[34:35]
	v_cmp_nge_f64_e64 s[34:35], -1.0, v[38:39]
	v_cndmask_b32_e64 v46, 0, v1, s[34:35]
	v_mov_b32_e32 v1, 0xfff00000
	v_cmp_neq_f64_e64 s[34:35], -1.0, v[38:39]
	v_cndmask_b32_e64 v47, v1, v47, s[34:35]
	v_add_f64 v[46:47], v[36:37], v[46:47]
.LBB77_34:
	s_or_b64 exec, exec, s[42:43]
	v_max_f64 v[36:37], v[6:7], v[6:7]
	v_max_f64 v[38:39], v[46:47], v[46:47]
	v_min_f64 v[48:49], v[38:39], v[36:37]
	v_cmp_u_f64_e64 s[36:37], v[46:47], v[46:47]
	v_cndmask_b32_e64 v1, v48, v46, s[36:37]
	v_cndmask_b32_e64 v48, v49, v47, s[36:37]
	v_cmp_u_f64_e64 s[34:35], v[6:7], v[6:7]
	v_max_f64 v[38:39], v[38:39], v[36:37]
	v_cndmask_b32_e64 v49, v48, v7, s[34:35]
	v_cndmask_b32_e64 v48, v1, v6, s[34:35]
	;; [unrolled: 1-line block ×6, first 2 shown]
	v_cmp_neq_f64_e64 s[36:37], v[48:49], v[38:39]
	v_cmp_class_f64_e64 s[42:43], v[48:49], s33
	s_or_b64 s[36:37], s[36:37], s[42:43]
	s_and_saveexec_b64 s[44:45], s[36:37]
	s_cbranch_execz .LBB77_36
; %bb.35:
	s_mov_b32 s36, 0x652b82fe
	v_add_f64 v[46:47], v[48:49], -v[38:39]
	s_mov_b32 s37, 0x3ff71547
	v_mul_f64 v[48:49], v[46:47], s[36:37]
	v_rndne_f64_e32 v[48:49], v[48:49]
	s_mov_b32 s47, 0xbfe62e42
	s_mov_b32 s46, 0xfefa39ef
	v_fma_f64 v[50:51], s[46:47], v[48:49], v[46:47]
	s_mov_b32 s49, 0xbc7abc9e
	s_mov_b32 s48, 0x3b39803f
	;; [unrolled: 1-line block ×3, first 2 shown]
	v_fmac_f64_e32 v[50:51], s[48:49], v[48:49]
	v_mov_b32_e32 v52, 0xfca7ab0c
	v_mov_b32_e32 v53, 0x3e928af3
	s_mov_b32 s37, 0x3e5ade15
	v_fmac_f64_e32 v[52:53], s[36:37], v[50:51]
	v_mov_b32_e32 v56, 0x623fde64
	v_mov_b32_e32 v57, 0x3ec71dee
	v_fmac_f64_e32 v[56:57], v[50:51], v[52:53]
	v_mov_b32_e32 v52, 0x7c89e6b0
	v_mov_b32_e32 v53, 0x3efa0199
	;; [unrolled: 3-line block ×8, first 2 shown]
	v_fmac_f64_e32 v[52:53], v[50:51], v[56:57]
	v_fma_f64 v[52:53], v[50:51], v[52:53], 1.0
	s_mov_b32 s36, 0
	s_mov_b32 s42, 0
	v_fma_f64 v[50:51], v[50:51], v[52:53], 1.0
	v_cvt_i32_f64_e32 v1, v[48:49]
	s_mov_b32 s37, 0x40900000
	s_mov_b32 s43, 0xc090cc00
	v_ldexp_f64 v[48:49], v[50:51], v1
	v_mov_b32_e32 v1, 0x7ff00000
	v_cmp_nlt_f64_e64 s[36:37], s[36:37], v[46:47]
	v_cmp_ngt_f64_e64 s[42:43], s[42:43], v[46:47]
	v_cndmask_b32_e64 v1, v1, v49, s[36:37]
	s_and_b64 s[36:37], s[42:43], s[36:37]
	v_cndmask_b32_e64 v47, 0, v1, s[42:43]
	v_cndmask_b32_e64 v46, 0, v48, s[36:37]
	v_add_f64 v[48:49], v[46:47], 1.0
	v_add_f64 v[50:51], v[48:49], -1.0
	v_add_f64 v[52:53], v[50:51], -v[48:49]
	v_add_f64 v[52:53], v[52:53], 1.0
	v_add_f64 v[50:51], v[46:47], -v[50:51]
	s_mov_b32 s36, 0x55555555
	v_add_f64 v[50:51], v[50:51], v[52:53]
	v_frexp_mant_f64_e32 v[52:53], v[48:49]
	s_mov_b32 s37, 0x3fe55555
	v_frexp_exp_i32_f64_e32 v1, v[48:49]
	v_cmp_gt_f64_e64 s[36:37], s[36:37], v[52:53]
	v_subbrev_co_u32_e64 v1, s[36:37], 0, v1, s[36:37]
	v_sub_u32_e32 v52, 0, v1
	v_ldexp_f64 v[48:49], v[48:49], v52
	v_ldexp_f64 v[50:51], v[50:51], v52
	v_add_f64 v[52:53], v[48:49], -1.0
	v_add_f64 v[60:61], v[48:49], 1.0
	v_add_f64 v[56:57], v[52:53], 1.0
	v_add_f64 v[62:63], v[60:61], -1.0
	v_add_f64 v[56:57], v[48:49], -v[56:57]
	v_add_f64 v[48:49], v[48:49], -v[62:63]
	v_add_f64 v[48:49], v[50:51], v[48:49]
	v_add_f64 v[56:57], v[50:51], v[56:57]
	;; [unrolled: 1-line block ×3, first 2 shown]
	v_rcp_f64_e32 v[62:63], v[50:51]
	v_add_f64 v[58:59], v[52:53], v[56:57]
	v_add_f64 v[52:53], v[58:59], -v[52:53]
	v_add_f64 v[52:53], v[56:57], -v[52:53]
	;; [unrolled: 1-line block ×4, first 2 shown]
	v_fma_f64 v[56:57], -v[50:51], v[62:63], 1.0
	v_fmac_f64_e32 v[62:63], v[56:57], v[62:63]
	v_fma_f64 v[56:57], -v[50:51], v[62:63], 1.0
	v_fmac_f64_e32 v[62:63], v[56:57], v[62:63]
	v_mul_f64 v[56:57], v[58:59], v[62:63]
	v_mul_f64 v[60:61], v[50:51], v[56:57]
	v_fma_f64 v[64:65], v[56:57], v[50:51], -v[60:61]
	v_fmac_f64_e32 v[64:65], v[56:57], v[48:49]
	v_add_f64 v[66:67], v[60:61], v[64:65]
	v_add_f64 v[68:69], v[58:59], -v[66:67]
	v_add_f64 v[58:59], v[58:59], -v[68:69]
	;; [unrolled: 1-line block ×4, first 2 shown]
	v_add_f64 v[52:53], v[52:53], v[58:59]
	v_add_f64 v[58:59], v[60:61], -v[64:65]
	v_add_f64 v[52:53], v[58:59], v[52:53]
	v_add_f64 v[58:59], v[68:69], v[52:53]
	v_add_f64 v[60:61], v[68:69], -v[58:59]
	v_add_f64 v[52:53], v[52:53], v[60:61]
	v_mul_f64 v[60:61], v[62:63], v[58:59]
	v_mul_f64 v[64:65], v[50:51], v[60:61]
	v_fma_f64 v[50:51], v[60:61], v[50:51], -v[64:65]
	v_fmac_f64_e32 v[50:51], v[60:61], v[48:49]
	v_add_f64 v[48:49], v[64:65], v[50:51]
	v_add_f64 v[66:67], v[58:59], -v[48:49]
	v_add_f64 v[58:59], v[58:59], -v[66:67]
	;; [unrolled: 1-line block ×4, first 2 shown]
	v_add_f64 v[48:49], v[52:53], v[48:49]
	v_add_f64 v[50:51], v[64:65], -v[50:51]
	v_add_f64 v[48:49], v[50:51], v[48:49]
	v_add_f64 v[50:51], v[56:57], v[60:61]
	v_add_f64 v[48:49], v[66:67], v[48:49]
	v_add_f64 v[52:53], v[50:51], -v[56:57]
	v_mul_f64 v[48:49], v[62:63], v[48:49]
	v_add_f64 v[52:53], v[60:61], -v[52:53]
	v_add_f64 v[48:49], v[52:53], v[48:49]
	v_add_f64 v[52:53], v[50:51], v[48:49]
	v_add_f64 v[50:51], v[52:53], -v[50:51]
	s_mov_b32 s36, 0xbf559e2b
	v_add_f64 v[48:49], v[48:49], -v[50:51]
	v_mul_f64 v[50:51], v[52:53], v[52:53]
	v_mov_b32_e32 v56, 0x6b47b09a
	v_mov_b32_e32 v57, 0x3fc38538
	s_mov_b32 s37, 0x3fc3ab76
	v_fmac_f64_e32 v[56:57], s[36:37], v[50:51]
	v_mov_b32_e32 v58, 0xd7f4df2e
	v_mov_b32_e32 v59, 0x3fc7474d
	v_fmac_f64_e32 v[58:59], v[50:51], v[56:57]
	v_mov_b32_e32 v56, 0x16291751
	v_mov_b32_e32 v57, 0x3fcc71c0
	;; [unrolled: 3-line block ×5, first 2 shown]
	v_fmac_f64_e32 v[58:59], v[50:51], v[56:57]
	v_cvt_f64_i32_e32 v[56:57], v1
	s_mov_b32 s47, 0x3fe62e42
	v_mul_f64 v[60:61], v[56:57], s[46:47]
	v_fma_f64 v[62:63], v[56:57], s[46:47], -v[60:61]
	s_mov_b32 s49, 0x3c7abc9e
	v_fmac_f64_e32 v[62:63], s[48:49], v[56:57]
	v_add_f64 v[56:57], v[60:61], v[62:63]
	v_add_f64 v[60:61], v[56:57], -v[60:61]
	v_mul_f64 v[50:51], v[52:53], v[50:51]
	v_add_f64 v[60:61], v[62:63], -v[60:61]
	v_ldexp_f64 v[62:63], v[52:53], 1
	v_mul_f64 v[50:51], v[50:51], v[58:59]
	v_add_f64 v[52:53], v[62:63], v[50:51]
	v_add_f64 v[58:59], v[52:53], -v[62:63]
	v_ldexp_f64 v[48:49], v[48:49], 1
	v_add_f64 v[50:51], v[50:51], -v[58:59]
	v_add_f64 v[48:49], v[48:49], v[50:51]
	v_add_f64 v[50:51], v[52:53], v[48:49]
	v_add_f64 v[52:53], v[50:51], -v[52:53]
	v_add_f64 v[48:49], v[48:49], -v[52:53]
	v_add_f64 v[52:53], v[56:57], v[50:51]
	v_add_f64 v[58:59], v[52:53], -v[56:57]
	v_add_f64 v[62:63], v[52:53], -v[58:59]
	;; [unrolled: 1-line block ×4, first 2 shown]
	v_add_f64 v[50:51], v[50:51], v[56:57]
	v_add_f64 v[56:57], v[60:61], v[48:49]
	v_add_f64 v[58:59], v[56:57], -v[60:61]
	v_add_f64 v[50:51], v[56:57], v[50:51]
	v_add_f64 v[62:63], v[56:57], -v[58:59]
	;; [unrolled: 2-line block ×3, first 2 shown]
	v_add_f64 v[48:49], v[48:49], -v[58:59]
	v_add_f64 v[52:53], v[56:57], -v[52:53]
	v_add_f64 v[48:49], v[48:49], v[60:61]
	v_add_f64 v[50:51], v[50:51], -v[52:53]
	s_mov_b32 s36, 0
	v_add_f64 v[48:49], v[48:49], v[50:51]
	s_mov_b32 s37, 0x7ff00000
	v_add_f64 v[48:49], v[56:57], v[48:49]
	v_cmp_eq_f64_e64 s[36:37], s[36:37], v[46:47]
	v_cndmask_b32_e64 v1, v48, v46, s[36:37]
	v_cndmask_b32_e64 v48, v49, v47, s[36:37]
	v_mov_b32_e32 v49, 0x7ff80000
	v_cmp_ngt_f64_e64 s[36:37], -1.0, v[46:47]
	v_cndmask_b32_e64 v49, v49, v48, s[36:37]
	v_cmp_nge_f64_e64 s[36:37], -1.0, v[46:47]
	v_cndmask_b32_e64 v48, 0, v1, s[36:37]
	v_mov_b32_e32 v1, 0xfff00000
	v_cmp_neq_f64_e64 s[36:37], -1.0, v[46:47]
	v_cndmask_b32_e64 v49, v1, v49, s[36:37]
	v_add_f64 v[46:47], v[38:39], v[48:49]
.LBB77_36:
	s_or_b64 exec, exec, s[44:45]
	v_max_f64 v[38:39], v[8:9], v[8:9]
	v_max_f64 v[48:49], v[46:47], v[46:47]
	v_min_f64 v[50:51], v[48:49], v[38:39]
	v_cmp_u_f64_e64 s[42:43], v[46:47], v[46:47]
	v_cndmask_b32_e64 v1, v50, v46, s[42:43]
	v_cndmask_b32_e64 v50, v51, v47, s[42:43]
	v_cmp_u_f64_e64 s[36:37], v[8:9], v[8:9]
	v_max_f64 v[48:49], v[48:49], v[38:39]
	v_cndmask_b32_e64 v51, v50, v9, s[36:37]
	v_cndmask_b32_e64 v50, v1, v8, s[36:37]
	;; [unrolled: 1-line block ×6, first 2 shown]
	v_cmp_neq_f64_e64 s[42:43], v[50:51], v[48:49]
	v_cmp_class_f64_e64 s[44:45], v[50:51], s33
	s_or_b64 s[42:43], s[42:43], s[44:45]
	s_and_saveexec_b64 s[46:47], s[42:43]
	s_cbranch_execz .LBB77_38
; %bb.37:
	s_mov_b32 s42, 0x652b82fe
	v_add_f64 v[46:47], v[50:51], -v[48:49]
	s_mov_b32 s43, 0x3ff71547
	v_mul_f64 v[50:51], v[46:47], s[42:43]
	v_rndne_f64_e32 v[50:51], v[50:51]
	s_mov_b32 s49, 0xbfe62e42
	s_mov_b32 s48, 0xfefa39ef
	v_fma_f64 v[52:53], s[48:49], v[50:51], v[46:47]
	s_mov_b32 s51, 0xbc7abc9e
	s_mov_b32 s50, 0x3b39803f
	;; [unrolled: 1-line block ×3, first 2 shown]
	v_fmac_f64_e32 v[52:53], s[50:51], v[50:51]
	v_mov_b32_e32 v56, 0xfca7ab0c
	v_mov_b32_e32 v57, 0x3e928af3
	s_mov_b32 s43, 0x3e5ade15
	v_fmac_f64_e32 v[56:57], s[42:43], v[52:53]
	v_mov_b32_e32 v58, 0x623fde64
	v_mov_b32_e32 v59, 0x3ec71dee
	v_fmac_f64_e32 v[58:59], v[52:53], v[56:57]
	v_mov_b32_e32 v56, 0x7c89e6b0
	v_mov_b32_e32 v57, 0x3efa0199
	;; [unrolled: 3-line block ×8, first 2 shown]
	v_fmac_f64_e32 v[56:57], v[52:53], v[58:59]
	v_fma_f64 v[56:57], v[52:53], v[56:57], 1.0
	s_mov_b32 s42, 0
	s_mov_b32 s44, 0
	v_fma_f64 v[52:53], v[52:53], v[56:57], 1.0
	v_cvt_i32_f64_e32 v1, v[50:51]
	s_mov_b32 s43, 0x40900000
	s_mov_b32 s45, 0xc090cc00
	v_ldexp_f64 v[50:51], v[52:53], v1
	v_mov_b32_e32 v1, 0x7ff00000
	v_cmp_nlt_f64_e64 s[42:43], s[42:43], v[46:47]
	v_cmp_ngt_f64_e64 s[44:45], s[44:45], v[46:47]
	v_cndmask_b32_e64 v1, v1, v51, s[42:43]
	s_and_b64 s[42:43], s[44:45], s[42:43]
	v_cndmask_b32_e64 v47, 0, v1, s[44:45]
	v_cndmask_b32_e64 v46, 0, v50, s[42:43]
	v_add_f64 v[50:51], v[46:47], 1.0
	v_add_f64 v[52:53], v[50:51], -1.0
	v_add_f64 v[56:57], v[52:53], -v[50:51]
	v_add_f64 v[56:57], v[56:57], 1.0
	v_add_f64 v[52:53], v[46:47], -v[52:53]
	s_mov_b32 s42, 0x55555555
	v_add_f64 v[52:53], v[52:53], v[56:57]
	v_frexp_mant_f64_e32 v[56:57], v[50:51]
	s_mov_b32 s43, 0x3fe55555
	v_frexp_exp_i32_f64_e32 v1, v[50:51]
	v_cmp_gt_f64_e64 s[42:43], s[42:43], v[56:57]
	v_subbrev_co_u32_e64 v1, s[42:43], 0, v1, s[42:43]
	v_sub_u32_e32 v55, 0, v1
	v_ldexp_f64 v[50:51], v[50:51], v55
	v_add_f64 v[56:57], v[50:51], -1.0
	v_add_f64 v[62:63], v[50:51], 1.0
	v_add_f64 v[58:59], v[56:57], 1.0
	v_add_f64 v[64:65], v[62:63], -1.0
	v_ldexp_f64 v[52:53], v[52:53], v55
	v_add_f64 v[58:59], v[50:51], -v[58:59]
	v_add_f64 v[50:51], v[50:51], -v[64:65]
	v_add_f64 v[50:51], v[52:53], v[50:51]
	v_add_f64 v[58:59], v[52:53], v[58:59]
	;; [unrolled: 1-line block ×3, first 2 shown]
	v_rcp_f64_e32 v[64:65], v[52:53]
	v_add_f64 v[60:61], v[56:57], v[58:59]
	v_add_f64 v[56:57], v[60:61], -v[56:57]
	v_add_f64 v[56:57], v[58:59], -v[56:57]
	;; [unrolled: 1-line block ×4, first 2 shown]
	v_fma_f64 v[58:59], -v[52:53], v[64:65], 1.0
	v_fmac_f64_e32 v[64:65], v[58:59], v[64:65]
	v_fma_f64 v[58:59], -v[52:53], v[64:65], 1.0
	v_fmac_f64_e32 v[64:65], v[58:59], v[64:65]
	v_mul_f64 v[58:59], v[60:61], v[64:65]
	v_mul_f64 v[62:63], v[52:53], v[58:59]
	v_fma_f64 v[66:67], v[58:59], v[52:53], -v[62:63]
	v_fmac_f64_e32 v[66:67], v[58:59], v[50:51]
	v_add_f64 v[68:69], v[62:63], v[66:67]
	v_add_f64 v[70:71], v[60:61], -v[68:69]
	v_add_f64 v[60:61], v[60:61], -v[70:71]
	;; [unrolled: 1-line block ×4, first 2 shown]
	v_add_f64 v[56:57], v[56:57], v[60:61]
	v_add_f64 v[60:61], v[62:63], -v[66:67]
	v_add_f64 v[56:57], v[60:61], v[56:57]
	v_add_f64 v[60:61], v[70:71], v[56:57]
	v_add_f64 v[62:63], v[70:71], -v[60:61]
	v_add_f64 v[56:57], v[56:57], v[62:63]
	v_mul_f64 v[62:63], v[64:65], v[60:61]
	v_mul_f64 v[66:67], v[52:53], v[62:63]
	v_fma_f64 v[52:53], v[62:63], v[52:53], -v[66:67]
	v_fmac_f64_e32 v[52:53], v[62:63], v[50:51]
	v_add_f64 v[50:51], v[66:67], v[52:53]
	v_add_f64 v[68:69], v[60:61], -v[50:51]
	v_add_f64 v[60:61], v[60:61], -v[68:69]
	;; [unrolled: 1-line block ×4, first 2 shown]
	v_add_f64 v[50:51], v[56:57], v[50:51]
	v_add_f64 v[52:53], v[66:67], -v[52:53]
	v_add_f64 v[50:51], v[52:53], v[50:51]
	v_add_f64 v[52:53], v[58:59], v[62:63]
	v_add_f64 v[50:51], v[68:69], v[50:51]
	v_add_f64 v[56:57], v[52:53], -v[58:59]
	v_mul_f64 v[50:51], v[64:65], v[50:51]
	v_add_f64 v[56:57], v[62:63], -v[56:57]
	v_add_f64 v[50:51], v[56:57], v[50:51]
	v_add_f64 v[56:57], v[52:53], v[50:51]
	v_add_f64 v[52:53], v[56:57], -v[52:53]
	s_mov_b32 s42, 0xbf559e2b
	v_add_f64 v[50:51], v[50:51], -v[52:53]
	v_mul_f64 v[52:53], v[56:57], v[56:57]
	v_mov_b32_e32 v58, 0x6b47b09a
	v_mov_b32_e32 v59, 0x3fc38538
	s_mov_b32 s43, 0x3fc3ab76
	v_fmac_f64_e32 v[58:59], s[42:43], v[52:53]
	v_mov_b32_e32 v60, 0xd7f4df2e
	v_mov_b32_e32 v61, 0x3fc7474d
	v_fmac_f64_e32 v[60:61], v[52:53], v[58:59]
	v_mov_b32_e32 v58, 0x16291751
	v_mov_b32_e32 v59, 0x3fcc71c0
	;; [unrolled: 3-line block ×5, first 2 shown]
	v_fmac_f64_e32 v[60:61], v[52:53], v[58:59]
	v_cvt_f64_i32_e32 v[58:59], v1
	s_mov_b32 s49, 0x3fe62e42
	v_mul_f64 v[62:63], v[58:59], s[48:49]
	v_fma_f64 v[64:65], v[58:59], s[48:49], -v[62:63]
	s_mov_b32 s51, 0x3c7abc9e
	v_fmac_f64_e32 v[64:65], s[50:51], v[58:59]
	v_add_f64 v[58:59], v[62:63], v[64:65]
	v_add_f64 v[62:63], v[58:59], -v[62:63]
	v_mul_f64 v[52:53], v[56:57], v[52:53]
	v_add_f64 v[62:63], v[64:65], -v[62:63]
	v_ldexp_f64 v[64:65], v[56:57], 1
	v_mul_f64 v[52:53], v[52:53], v[60:61]
	v_add_f64 v[56:57], v[64:65], v[52:53]
	v_add_f64 v[60:61], v[56:57], -v[64:65]
	v_ldexp_f64 v[50:51], v[50:51], 1
	v_add_f64 v[52:53], v[52:53], -v[60:61]
	v_add_f64 v[50:51], v[50:51], v[52:53]
	v_add_f64 v[52:53], v[56:57], v[50:51]
	v_add_f64 v[56:57], v[52:53], -v[56:57]
	v_add_f64 v[50:51], v[50:51], -v[56:57]
	v_add_f64 v[56:57], v[58:59], v[52:53]
	v_add_f64 v[60:61], v[56:57], -v[58:59]
	v_add_f64 v[64:65], v[56:57], -v[60:61]
	v_add_f64 v[58:59], v[58:59], -v[64:65]
	v_add_f64 v[52:53], v[52:53], -v[60:61]
	v_add_f64 v[52:53], v[52:53], v[58:59]
	v_add_f64 v[58:59], v[62:63], v[50:51]
	v_add_f64 v[60:61], v[58:59], -v[62:63]
	v_add_f64 v[52:53], v[58:59], v[52:53]
	v_add_f64 v[64:65], v[58:59], -v[60:61]
	;; [unrolled: 2-line block ×3, first 2 shown]
	v_add_f64 v[50:51], v[50:51], -v[60:61]
	v_add_f64 v[56:57], v[58:59], -v[56:57]
	v_add_f64 v[50:51], v[50:51], v[62:63]
	v_add_f64 v[52:53], v[52:53], -v[56:57]
	s_mov_b32 s42, 0
	v_add_f64 v[50:51], v[50:51], v[52:53]
	s_mov_b32 s43, 0x7ff00000
	v_add_f64 v[50:51], v[58:59], v[50:51]
	v_cmp_eq_f64_e64 s[42:43], s[42:43], v[46:47]
	v_cndmask_b32_e64 v1, v50, v46, s[42:43]
	v_cndmask_b32_e64 v50, v51, v47, s[42:43]
	v_mov_b32_e32 v51, 0x7ff80000
	v_cmp_ngt_f64_e64 s[42:43], -1.0, v[46:47]
	v_cndmask_b32_e64 v51, v51, v50, s[42:43]
	v_cmp_nge_f64_e64 s[42:43], -1.0, v[46:47]
	v_cndmask_b32_e64 v50, 0, v1, s[42:43]
	v_mov_b32_e32 v1, 0xfff00000
	v_cmp_neq_f64_e64 s[42:43], -1.0, v[46:47]
	v_cndmask_b32_e64 v51, v1, v51, s[42:43]
	v_add_f64 v[46:47], v[48:49], v[50:51]
.LBB77_38:
	s_or_b64 exec, exec, s[46:47]
	s_load_dwordx2 s[44:45], s[4:5], 0x20
	v_mbcnt_lo_u32_b32 v1, -1, 0
	v_mbcnt_hi_u32_b32 v1, -1, v1
	v_and_b32_e32 v52, 15, v1
	v_mov_b32_dpp v48, v46 row_shr:1 row_mask:0xf bank_mask:0xf
	v_mov_b32_dpp v49, v47 row_shr:1 row_mask:0xf bank_mask:0xf
	v_cmp_ne_u32_e64 s[4:5], 0, v52
	v_mov_b32_e32 v50, v46
	v_mov_b32_e32 v51, v47
	s_and_saveexec_b64 s[46:47], s[4:5]
	s_cbranch_execz .LBB77_42
; %bb.39:
	v_max_f64 v[56:57], v[48:49], v[48:49]
	v_max_f64 v[58:59], v[46:47], v[46:47]
	v_min_f64 v[50:51], v[56:57], v[58:59]
	v_cmp_u_f64_e64 s[4:5], v[48:49], v[48:49]
	v_max_f64 v[56:57], v[56:57], v[58:59]
	v_cndmask_b32_e64 v50, v50, v48, s[4:5]
	v_cndmask_b32_e64 v51, v51, v49, s[4:5]
	v_cmp_u_f64_e64 s[42:43], v[46:47], v[46:47]
	v_cndmask_b32_e64 v53, v56, v48, s[4:5]
	v_cndmask_b32_e64 v55, v57, v49, s[4:5]
	;; [unrolled: 1-line block ×6, first 2 shown]
	v_cmp_neq_f64_e64 s[4:5], v[50:51], v[46:47]
	v_cmp_class_f64_e64 s[42:43], v[50:51], s33
	s_or_b64 s[4:5], s[4:5], s[42:43]
	s_and_saveexec_b64 s[48:49], s[4:5]
	s_cbranch_execz .LBB77_41
; %bb.40:
	s_mov_b32 s4, 0x652b82fe
	v_add_f64 v[48:49], v[50:51], -v[46:47]
	s_mov_b32 s5, 0x3ff71547
	v_mul_f64 v[50:51], v[48:49], s[4:5]
	v_rndne_f64_e32 v[50:51], v[50:51]
	s_mov_b32 s51, 0xbfe62e42
	s_mov_b32 s50, 0xfefa39ef
	v_fma_f64 v[56:57], s[50:51], v[50:51], v[48:49]
	s_mov_b32 s53, 0xbc7abc9e
	s_mov_b32 s52, 0x3b39803f
	;; [unrolled: 1-line block ×3, first 2 shown]
	v_fmac_f64_e32 v[56:57], s[52:53], v[50:51]
	v_mov_b32_e32 v58, 0xfca7ab0c
	v_mov_b32_e32 v59, 0x3e928af3
	s_mov_b32 s5, 0x3e5ade15
	v_fmac_f64_e32 v[58:59], s[4:5], v[56:57]
	v_mov_b32_e32 v60, 0x623fde64
	v_mov_b32_e32 v61, 0x3ec71dee
	v_fmac_f64_e32 v[60:61], v[56:57], v[58:59]
	v_mov_b32_e32 v58, 0x7c89e6b0
	v_mov_b32_e32 v59, 0x3efa0199
	;; [unrolled: 3-line block ×8, first 2 shown]
	v_fmac_f64_e32 v[58:59], v[56:57], v[60:61]
	v_fma_f64 v[58:59], v[56:57], v[58:59], 1.0
	s_mov_b32 s4, 0
	s_mov_b32 s42, 0
	v_fma_f64 v[56:57], v[56:57], v[58:59], 1.0
	v_cvt_i32_f64_e32 v50, v[50:51]
	s_mov_b32 s5, 0x40900000
	s_mov_b32 s43, 0xc090cc00
	v_ldexp_f64 v[50:51], v[56:57], v50
	v_mov_b32_e32 v53, 0x7ff00000
	v_cmp_nlt_f64_e64 s[4:5], s[4:5], v[48:49]
	v_cmp_ngt_f64_e64 s[42:43], s[42:43], v[48:49]
	v_cndmask_b32_e64 v51, v53, v51, s[4:5]
	s_and_b64 s[4:5], s[42:43], s[4:5]
	v_cndmask_b32_e64 v49, 0, v51, s[42:43]
	v_cndmask_b32_e64 v48, 0, v50, s[4:5]
	v_add_f64 v[50:51], v[48:49], 1.0
	v_add_f64 v[56:57], v[50:51], -1.0
	v_add_f64 v[58:59], v[56:57], -v[50:51]
	v_add_f64 v[58:59], v[58:59], 1.0
	v_add_f64 v[56:57], v[48:49], -v[56:57]
	s_mov_b32 s4, 0x55555555
	v_add_f64 v[56:57], v[56:57], v[58:59]
	v_frexp_mant_f64_e32 v[58:59], v[50:51]
	s_mov_b32 s5, 0x3fe55555
	v_frexp_exp_i32_f64_e32 v53, v[50:51]
	v_cmp_gt_f64_e64 s[4:5], s[4:5], v[58:59]
	v_subbrev_co_u32_e64 v53, s[4:5], 0, v53, s[4:5]
	v_sub_u32_e32 v55, 0, v53
	v_ldexp_f64 v[50:51], v[50:51], v55
	v_add_f64 v[58:59], v[50:51], -1.0
	v_add_f64 v[64:65], v[50:51], 1.0
	v_add_f64 v[60:61], v[58:59], 1.0
	v_add_f64 v[66:67], v[64:65], -1.0
	v_ldexp_f64 v[56:57], v[56:57], v55
	v_add_f64 v[60:61], v[50:51], -v[60:61]
	v_add_f64 v[50:51], v[50:51], -v[66:67]
	v_add_f64 v[50:51], v[56:57], v[50:51]
	v_add_f64 v[60:61], v[56:57], v[60:61]
	;; [unrolled: 1-line block ×3, first 2 shown]
	v_rcp_f64_e32 v[66:67], v[56:57]
	v_add_f64 v[62:63], v[58:59], v[60:61]
	v_add_f64 v[58:59], v[62:63], -v[58:59]
	v_add_f64 v[58:59], v[60:61], -v[58:59]
	v_add_f64 v[60:61], v[56:57], -v[64:65]
	v_add_f64 v[50:51], v[50:51], -v[60:61]
	v_fma_f64 v[60:61], -v[56:57], v[66:67], 1.0
	v_fmac_f64_e32 v[66:67], v[60:61], v[66:67]
	v_fma_f64 v[60:61], -v[56:57], v[66:67], 1.0
	v_fmac_f64_e32 v[66:67], v[60:61], v[66:67]
	v_mul_f64 v[60:61], v[62:63], v[66:67]
	v_mul_f64 v[64:65], v[56:57], v[60:61]
	v_fma_f64 v[68:69], v[60:61], v[56:57], -v[64:65]
	v_fmac_f64_e32 v[68:69], v[60:61], v[50:51]
	v_add_f64 v[70:71], v[64:65], v[68:69]
	v_add_f64 v[72:73], v[62:63], -v[70:71]
	v_add_f64 v[62:63], v[62:63], -v[72:73]
	;; [unrolled: 1-line block ×4, first 2 shown]
	v_add_f64 v[58:59], v[58:59], v[62:63]
	v_add_f64 v[62:63], v[64:65], -v[68:69]
	v_add_f64 v[58:59], v[62:63], v[58:59]
	v_add_f64 v[62:63], v[72:73], v[58:59]
	v_add_f64 v[64:65], v[72:73], -v[62:63]
	v_add_f64 v[58:59], v[58:59], v[64:65]
	v_mul_f64 v[64:65], v[66:67], v[62:63]
	v_mul_f64 v[68:69], v[56:57], v[64:65]
	v_fma_f64 v[56:57], v[64:65], v[56:57], -v[68:69]
	v_fmac_f64_e32 v[56:57], v[64:65], v[50:51]
	v_add_f64 v[50:51], v[68:69], v[56:57]
	v_add_f64 v[70:71], v[62:63], -v[50:51]
	v_add_f64 v[62:63], v[62:63], -v[70:71]
	;; [unrolled: 1-line block ×4, first 2 shown]
	v_add_f64 v[50:51], v[58:59], v[50:51]
	v_add_f64 v[56:57], v[68:69], -v[56:57]
	v_add_f64 v[50:51], v[56:57], v[50:51]
	v_add_f64 v[56:57], v[60:61], v[64:65]
	v_add_f64 v[50:51], v[70:71], v[50:51]
	v_add_f64 v[58:59], v[56:57], -v[60:61]
	v_mul_f64 v[50:51], v[66:67], v[50:51]
	v_add_f64 v[58:59], v[64:65], -v[58:59]
	v_add_f64 v[50:51], v[58:59], v[50:51]
	v_add_f64 v[58:59], v[56:57], v[50:51]
	v_add_f64 v[56:57], v[58:59], -v[56:57]
	s_mov_b32 s4, 0xbf559e2b
	v_add_f64 v[50:51], v[50:51], -v[56:57]
	v_mul_f64 v[56:57], v[58:59], v[58:59]
	v_mov_b32_e32 v60, 0x6b47b09a
	v_mov_b32_e32 v61, 0x3fc38538
	s_mov_b32 s5, 0x3fc3ab76
	v_fmac_f64_e32 v[60:61], s[4:5], v[56:57]
	v_mov_b32_e32 v62, 0xd7f4df2e
	v_mov_b32_e32 v63, 0x3fc7474d
	v_fmac_f64_e32 v[62:63], v[56:57], v[60:61]
	v_mov_b32_e32 v60, 0x16291751
	v_mov_b32_e32 v61, 0x3fcc71c0
	;; [unrolled: 3-line block ×5, first 2 shown]
	v_fmac_f64_e32 v[62:63], v[56:57], v[60:61]
	v_cvt_f64_i32_e32 v[60:61], v53
	s_mov_b32 s51, 0x3fe62e42
	v_mul_f64 v[64:65], v[60:61], s[50:51]
	v_fma_f64 v[66:67], v[60:61], s[50:51], -v[64:65]
	s_mov_b32 s53, 0x3c7abc9e
	v_fmac_f64_e32 v[66:67], s[52:53], v[60:61]
	v_add_f64 v[60:61], v[64:65], v[66:67]
	v_add_f64 v[64:65], v[60:61], -v[64:65]
	v_mul_f64 v[56:57], v[58:59], v[56:57]
	v_add_f64 v[64:65], v[66:67], -v[64:65]
	v_ldexp_f64 v[66:67], v[58:59], 1
	v_mul_f64 v[56:57], v[56:57], v[62:63]
	v_add_f64 v[58:59], v[66:67], v[56:57]
	v_add_f64 v[62:63], v[58:59], -v[66:67]
	v_ldexp_f64 v[50:51], v[50:51], 1
	v_add_f64 v[56:57], v[56:57], -v[62:63]
	v_add_f64 v[50:51], v[50:51], v[56:57]
	v_add_f64 v[56:57], v[58:59], v[50:51]
	v_add_f64 v[58:59], v[56:57], -v[58:59]
	v_add_f64 v[50:51], v[50:51], -v[58:59]
	v_add_f64 v[58:59], v[60:61], v[56:57]
	v_add_f64 v[62:63], v[58:59], -v[60:61]
	v_add_f64 v[66:67], v[58:59], -v[62:63]
	;; [unrolled: 1-line block ×4, first 2 shown]
	v_add_f64 v[56:57], v[56:57], v[60:61]
	v_add_f64 v[60:61], v[64:65], v[50:51]
	v_add_f64 v[62:63], v[60:61], -v[64:65]
	v_add_f64 v[56:57], v[60:61], v[56:57]
	v_add_f64 v[66:67], v[60:61], -v[62:63]
	v_add_f64 v[60:61], v[58:59], v[56:57]
	v_add_f64 v[64:65], v[64:65], -v[66:67]
	v_add_f64 v[50:51], v[50:51], -v[62:63]
	v_add_f64 v[58:59], v[60:61], -v[58:59]
	v_add_f64 v[50:51], v[50:51], v[64:65]
	v_add_f64 v[56:57], v[56:57], -v[58:59]
	s_mov_b32 s4, 0
	v_add_f64 v[50:51], v[50:51], v[56:57]
	s_mov_b32 s5, 0x7ff00000
	v_add_f64 v[50:51], v[60:61], v[50:51]
	v_cmp_eq_f64_e64 s[4:5], s[4:5], v[48:49]
	v_cndmask_b32_e64 v50, v50, v48, s[4:5]
	v_cndmask_b32_e64 v51, v51, v49, s[4:5]
	v_mov_b32_e32 v53, 0x7ff80000
	v_cmp_ngt_f64_e64 s[4:5], -1.0, v[48:49]
	v_cndmask_b32_e64 v51, v53, v51, s[4:5]
	v_cmp_nge_f64_e64 s[4:5], -1.0, v[48:49]
	v_cndmask_b32_e64 v50, 0, v50, s[4:5]
	v_mov_b32_e32 v53, 0xfff00000
	v_cmp_neq_f64_e64 s[4:5], -1.0, v[48:49]
	v_cndmask_b32_e64 v51, v53, v51, s[4:5]
	v_add_f64 v[48:49], v[46:47], v[50:51]
.LBB77_41:
	s_or_b64 exec, exec, s[48:49]
	v_mov_b32_e32 v50, v48
	v_mov_b32_e32 v51, v49
	v_pk_mov_b32 v[46:47], v[48:49], v[48:49] op_sel:[0,1]
.LBB77_42:
	s_or_b64 exec, exec, s[46:47]
	v_mul_u32_u24_e32 v55, 0x48, v0
	v_mov_b32_dpp v48, v50 row_shr:2 row_mask:0xf bank_mask:0xf
	v_mov_b32_dpp v49, v51 row_shr:2 row_mask:0xf bank_mask:0xf
	v_cmp_lt_u32_e64 s[4:5], 1, v52
	s_and_saveexec_b64 s[46:47], s[4:5]
	s_cbranch_execz .LBB77_46
; %bb.43:
	v_max_f64 v[56:57], v[48:49], v[48:49]
	v_max_f64 v[58:59], v[46:47], v[46:47]
	v_min_f64 v[50:51], v[56:57], v[58:59]
	v_cmp_u_f64_e64 s[4:5], v[48:49], v[48:49]
	v_max_f64 v[56:57], v[56:57], v[58:59]
	v_cndmask_b32_e64 v50, v50, v48, s[4:5]
	v_cndmask_b32_e64 v51, v51, v49, s[4:5]
	v_cmp_u_f64_e64 s[42:43], v[46:47], v[46:47]
	v_cndmask_b32_e64 v53, v56, v48, s[4:5]
	v_cndmask_b32_e64 v56, v57, v49, s[4:5]
	v_cndmask_b32_e64 v51, v51, v47, s[42:43]
	v_cndmask_b32_e64 v50, v50, v46, s[42:43]
	v_cndmask_b32_e64 v47, v56, v47, s[42:43]
	v_cndmask_b32_e64 v46, v53, v46, s[42:43]
	v_cmp_neq_f64_e64 s[4:5], v[50:51], v[46:47]
	v_cmp_class_f64_e64 s[42:43], v[50:51], s33
	s_or_b64 s[4:5], s[4:5], s[42:43]
	s_and_saveexec_b64 s[48:49], s[4:5]
	s_cbranch_execz .LBB77_45
; %bb.44:
	s_mov_b32 s4, 0x652b82fe
	v_add_f64 v[48:49], v[50:51], -v[46:47]
	s_mov_b32 s5, 0x3ff71547
	v_mul_f64 v[50:51], v[48:49], s[4:5]
	v_rndne_f64_e32 v[50:51], v[50:51]
	s_mov_b32 s51, 0xbfe62e42
	s_mov_b32 s50, 0xfefa39ef
	v_fma_f64 v[56:57], s[50:51], v[50:51], v[48:49]
	s_mov_b32 s53, 0xbc7abc9e
	s_mov_b32 s52, 0x3b39803f
	s_mov_b32 s4, 0x6a5dcb37
	v_fmac_f64_e32 v[56:57], s[52:53], v[50:51]
	v_mov_b32_e32 v58, 0xfca7ab0c
	v_mov_b32_e32 v59, 0x3e928af3
	s_mov_b32 s5, 0x3e5ade15
	v_fmac_f64_e32 v[58:59], s[4:5], v[56:57]
	v_mov_b32_e32 v60, 0x623fde64
	v_mov_b32_e32 v61, 0x3ec71dee
	v_fmac_f64_e32 v[60:61], v[56:57], v[58:59]
	v_mov_b32_e32 v58, 0x7c89e6b0
	v_mov_b32_e32 v59, 0x3efa0199
	;; [unrolled: 3-line block ×8, first 2 shown]
	v_fmac_f64_e32 v[58:59], v[56:57], v[60:61]
	v_fma_f64 v[58:59], v[56:57], v[58:59], 1.0
	s_mov_b32 s4, 0
	s_mov_b32 s42, 0
	v_fma_f64 v[56:57], v[56:57], v[58:59], 1.0
	v_cvt_i32_f64_e32 v50, v[50:51]
	s_mov_b32 s5, 0x40900000
	s_mov_b32 s43, 0xc090cc00
	v_ldexp_f64 v[50:51], v[56:57], v50
	v_mov_b32_e32 v53, 0x7ff00000
	v_cmp_nlt_f64_e64 s[4:5], s[4:5], v[48:49]
	v_cmp_ngt_f64_e64 s[42:43], s[42:43], v[48:49]
	v_cndmask_b32_e64 v51, v53, v51, s[4:5]
	s_and_b64 s[4:5], s[42:43], s[4:5]
	v_cndmask_b32_e64 v49, 0, v51, s[42:43]
	v_cndmask_b32_e64 v48, 0, v50, s[4:5]
	v_add_f64 v[50:51], v[48:49], 1.0
	v_add_f64 v[56:57], v[50:51], -1.0
	v_add_f64 v[58:59], v[56:57], -v[50:51]
	v_add_f64 v[58:59], v[58:59], 1.0
	v_add_f64 v[56:57], v[48:49], -v[56:57]
	s_mov_b32 s4, 0x55555555
	v_add_f64 v[56:57], v[56:57], v[58:59]
	v_frexp_mant_f64_e32 v[58:59], v[50:51]
	s_mov_b32 s5, 0x3fe55555
	v_frexp_exp_i32_f64_e32 v53, v[50:51]
	v_cmp_gt_f64_e64 s[4:5], s[4:5], v[58:59]
	v_subbrev_co_u32_e64 v53, s[4:5], 0, v53, s[4:5]
	v_sub_u32_e32 v58, 0, v53
	v_ldexp_f64 v[50:51], v[50:51], v58
	v_ldexp_f64 v[56:57], v[56:57], v58
	v_add_f64 v[58:59], v[50:51], -1.0
	v_add_f64 v[64:65], v[50:51], 1.0
	v_add_f64 v[60:61], v[58:59], 1.0
	v_add_f64 v[66:67], v[64:65], -1.0
	v_add_f64 v[60:61], v[50:51], -v[60:61]
	v_add_f64 v[50:51], v[50:51], -v[66:67]
	v_add_f64 v[50:51], v[56:57], v[50:51]
	v_add_f64 v[60:61], v[56:57], v[60:61]
	;; [unrolled: 1-line block ×3, first 2 shown]
	v_rcp_f64_e32 v[66:67], v[56:57]
	v_add_f64 v[62:63], v[58:59], v[60:61]
	v_add_f64 v[58:59], v[62:63], -v[58:59]
	v_add_f64 v[58:59], v[60:61], -v[58:59]
	;; [unrolled: 1-line block ×4, first 2 shown]
	v_fma_f64 v[60:61], -v[56:57], v[66:67], 1.0
	v_fmac_f64_e32 v[66:67], v[60:61], v[66:67]
	v_fma_f64 v[60:61], -v[56:57], v[66:67], 1.0
	v_fmac_f64_e32 v[66:67], v[60:61], v[66:67]
	v_mul_f64 v[60:61], v[62:63], v[66:67]
	v_mul_f64 v[64:65], v[56:57], v[60:61]
	v_fma_f64 v[68:69], v[60:61], v[56:57], -v[64:65]
	v_fmac_f64_e32 v[68:69], v[60:61], v[50:51]
	v_add_f64 v[70:71], v[64:65], v[68:69]
	v_add_f64 v[72:73], v[62:63], -v[70:71]
	v_add_f64 v[62:63], v[62:63], -v[72:73]
	;; [unrolled: 1-line block ×4, first 2 shown]
	v_add_f64 v[58:59], v[58:59], v[62:63]
	v_add_f64 v[62:63], v[64:65], -v[68:69]
	v_add_f64 v[58:59], v[62:63], v[58:59]
	v_add_f64 v[62:63], v[72:73], v[58:59]
	v_add_f64 v[64:65], v[72:73], -v[62:63]
	v_add_f64 v[58:59], v[58:59], v[64:65]
	v_mul_f64 v[64:65], v[66:67], v[62:63]
	v_mul_f64 v[68:69], v[56:57], v[64:65]
	v_fma_f64 v[56:57], v[64:65], v[56:57], -v[68:69]
	v_fmac_f64_e32 v[56:57], v[64:65], v[50:51]
	v_add_f64 v[50:51], v[68:69], v[56:57]
	v_add_f64 v[70:71], v[62:63], -v[50:51]
	v_add_f64 v[62:63], v[62:63], -v[70:71]
	;; [unrolled: 1-line block ×4, first 2 shown]
	v_add_f64 v[50:51], v[58:59], v[50:51]
	v_add_f64 v[56:57], v[68:69], -v[56:57]
	v_add_f64 v[50:51], v[56:57], v[50:51]
	v_add_f64 v[56:57], v[60:61], v[64:65]
	;; [unrolled: 1-line block ×3, first 2 shown]
	v_add_f64 v[58:59], v[56:57], -v[60:61]
	v_mul_f64 v[50:51], v[66:67], v[50:51]
	v_add_f64 v[58:59], v[64:65], -v[58:59]
	v_add_f64 v[50:51], v[58:59], v[50:51]
	v_add_f64 v[58:59], v[56:57], v[50:51]
	v_add_f64 v[56:57], v[58:59], -v[56:57]
	s_mov_b32 s4, 0xbf559e2b
	v_add_f64 v[50:51], v[50:51], -v[56:57]
	v_mul_f64 v[56:57], v[58:59], v[58:59]
	v_mov_b32_e32 v60, 0x6b47b09a
	v_mov_b32_e32 v61, 0x3fc38538
	s_mov_b32 s5, 0x3fc3ab76
	v_fmac_f64_e32 v[60:61], s[4:5], v[56:57]
	v_mov_b32_e32 v62, 0xd7f4df2e
	v_mov_b32_e32 v63, 0x3fc7474d
	v_fmac_f64_e32 v[62:63], v[56:57], v[60:61]
	v_mov_b32_e32 v60, 0x16291751
	v_mov_b32_e32 v61, 0x3fcc71c0
	;; [unrolled: 3-line block ×5, first 2 shown]
	v_fmac_f64_e32 v[62:63], v[56:57], v[60:61]
	v_cvt_f64_i32_e32 v[60:61], v53
	s_mov_b32 s51, 0x3fe62e42
	v_mul_f64 v[64:65], v[60:61], s[50:51]
	v_fma_f64 v[66:67], v[60:61], s[50:51], -v[64:65]
	s_mov_b32 s53, 0x3c7abc9e
	v_fmac_f64_e32 v[66:67], s[52:53], v[60:61]
	v_add_f64 v[60:61], v[64:65], v[66:67]
	v_add_f64 v[64:65], v[60:61], -v[64:65]
	v_mul_f64 v[56:57], v[58:59], v[56:57]
	v_add_f64 v[64:65], v[66:67], -v[64:65]
	v_ldexp_f64 v[66:67], v[58:59], 1
	v_mul_f64 v[56:57], v[56:57], v[62:63]
	v_add_f64 v[58:59], v[66:67], v[56:57]
	v_add_f64 v[62:63], v[58:59], -v[66:67]
	v_ldexp_f64 v[50:51], v[50:51], 1
	v_add_f64 v[56:57], v[56:57], -v[62:63]
	v_add_f64 v[50:51], v[50:51], v[56:57]
	v_add_f64 v[56:57], v[58:59], v[50:51]
	v_add_f64 v[58:59], v[56:57], -v[58:59]
	v_add_f64 v[50:51], v[50:51], -v[58:59]
	v_add_f64 v[58:59], v[60:61], v[56:57]
	v_add_f64 v[62:63], v[58:59], -v[60:61]
	v_add_f64 v[66:67], v[58:59], -v[62:63]
	;; [unrolled: 1-line block ×4, first 2 shown]
	v_add_f64 v[56:57], v[56:57], v[60:61]
	v_add_f64 v[60:61], v[64:65], v[50:51]
	v_add_f64 v[62:63], v[60:61], -v[64:65]
	v_add_f64 v[56:57], v[60:61], v[56:57]
	v_add_f64 v[66:67], v[60:61], -v[62:63]
	;; [unrolled: 2-line block ×3, first 2 shown]
	v_add_f64 v[50:51], v[50:51], -v[62:63]
	v_add_f64 v[58:59], v[60:61], -v[58:59]
	v_add_f64 v[50:51], v[50:51], v[64:65]
	v_add_f64 v[56:57], v[56:57], -v[58:59]
	s_mov_b32 s4, 0
	v_add_f64 v[50:51], v[50:51], v[56:57]
	s_mov_b32 s5, 0x7ff00000
	v_add_f64 v[50:51], v[60:61], v[50:51]
	v_cmp_eq_f64_e64 s[4:5], s[4:5], v[48:49]
	v_cndmask_b32_e64 v50, v50, v48, s[4:5]
	v_cndmask_b32_e64 v51, v51, v49, s[4:5]
	v_mov_b32_e32 v53, 0x7ff80000
	v_cmp_ngt_f64_e64 s[4:5], -1.0, v[48:49]
	v_cndmask_b32_e64 v51, v53, v51, s[4:5]
	v_cmp_nge_f64_e64 s[4:5], -1.0, v[48:49]
	v_cndmask_b32_e64 v50, 0, v50, s[4:5]
	v_mov_b32_e32 v53, 0xfff00000
	v_cmp_neq_f64_e64 s[4:5], -1.0, v[48:49]
	v_cndmask_b32_e64 v51, v53, v51, s[4:5]
	v_add_f64 v[48:49], v[46:47], v[50:51]
.LBB77_45:
	s_or_b64 exec, exec, s[48:49]
	v_pk_mov_b32 v[46:47], v[48:49], v[48:49] op_sel:[0,1]
	v_mov_b32_e32 v50, v48
	v_mov_b32_e32 v51, v49
.LBB77_46:
	s_or_b64 exec, exec, s[46:47]
	v_mov_b32_dpp v48, v50 row_shr:4 row_mask:0xf bank_mask:0xf
	v_mov_b32_dpp v49, v51 row_shr:4 row_mask:0xf bank_mask:0xf
	v_cmp_lt_u32_e64 s[4:5], 3, v52
	s_and_saveexec_b64 s[46:47], s[4:5]
	s_cbranch_execz .LBB77_50
; %bb.47:
	v_max_f64 v[56:57], v[48:49], v[48:49]
	v_max_f64 v[58:59], v[46:47], v[46:47]
	v_min_f64 v[50:51], v[56:57], v[58:59]
	v_cmp_u_f64_e64 s[4:5], v[48:49], v[48:49]
	v_max_f64 v[56:57], v[56:57], v[58:59]
	v_cndmask_b32_e64 v50, v50, v48, s[4:5]
	v_cndmask_b32_e64 v51, v51, v49, s[4:5]
	v_cmp_u_f64_e64 s[42:43], v[46:47], v[46:47]
	v_cndmask_b32_e64 v53, v56, v48, s[4:5]
	v_cndmask_b32_e64 v56, v57, v49, s[4:5]
	;; [unrolled: 1-line block ×6, first 2 shown]
	v_cmp_neq_f64_e64 s[4:5], v[50:51], v[46:47]
	v_cmp_class_f64_e64 s[42:43], v[50:51], s33
	s_or_b64 s[4:5], s[4:5], s[42:43]
	s_and_saveexec_b64 s[48:49], s[4:5]
	s_cbranch_execz .LBB77_49
; %bb.48:
	s_mov_b32 s4, 0x652b82fe
	v_add_f64 v[48:49], v[50:51], -v[46:47]
	s_mov_b32 s5, 0x3ff71547
	v_mul_f64 v[50:51], v[48:49], s[4:5]
	v_rndne_f64_e32 v[50:51], v[50:51]
	s_mov_b32 s51, 0xbfe62e42
	s_mov_b32 s50, 0xfefa39ef
	v_fma_f64 v[56:57], s[50:51], v[50:51], v[48:49]
	s_mov_b32 s53, 0xbc7abc9e
	s_mov_b32 s52, 0x3b39803f
	s_mov_b32 s4, 0x6a5dcb37
	v_fmac_f64_e32 v[56:57], s[52:53], v[50:51]
	v_mov_b32_e32 v58, 0xfca7ab0c
	v_mov_b32_e32 v59, 0x3e928af3
	s_mov_b32 s5, 0x3e5ade15
	v_fmac_f64_e32 v[58:59], s[4:5], v[56:57]
	v_mov_b32_e32 v60, 0x623fde64
	v_mov_b32_e32 v61, 0x3ec71dee
	v_fmac_f64_e32 v[60:61], v[56:57], v[58:59]
	v_mov_b32_e32 v58, 0x7c89e6b0
	v_mov_b32_e32 v59, 0x3efa0199
	;; [unrolled: 3-line block ×8, first 2 shown]
	v_fmac_f64_e32 v[58:59], v[56:57], v[60:61]
	v_fma_f64 v[58:59], v[56:57], v[58:59], 1.0
	s_mov_b32 s4, 0
	s_mov_b32 s42, 0
	v_fma_f64 v[56:57], v[56:57], v[58:59], 1.0
	v_cvt_i32_f64_e32 v50, v[50:51]
	s_mov_b32 s5, 0x40900000
	s_mov_b32 s43, 0xc090cc00
	v_ldexp_f64 v[50:51], v[56:57], v50
	v_mov_b32_e32 v53, 0x7ff00000
	v_cmp_nlt_f64_e64 s[4:5], s[4:5], v[48:49]
	v_cmp_ngt_f64_e64 s[42:43], s[42:43], v[48:49]
	v_cndmask_b32_e64 v51, v53, v51, s[4:5]
	s_and_b64 s[4:5], s[42:43], s[4:5]
	v_cndmask_b32_e64 v49, 0, v51, s[42:43]
	v_cndmask_b32_e64 v48, 0, v50, s[4:5]
	v_add_f64 v[50:51], v[48:49], 1.0
	v_add_f64 v[56:57], v[50:51], -1.0
	v_add_f64 v[58:59], v[56:57], -v[50:51]
	v_add_f64 v[58:59], v[58:59], 1.0
	v_add_f64 v[56:57], v[48:49], -v[56:57]
	s_mov_b32 s4, 0x55555555
	v_add_f64 v[56:57], v[56:57], v[58:59]
	v_frexp_mant_f64_e32 v[58:59], v[50:51]
	s_mov_b32 s5, 0x3fe55555
	v_frexp_exp_i32_f64_e32 v53, v[50:51]
	v_cmp_gt_f64_e64 s[4:5], s[4:5], v[58:59]
	v_subbrev_co_u32_e64 v53, s[4:5], 0, v53, s[4:5]
	v_sub_u32_e32 v58, 0, v53
	v_ldexp_f64 v[50:51], v[50:51], v58
	v_ldexp_f64 v[56:57], v[56:57], v58
	v_add_f64 v[58:59], v[50:51], -1.0
	v_add_f64 v[64:65], v[50:51], 1.0
	v_add_f64 v[60:61], v[58:59], 1.0
	v_add_f64 v[66:67], v[64:65], -1.0
	v_add_f64 v[60:61], v[50:51], -v[60:61]
	v_add_f64 v[50:51], v[50:51], -v[66:67]
	v_add_f64 v[50:51], v[56:57], v[50:51]
	v_add_f64 v[60:61], v[56:57], v[60:61]
	;; [unrolled: 1-line block ×3, first 2 shown]
	v_rcp_f64_e32 v[66:67], v[56:57]
	v_add_f64 v[62:63], v[58:59], v[60:61]
	v_add_f64 v[58:59], v[62:63], -v[58:59]
	v_add_f64 v[58:59], v[60:61], -v[58:59]
	;; [unrolled: 1-line block ×4, first 2 shown]
	v_fma_f64 v[60:61], -v[56:57], v[66:67], 1.0
	v_fmac_f64_e32 v[66:67], v[60:61], v[66:67]
	v_fma_f64 v[60:61], -v[56:57], v[66:67], 1.0
	v_fmac_f64_e32 v[66:67], v[60:61], v[66:67]
	v_mul_f64 v[60:61], v[62:63], v[66:67]
	v_mul_f64 v[64:65], v[56:57], v[60:61]
	v_fma_f64 v[68:69], v[60:61], v[56:57], -v[64:65]
	v_fmac_f64_e32 v[68:69], v[60:61], v[50:51]
	v_add_f64 v[70:71], v[64:65], v[68:69]
	v_add_f64 v[72:73], v[62:63], -v[70:71]
	v_add_f64 v[62:63], v[62:63], -v[72:73]
	;; [unrolled: 1-line block ×4, first 2 shown]
	v_add_f64 v[58:59], v[58:59], v[62:63]
	v_add_f64 v[62:63], v[64:65], -v[68:69]
	v_add_f64 v[58:59], v[62:63], v[58:59]
	v_add_f64 v[62:63], v[72:73], v[58:59]
	v_add_f64 v[64:65], v[72:73], -v[62:63]
	v_add_f64 v[58:59], v[58:59], v[64:65]
	v_mul_f64 v[64:65], v[66:67], v[62:63]
	v_mul_f64 v[68:69], v[56:57], v[64:65]
	v_fma_f64 v[56:57], v[64:65], v[56:57], -v[68:69]
	v_fmac_f64_e32 v[56:57], v[64:65], v[50:51]
	v_add_f64 v[50:51], v[68:69], v[56:57]
	v_add_f64 v[70:71], v[62:63], -v[50:51]
	v_add_f64 v[62:63], v[62:63], -v[70:71]
	;; [unrolled: 1-line block ×4, first 2 shown]
	v_add_f64 v[50:51], v[58:59], v[50:51]
	v_add_f64 v[56:57], v[68:69], -v[56:57]
	v_add_f64 v[50:51], v[56:57], v[50:51]
	v_add_f64 v[56:57], v[60:61], v[64:65]
	;; [unrolled: 1-line block ×3, first 2 shown]
	v_add_f64 v[58:59], v[56:57], -v[60:61]
	v_mul_f64 v[50:51], v[66:67], v[50:51]
	v_add_f64 v[58:59], v[64:65], -v[58:59]
	v_add_f64 v[50:51], v[58:59], v[50:51]
	v_add_f64 v[58:59], v[56:57], v[50:51]
	v_add_f64 v[56:57], v[58:59], -v[56:57]
	s_mov_b32 s4, 0xbf559e2b
	v_add_f64 v[50:51], v[50:51], -v[56:57]
	v_mul_f64 v[56:57], v[58:59], v[58:59]
	v_mov_b32_e32 v60, 0x6b47b09a
	v_mov_b32_e32 v61, 0x3fc38538
	s_mov_b32 s5, 0x3fc3ab76
	v_fmac_f64_e32 v[60:61], s[4:5], v[56:57]
	v_mov_b32_e32 v62, 0xd7f4df2e
	v_mov_b32_e32 v63, 0x3fc7474d
	v_fmac_f64_e32 v[62:63], v[56:57], v[60:61]
	v_mov_b32_e32 v60, 0x16291751
	v_mov_b32_e32 v61, 0x3fcc71c0
	;; [unrolled: 3-line block ×5, first 2 shown]
	v_fmac_f64_e32 v[62:63], v[56:57], v[60:61]
	v_cvt_f64_i32_e32 v[60:61], v53
	s_mov_b32 s51, 0x3fe62e42
	v_mul_f64 v[64:65], v[60:61], s[50:51]
	v_fma_f64 v[66:67], v[60:61], s[50:51], -v[64:65]
	s_mov_b32 s53, 0x3c7abc9e
	v_fmac_f64_e32 v[66:67], s[52:53], v[60:61]
	v_add_f64 v[60:61], v[64:65], v[66:67]
	v_add_f64 v[64:65], v[60:61], -v[64:65]
	v_mul_f64 v[56:57], v[58:59], v[56:57]
	v_add_f64 v[64:65], v[66:67], -v[64:65]
	v_ldexp_f64 v[66:67], v[58:59], 1
	v_mul_f64 v[56:57], v[56:57], v[62:63]
	v_add_f64 v[58:59], v[66:67], v[56:57]
	v_add_f64 v[62:63], v[58:59], -v[66:67]
	v_ldexp_f64 v[50:51], v[50:51], 1
	v_add_f64 v[56:57], v[56:57], -v[62:63]
	v_add_f64 v[50:51], v[50:51], v[56:57]
	v_add_f64 v[56:57], v[58:59], v[50:51]
	v_add_f64 v[58:59], v[56:57], -v[58:59]
	v_add_f64 v[50:51], v[50:51], -v[58:59]
	v_add_f64 v[58:59], v[60:61], v[56:57]
	v_add_f64 v[62:63], v[58:59], -v[60:61]
	v_add_f64 v[66:67], v[58:59], -v[62:63]
	;; [unrolled: 1-line block ×4, first 2 shown]
	v_add_f64 v[56:57], v[56:57], v[60:61]
	v_add_f64 v[60:61], v[64:65], v[50:51]
	v_add_f64 v[62:63], v[60:61], -v[64:65]
	v_add_f64 v[56:57], v[60:61], v[56:57]
	v_add_f64 v[66:67], v[60:61], -v[62:63]
	v_add_f64 v[60:61], v[58:59], v[56:57]
	v_add_f64 v[64:65], v[64:65], -v[66:67]
	v_add_f64 v[50:51], v[50:51], -v[62:63]
	v_add_f64 v[58:59], v[60:61], -v[58:59]
	v_add_f64 v[50:51], v[50:51], v[64:65]
	v_add_f64 v[56:57], v[56:57], -v[58:59]
	s_mov_b32 s4, 0
	v_add_f64 v[50:51], v[50:51], v[56:57]
	s_mov_b32 s5, 0x7ff00000
	v_add_f64 v[50:51], v[60:61], v[50:51]
	v_cmp_eq_f64_e64 s[4:5], s[4:5], v[48:49]
	v_cndmask_b32_e64 v50, v50, v48, s[4:5]
	v_cndmask_b32_e64 v51, v51, v49, s[4:5]
	v_mov_b32_e32 v53, 0x7ff80000
	v_cmp_ngt_f64_e64 s[4:5], -1.0, v[48:49]
	v_cndmask_b32_e64 v51, v53, v51, s[4:5]
	v_cmp_nge_f64_e64 s[4:5], -1.0, v[48:49]
	v_cndmask_b32_e64 v50, 0, v50, s[4:5]
	v_mov_b32_e32 v53, 0xfff00000
	v_cmp_neq_f64_e64 s[4:5], -1.0, v[48:49]
	v_cndmask_b32_e64 v51, v53, v51, s[4:5]
	v_add_f64 v[48:49], v[46:47], v[50:51]
.LBB77_49:
	s_or_b64 exec, exec, s[48:49]
	v_pk_mov_b32 v[46:47], v[48:49], v[48:49] op_sel:[0,1]
	v_mov_b32_e32 v50, v48
	v_mov_b32_e32 v51, v49
.LBB77_50:
	s_or_b64 exec, exec, s[46:47]
	v_mov_b32_dpp v48, v50 row_shr:8 row_mask:0xf bank_mask:0xf
	v_mov_b32_dpp v49, v51 row_shr:8 row_mask:0xf bank_mask:0xf
	v_cmp_lt_u32_e64 s[4:5], 7, v52
	s_and_saveexec_b64 s[46:47], s[4:5]
	s_cbranch_execz .LBB77_54
; %bb.51:
	v_max_f64 v[52:53], v[48:49], v[48:49]
	v_max_f64 v[56:57], v[46:47], v[46:47]
	v_min_f64 v[50:51], v[52:53], v[56:57]
	v_cmp_u_f64_e64 s[4:5], v[48:49], v[48:49]
	v_max_f64 v[52:53], v[52:53], v[56:57]
	v_cndmask_b32_e64 v50, v50, v48, s[4:5]
	v_cndmask_b32_e64 v51, v51, v49, s[4:5]
	v_cmp_u_f64_e64 s[42:43], v[46:47], v[46:47]
	v_cndmask_b32_e64 v52, v52, v48, s[4:5]
	v_cndmask_b32_e64 v53, v53, v49, s[4:5]
	;; [unrolled: 1-line block ×6, first 2 shown]
	v_cmp_neq_f64_e64 s[4:5], v[50:51], v[46:47]
	v_cmp_class_f64_e64 s[42:43], v[50:51], s33
	s_or_b64 s[4:5], s[4:5], s[42:43]
	s_and_saveexec_b64 s[48:49], s[4:5]
	s_cbranch_execz .LBB77_53
; %bb.52:
	s_mov_b32 s4, 0x652b82fe
	v_add_f64 v[48:49], v[50:51], -v[46:47]
	s_mov_b32 s5, 0x3ff71547
	v_mul_f64 v[50:51], v[48:49], s[4:5]
	v_rndne_f64_e32 v[50:51], v[50:51]
	s_mov_b32 s51, 0xbfe62e42
	s_mov_b32 s50, 0xfefa39ef
	v_fma_f64 v[52:53], s[50:51], v[50:51], v[48:49]
	s_mov_b32 s53, 0xbc7abc9e
	s_mov_b32 s52, 0x3b39803f
	;; [unrolled: 1-line block ×3, first 2 shown]
	v_fmac_f64_e32 v[52:53], s[52:53], v[50:51]
	v_mov_b32_e32 v56, 0xfca7ab0c
	v_mov_b32_e32 v57, 0x3e928af3
	s_mov_b32 s5, 0x3e5ade15
	v_fmac_f64_e32 v[56:57], s[4:5], v[52:53]
	v_mov_b32_e32 v58, 0x623fde64
	v_mov_b32_e32 v59, 0x3ec71dee
	v_fmac_f64_e32 v[58:59], v[52:53], v[56:57]
	v_mov_b32_e32 v56, 0x7c89e6b0
	v_mov_b32_e32 v57, 0x3efa0199
	;; [unrolled: 3-line block ×8, first 2 shown]
	v_fmac_f64_e32 v[56:57], v[52:53], v[58:59]
	v_fma_f64 v[56:57], v[52:53], v[56:57], 1.0
	s_mov_b32 s4, 0
	s_mov_b32 s42, 0
	v_fma_f64 v[52:53], v[52:53], v[56:57], 1.0
	v_cvt_i32_f64_e32 v50, v[50:51]
	s_mov_b32 s5, 0x40900000
	s_mov_b32 s43, 0xc090cc00
	v_ldexp_f64 v[50:51], v[52:53], v50
	v_mov_b32_e32 v52, 0x7ff00000
	v_cmp_nlt_f64_e64 s[4:5], s[4:5], v[48:49]
	v_cmp_ngt_f64_e64 s[42:43], s[42:43], v[48:49]
	v_cndmask_b32_e64 v51, v52, v51, s[4:5]
	s_and_b64 s[4:5], s[42:43], s[4:5]
	v_cndmask_b32_e64 v49, 0, v51, s[42:43]
	v_cndmask_b32_e64 v48, 0, v50, s[4:5]
	v_add_f64 v[50:51], v[48:49], 1.0
	v_add_f64 v[52:53], v[50:51], -1.0
	v_add_f64 v[56:57], v[52:53], -v[50:51]
	v_add_f64 v[56:57], v[56:57], 1.0
	v_add_f64 v[52:53], v[48:49], -v[52:53]
	s_mov_b32 s4, 0x55555555
	v_add_f64 v[52:53], v[52:53], v[56:57]
	v_frexp_mant_f64_e32 v[56:57], v[50:51]
	s_mov_b32 s5, 0x3fe55555
	v_frexp_exp_i32_f64_e32 v58, v[50:51]
	v_cmp_gt_f64_e64 s[4:5], s[4:5], v[56:57]
	v_subbrev_co_u32_e64 v72, s[4:5], 0, v58, s[4:5]
	v_sub_u32_e32 v56, 0, v72
	v_ldexp_f64 v[50:51], v[50:51], v56
	v_ldexp_f64 v[52:53], v[52:53], v56
	v_add_f64 v[56:57], v[50:51], -1.0
	v_add_f64 v[62:63], v[50:51], 1.0
	v_add_f64 v[58:59], v[56:57], 1.0
	v_add_f64 v[64:65], v[62:63], -1.0
	v_add_f64 v[58:59], v[50:51], -v[58:59]
	v_add_f64 v[50:51], v[50:51], -v[64:65]
	v_add_f64 v[50:51], v[52:53], v[50:51]
	v_add_f64 v[58:59], v[52:53], v[58:59]
	;; [unrolled: 1-line block ×3, first 2 shown]
	v_rcp_f64_e32 v[64:65], v[52:53]
	v_add_f64 v[60:61], v[56:57], v[58:59]
	v_add_f64 v[56:57], v[60:61], -v[56:57]
	v_add_f64 v[56:57], v[58:59], -v[56:57]
	;; [unrolled: 1-line block ×4, first 2 shown]
	v_fma_f64 v[58:59], -v[52:53], v[64:65], 1.0
	v_fmac_f64_e32 v[64:65], v[58:59], v[64:65]
	v_fma_f64 v[58:59], -v[52:53], v[64:65], 1.0
	v_fmac_f64_e32 v[64:65], v[58:59], v[64:65]
	v_mul_f64 v[58:59], v[60:61], v[64:65]
	v_mul_f64 v[62:63], v[52:53], v[58:59]
	v_fma_f64 v[66:67], v[58:59], v[52:53], -v[62:63]
	v_fmac_f64_e32 v[66:67], v[58:59], v[50:51]
	v_add_f64 v[68:69], v[62:63], v[66:67]
	v_add_f64 v[70:71], v[60:61], -v[68:69]
	v_add_f64 v[60:61], v[60:61], -v[70:71]
	v_add_f64 v[62:63], v[68:69], -v[62:63]
	v_add_f64 v[60:61], v[60:61], -v[68:69]
	v_add_f64 v[56:57], v[56:57], v[60:61]
	v_add_f64 v[60:61], v[62:63], -v[66:67]
	v_add_f64 v[56:57], v[60:61], v[56:57]
	v_add_f64 v[60:61], v[70:71], v[56:57]
	v_add_f64 v[62:63], v[70:71], -v[60:61]
	v_add_f64 v[56:57], v[56:57], v[62:63]
	v_mul_f64 v[62:63], v[64:65], v[60:61]
	v_mul_f64 v[66:67], v[52:53], v[62:63]
	v_fma_f64 v[52:53], v[62:63], v[52:53], -v[66:67]
	v_fmac_f64_e32 v[52:53], v[62:63], v[50:51]
	v_add_f64 v[50:51], v[66:67], v[52:53]
	v_add_f64 v[68:69], v[60:61], -v[50:51]
	v_add_f64 v[60:61], v[60:61], -v[68:69]
	;; [unrolled: 1-line block ×4, first 2 shown]
	v_add_f64 v[50:51], v[56:57], v[50:51]
	v_add_f64 v[52:53], v[66:67], -v[52:53]
	v_add_f64 v[50:51], v[52:53], v[50:51]
	v_add_f64 v[52:53], v[58:59], v[62:63]
	;; [unrolled: 1-line block ×3, first 2 shown]
	v_add_f64 v[56:57], v[52:53], -v[58:59]
	v_mul_f64 v[50:51], v[64:65], v[50:51]
	v_add_f64 v[56:57], v[62:63], -v[56:57]
	v_add_f64 v[50:51], v[56:57], v[50:51]
	v_add_f64 v[56:57], v[52:53], v[50:51]
	v_add_f64 v[52:53], v[56:57], -v[52:53]
	s_mov_b32 s4, 0xbf559e2b
	v_add_f64 v[50:51], v[50:51], -v[52:53]
	v_mul_f64 v[52:53], v[56:57], v[56:57]
	v_mov_b32_e32 v58, 0x6b47b09a
	v_mov_b32_e32 v59, 0x3fc38538
	s_mov_b32 s5, 0x3fc3ab76
	v_fmac_f64_e32 v[58:59], s[4:5], v[52:53]
	v_mov_b32_e32 v60, 0xd7f4df2e
	v_mov_b32_e32 v61, 0x3fc7474d
	v_fmac_f64_e32 v[60:61], v[52:53], v[58:59]
	v_mov_b32_e32 v58, 0x16291751
	v_mov_b32_e32 v59, 0x3fcc71c0
	;; [unrolled: 3-line block ×5, first 2 shown]
	v_fmac_f64_e32 v[60:61], v[52:53], v[58:59]
	v_cvt_f64_i32_e32 v[58:59], v72
	s_mov_b32 s51, 0x3fe62e42
	v_mul_f64 v[62:63], v[58:59], s[50:51]
	v_fma_f64 v[64:65], v[58:59], s[50:51], -v[62:63]
	s_mov_b32 s53, 0x3c7abc9e
	v_fmac_f64_e32 v[64:65], s[52:53], v[58:59]
	v_add_f64 v[58:59], v[62:63], v[64:65]
	v_add_f64 v[62:63], v[58:59], -v[62:63]
	v_mul_f64 v[52:53], v[56:57], v[52:53]
	v_add_f64 v[62:63], v[64:65], -v[62:63]
	v_ldexp_f64 v[64:65], v[56:57], 1
	v_mul_f64 v[52:53], v[52:53], v[60:61]
	v_add_f64 v[56:57], v[64:65], v[52:53]
	v_add_f64 v[60:61], v[56:57], -v[64:65]
	v_ldexp_f64 v[50:51], v[50:51], 1
	v_add_f64 v[52:53], v[52:53], -v[60:61]
	v_add_f64 v[50:51], v[50:51], v[52:53]
	v_add_f64 v[52:53], v[56:57], v[50:51]
	v_add_f64 v[56:57], v[52:53], -v[56:57]
	v_add_f64 v[50:51], v[50:51], -v[56:57]
	v_add_f64 v[56:57], v[58:59], v[52:53]
	v_add_f64 v[60:61], v[56:57], -v[58:59]
	v_add_f64 v[64:65], v[56:57], -v[60:61]
	;; [unrolled: 1-line block ×4, first 2 shown]
	v_add_f64 v[52:53], v[52:53], v[58:59]
	v_add_f64 v[58:59], v[62:63], v[50:51]
	v_add_f64 v[60:61], v[58:59], -v[62:63]
	v_add_f64 v[52:53], v[58:59], v[52:53]
	v_add_f64 v[64:65], v[58:59], -v[60:61]
	;; [unrolled: 2-line block ×3, first 2 shown]
	v_add_f64 v[50:51], v[50:51], -v[60:61]
	v_add_f64 v[56:57], v[58:59], -v[56:57]
	v_add_f64 v[50:51], v[50:51], v[62:63]
	v_add_f64 v[52:53], v[52:53], -v[56:57]
	s_mov_b32 s4, 0
	v_add_f64 v[50:51], v[50:51], v[52:53]
	s_mov_b32 s5, 0x7ff00000
	v_add_f64 v[50:51], v[58:59], v[50:51]
	v_cmp_eq_f64_e64 s[4:5], s[4:5], v[48:49]
	v_cndmask_b32_e64 v50, v50, v48, s[4:5]
	v_cndmask_b32_e64 v51, v51, v49, s[4:5]
	v_mov_b32_e32 v52, 0x7ff80000
	v_cmp_ngt_f64_e64 s[4:5], -1.0, v[48:49]
	v_cndmask_b32_e64 v51, v52, v51, s[4:5]
	v_cmp_nge_f64_e64 s[4:5], -1.0, v[48:49]
	v_cndmask_b32_e64 v50, 0, v50, s[4:5]
	v_mov_b32_e32 v52, 0xfff00000
	v_cmp_neq_f64_e64 s[4:5], -1.0, v[48:49]
	v_cndmask_b32_e64 v51, v52, v51, s[4:5]
	v_add_f64 v[48:49], v[46:47], v[50:51]
.LBB77_53:
	s_or_b64 exec, exec, s[48:49]
	v_pk_mov_b32 v[46:47], v[48:49], v[48:49] op_sel:[0,1]
	v_mov_b32_e32 v50, v48
	v_mov_b32_e32 v51, v49
.LBB77_54:
	s_or_b64 exec, exec, s[46:47]
	v_and_b32_e32 v52, 16, v1
	v_mov_b32_dpp v48, v50 row_bcast:15 row_mask:0xf bank_mask:0xf
	v_mov_b32_dpp v49, v51 row_bcast:15 row_mask:0xf bank_mask:0xf
	v_cmp_ne_u32_e64 s[4:5], 0, v52
	s_and_saveexec_b64 s[46:47], s[4:5]
	s_cbranch_execz .LBB77_58
; %bb.55:
	v_max_f64 v[52:53], v[48:49], v[48:49]
	v_max_f64 v[56:57], v[46:47], v[46:47]
	v_min_f64 v[50:51], v[52:53], v[56:57]
	v_cmp_u_f64_e64 s[4:5], v[48:49], v[48:49]
	v_max_f64 v[52:53], v[52:53], v[56:57]
	v_cndmask_b32_e64 v50, v50, v48, s[4:5]
	v_cndmask_b32_e64 v51, v51, v49, s[4:5]
	v_cmp_u_f64_e64 s[42:43], v[46:47], v[46:47]
	v_cndmask_b32_e64 v52, v52, v48, s[4:5]
	v_cndmask_b32_e64 v53, v53, v49, s[4:5]
	;; [unrolled: 1-line block ×6, first 2 shown]
	v_cmp_neq_f64_e64 s[4:5], v[50:51], v[46:47]
	v_cmp_class_f64_e64 s[42:43], v[50:51], s33
	s_or_b64 s[4:5], s[4:5], s[42:43]
	s_and_saveexec_b64 s[48:49], s[4:5]
	s_cbranch_execz .LBB77_57
; %bb.56:
	s_mov_b32 s4, 0x652b82fe
	v_add_f64 v[48:49], v[50:51], -v[46:47]
	s_mov_b32 s5, 0x3ff71547
	v_mul_f64 v[50:51], v[48:49], s[4:5]
	v_rndne_f64_e32 v[50:51], v[50:51]
	s_mov_b32 s51, 0xbfe62e42
	s_mov_b32 s50, 0xfefa39ef
	v_fma_f64 v[52:53], s[50:51], v[50:51], v[48:49]
	s_mov_b32 s53, 0xbc7abc9e
	s_mov_b32 s52, 0x3b39803f
	;; [unrolled: 1-line block ×3, first 2 shown]
	v_fmac_f64_e32 v[52:53], s[52:53], v[50:51]
	v_mov_b32_e32 v56, 0xfca7ab0c
	v_mov_b32_e32 v57, 0x3e928af3
	s_mov_b32 s5, 0x3e5ade15
	v_fmac_f64_e32 v[56:57], s[4:5], v[52:53]
	v_mov_b32_e32 v58, 0x623fde64
	v_mov_b32_e32 v59, 0x3ec71dee
	v_fmac_f64_e32 v[58:59], v[52:53], v[56:57]
	v_mov_b32_e32 v56, 0x7c89e6b0
	v_mov_b32_e32 v57, 0x3efa0199
	;; [unrolled: 3-line block ×8, first 2 shown]
	v_fmac_f64_e32 v[56:57], v[52:53], v[58:59]
	v_fma_f64 v[56:57], v[52:53], v[56:57], 1.0
	s_mov_b32 s4, 0
	s_mov_b32 s42, 0
	v_fma_f64 v[52:53], v[52:53], v[56:57], 1.0
	v_cvt_i32_f64_e32 v50, v[50:51]
	s_mov_b32 s5, 0x40900000
	s_mov_b32 s43, 0xc090cc00
	v_ldexp_f64 v[50:51], v[52:53], v50
	v_mov_b32_e32 v52, 0x7ff00000
	v_cmp_nlt_f64_e64 s[4:5], s[4:5], v[48:49]
	v_cmp_ngt_f64_e64 s[42:43], s[42:43], v[48:49]
	v_cndmask_b32_e64 v51, v52, v51, s[4:5]
	s_and_b64 s[4:5], s[42:43], s[4:5]
	v_cndmask_b32_e64 v49, 0, v51, s[42:43]
	v_cndmask_b32_e64 v48, 0, v50, s[4:5]
	v_add_f64 v[50:51], v[48:49], 1.0
	v_add_f64 v[52:53], v[50:51], -1.0
	v_add_f64 v[56:57], v[52:53], -v[50:51]
	v_add_f64 v[56:57], v[56:57], 1.0
	v_add_f64 v[52:53], v[48:49], -v[52:53]
	s_mov_b32 s4, 0x55555555
	v_add_f64 v[52:53], v[52:53], v[56:57]
	v_frexp_mant_f64_e32 v[56:57], v[50:51]
	s_mov_b32 s5, 0x3fe55555
	v_frexp_exp_i32_f64_e32 v58, v[50:51]
	v_cmp_gt_f64_e64 s[4:5], s[4:5], v[56:57]
	v_subbrev_co_u32_e64 v72, s[4:5], 0, v58, s[4:5]
	v_sub_u32_e32 v56, 0, v72
	v_ldexp_f64 v[50:51], v[50:51], v56
	v_ldexp_f64 v[52:53], v[52:53], v56
	v_add_f64 v[56:57], v[50:51], -1.0
	v_add_f64 v[62:63], v[50:51], 1.0
	v_add_f64 v[58:59], v[56:57], 1.0
	v_add_f64 v[64:65], v[62:63], -1.0
	v_add_f64 v[58:59], v[50:51], -v[58:59]
	v_add_f64 v[50:51], v[50:51], -v[64:65]
	v_add_f64 v[50:51], v[52:53], v[50:51]
	v_add_f64 v[58:59], v[52:53], v[58:59]
	v_add_f64 v[52:53], v[62:63], v[50:51]
	v_rcp_f64_e32 v[64:65], v[52:53]
	v_add_f64 v[60:61], v[56:57], v[58:59]
	v_add_f64 v[56:57], v[60:61], -v[56:57]
	v_add_f64 v[56:57], v[58:59], -v[56:57]
	;; [unrolled: 1-line block ×4, first 2 shown]
	v_fma_f64 v[58:59], -v[52:53], v[64:65], 1.0
	v_fmac_f64_e32 v[64:65], v[58:59], v[64:65]
	v_fma_f64 v[58:59], -v[52:53], v[64:65], 1.0
	v_fmac_f64_e32 v[64:65], v[58:59], v[64:65]
	v_mul_f64 v[58:59], v[60:61], v[64:65]
	v_mul_f64 v[62:63], v[52:53], v[58:59]
	v_fma_f64 v[66:67], v[58:59], v[52:53], -v[62:63]
	v_fmac_f64_e32 v[66:67], v[58:59], v[50:51]
	v_add_f64 v[68:69], v[62:63], v[66:67]
	v_add_f64 v[70:71], v[60:61], -v[68:69]
	v_add_f64 v[60:61], v[60:61], -v[70:71]
	;; [unrolled: 1-line block ×4, first 2 shown]
	v_add_f64 v[56:57], v[56:57], v[60:61]
	v_add_f64 v[60:61], v[62:63], -v[66:67]
	v_add_f64 v[56:57], v[60:61], v[56:57]
	v_add_f64 v[60:61], v[70:71], v[56:57]
	v_add_f64 v[62:63], v[70:71], -v[60:61]
	v_add_f64 v[56:57], v[56:57], v[62:63]
	v_mul_f64 v[62:63], v[64:65], v[60:61]
	v_mul_f64 v[66:67], v[52:53], v[62:63]
	v_fma_f64 v[52:53], v[62:63], v[52:53], -v[66:67]
	v_fmac_f64_e32 v[52:53], v[62:63], v[50:51]
	v_add_f64 v[50:51], v[66:67], v[52:53]
	v_add_f64 v[68:69], v[60:61], -v[50:51]
	v_add_f64 v[60:61], v[60:61], -v[68:69]
	;; [unrolled: 1-line block ×4, first 2 shown]
	v_add_f64 v[50:51], v[56:57], v[50:51]
	v_add_f64 v[52:53], v[66:67], -v[52:53]
	v_add_f64 v[50:51], v[52:53], v[50:51]
	v_add_f64 v[52:53], v[58:59], v[62:63]
	;; [unrolled: 1-line block ×3, first 2 shown]
	v_add_f64 v[56:57], v[52:53], -v[58:59]
	v_mul_f64 v[50:51], v[64:65], v[50:51]
	v_add_f64 v[56:57], v[62:63], -v[56:57]
	v_add_f64 v[50:51], v[56:57], v[50:51]
	v_add_f64 v[56:57], v[52:53], v[50:51]
	v_add_f64 v[52:53], v[56:57], -v[52:53]
	s_mov_b32 s4, 0xbf559e2b
	v_add_f64 v[50:51], v[50:51], -v[52:53]
	v_mul_f64 v[52:53], v[56:57], v[56:57]
	v_mov_b32_e32 v58, 0x6b47b09a
	v_mov_b32_e32 v59, 0x3fc38538
	s_mov_b32 s5, 0x3fc3ab76
	v_fmac_f64_e32 v[58:59], s[4:5], v[52:53]
	v_mov_b32_e32 v60, 0xd7f4df2e
	v_mov_b32_e32 v61, 0x3fc7474d
	v_fmac_f64_e32 v[60:61], v[52:53], v[58:59]
	v_mov_b32_e32 v58, 0x16291751
	v_mov_b32_e32 v59, 0x3fcc71c0
	;; [unrolled: 3-line block ×5, first 2 shown]
	v_fmac_f64_e32 v[60:61], v[52:53], v[58:59]
	v_cvt_f64_i32_e32 v[58:59], v72
	s_mov_b32 s51, 0x3fe62e42
	v_mul_f64 v[62:63], v[58:59], s[50:51]
	v_fma_f64 v[64:65], v[58:59], s[50:51], -v[62:63]
	s_mov_b32 s53, 0x3c7abc9e
	v_fmac_f64_e32 v[64:65], s[52:53], v[58:59]
	v_add_f64 v[58:59], v[62:63], v[64:65]
	v_add_f64 v[62:63], v[58:59], -v[62:63]
	v_mul_f64 v[52:53], v[56:57], v[52:53]
	v_add_f64 v[62:63], v[64:65], -v[62:63]
	v_ldexp_f64 v[64:65], v[56:57], 1
	v_mul_f64 v[52:53], v[52:53], v[60:61]
	v_add_f64 v[56:57], v[64:65], v[52:53]
	v_add_f64 v[60:61], v[56:57], -v[64:65]
	v_ldexp_f64 v[50:51], v[50:51], 1
	v_add_f64 v[52:53], v[52:53], -v[60:61]
	v_add_f64 v[50:51], v[50:51], v[52:53]
	v_add_f64 v[52:53], v[56:57], v[50:51]
	v_add_f64 v[56:57], v[52:53], -v[56:57]
	v_add_f64 v[50:51], v[50:51], -v[56:57]
	v_add_f64 v[56:57], v[58:59], v[52:53]
	v_add_f64 v[60:61], v[56:57], -v[58:59]
	v_add_f64 v[64:65], v[56:57], -v[60:61]
	;; [unrolled: 1-line block ×4, first 2 shown]
	v_add_f64 v[52:53], v[52:53], v[58:59]
	v_add_f64 v[58:59], v[62:63], v[50:51]
	v_add_f64 v[60:61], v[58:59], -v[62:63]
	v_add_f64 v[52:53], v[58:59], v[52:53]
	v_add_f64 v[64:65], v[58:59], -v[60:61]
	;; [unrolled: 2-line block ×3, first 2 shown]
	v_add_f64 v[50:51], v[50:51], -v[60:61]
	v_add_f64 v[56:57], v[58:59], -v[56:57]
	v_add_f64 v[50:51], v[50:51], v[62:63]
	v_add_f64 v[52:53], v[52:53], -v[56:57]
	s_mov_b32 s4, 0
	v_add_f64 v[50:51], v[50:51], v[52:53]
	s_mov_b32 s5, 0x7ff00000
	v_add_f64 v[50:51], v[58:59], v[50:51]
	v_cmp_eq_f64_e64 s[4:5], s[4:5], v[48:49]
	v_cndmask_b32_e64 v50, v50, v48, s[4:5]
	v_cndmask_b32_e64 v51, v51, v49, s[4:5]
	v_mov_b32_e32 v52, 0x7ff80000
	v_cmp_ngt_f64_e64 s[4:5], -1.0, v[48:49]
	v_cndmask_b32_e64 v51, v52, v51, s[4:5]
	v_cmp_nge_f64_e64 s[4:5], -1.0, v[48:49]
	v_cndmask_b32_e64 v50, 0, v50, s[4:5]
	v_mov_b32_e32 v52, 0xfff00000
	v_cmp_neq_f64_e64 s[4:5], -1.0, v[48:49]
	v_cndmask_b32_e64 v51, v52, v51, s[4:5]
	v_add_f64 v[48:49], v[46:47], v[50:51]
.LBB77_57:
	s_or_b64 exec, exec, s[48:49]
	v_mov_b32_e32 v50, v48
	v_mov_b32_e32 v51, v49
	v_pk_mov_b32 v[46:47], v[48:49], v[48:49] op_sel:[0,1]
.LBB77_58:
	s_or_b64 exec, exec, s[46:47]
	v_mov_b32_dpp v48, v50 row_bcast:31 row_mask:0xf bank_mask:0xf
	v_mov_b32_dpp v49, v51 row_bcast:31 row_mask:0xf bank_mask:0xf
	v_cmp_lt_u32_e64 s[4:5], 31, v1
	s_and_saveexec_b64 s[46:47], s[4:5]
	s_cbranch_execz .LBB77_62
; %bb.59:
	v_max_f64 v[52:53], v[48:49], v[48:49]
	v_max_f64 v[56:57], v[46:47], v[46:47]
	v_min_f64 v[50:51], v[52:53], v[56:57]
	v_cmp_u_f64_e64 s[4:5], v[48:49], v[48:49]
	v_max_f64 v[52:53], v[52:53], v[56:57]
	v_cndmask_b32_e64 v50, v50, v48, s[4:5]
	v_cndmask_b32_e64 v51, v51, v49, s[4:5]
	v_cmp_u_f64_e64 s[42:43], v[46:47], v[46:47]
	v_cndmask_b32_e64 v52, v52, v48, s[4:5]
	v_cndmask_b32_e64 v53, v53, v49, s[4:5]
	;; [unrolled: 1-line block ×6, first 2 shown]
	v_cmp_neq_f64_e64 s[4:5], v[50:51], v[46:47]
	v_cmp_class_f64_e64 s[42:43], v[50:51], s33
	s_or_b64 s[4:5], s[4:5], s[42:43]
	s_and_saveexec_b64 s[48:49], s[4:5]
	s_cbranch_execz .LBB77_61
; %bb.60:
	s_mov_b32 s4, 0x652b82fe
	v_add_f64 v[48:49], v[50:51], -v[46:47]
	s_mov_b32 s5, 0x3ff71547
	v_mul_f64 v[50:51], v[48:49], s[4:5]
	v_rndne_f64_e32 v[50:51], v[50:51]
	s_mov_b32 s51, 0xbfe62e42
	s_mov_b32 s50, 0xfefa39ef
	v_fma_f64 v[52:53], s[50:51], v[50:51], v[48:49]
	s_mov_b32 s53, 0xbc7abc9e
	s_mov_b32 s52, 0x3b39803f
	;; [unrolled: 1-line block ×3, first 2 shown]
	v_fmac_f64_e32 v[52:53], s[52:53], v[50:51]
	v_mov_b32_e32 v56, 0xfca7ab0c
	v_mov_b32_e32 v57, 0x3e928af3
	s_mov_b32 s5, 0x3e5ade15
	v_fmac_f64_e32 v[56:57], s[4:5], v[52:53]
	v_mov_b32_e32 v58, 0x623fde64
	v_mov_b32_e32 v59, 0x3ec71dee
	v_fmac_f64_e32 v[58:59], v[52:53], v[56:57]
	v_mov_b32_e32 v56, 0x7c89e6b0
	v_mov_b32_e32 v57, 0x3efa0199
	v_fmac_f64_e32 v[56:57], v[52:53], v[58:59]
	v_mov_b32_e32 v58, 0x14761f6e
	v_mov_b32_e32 v59, 0x3f2a01a0
	v_fmac_f64_e32 v[58:59], v[52:53], v[56:57]
	v_mov_b32_e32 v56, 0x1852b7b0
	v_mov_b32_e32 v57, 0x3f56c16c
	v_fmac_f64_e32 v[56:57], v[52:53], v[58:59]
	v_mov_b32_e32 v58, 0x11122322
	v_mov_b32_e32 v59, 0x3f811111
	v_fmac_f64_e32 v[58:59], v[52:53], v[56:57]
	v_mov_b32_e32 v56, 0x555502a1
	v_mov_b32_e32 v57, 0x3fa55555
	v_fmac_f64_e32 v[56:57], v[52:53], v[58:59]
	v_mov_b32_e32 v58, 0x55555511
	v_mov_b32_e32 v59, 0x3fc55555
	v_fmac_f64_e32 v[58:59], v[52:53], v[56:57]
	v_mov_b32_e32 v56, 11
	v_mov_b32_e32 v57, 0x3fe00000
	v_fmac_f64_e32 v[56:57], v[52:53], v[58:59]
	v_fma_f64 v[56:57], v[52:53], v[56:57], 1.0
	s_mov_b32 s4, 0
	s_mov_b32 s42, 0
	v_fma_f64 v[52:53], v[52:53], v[56:57], 1.0
	v_cvt_i32_f64_e32 v50, v[50:51]
	s_mov_b32 s5, 0x40900000
	s_mov_b32 s43, 0xc090cc00
	v_ldexp_f64 v[50:51], v[52:53], v50
	v_mov_b32_e32 v52, 0x7ff00000
	v_cmp_nlt_f64_e64 s[4:5], s[4:5], v[48:49]
	v_cmp_ngt_f64_e64 s[42:43], s[42:43], v[48:49]
	v_cndmask_b32_e64 v51, v52, v51, s[4:5]
	s_and_b64 s[4:5], s[42:43], s[4:5]
	v_cndmask_b32_e64 v49, 0, v51, s[42:43]
	v_cndmask_b32_e64 v48, 0, v50, s[4:5]
	v_add_f64 v[50:51], v[48:49], 1.0
	v_add_f64 v[52:53], v[50:51], -1.0
	v_add_f64 v[56:57], v[52:53], -v[50:51]
	v_add_f64 v[56:57], v[56:57], 1.0
	v_add_f64 v[52:53], v[48:49], -v[52:53]
	s_mov_b32 s4, 0x55555555
	v_add_f64 v[52:53], v[52:53], v[56:57]
	v_frexp_mant_f64_e32 v[56:57], v[50:51]
	s_mov_b32 s5, 0x3fe55555
	v_frexp_exp_i32_f64_e32 v58, v[50:51]
	v_cmp_gt_f64_e64 s[4:5], s[4:5], v[56:57]
	v_subbrev_co_u32_e64 v72, s[4:5], 0, v58, s[4:5]
	v_sub_u32_e32 v56, 0, v72
	v_ldexp_f64 v[50:51], v[50:51], v56
	v_ldexp_f64 v[52:53], v[52:53], v56
	v_add_f64 v[56:57], v[50:51], -1.0
	v_add_f64 v[62:63], v[50:51], 1.0
	v_add_f64 v[58:59], v[56:57], 1.0
	v_add_f64 v[64:65], v[62:63], -1.0
	v_add_f64 v[58:59], v[50:51], -v[58:59]
	v_add_f64 v[50:51], v[50:51], -v[64:65]
	v_add_f64 v[50:51], v[52:53], v[50:51]
	v_add_f64 v[58:59], v[52:53], v[58:59]
	;; [unrolled: 1-line block ×3, first 2 shown]
	v_rcp_f64_e32 v[64:65], v[52:53]
	v_add_f64 v[60:61], v[56:57], v[58:59]
	v_add_f64 v[56:57], v[60:61], -v[56:57]
	v_add_f64 v[56:57], v[58:59], -v[56:57]
	;; [unrolled: 1-line block ×4, first 2 shown]
	v_fma_f64 v[58:59], -v[52:53], v[64:65], 1.0
	v_fmac_f64_e32 v[64:65], v[58:59], v[64:65]
	v_fma_f64 v[58:59], -v[52:53], v[64:65], 1.0
	v_fmac_f64_e32 v[64:65], v[58:59], v[64:65]
	v_mul_f64 v[58:59], v[60:61], v[64:65]
	v_mul_f64 v[62:63], v[52:53], v[58:59]
	v_fma_f64 v[66:67], v[58:59], v[52:53], -v[62:63]
	v_fmac_f64_e32 v[66:67], v[58:59], v[50:51]
	v_add_f64 v[68:69], v[62:63], v[66:67]
	v_add_f64 v[70:71], v[60:61], -v[68:69]
	v_add_f64 v[60:61], v[60:61], -v[70:71]
	;; [unrolled: 1-line block ×4, first 2 shown]
	v_add_f64 v[56:57], v[56:57], v[60:61]
	v_add_f64 v[60:61], v[62:63], -v[66:67]
	v_add_f64 v[56:57], v[60:61], v[56:57]
	v_add_f64 v[60:61], v[70:71], v[56:57]
	v_add_f64 v[62:63], v[70:71], -v[60:61]
	v_add_f64 v[56:57], v[56:57], v[62:63]
	v_mul_f64 v[62:63], v[64:65], v[60:61]
	v_mul_f64 v[66:67], v[52:53], v[62:63]
	v_fma_f64 v[52:53], v[62:63], v[52:53], -v[66:67]
	v_fmac_f64_e32 v[52:53], v[62:63], v[50:51]
	v_add_f64 v[50:51], v[66:67], v[52:53]
	v_add_f64 v[68:69], v[60:61], -v[50:51]
	v_add_f64 v[60:61], v[60:61], -v[68:69]
	;; [unrolled: 1-line block ×4, first 2 shown]
	v_add_f64 v[50:51], v[56:57], v[50:51]
	v_add_f64 v[52:53], v[66:67], -v[52:53]
	v_add_f64 v[50:51], v[52:53], v[50:51]
	v_add_f64 v[52:53], v[58:59], v[62:63]
	;; [unrolled: 1-line block ×3, first 2 shown]
	v_add_f64 v[56:57], v[52:53], -v[58:59]
	v_mul_f64 v[50:51], v[64:65], v[50:51]
	v_add_f64 v[56:57], v[62:63], -v[56:57]
	v_add_f64 v[50:51], v[56:57], v[50:51]
	v_add_f64 v[56:57], v[52:53], v[50:51]
	v_add_f64 v[52:53], v[56:57], -v[52:53]
	s_mov_b32 s4, 0xbf559e2b
	v_add_f64 v[50:51], v[50:51], -v[52:53]
	v_mul_f64 v[52:53], v[56:57], v[56:57]
	v_mov_b32_e32 v58, 0x6b47b09a
	v_mov_b32_e32 v59, 0x3fc38538
	s_mov_b32 s5, 0x3fc3ab76
	v_fmac_f64_e32 v[58:59], s[4:5], v[52:53]
	v_mov_b32_e32 v60, 0xd7f4df2e
	v_mov_b32_e32 v61, 0x3fc7474d
	v_fmac_f64_e32 v[60:61], v[52:53], v[58:59]
	v_mov_b32_e32 v58, 0x16291751
	v_mov_b32_e32 v59, 0x3fcc71c0
	;; [unrolled: 3-line block ×5, first 2 shown]
	v_fmac_f64_e32 v[60:61], v[52:53], v[58:59]
	v_cvt_f64_i32_e32 v[58:59], v72
	s_mov_b32 s51, 0x3fe62e42
	v_mul_f64 v[62:63], v[58:59], s[50:51]
	v_fma_f64 v[64:65], v[58:59], s[50:51], -v[62:63]
	s_mov_b32 s53, 0x3c7abc9e
	v_fmac_f64_e32 v[64:65], s[52:53], v[58:59]
	v_add_f64 v[58:59], v[62:63], v[64:65]
	v_add_f64 v[62:63], v[58:59], -v[62:63]
	v_mul_f64 v[52:53], v[56:57], v[52:53]
	v_add_f64 v[62:63], v[64:65], -v[62:63]
	v_ldexp_f64 v[64:65], v[56:57], 1
	v_mul_f64 v[52:53], v[52:53], v[60:61]
	v_add_f64 v[56:57], v[64:65], v[52:53]
	v_add_f64 v[60:61], v[56:57], -v[64:65]
	v_ldexp_f64 v[50:51], v[50:51], 1
	v_add_f64 v[52:53], v[52:53], -v[60:61]
	v_add_f64 v[50:51], v[50:51], v[52:53]
	v_add_f64 v[52:53], v[56:57], v[50:51]
	v_add_f64 v[56:57], v[52:53], -v[56:57]
	v_add_f64 v[50:51], v[50:51], -v[56:57]
	v_add_f64 v[56:57], v[58:59], v[52:53]
	v_add_f64 v[60:61], v[56:57], -v[58:59]
	v_add_f64 v[64:65], v[56:57], -v[60:61]
	;; [unrolled: 1-line block ×4, first 2 shown]
	v_add_f64 v[52:53], v[52:53], v[58:59]
	v_add_f64 v[58:59], v[62:63], v[50:51]
	v_add_f64 v[60:61], v[58:59], -v[62:63]
	v_add_f64 v[52:53], v[58:59], v[52:53]
	v_add_f64 v[64:65], v[58:59], -v[60:61]
	;; [unrolled: 2-line block ×3, first 2 shown]
	v_add_f64 v[50:51], v[50:51], -v[60:61]
	v_add_f64 v[56:57], v[58:59], -v[56:57]
	v_add_f64 v[50:51], v[50:51], v[62:63]
	v_add_f64 v[52:53], v[52:53], -v[56:57]
	s_mov_b32 s4, 0
	v_add_f64 v[50:51], v[50:51], v[52:53]
	s_mov_b32 s5, 0x7ff00000
	v_add_f64 v[50:51], v[58:59], v[50:51]
	v_cmp_eq_f64_e64 s[4:5], s[4:5], v[48:49]
	v_cndmask_b32_e64 v50, v50, v48, s[4:5]
	v_cndmask_b32_e64 v51, v51, v49, s[4:5]
	v_mov_b32_e32 v52, 0x7ff80000
	v_cmp_ngt_f64_e64 s[4:5], -1.0, v[48:49]
	v_cndmask_b32_e64 v51, v52, v51, s[4:5]
	v_cmp_nge_f64_e64 s[4:5], -1.0, v[48:49]
	v_cndmask_b32_e64 v50, 0, v50, s[4:5]
	v_mov_b32_e32 v52, 0xfff00000
	v_cmp_neq_f64_e64 s[4:5], -1.0, v[48:49]
	v_cndmask_b32_e64 v51, v52, v51, s[4:5]
	v_add_f64 v[48:49], v[46:47], v[50:51]
.LBB77_61:
	s_or_b64 exec, exec, s[48:49]
	v_pk_mov_b32 v[46:47], v[48:49], v[48:49] op_sel:[0,1]
.LBB77_62:
	s_or_b64 exec, exec, s[46:47]
	v_or_b32_e32 v48, 63, v0
	v_lshrrev_b32_e32 v56, 6, v0
	v_cmp_eq_u32_e64 s[4:5], v48, v0
	s_and_saveexec_b64 s[42:43], s[4:5]
	s_cbranch_execz .LBB77_64
; %bb.63:
	v_lshlrev_b32_e32 v48, 3, v56
	ds_write_b64 v48, v[46:47]
.LBB77_64:
	s_or_b64 exec, exec, s[42:43]
	v_cmp_gt_u32_e64 s[4:5], 2, v0
	s_waitcnt lgkmcnt(0)
	s_barrier
	s_and_saveexec_b64 s[46:47], s[4:5]
	s_cbranch_execz .LBB77_70
; %bb.65:
	ds_read_b64 v[48:49], v54
	v_and_b32_e32 v52, 1, v1
	v_cmp_eq_u32_e64 s[4:5], 1, v52
	s_waitcnt lgkmcnt(0)
	v_mov_b32_dpp v50, v48 row_shr:1 row_mask:0xf bank_mask:0xf
	v_mov_b32_dpp v51, v49 row_shr:1 row_mask:0xf bank_mask:0xf
	s_and_saveexec_b64 s[48:49], s[4:5]
	s_cbranch_execz .LBB77_69
; %bb.66:
	v_max_f64 v[58:59], v[50:51], v[50:51]
	v_max_f64 v[60:61], v[48:49], v[48:49]
	v_min_f64 v[52:53], v[58:59], v[60:61]
	v_cmp_u_f64_e64 s[4:5], v[50:51], v[50:51]
	v_max_f64 v[58:59], v[58:59], v[60:61]
	v_cndmask_b32_e64 v52, v52, v50, s[4:5]
	v_cndmask_b32_e64 v53, v53, v51, s[4:5]
	v_cmp_u_f64_e64 s[42:43], v[48:49], v[48:49]
	v_cndmask_b32_e64 v57, v58, v50, s[4:5]
	v_cndmask_b32_e64 v58, v59, v51, s[4:5]
	;; [unrolled: 1-line block ×6, first 2 shown]
	v_cmp_neq_f64_e64 s[4:5], v[52:53], v[48:49]
	v_cmp_class_f64_e64 s[42:43], v[52:53], s33
	s_or_b64 s[4:5], s[4:5], s[42:43]
	s_and_saveexec_b64 s[50:51], s[4:5]
	s_cbranch_execz .LBB77_68
; %bb.67:
	s_mov_b32 s4, 0x652b82fe
	v_add_f64 v[50:51], v[52:53], -v[48:49]
	s_mov_b32 s5, 0x3ff71547
	v_mul_f64 v[52:53], v[50:51], s[4:5]
	v_rndne_f64_e32 v[52:53], v[52:53]
	s_mov_b32 s53, 0xbfe62e42
	s_mov_b32 s52, 0xfefa39ef
	v_fma_f64 v[58:59], s[52:53], v[52:53], v[50:51]
	s_mov_b32 s55, 0xbc7abc9e
	s_mov_b32 s54, 0x3b39803f
	;; [unrolled: 1-line block ×3, first 2 shown]
	v_fmac_f64_e32 v[58:59], s[54:55], v[52:53]
	v_mov_b32_e32 v60, 0xfca7ab0c
	v_mov_b32_e32 v61, 0x3e928af3
	s_mov_b32 s5, 0x3e5ade15
	v_fmac_f64_e32 v[60:61], s[4:5], v[58:59]
	v_mov_b32_e32 v62, 0x623fde64
	v_mov_b32_e32 v63, 0x3ec71dee
	v_fmac_f64_e32 v[62:63], v[58:59], v[60:61]
	v_mov_b32_e32 v60, 0x7c89e6b0
	v_mov_b32_e32 v61, 0x3efa0199
	;; [unrolled: 3-line block ×8, first 2 shown]
	v_fmac_f64_e32 v[60:61], v[58:59], v[62:63]
	v_fma_f64 v[60:61], v[58:59], v[60:61], 1.0
	s_mov_b32 s4, 0
	s_mov_b32 s42, 0
	v_fma_f64 v[58:59], v[58:59], v[60:61], 1.0
	v_cvt_i32_f64_e32 v52, v[52:53]
	s_mov_b32 s5, 0x40900000
	s_mov_b32 s43, 0xc090cc00
	v_ldexp_f64 v[52:53], v[58:59], v52
	v_mov_b32_e32 v57, 0x7ff00000
	v_cmp_nlt_f64_e64 s[4:5], s[4:5], v[50:51]
	v_cmp_ngt_f64_e64 s[42:43], s[42:43], v[50:51]
	v_cndmask_b32_e64 v53, v57, v53, s[4:5]
	s_and_b64 s[4:5], s[42:43], s[4:5]
	v_cndmask_b32_e64 v51, 0, v53, s[42:43]
	v_cndmask_b32_e64 v50, 0, v52, s[4:5]
	v_add_f64 v[52:53], v[50:51], 1.0
	v_add_f64 v[58:59], v[52:53], -1.0
	v_add_f64 v[60:61], v[58:59], -v[52:53]
	v_add_f64 v[60:61], v[60:61], 1.0
	v_add_f64 v[58:59], v[50:51], -v[58:59]
	s_mov_b32 s4, 0x55555555
	v_add_f64 v[58:59], v[58:59], v[60:61]
	v_frexp_mant_f64_e32 v[60:61], v[52:53]
	s_mov_b32 s5, 0x3fe55555
	v_frexp_exp_i32_f64_e32 v57, v[52:53]
	v_cmp_gt_f64_e64 s[4:5], s[4:5], v[60:61]
	v_subbrev_co_u32_e64 v57, s[4:5], 0, v57, s[4:5]
	v_sub_u32_e32 v60, 0, v57
	v_ldexp_f64 v[52:53], v[52:53], v60
	v_ldexp_f64 v[58:59], v[58:59], v60
	v_add_f64 v[60:61], v[52:53], -1.0
	v_add_f64 v[66:67], v[52:53], 1.0
	v_add_f64 v[62:63], v[60:61], 1.0
	v_add_f64 v[68:69], v[66:67], -1.0
	v_add_f64 v[62:63], v[52:53], -v[62:63]
	v_add_f64 v[52:53], v[52:53], -v[68:69]
	v_add_f64 v[52:53], v[58:59], v[52:53]
	v_add_f64 v[62:63], v[58:59], v[62:63]
	;; [unrolled: 1-line block ×3, first 2 shown]
	v_rcp_f64_e32 v[68:69], v[58:59]
	v_add_f64 v[64:65], v[60:61], v[62:63]
	v_add_f64 v[60:61], v[64:65], -v[60:61]
	v_add_f64 v[60:61], v[62:63], -v[60:61]
	v_add_f64 v[62:63], v[58:59], -v[66:67]
	v_add_f64 v[52:53], v[52:53], -v[62:63]
	v_fma_f64 v[62:63], -v[58:59], v[68:69], 1.0
	v_fmac_f64_e32 v[68:69], v[62:63], v[68:69]
	v_fma_f64 v[62:63], -v[58:59], v[68:69], 1.0
	v_fmac_f64_e32 v[68:69], v[62:63], v[68:69]
	v_mul_f64 v[62:63], v[64:65], v[68:69]
	v_mul_f64 v[66:67], v[58:59], v[62:63]
	v_fma_f64 v[70:71], v[62:63], v[58:59], -v[66:67]
	v_fmac_f64_e32 v[70:71], v[62:63], v[52:53]
	v_add_f64 v[72:73], v[66:67], v[70:71]
	v_add_f64 v[74:75], v[64:65], -v[72:73]
	v_add_f64 v[64:65], v[64:65], -v[74:75]
	;; [unrolled: 1-line block ×4, first 2 shown]
	v_add_f64 v[60:61], v[60:61], v[64:65]
	v_add_f64 v[64:65], v[66:67], -v[70:71]
	v_add_f64 v[60:61], v[64:65], v[60:61]
	v_add_f64 v[64:65], v[74:75], v[60:61]
	v_add_f64 v[66:67], v[74:75], -v[64:65]
	v_add_f64 v[60:61], v[60:61], v[66:67]
	v_mul_f64 v[66:67], v[68:69], v[64:65]
	v_mul_f64 v[70:71], v[58:59], v[66:67]
	v_fma_f64 v[58:59], v[66:67], v[58:59], -v[70:71]
	v_fmac_f64_e32 v[58:59], v[66:67], v[52:53]
	v_add_f64 v[52:53], v[70:71], v[58:59]
	v_add_f64 v[72:73], v[64:65], -v[52:53]
	v_add_f64 v[64:65], v[64:65], -v[72:73]
	v_add_f64 v[70:71], v[52:53], -v[70:71]
	v_add_f64 v[52:53], v[64:65], -v[52:53]
	v_add_f64 v[52:53], v[60:61], v[52:53]
	v_add_f64 v[58:59], v[70:71], -v[58:59]
	v_add_f64 v[52:53], v[58:59], v[52:53]
	v_add_f64 v[58:59], v[62:63], v[66:67]
	;; [unrolled: 1-line block ×3, first 2 shown]
	v_add_f64 v[60:61], v[58:59], -v[62:63]
	v_mul_f64 v[52:53], v[68:69], v[52:53]
	v_add_f64 v[60:61], v[66:67], -v[60:61]
	v_add_f64 v[52:53], v[60:61], v[52:53]
	v_add_f64 v[60:61], v[58:59], v[52:53]
	v_add_f64 v[58:59], v[60:61], -v[58:59]
	s_mov_b32 s4, 0xbf559e2b
	v_add_f64 v[52:53], v[52:53], -v[58:59]
	v_mul_f64 v[58:59], v[60:61], v[60:61]
	v_mov_b32_e32 v62, 0x6b47b09a
	v_mov_b32_e32 v63, 0x3fc38538
	s_mov_b32 s5, 0x3fc3ab76
	v_fmac_f64_e32 v[62:63], s[4:5], v[58:59]
	v_mov_b32_e32 v64, 0xd7f4df2e
	v_mov_b32_e32 v65, 0x3fc7474d
	v_fmac_f64_e32 v[64:65], v[58:59], v[62:63]
	v_mov_b32_e32 v62, 0x16291751
	v_mov_b32_e32 v63, 0x3fcc71c0
	;; [unrolled: 3-line block ×5, first 2 shown]
	v_fmac_f64_e32 v[64:65], v[58:59], v[62:63]
	v_cvt_f64_i32_e32 v[62:63], v57
	s_mov_b32 s53, 0x3fe62e42
	v_mul_f64 v[66:67], v[62:63], s[52:53]
	v_fma_f64 v[68:69], v[62:63], s[52:53], -v[66:67]
	s_mov_b32 s55, 0x3c7abc9e
	v_fmac_f64_e32 v[68:69], s[54:55], v[62:63]
	v_add_f64 v[62:63], v[66:67], v[68:69]
	v_add_f64 v[66:67], v[62:63], -v[66:67]
	v_mul_f64 v[58:59], v[60:61], v[58:59]
	v_add_f64 v[66:67], v[68:69], -v[66:67]
	v_ldexp_f64 v[68:69], v[60:61], 1
	v_mul_f64 v[58:59], v[58:59], v[64:65]
	v_add_f64 v[60:61], v[68:69], v[58:59]
	v_add_f64 v[64:65], v[60:61], -v[68:69]
	v_ldexp_f64 v[52:53], v[52:53], 1
	v_add_f64 v[58:59], v[58:59], -v[64:65]
	v_add_f64 v[52:53], v[52:53], v[58:59]
	v_add_f64 v[58:59], v[60:61], v[52:53]
	v_add_f64 v[60:61], v[58:59], -v[60:61]
	v_add_f64 v[52:53], v[52:53], -v[60:61]
	v_add_f64 v[60:61], v[62:63], v[58:59]
	v_add_f64 v[64:65], v[60:61], -v[62:63]
	v_add_f64 v[68:69], v[60:61], -v[64:65]
	;; [unrolled: 1-line block ×4, first 2 shown]
	v_add_f64 v[58:59], v[58:59], v[62:63]
	v_add_f64 v[62:63], v[66:67], v[52:53]
	v_add_f64 v[64:65], v[62:63], -v[66:67]
	v_add_f64 v[58:59], v[62:63], v[58:59]
	v_add_f64 v[68:69], v[62:63], -v[64:65]
	;; [unrolled: 2-line block ×3, first 2 shown]
	v_add_f64 v[52:53], v[52:53], -v[64:65]
	v_add_f64 v[60:61], v[62:63], -v[60:61]
	v_add_f64 v[52:53], v[52:53], v[66:67]
	v_add_f64 v[58:59], v[58:59], -v[60:61]
	s_mov_b32 s4, 0
	v_add_f64 v[52:53], v[52:53], v[58:59]
	s_mov_b32 s5, 0x7ff00000
	v_add_f64 v[52:53], v[62:63], v[52:53]
	v_cmp_eq_f64_e64 s[4:5], s[4:5], v[50:51]
	v_cndmask_b32_e64 v52, v52, v50, s[4:5]
	v_cndmask_b32_e64 v53, v53, v51, s[4:5]
	v_mov_b32_e32 v57, 0x7ff80000
	v_cmp_ngt_f64_e64 s[4:5], -1.0, v[50:51]
	v_cndmask_b32_e64 v53, v57, v53, s[4:5]
	v_cmp_nge_f64_e64 s[4:5], -1.0, v[50:51]
	v_cndmask_b32_e64 v52, 0, v52, s[4:5]
	v_mov_b32_e32 v57, 0xfff00000
	v_cmp_neq_f64_e64 s[4:5], -1.0, v[50:51]
	v_cndmask_b32_e64 v53, v57, v53, s[4:5]
	v_add_f64 v[50:51], v[48:49], v[52:53]
.LBB77_68:
	s_or_b64 exec, exec, s[50:51]
	v_pk_mov_b32 v[48:49], v[50:51], v[50:51] op_sel:[0,1]
.LBB77_69:
	s_or_b64 exec, exec, s[48:49]
	ds_write_b64 v54, v[48:49]
.LBB77_70:
	s_or_b64 exec, exec, s[46:47]
	v_cmp_lt_u32_e64 s[4:5], 63, v0
	s_waitcnt lgkmcnt(0)
	s_barrier
	s_waitcnt lgkmcnt(0)
                                        ; implicit-def: $vgpr48_vgpr49
	s_and_saveexec_b64 s[46:47], s[4:5]
	s_cbranch_execz .LBB77_74
; %bb.71:
	v_lshl_add_u32 v48, v56, 3, -8
	ds_read_b64 v[48:49], v48
	v_max_f64 v[50:51], v[46:47], v[46:47]
	v_cmp_u_f64_e64 s[42:43], v[46:47], v[46:47]
	s_waitcnt lgkmcnt(0)
	v_max_f64 v[56:57], v[48:49], v[48:49]
	v_min_f64 v[52:53], v[56:57], v[50:51]
	v_cmp_u_f64_e64 s[4:5], v[48:49], v[48:49]
	v_max_f64 v[50:51], v[56:57], v[50:51]
	v_cndmask_b32_e64 v52, v52, v48, s[4:5]
	v_cndmask_b32_e64 v53, v53, v49, s[4:5]
	;; [unrolled: 1-line block ×8, first 2 shown]
	v_cmp_neq_f64_e64 s[4:5], v[52:53], v[50:51]
	v_cmp_class_f64_e64 s[42:43], v[52:53], s33
	s_or_b64 s[4:5], s[4:5], s[42:43]
	v_pk_mov_b32 v[46:47], v[48:49], v[48:49] op_sel:[0,1]
	s_and_saveexec_b64 s[48:49], s[4:5]
	s_cbranch_execz .LBB77_73
; %bb.72:
	s_mov_b32 s4, 0x652b82fe
	v_add_f64 v[46:47], v[52:53], -v[50:51]
	s_mov_b32 s5, 0x3ff71547
	v_mul_f64 v[52:53], v[46:47], s[4:5]
	v_rndne_f64_e32 v[52:53], v[52:53]
	s_mov_b32 s51, 0xbfe62e42
	s_mov_b32 s50, 0xfefa39ef
	v_fma_f64 v[56:57], s[50:51], v[52:53], v[46:47]
	s_mov_b32 s53, 0xbc7abc9e
	s_mov_b32 s52, 0x3b39803f
	s_mov_b32 s4, 0x6a5dcb37
	v_fmac_f64_e32 v[56:57], s[52:53], v[52:53]
	v_mov_b32_e32 v58, 0xfca7ab0c
	v_mov_b32_e32 v59, 0x3e928af3
	s_mov_b32 s5, 0x3e5ade15
	v_fmac_f64_e32 v[58:59], s[4:5], v[56:57]
	v_mov_b32_e32 v60, 0x623fde64
	v_mov_b32_e32 v61, 0x3ec71dee
	v_fmac_f64_e32 v[60:61], v[56:57], v[58:59]
	v_mov_b32_e32 v58, 0x7c89e6b0
	v_mov_b32_e32 v59, 0x3efa0199
	;; [unrolled: 3-line block ×8, first 2 shown]
	v_fmac_f64_e32 v[58:59], v[56:57], v[60:61]
	v_fma_f64 v[58:59], v[56:57], v[58:59], 1.0
	s_mov_b32 s4, 0
	s_mov_b32 s42, 0
	v_fma_f64 v[56:57], v[56:57], v[58:59], 1.0
	v_cvt_i32_f64_e32 v52, v[52:53]
	s_mov_b32 s5, 0x40900000
	s_mov_b32 s43, 0xc090cc00
	v_ldexp_f64 v[52:53], v[56:57], v52
	v_mov_b32_e32 v56, 0x7ff00000
	v_cmp_nlt_f64_e64 s[4:5], s[4:5], v[46:47]
	v_cmp_ngt_f64_e64 s[42:43], s[42:43], v[46:47]
	v_cndmask_b32_e64 v53, v56, v53, s[4:5]
	s_and_b64 s[4:5], s[42:43], s[4:5]
	v_cndmask_b32_e64 v47, 0, v53, s[42:43]
	v_cndmask_b32_e64 v46, 0, v52, s[4:5]
	v_add_f64 v[52:53], v[46:47], 1.0
	v_add_f64 v[56:57], v[52:53], -1.0
	v_add_f64 v[58:59], v[56:57], -v[52:53]
	v_add_f64 v[58:59], v[58:59], 1.0
	v_add_f64 v[56:57], v[46:47], -v[56:57]
	s_mov_b32 s4, 0x55555555
	v_add_f64 v[56:57], v[56:57], v[58:59]
	v_frexp_mant_f64_e32 v[58:59], v[52:53]
	s_mov_b32 s5, 0x3fe55555
	v_frexp_exp_i32_f64_e32 v60, v[52:53]
	v_cmp_gt_f64_e64 s[4:5], s[4:5], v[58:59]
	v_subbrev_co_u32_e64 v74, s[4:5], 0, v60, s[4:5]
	v_sub_u32_e32 v58, 0, v74
	v_ldexp_f64 v[52:53], v[52:53], v58
	v_ldexp_f64 v[56:57], v[56:57], v58
	v_add_f64 v[58:59], v[52:53], -1.0
	v_add_f64 v[64:65], v[52:53], 1.0
	v_add_f64 v[60:61], v[58:59], 1.0
	v_add_f64 v[66:67], v[64:65], -1.0
	v_add_f64 v[60:61], v[52:53], -v[60:61]
	v_add_f64 v[52:53], v[52:53], -v[66:67]
	v_add_f64 v[52:53], v[56:57], v[52:53]
	v_add_f64 v[60:61], v[56:57], v[60:61]
	;; [unrolled: 1-line block ×3, first 2 shown]
	v_rcp_f64_e32 v[66:67], v[56:57]
	v_add_f64 v[62:63], v[58:59], v[60:61]
	v_add_f64 v[58:59], v[62:63], -v[58:59]
	v_add_f64 v[58:59], v[60:61], -v[58:59]
	;; [unrolled: 1-line block ×4, first 2 shown]
	v_fma_f64 v[60:61], -v[56:57], v[66:67], 1.0
	v_fmac_f64_e32 v[66:67], v[60:61], v[66:67]
	v_fma_f64 v[60:61], -v[56:57], v[66:67], 1.0
	v_fmac_f64_e32 v[66:67], v[60:61], v[66:67]
	v_mul_f64 v[60:61], v[62:63], v[66:67]
	v_mul_f64 v[64:65], v[56:57], v[60:61]
	v_fma_f64 v[68:69], v[60:61], v[56:57], -v[64:65]
	v_fmac_f64_e32 v[68:69], v[60:61], v[52:53]
	v_add_f64 v[70:71], v[64:65], v[68:69]
	v_add_f64 v[72:73], v[62:63], -v[70:71]
	v_add_f64 v[62:63], v[62:63], -v[72:73]
	;; [unrolled: 1-line block ×4, first 2 shown]
	v_add_f64 v[58:59], v[58:59], v[62:63]
	v_add_f64 v[62:63], v[64:65], -v[68:69]
	v_add_f64 v[58:59], v[62:63], v[58:59]
	v_add_f64 v[62:63], v[72:73], v[58:59]
	v_add_f64 v[64:65], v[72:73], -v[62:63]
	v_add_f64 v[58:59], v[58:59], v[64:65]
	v_mul_f64 v[64:65], v[66:67], v[62:63]
	v_mul_f64 v[68:69], v[56:57], v[64:65]
	v_fma_f64 v[56:57], v[64:65], v[56:57], -v[68:69]
	v_fmac_f64_e32 v[56:57], v[64:65], v[52:53]
	v_add_f64 v[52:53], v[68:69], v[56:57]
	v_add_f64 v[70:71], v[62:63], -v[52:53]
	v_add_f64 v[62:63], v[62:63], -v[70:71]
	;; [unrolled: 1-line block ×4, first 2 shown]
	v_add_f64 v[52:53], v[58:59], v[52:53]
	v_add_f64 v[56:57], v[68:69], -v[56:57]
	v_add_f64 v[52:53], v[56:57], v[52:53]
	v_add_f64 v[56:57], v[60:61], v[64:65]
	;; [unrolled: 1-line block ×3, first 2 shown]
	v_add_f64 v[58:59], v[56:57], -v[60:61]
	v_mul_f64 v[52:53], v[66:67], v[52:53]
	v_add_f64 v[58:59], v[64:65], -v[58:59]
	v_add_f64 v[52:53], v[58:59], v[52:53]
	v_add_f64 v[58:59], v[56:57], v[52:53]
	v_add_f64 v[56:57], v[58:59], -v[56:57]
	s_mov_b32 s4, 0xbf559e2b
	v_add_f64 v[52:53], v[52:53], -v[56:57]
	v_mul_f64 v[56:57], v[58:59], v[58:59]
	v_mov_b32_e32 v60, 0x6b47b09a
	v_mov_b32_e32 v61, 0x3fc38538
	s_mov_b32 s5, 0x3fc3ab76
	v_fmac_f64_e32 v[60:61], s[4:5], v[56:57]
	v_mov_b32_e32 v62, 0xd7f4df2e
	v_mov_b32_e32 v63, 0x3fc7474d
	v_fmac_f64_e32 v[62:63], v[56:57], v[60:61]
	v_mov_b32_e32 v60, 0x16291751
	v_mov_b32_e32 v61, 0x3fcc71c0
	;; [unrolled: 3-line block ×5, first 2 shown]
	v_fmac_f64_e32 v[62:63], v[56:57], v[60:61]
	v_cvt_f64_i32_e32 v[60:61], v74
	s_mov_b32 s51, 0x3fe62e42
	v_mul_f64 v[64:65], v[60:61], s[50:51]
	v_fma_f64 v[66:67], v[60:61], s[50:51], -v[64:65]
	s_mov_b32 s53, 0x3c7abc9e
	v_fmac_f64_e32 v[66:67], s[52:53], v[60:61]
	v_add_f64 v[60:61], v[64:65], v[66:67]
	v_add_f64 v[64:65], v[60:61], -v[64:65]
	v_mul_f64 v[56:57], v[58:59], v[56:57]
	v_add_f64 v[64:65], v[66:67], -v[64:65]
	v_ldexp_f64 v[66:67], v[58:59], 1
	v_mul_f64 v[56:57], v[56:57], v[62:63]
	v_add_f64 v[58:59], v[66:67], v[56:57]
	v_add_f64 v[62:63], v[58:59], -v[66:67]
	v_ldexp_f64 v[52:53], v[52:53], 1
	v_add_f64 v[56:57], v[56:57], -v[62:63]
	v_add_f64 v[52:53], v[52:53], v[56:57]
	v_add_f64 v[56:57], v[58:59], v[52:53]
	v_add_f64 v[58:59], v[56:57], -v[58:59]
	v_add_f64 v[52:53], v[52:53], -v[58:59]
	v_add_f64 v[58:59], v[60:61], v[56:57]
	v_add_f64 v[62:63], v[58:59], -v[60:61]
	v_add_f64 v[66:67], v[58:59], -v[62:63]
	;; [unrolled: 1-line block ×4, first 2 shown]
	v_add_f64 v[56:57], v[56:57], v[60:61]
	v_add_f64 v[60:61], v[64:65], v[52:53]
	v_add_f64 v[62:63], v[60:61], -v[64:65]
	v_add_f64 v[56:57], v[60:61], v[56:57]
	v_add_f64 v[66:67], v[60:61], -v[62:63]
	;; [unrolled: 2-line block ×3, first 2 shown]
	v_add_f64 v[52:53], v[52:53], -v[62:63]
	v_add_f64 v[58:59], v[60:61], -v[58:59]
	v_add_f64 v[52:53], v[52:53], v[64:65]
	v_add_f64 v[56:57], v[56:57], -v[58:59]
	s_mov_b32 s4, 0
	v_add_f64 v[52:53], v[52:53], v[56:57]
	s_mov_b32 s5, 0x7ff00000
	v_add_f64 v[52:53], v[60:61], v[52:53]
	v_cmp_eq_f64_e64 s[4:5], s[4:5], v[46:47]
	v_cndmask_b32_e64 v52, v52, v46, s[4:5]
	v_cndmask_b32_e64 v53, v53, v47, s[4:5]
	v_mov_b32_e32 v56, 0x7ff80000
	v_cmp_ngt_f64_e64 s[4:5], -1.0, v[46:47]
	v_cndmask_b32_e64 v53, v56, v53, s[4:5]
	v_cmp_nge_f64_e64 s[4:5], -1.0, v[46:47]
	v_cndmask_b32_e64 v52, 0, v52, s[4:5]
	v_mov_b32_e32 v56, 0xfff00000
	v_cmp_neq_f64_e64 s[4:5], -1.0, v[46:47]
	v_cndmask_b32_e64 v53, v56, v53, s[4:5]
	v_add_f64 v[46:47], v[50:51], v[52:53]
.LBB77_73:
	s_or_b64 exec, exec, s[48:49]
.LBB77_74:
	s_or_b64 exec, exec, s[46:47]
	v_add_u32_e32 v50, -1, v1
	v_and_b32_e32 v51, 64, v1
	v_cmp_lt_i32_e64 s[4:5], v50, v51
	v_cndmask_b32_e64 v50, v50, v1, s[4:5]
	v_lshlrev_b32_e32 v50, 2, v50
	ds_bpermute_b32 v46, v50, v46
	ds_bpermute_b32 v47, v50, v47
	v_cmp_ne_u32_e64 s[4:5], 0, v0
	s_and_saveexec_b64 s[42:43], s[4:5]
	s_cbranch_execz .LBB77_78
; %bb.75:
	v_cmp_eq_u32_e64 s[4:5], 0, v1
	s_waitcnt lgkmcnt(0)
	v_cndmask_b32_e64 v47, v47, v49, s[4:5]
	v_cndmask_b32_e64 v46, v46, v48, s[4:5]
	v_max_f64 v[0:1], v[46:47], v[46:47]
	v_min_f64 v[42:43], v[0:1], v[40:41]
	v_cmp_u_f64_e64 s[4:5], v[46:47], v[46:47]
	v_max_f64 v[0:1], v[0:1], v[40:41]
	v_cndmask_b32_e64 v42, v42, v46, s[4:5]
	v_cndmask_b32_e64 v43, v43, v47, s[4:5]
	v_cndmask_b32_e64 v0, v0, v46, s[4:5]
	v_cndmask_b32_e64 v1, v1, v47, s[4:5]
	v_cndmask_b32_e64 v43, v43, v3, s[38:39]
	v_cndmask_b32_e64 v42, v42, v2, s[38:39]
	v_cndmask_b32_e64 v1, v1, v3, s[38:39]
	v_cndmask_b32_e64 v0, v0, v2, s[38:39]
	v_cmp_neq_f64_e64 s[4:5], v[42:43], v[0:1]
	v_cmp_class_f64_e64 s[38:39], v[42:43], s33
	s_or_b64 s[4:5], s[4:5], s[38:39]
	s_and_saveexec_b64 s[46:47], s[4:5]
	s_cbranch_execz .LBB77_77
; %bb.76:
	s_mov_b32 s4, 0x652b82fe
	v_add_f64 v[2:3], v[42:43], -v[0:1]
	s_mov_b32 s5, 0x3ff71547
	v_mul_f64 v[40:41], v[2:3], s[4:5]
	v_rndne_f64_e32 v[40:41], v[40:41]
	s_mov_b32 s49, 0xbfe62e42
	s_mov_b32 s48, 0xfefa39ef
	v_fma_f64 v[42:43], s[48:49], v[40:41], v[2:3]
	s_mov_b32 s51, 0xbc7abc9e
	s_mov_b32 s50, 0x3b39803f
	;; [unrolled: 1-line block ×3, first 2 shown]
	v_fmac_f64_e32 v[42:43], s[50:51], v[40:41]
	v_mov_b32_e32 v44, 0xfca7ab0c
	v_mov_b32_e32 v45, 0x3e928af3
	s_mov_b32 s5, 0x3e5ade15
	v_fmac_f64_e32 v[44:45], s[4:5], v[42:43]
	v_mov_b32_e32 v46, 0x623fde64
	v_mov_b32_e32 v47, 0x3ec71dee
	v_fmac_f64_e32 v[46:47], v[42:43], v[44:45]
	v_mov_b32_e32 v44, 0x7c89e6b0
	v_mov_b32_e32 v45, 0x3efa0199
	;; [unrolled: 3-line block ×8, first 2 shown]
	v_fmac_f64_e32 v[44:45], v[42:43], v[46:47]
	v_fma_f64 v[44:45], v[42:43], v[44:45], 1.0
	s_mov_b32 s4, 0
	s_mov_b32 s38, 0
	v_fma_f64 v[42:43], v[42:43], v[44:45], 1.0
	v_cvt_i32_f64_e32 v40, v[40:41]
	s_mov_b32 s5, 0x40900000
	s_mov_b32 s39, 0xc090cc00
	v_ldexp_f64 v[40:41], v[42:43], v40
	v_mov_b32_e32 v42, 0x7ff00000
	v_cmp_nlt_f64_e64 s[4:5], s[4:5], v[2:3]
	v_cmp_ngt_f64_e64 s[38:39], s[38:39], v[2:3]
	v_cndmask_b32_e64 v41, v42, v41, s[4:5]
	s_and_b64 s[4:5], s[38:39], s[4:5]
	v_cndmask_b32_e64 v3, 0, v41, s[38:39]
	v_cndmask_b32_e64 v2, 0, v40, s[4:5]
	v_add_f64 v[40:41], v[2:3], 1.0
	v_add_f64 v[42:43], v[40:41], -1.0
	v_add_f64 v[44:45], v[42:43], -v[40:41]
	v_add_f64 v[44:45], v[44:45], 1.0
	v_add_f64 v[42:43], v[2:3], -v[42:43]
	s_mov_b32 s4, 0x55555555
	v_add_f64 v[42:43], v[42:43], v[44:45]
	v_frexp_mant_f64_e32 v[44:45], v[40:41]
	s_mov_b32 s5, 0x3fe55555
	v_frexp_exp_i32_f64_e32 v46, v[40:41]
	v_cmp_gt_f64_e64 s[4:5], s[4:5], v[44:45]
	v_subbrev_co_u32_e64 v62, s[4:5], 0, v46, s[4:5]
	v_sub_u32_e32 v44, 0, v62
	v_ldexp_f64 v[40:41], v[40:41], v44
	v_ldexp_f64 v[42:43], v[42:43], v44
	v_add_f64 v[44:45], v[40:41], -1.0
	v_add_f64 v[50:51], v[40:41], 1.0
	v_add_f64 v[46:47], v[44:45], 1.0
	v_add_f64 v[52:53], v[50:51], -1.0
	v_add_f64 v[46:47], v[40:41], -v[46:47]
	v_add_f64 v[40:41], v[40:41], -v[52:53]
	v_add_f64 v[40:41], v[42:43], v[40:41]
	v_add_f64 v[46:47], v[42:43], v[46:47]
	;; [unrolled: 1-line block ×3, first 2 shown]
	v_rcp_f64_e32 v[52:53], v[42:43]
	v_add_f64 v[48:49], v[44:45], v[46:47]
	v_add_f64 v[44:45], v[48:49], -v[44:45]
	v_add_f64 v[44:45], v[46:47], -v[44:45]
	;; [unrolled: 1-line block ×4, first 2 shown]
	v_fma_f64 v[46:47], -v[42:43], v[52:53], 1.0
	v_fmac_f64_e32 v[52:53], v[46:47], v[52:53]
	v_fma_f64 v[46:47], -v[42:43], v[52:53], 1.0
	v_fmac_f64_e32 v[52:53], v[46:47], v[52:53]
	v_mul_f64 v[46:47], v[48:49], v[52:53]
	v_mul_f64 v[50:51], v[42:43], v[46:47]
	v_fma_f64 v[56:57], v[46:47], v[42:43], -v[50:51]
	v_fmac_f64_e32 v[56:57], v[46:47], v[40:41]
	v_add_f64 v[58:59], v[50:51], v[56:57]
	v_add_f64 v[60:61], v[48:49], -v[58:59]
	v_add_f64 v[48:49], v[48:49], -v[60:61]
	;; [unrolled: 1-line block ×4, first 2 shown]
	v_add_f64 v[44:45], v[44:45], v[48:49]
	v_add_f64 v[48:49], v[50:51], -v[56:57]
	v_add_f64 v[44:45], v[48:49], v[44:45]
	v_add_f64 v[48:49], v[60:61], v[44:45]
	v_add_f64 v[50:51], v[60:61], -v[48:49]
	v_add_f64 v[44:45], v[44:45], v[50:51]
	v_mul_f64 v[50:51], v[52:53], v[48:49]
	v_mul_f64 v[56:57], v[42:43], v[50:51]
	v_fma_f64 v[42:43], v[50:51], v[42:43], -v[56:57]
	v_fmac_f64_e32 v[42:43], v[50:51], v[40:41]
	v_add_f64 v[40:41], v[56:57], v[42:43]
	v_add_f64 v[58:59], v[48:49], -v[40:41]
	v_add_f64 v[48:49], v[48:49], -v[58:59]
	v_add_f64 v[56:57], v[40:41], -v[56:57]
	v_add_f64 v[40:41], v[48:49], -v[40:41]
	v_add_f64 v[40:41], v[44:45], v[40:41]
	v_add_f64 v[42:43], v[56:57], -v[42:43]
	v_add_f64 v[40:41], v[42:43], v[40:41]
	v_add_f64 v[42:43], v[46:47], v[50:51]
	;; [unrolled: 1-line block ×3, first 2 shown]
	v_add_f64 v[44:45], v[42:43], -v[46:47]
	v_mul_f64 v[40:41], v[52:53], v[40:41]
	v_add_f64 v[44:45], v[50:51], -v[44:45]
	v_add_f64 v[40:41], v[44:45], v[40:41]
	v_add_f64 v[44:45], v[42:43], v[40:41]
	v_add_f64 v[42:43], v[44:45], -v[42:43]
	s_mov_b32 s4, 0xbf559e2b
	v_add_f64 v[40:41], v[40:41], -v[42:43]
	v_mul_f64 v[42:43], v[44:45], v[44:45]
	v_mov_b32_e32 v46, 0x6b47b09a
	v_mov_b32_e32 v47, 0x3fc38538
	s_mov_b32 s5, 0x3fc3ab76
	v_fmac_f64_e32 v[46:47], s[4:5], v[42:43]
	v_mov_b32_e32 v48, 0xd7f4df2e
	v_mov_b32_e32 v49, 0x3fc7474d
	v_fmac_f64_e32 v[48:49], v[42:43], v[46:47]
	v_mov_b32_e32 v46, 0x16291751
	v_mov_b32_e32 v47, 0x3fcc71c0
	;; [unrolled: 3-line block ×5, first 2 shown]
	v_fmac_f64_e32 v[48:49], v[42:43], v[46:47]
	v_cvt_f64_i32_e32 v[46:47], v62
	s_mov_b32 s49, 0x3fe62e42
	v_mul_f64 v[50:51], v[46:47], s[48:49]
	v_fma_f64 v[52:53], v[46:47], s[48:49], -v[50:51]
	s_mov_b32 s51, 0x3c7abc9e
	v_fmac_f64_e32 v[52:53], s[50:51], v[46:47]
	v_add_f64 v[46:47], v[50:51], v[52:53]
	v_add_f64 v[50:51], v[46:47], -v[50:51]
	v_mul_f64 v[42:43], v[44:45], v[42:43]
	v_add_f64 v[50:51], v[52:53], -v[50:51]
	v_ldexp_f64 v[52:53], v[44:45], 1
	v_mul_f64 v[42:43], v[42:43], v[48:49]
	v_add_f64 v[44:45], v[52:53], v[42:43]
	v_add_f64 v[48:49], v[44:45], -v[52:53]
	v_ldexp_f64 v[40:41], v[40:41], 1
	v_add_f64 v[42:43], v[42:43], -v[48:49]
	v_add_f64 v[40:41], v[40:41], v[42:43]
	v_add_f64 v[42:43], v[44:45], v[40:41]
	v_add_f64 v[44:45], v[42:43], -v[44:45]
	v_add_f64 v[40:41], v[40:41], -v[44:45]
	v_add_f64 v[44:45], v[46:47], v[42:43]
	v_add_f64 v[48:49], v[44:45], -v[46:47]
	v_add_f64 v[52:53], v[44:45], -v[48:49]
	;; [unrolled: 1-line block ×4, first 2 shown]
	v_add_f64 v[42:43], v[42:43], v[46:47]
	v_add_f64 v[46:47], v[50:51], v[40:41]
	v_add_f64 v[48:49], v[46:47], -v[50:51]
	v_add_f64 v[42:43], v[46:47], v[42:43]
	v_add_f64 v[52:53], v[46:47], -v[48:49]
	;; [unrolled: 2-line block ×3, first 2 shown]
	v_add_f64 v[40:41], v[40:41], -v[48:49]
	v_add_f64 v[44:45], v[46:47], -v[44:45]
	v_add_f64 v[40:41], v[40:41], v[50:51]
	v_add_f64 v[42:43], v[42:43], -v[44:45]
	s_mov_b32 s4, 0
	v_add_f64 v[40:41], v[40:41], v[42:43]
	s_mov_b32 s5, 0x7ff00000
	v_add_f64 v[40:41], v[46:47], v[40:41]
	v_cmp_eq_f64_e64 s[4:5], s[4:5], v[2:3]
	v_cndmask_b32_e64 v40, v40, v2, s[4:5]
	v_cndmask_b32_e64 v41, v41, v3, s[4:5]
	v_mov_b32_e32 v42, 0x7ff80000
	v_cmp_ngt_f64_e64 s[4:5], -1.0, v[2:3]
	v_cndmask_b32_e64 v41, v42, v41, s[4:5]
	v_cmp_nge_f64_e64 s[4:5], -1.0, v[2:3]
	v_cndmask_b32_e64 v40, 0, v40, s[4:5]
	v_mov_b32_e32 v42, 0xfff00000
	v_cmp_neq_f64_e64 s[4:5], -1.0, v[2:3]
	v_cndmask_b32_e64 v41, v42, v41, s[4:5]
	v_add_f64 v[46:47], v[0:1], v[40:41]
.LBB77_77:
	s_or_b64 exec, exec, s[46:47]
	v_max_f64 v[0:1], v[46:47], v[46:47]
	v_min_f64 v[42:43], v[0:1], v[26:27]
	v_max_f64 v[44:45], v[0:1], v[26:27]
	v_pk_mov_b32 v[2:3], v[46:47], v[46:47] op_sel:[0,1]
	;;#ASMSTART
	;;#ASMEND
.LBB77_78:
	s_or_b64 exec, exec, s[42:43]
	v_cmp_u_f64_e64 s[4:5], v[2:3], v[2:3]
	v_cndmask_b32_e64 v0, v42, v2, s[4:5]
	v_cndmask_b32_e64 v1, v43, v3, s[4:5]
	;; [unrolled: 1-line block ×8, first 2 shown]
	v_cmp_neq_f64_e64 s[4:5], v[26:27], v[0:1]
	v_cmp_class_f64_e64 s[18:19], v[26:27], s33
	s_or_b64 s[4:5], s[4:5], s[18:19]
	v_pk_mov_b32 v[4:5], v[2:3], v[2:3] op_sel:[0,1]
	s_and_saveexec_b64 s[38:39], s[4:5]
	s_cbranch_execz .LBB77_80
; %bb.79:
	s_mov_b32 s4, 0x652b82fe
	v_add_f64 v[4:5], v[26:27], -v[0:1]
	s_mov_b32 s5, 0x3ff71547
	v_mul_f64 v[26:27], v[4:5], s[4:5]
	v_rndne_f64_e32 v[26:27], v[26:27]
	s_mov_b32 s43, 0xbfe62e42
	s_mov_b32 s42, 0xfefa39ef
	v_fma_f64 v[40:41], s[42:43], v[26:27], v[4:5]
	s_mov_b32 s47, 0xbc7abc9e
	s_mov_b32 s46, 0x3b39803f
	;; [unrolled: 1-line block ×3, first 2 shown]
	v_fmac_f64_e32 v[40:41], s[46:47], v[26:27]
	v_mov_b32_e32 v42, 0xfca7ab0c
	v_mov_b32_e32 v43, 0x3e928af3
	s_mov_b32 s5, 0x3e5ade15
	v_fmac_f64_e32 v[42:43], s[4:5], v[40:41]
	v_mov_b32_e32 v44, 0x623fde64
	v_mov_b32_e32 v45, 0x3ec71dee
	v_fmac_f64_e32 v[44:45], v[40:41], v[42:43]
	v_mov_b32_e32 v42, 0x7c89e6b0
	v_mov_b32_e32 v43, 0x3efa0199
	;; [unrolled: 3-line block ×8, first 2 shown]
	v_fmac_f64_e32 v[42:43], v[40:41], v[44:45]
	v_fma_f64 v[42:43], v[40:41], v[42:43], 1.0
	s_mov_b32 s4, 0
	s_mov_b32 s18, 0
	v_fma_f64 v[40:41], v[40:41], v[42:43], 1.0
	v_cvt_i32_f64_e32 v26, v[26:27]
	s_mov_b32 s5, 0x40900000
	s_mov_b32 s19, 0xc090cc00
	v_ldexp_f64 v[26:27], v[40:41], v26
	v_mov_b32_e32 v40, 0x7ff00000
	v_cmp_nlt_f64_e64 s[4:5], s[4:5], v[4:5]
	v_cmp_ngt_f64_e64 s[18:19], s[18:19], v[4:5]
	v_cndmask_b32_e64 v27, v40, v27, s[4:5]
	s_and_b64 s[4:5], s[18:19], s[4:5]
	v_cndmask_b32_e64 v5, 0, v27, s[18:19]
	v_cndmask_b32_e64 v4, 0, v26, s[4:5]
	v_add_f64 v[26:27], v[4:5], 1.0
	v_add_f64 v[40:41], v[26:27], -1.0
	v_add_f64 v[42:43], v[40:41], -v[26:27]
	v_add_f64 v[42:43], v[42:43], 1.0
	v_add_f64 v[40:41], v[4:5], -v[40:41]
	s_mov_b32 s4, 0x55555555
	v_add_f64 v[40:41], v[40:41], v[42:43]
	v_frexp_mant_f64_e32 v[42:43], v[26:27]
	s_mov_b32 s5, 0x3fe55555
	v_frexp_exp_i32_f64_e32 v44, v[26:27]
	v_cmp_gt_f64_e64 s[4:5], s[4:5], v[42:43]
	v_subbrev_co_u32_e64 v60, s[4:5], 0, v44, s[4:5]
	v_sub_u32_e32 v42, 0, v60
	v_ldexp_f64 v[26:27], v[26:27], v42
	v_ldexp_f64 v[40:41], v[40:41], v42
	v_add_f64 v[42:43], v[26:27], -1.0
	v_add_f64 v[48:49], v[26:27], 1.0
	v_add_f64 v[44:45], v[42:43], 1.0
	v_add_f64 v[50:51], v[48:49], -1.0
	v_add_f64 v[44:45], v[26:27], -v[44:45]
	v_add_f64 v[26:27], v[26:27], -v[50:51]
	v_add_f64 v[26:27], v[40:41], v[26:27]
	v_add_f64 v[44:45], v[40:41], v[44:45]
	;; [unrolled: 1-line block ×3, first 2 shown]
	v_rcp_f64_e32 v[50:51], v[40:41]
	s_waitcnt lgkmcnt(0)
	v_add_f64 v[46:47], v[42:43], v[44:45]
	v_add_f64 v[42:43], v[46:47], -v[42:43]
	v_add_f64 v[42:43], v[44:45], -v[42:43]
	;; [unrolled: 1-line block ×4, first 2 shown]
	v_fma_f64 v[44:45], -v[40:41], v[50:51], 1.0
	v_fmac_f64_e32 v[50:51], v[44:45], v[50:51]
	v_fma_f64 v[44:45], -v[40:41], v[50:51], 1.0
	v_fmac_f64_e32 v[50:51], v[44:45], v[50:51]
	v_mul_f64 v[44:45], v[46:47], v[50:51]
	v_mul_f64 v[48:49], v[40:41], v[44:45]
	v_fma_f64 v[52:53], v[44:45], v[40:41], -v[48:49]
	v_fmac_f64_e32 v[52:53], v[44:45], v[26:27]
	v_add_f64 v[56:57], v[48:49], v[52:53]
	v_add_f64 v[58:59], v[46:47], -v[56:57]
	v_add_f64 v[46:47], v[46:47], -v[58:59]
	;; [unrolled: 1-line block ×4, first 2 shown]
	v_add_f64 v[42:43], v[42:43], v[46:47]
	v_add_f64 v[46:47], v[48:49], -v[52:53]
	v_add_f64 v[42:43], v[46:47], v[42:43]
	v_add_f64 v[46:47], v[58:59], v[42:43]
	v_add_f64 v[48:49], v[58:59], -v[46:47]
	v_add_f64 v[42:43], v[42:43], v[48:49]
	v_mul_f64 v[48:49], v[50:51], v[46:47]
	v_mul_f64 v[52:53], v[40:41], v[48:49]
	v_fma_f64 v[40:41], v[48:49], v[40:41], -v[52:53]
	v_fmac_f64_e32 v[40:41], v[48:49], v[26:27]
	v_add_f64 v[26:27], v[52:53], v[40:41]
	v_add_f64 v[56:57], v[46:47], -v[26:27]
	v_add_f64 v[46:47], v[46:47], -v[56:57]
	;; [unrolled: 1-line block ×4, first 2 shown]
	v_add_f64 v[26:27], v[42:43], v[26:27]
	v_add_f64 v[40:41], v[52:53], -v[40:41]
	v_add_f64 v[26:27], v[40:41], v[26:27]
	v_add_f64 v[40:41], v[44:45], v[48:49]
	;; [unrolled: 1-line block ×3, first 2 shown]
	v_add_f64 v[42:43], v[40:41], -v[44:45]
	v_mul_f64 v[26:27], v[50:51], v[26:27]
	v_add_f64 v[42:43], v[48:49], -v[42:43]
	v_add_f64 v[26:27], v[42:43], v[26:27]
	v_add_f64 v[42:43], v[40:41], v[26:27]
	v_add_f64 v[40:41], v[42:43], -v[40:41]
	s_mov_b32 s4, 0xbf559e2b
	v_add_f64 v[26:27], v[26:27], -v[40:41]
	v_mul_f64 v[40:41], v[42:43], v[42:43]
	v_mov_b32_e32 v44, 0x6b47b09a
	v_mov_b32_e32 v45, 0x3fc38538
	s_mov_b32 s5, 0x3fc3ab76
	v_fmac_f64_e32 v[44:45], s[4:5], v[40:41]
	v_mov_b32_e32 v46, 0xd7f4df2e
	v_mov_b32_e32 v47, 0x3fc7474d
	v_fmac_f64_e32 v[46:47], v[40:41], v[44:45]
	v_mov_b32_e32 v44, 0x16291751
	v_mov_b32_e32 v45, 0x3fcc71c0
	;; [unrolled: 3-line block ×5, first 2 shown]
	v_fmac_f64_e32 v[46:47], v[40:41], v[44:45]
	v_cvt_f64_i32_e32 v[44:45], v60
	s_mov_b32 s43, 0x3fe62e42
	v_mul_f64 v[48:49], v[44:45], s[42:43]
	v_fma_f64 v[50:51], v[44:45], s[42:43], -v[48:49]
	s_mov_b32 s47, 0x3c7abc9e
	v_fmac_f64_e32 v[50:51], s[46:47], v[44:45]
	v_add_f64 v[44:45], v[48:49], v[50:51]
	v_add_f64 v[48:49], v[44:45], -v[48:49]
	v_mul_f64 v[40:41], v[42:43], v[40:41]
	v_add_f64 v[48:49], v[50:51], -v[48:49]
	v_ldexp_f64 v[50:51], v[42:43], 1
	v_mul_f64 v[40:41], v[40:41], v[46:47]
	v_add_f64 v[42:43], v[50:51], v[40:41]
	v_add_f64 v[46:47], v[42:43], -v[50:51]
	v_ldexp_f64 v[26:27], v[26:27], 1
	v_add_f64 v[40:41], v[40:41], -v[46:47]
	v_add_f64 v[26:27], v[26:27], v[40:41]
	v_add_f64 v[40:41], v[42:43], v[26:27]
	v_add_f64 v[42:43], v[40:41], -v[42:43]
	v_add_f64 v[26:27], v[26:27], -v[42:43]
	v_add_f64 v[42:43], v[44:45], v[40:41]
	v_add_f64 v[46:47], v[42:43], -v[44:45]
	v_add_f64 v[50:51], v[42:43], -v[46:47]
	v_add_f64 v[44:45], v[44:45], -v[50:51]
	v_add_f64 v[40:41], v[40:41], -v[46:47]
	v_add_f64 v[40:41], v[40:41], v[44:45]
	v_add_f64 v[44:45], v[48:49], v[26:27]
	v_add_f64 v[46:47], v[44:45], -v[48:49]
	v_add_f64 v[40:41], v[44:45], v[40:41]
	v_add_f64 v[50:51], v[44:45], -v[46:47]
	;; [unrolled: 2-line block ×3, first 2 shown]
	v_add_f64 v[26:27], v[26:27], -v[46:47]
	v_add_f64 v[42:43], v[44:45], -v[42:43]
	v_add_f64 v[26:27], v[26:27], v[48:49]
	v_add_f64 v[40:41], v[40:41], -v[42:43]
	s_mov_b32 s4, 0
	v_add_f64 v[26:27], v[26:27], v[40:41]
	s_mov_b32 s5, 0x7ff00000
	v_add_f64 v[26:27], v[44:45], v[26:27]
	v_cmp_eq_f64_e64 s[4:5], s[4:5], v[4:5]
	v_cndmask_b32_e64 v26, v26, v4, s[4:5]
	v_cndmask_b32_e64 v27, v27, v5, s[4:5]
	v_mov_b32_e32 v40, 0x7ff80000
	v_cmp_ngt_f64_e64 s[4:5], -1.0, v[4:5]
	v_cndmask_b32_e64 v27, v40, v27, s[4:5]
	v_cmp_nge_f64_e64 s[4:5], -1.0, v[4:5]
	v_cndmask_b32_e64 v26, 0, v26, s[4:5]
	v_mov_b32_e32 v40, 0xfff00000
	v_cmp_neq_f64_e64 s[4:5], -1.0, v[4:5]
	v_cndmask_b32_e64 v27, v40, v27, s[4:5]
	v_add_f64 v[4:5], v[0:1], v[26:27]
.LBB77_80:
	s_or_b64 exec, exec, s[38:39]
	v_max_f64 v[0:1], v[4:5], v[4:5]
	v_min_f64 v[26:27], v[0:1], v[22:23]
	v_cmp_u_f64_e64 s[4:5], v[4:5], v[4:5]
	v_max_f64 v[0:1], v[0:1], v[22:23]
	v_cndmask_b32_e64 v26, v26, v4, s[4:5]
	v_cndmask_b32_e64 v27, v27, v5, s[4:5]
	;; [unrolled: 1-line block ×8, first 2 shown]
	v_cmp_neq_f64_e64 s[4:5], v[26:27], v[0:1]
	v_cmp_class_f64_e64 s[18:19], v[26:27], s33
	s_or_b64 s[4:5], s[4:5], s[18:19]
	v_pk_mov_b32 v[18:19], v[4:5], v[4:5] op_sel:[0,1]
	s_and_saveexec_b64 s[20:21], s[4:5]
	s_cbranch_execz .LBB77_82
; %bb.81:
	s_mov_b32 s4, 0x652b82fe
	v_add_f64 v[18:19], v[26:27], -v[0:1]
	s_mov_b32 s5, 0x3ff71547
	v_mul_f64 v[22:23], v[18:19], s[4:5]
	v_rndne_f64_e32 v[22:23], v[22:23]
	s_mov_b32 s39, 0xbfe62e42
	s_mov_b32 s38, 0xfefa39ef
	v_fma_f64 v[26:27], s[38:39], v[22:23], v[18:19]
	s_mov_b32 s43, 0xbc7abc9e
	s_mov_b32 s42, 0x3b39803f
	s_mov_b32 s4, 0x6a5dcb37
	v_fmac_f64_e32 v[26:27], s[42:43], v[22:23]
	v_mov_b32_e32 v40, 0xfca7ab0c
	v_mov_b32_e32 v41, 0x3e928af3
	s_mov_b32 s5, 0x3e5ade15
	v_fmac_f64_e32 v[40:41], s[4:5], v[26:27]
	v_mov_b32_e32 v42, 0x623fde64
	v_mov_b32_e32 v43, 0x3ec71dee
	v_fmac_f64_e32 v[42:43], v[26:27], v[40:41]
	v_mov_b32_e32 v40, 0x7c89e6b0
	v_mov_b32_e32 v41, 0x3efa0199
	;; [unrolled: 3-line block ×8, first 2 shown]
	v_fmac_f64_e32 v[40:41], v[26:27], v[42:43]
	v_fma_f64 v[40:41], v[26:27], v[40:41], 1.0
	s_mov_b32 s4, 0
	s_mov_b32 s18, 0
	v_fma_f64 v[26:27], v[26:27], v[40:41], 1.0
	v_cvt_i32_f64_e32 v22, v[22:23]
	s_mov_b32 s5, 0x40900000
	s_mov_b32 s19, 0xc090cc00
	v_ldexp_f64 v[22:23], v[26:27], v22
	v_mov_b32_e32 v26, 0x7ff00000
	v_cmp_nlt_f64_e64 s[4:5], s[4:5], v[18:19]
	v_cmp_ngt_f64_e64 s[18:19], s[18:19], v[18:19]
	v_cndmask_b32_e64 v23, v26, v23, s[4:5]
	s_and_b64 s[4:5], s[18:19], s[4:5]
	v_cndmask_b32_e64 v19, 0, v23, s[18:19]
	v_cndmask_b32_e64 v18, 0, v22, s[4:5]
	v_add_f64 v[22:23], v[18:19], 1.0
	v_add_f64 v[26:27], v[22:23], -1.0
	v_add_f64 v[40:41], v[26:27], -v[22:23]
	v_add_f64 v[40:41], v[40:41], 1.0
	v_add_f64 v[26:27], v[18:19], -v[26:27]
	s_mov_b32 s4, 0x55555555
	v_add_f64 v[26:27], v[26:27], v[40:41]
	v_frexp_mant_f64_e32 v[40:41], v[22:23]
	s_mov_b32 s5, 0x3fe55555
	v_frexp_exp_i32_f64_e32 v42, v[22:23]
	v_cmp_gt_f64_e64 s[4:5], s[4:5], v[40:41]
	v_subbrev_co_u32_e64 v58, s[4:5], 0, v42, s[4:5]
	v_sub_u32_e32 v40, 0, v58
	v_ldexp_f64 v[22:23], v[22:23], v40
	v_ldexp_f64 v[26:27], v[26:27], v40
	v_add_f64 v[40:41], v[22:23], -1.0
	s_waitcnt lgkmcnt(0)
	v_add_f64 v[46:47], v[22:23], 1.0
	v_add_f64 v[42:43], v[40:41], 1.0
	v_add_f64 v[48:49], v[46:47], -1.0
	v_add_f64 v[42:43], v[22:23], -v[42:43]
	v_add_f64 v[22:23], v[22:23], -v[48:49]
	v_add_f64 v[22:23], v[26:27], v[22:23]
	v_add_f64 v[42:43], v[26:27], v[42:43]
	;; [unrolled: 1-line block ×3, first 2 shown]
	v_rcp_f64_e32 v[48:49], v[26:27]
	v_add_f64 v[44:45], v[40:41], v[42:43]
	v_add_f64 v[40:41], v[44:45], -v[40:41]
	v_add_f64 v[40:41], v[42:43], -v[40:41]
	;; [unrolled: 1-line block ×4, first 2 shown]
	v_fma_f64 v[42:43], -v[26:27], v[48:49], 1.0
	v_fmac_f64_e32 v[48:49], v[42:43], v[48:49]
	v_fma_f64 v[42:43], -v[26:27], v[48:49], 1.0
	v_fmac_f64_e32 v[48:49], v[42:43], v[48:49]
	v_mul_f64 v[42:43], v[44:45], v[48:49]
	v_mul_f64 v[46:47], v[26:27], v[42:43]
	v_fma_f64 v[50:51], v[42:43], v[26:27], -v[46:47]
	v_fmac_f64_e32 v[50:51], v[42:43], v[22:23]
	v_add_f64 v[52:53], v[46:47], v[50:51]
	v_add_f64 v[56:57], v[44:45], -v[52:53]
	v_add_f64 v[44:45], v[44:45], -v[56:57]
	;; [unrolled: 1-line block ×4, first 2 shown]
	v_add_f64 v[40:41], v[40:41], v[44:45]
	v_add_f64 v[44:45], v[46:47], -v[50:51]
	v_add_f64 v[40:41], v[44:45], v[40:41]
	v_add_f64 v[44:45], v[56:57], v[40:41]
	v_add_f64 v[46:47], v[56:57], -v[44:45]
	v_add_f64 v[40:41], v[40:41], v[46:47]
	v_mul_f64 v[46:47], v[48:49], v[44:45]
	v_mul_f64 v[50:51], v[26:27], v[46:47]
	v_fma_f64 v[26:27], v[46:47], v[26:27], -v[50:51]
	v_fmac_f64_e32 v[26:27], v[46:47], v[22:23]
	v_add_f64 v[22:23], v[50:51], v[26:27]
	v_add_f64 v[52:53], v[44:45], -v[22:23]
	v_add_f64 v[44:45], v[44:45], -v[52:53]
	;; [unrolled: 1-line block ×4, first 2 shown]
	v_add_f64 v[22:23], v[40:41], v[22:23]
	v_add_f64 v[26:27], v[50:51], -v[26:27]
	v_add_f64 v[22:23], v[26:27], v[22:23]
	v_add_f64 v[26:27], v[42:43], v[46:47]
	;; [unrolled: 1-line block ×3, first 2 shown]
	v_add_f64 v[40:41], v[26:27], -v[42:43]
	v_mul_f64 v[22:23], v[48:49], v[22:23]
	v_add_f64 v[40:41], v[46:47], -v[40:41]
	v_add_f64 v[22:23], v[40:41], v[22:23]
	v_add_f64 v[40:41], v[26:27], v[22:23]
	v_add_f64 v[26:27], v[40:41], -v[26:27]
	s_mov_b32 s4, 0xbf559e2b
	v_add_f64 v[22:23], v[22:23], -v[26:27]
	v_mul_f64 v[26:27], v[40:41], v[40:41]
	v_mov_b32_e32 v42, 0x6b47b09a
	v_mov_b32_e32 v43, 0x3fc38538
	s_mov_b32 s5, 0x3fc3ab76
	v_fmac_f64_e32 v[42:43], s[4:5], v[26:27]
	v_mov_b32_e32 v44, 0xd7f4df2e
	v_mov_b32_e32 v45, 0x3fc7474d
	v_fmac_f64_e32 v[44:45], v[26:27], v[42:43]
	v_mov_b32_e32 v42, 0x16291751
	v_mov_b32_e32 v43, 0x3fcc71c0
	;; [unrolled: 3-line block ×5, first 2 shown]
	v_fmac_f64_e32 v[44:45], v[26:27], v[42:43]
	v_cvt_f64_i32_e32 v[42:43], v58
	s_mov_b32 s39, 0x3fe62e42
	v_mul_f64 v[46:47], v[42:43], s[38:39]
	v_fma_f64 v[48:49], v[42:43], s[38:39], -v[46:47]
	s_mov_b32 s43, 0x3c7abc9e
	v_fmac_f64_e32 v[48:49], s[42:43], v[42:43]
	v_add_f64 v[42:43], v[46:47], v[48:49]
	v_add_f64 v[46:47], v[42:43], -v[46:47]
	v_mul_f64 v[26:27], v[40:41], v[26:27]
	v_add_f64 v[46:47], v[48:49], -v[46:47]
	v_ldexp_f64 v[48:49], v[40:41], 1
	v_mul_f64 v[26:27], v[26:27], v[44:45]
	v_add_f64 v[40:41], v[48:49], v[26:27]
	v_add_f64 v[44:45], v[40:41], -v[48:49]
	v_ldexp_f64 v[22:23], v[22:23], 1
	v_add_f64 v[26:27], v[26:27], -v[44:45]
	v_add_f64 v[22:23], v[22:23], v[26:27]
	v_add_f64 v[26:27], v[40:41], v[22:23]
	v_add_f64 v[40:41], v[26:27], -v[40:41]
	v_add_f64 v[22:23], v[22:23], -v[40:41]
	v_add_f64 v[40:41], v[42:43], v[26:27]
	v_add_f64 v[44:45], v[40:41], -v[42:43]
	v_add_f64 v[48:49], v[40:41], -v[44:45]
	;; [unrolled: 1-line block ×4, first 2 shown]
	v_add_f64 v[26:27], v[26:27], v[42:43]
	v_add_f64 v[42:43], v[46:47], v[22:23]
	v_add_f64 v[44:45], v[42:43], -v[46:47]
	v_add_f64 v[26:27], v[42:43], v[26:27]
	v_add_f64 v[48:49], v[42:43], -v[44:45]
	;; [unrolled: 2-line block ×3, first 2 shown]
	v_add_f64 v[22:23], v[22:23], -v[44:45]
	v_add_f64 v[40:41], v[42:43], -v[40:41]
	v_add_f64 v[22:23], v[22:23], v[46:47]
	v_add_f64 v[26:27], v[26:27], -v[40:41]
	s_mov_b32 s4, 0
	v_add_f64 v[22:23], v[22:23], v[26:27]
	s_mov_b32 s5, 0x7ff00000
	v_add_f64 v[22:23], v[42:43], v[22:23]
	v_cmp_eq_f64_e64 s[4:5], s[4:5], v[18:19]
	v_cndmask_b32_e64 v22, v22, v18, s[4:5]
	v_cndmask_b32_e64 v23, v23, v19, s[4:5]
	v_mov_b32_e32 v26, 0x7ff80000
	v_cmp_ngt_f64_e64 s[4:5], -1.0, v[18:19]
	v_cndmask_b32_e64 v23, v26, v23, s[4:5]
	v_cmp_nge_f64_e64 s[4:5], -1.0, v[18:19]
	v_cndmask_b32_e64 v22, 0, v22, s[4:5]
	v_mov_b32_e32 v26, 0xfff00000
	v_cmp_neq_f64_e64 s[4:5], -1.0, v[18:19]
	v_cndmask_b32_e64 v23, v26, v23, s[4:5]
	v_add_f64 v[18:19], v[0:1], v[22:23]
.LBB77_82:
	s_or_b64 exec, exec, s[20:21]
	v_max_f64 v[0:1], v[18:19], v[18:19]
	v_min_f64 v[22:23], v[0:1], v[24:25]
	v_cmp_u_f64_e64 s[4:5], v[18:19], v[18:19]
	v_max_f64 v[0:1], v[0:1], v[24:25]
	v_cndmask_b32_e64 v22, v22, v18, s[4:5]
	v_cndmask_b32_e64 v23, v23, v19, s[4:5]
	;; [unrolled: 1-line block ×8, first 2 shown]
	v_cmp_neq_f64_e64 s[4:5], v[22:23], v[0:1]
	v_cmp_class_f64_e64 s[18:19], v[22:23], s33
	s_or_b64 s[4:5], s[4:5], s[18:19]
	v_pk_mov_b32 v[20:21], v[18:19], v[18:19] op_sel:[0,1]
	s_and_saveexec_b64 s[20:21], s[4:5]
	s_cbranch_execz .LBB77_84
; %bb.83:
	s_mov_b32 s4, 0x652b82fe
	v_add_f64 v[20:21], v[22:23], -v[0:1]
	s_mov_b32 s5, 0x3ff71547
	v_mul_f64 v[22:23], v[20:21], s[4:5]
	v_rndne_f64_e32 v[22:23], v[22:23]
	s_mov_b32 s23, 0xbfe62e42
	s_mov_b32 s22, 0xfefa39ef
	v_fma_f64 v[24:25], s[22:23], v[22:23], v[20:21]
	s_mov_b32 s39, 0xbc7abc9e
	s_mov_b32 s38, 0x3b39803f
	s_mov_b32 s4, 0x6a5dcb37
	v_fmac_f64_e32 v[24:25], s[38:39], v[22:23]
	v_mov_b32_e32 v26, 0xfca7ab0c
	v_mov_b32_e32 v27, 0x3e928af3
	s_mov_b32 s5, 0x3e5ade15
	v_fmac_f64_e32 v[26:27], s[4:5], v[24:25]
	v_mov_b32_e32 v40, 0x623fde64
	v_mov_b32_e32 v41, 0x3ec71dee
	v_fmac_f64_e32 v[40:41], v[24:25], v[26:27]
	v_mov_b32_e32 v26, 0x7c89e6b0
	v_mov_b32_e32 v27, 0x3efa0199
	;; [unrolled: 3-line block ×8, first 2 shown]
	v_fmac_f64_e32 v[26:27], v[24:25], v[40:41]
	v_fma_f64 v[26:27], v[24:25], v[26:27], 1.0
	s_mov_b32 s4, 0
	s_mov_b32 s18, 0
	v_fma_f64 v[24:25], v[24:25], v[26:27], 1.0
	v_cvt_i32_f64_e32 v22, v[22:23]
	s_mov_b32 s5, 0x40900000
	s_mov_b32 s19, 0xc090cc00
	v_ldexp_f64 v[22:23], v[24:25], v22
	v_mov_b32_e32 v24, 0x7ff00000
	v_cmp_nlt_f64_e64 s[4:5], s[4:5], v[20:21]
	v_cmp_ngt_f64_e64 s[18:19], s[18:19], v[20:21]
	v_cndmask_b32_e64 v23, v24, v23, s[4:5]
	s_and_b64 s[4:5], s[18:19], s[4:5]
	v_cndmask_b32_e64 v21, 0, v23, s[18:19]
	v_cndmask_b32_e64 v20, 0, v22, s[4:5]
	v_add_f64 v[22:23], v[20:21], 1.0
	v_add_f64 v[24:25], v[22:23], -1.0
	v_add_f64 v[26:27], v[24:25], -v[22:23]
	v_add_f64 v[26:27], v[26:27], 1.0
	v_add_f64 v[24:25], v[20:21], -v[24:25]
	s_mov_b32 s4, 0x55555555
	v_add_f64 v[24:25], v[24:25], v[26:27]
	v_frexp_mant_f64_e32 v[26:27], v[22:23]
	s_mov_b32 s5, 0x3fe55555
	v_frexp_exp_i32_f64_e32 v40, v[22:23]
	v_cmp_gt_f64_e64 s[4:5], s[4:5], v[26:27]
	v_subbrev_co_u32_e64 v56, s[4:5], 0, v40, s[4:5]
	v_sub_u32_e32 v26, 0, v56
	v_ldexp_f64 v[22:23], v[22:23], v26
	v_ldexp_f64 v[24:25], v[24:25], v26
	v_add_f64 v[26:27], v[22:23], -1.0
	v_add_f64 v[44:45], v[22:23], 1.0
	v_add_f64 v[40:41], v[26:27], 1.0
	s_waitcnt lgkmcnt(0)
	v_add_f64 v[46:47], v[44:45], -1.0
	v_add_f64 v[40:41], v[22:23], -v[40:41]
	v_add_f64 v[22:23], v[22:23], -v[46:47]
	v_add_f64 v[22:23], v[24:25], v[22:23]
	v_add_f64 v[40:41], v[24:25], v[40:41]
	;; [unrolled: 1-line block ×3, first 2 shown]
	v_rcp_f64_e32 v[46:47], v[24:25]
	v_add_f64 v[42:43], v[26:27], v[40:41]
	v_add_f64 v[26:27], v[42:43], -v[26:27]
	v_add_f64 v[26:27], v[40:41], -v[26:27]
	;; [unrolled: 1-line block ×4, first 2 shown]
	v_fma_f64 v[40:41], -v[24:25], v[46:47], 1.0
	v_fmac_f64_e32 v[46:47], v[40:41], v[46:47]
	v_fma_f64 v[40:41], -v[24:25], v[46:47], 1.0
	v_fmac_f64_e32 v[46:47], v[40:41], v[46:47]
	v_mul_f64 v[40:41], v[42:43], v[46:47]
	v_mul_f64 v[44:45], v[24:25], v[40:41]
	v_fma_f64 v[48:49], v[40:41], v[24:25], -v[44:45]
	v_fmac_f64_e32 v[48:49], v[40:41], v[22:23]
	v_add_f64 v[50:51], v[44:45], v[48:49]
	v_add_f64 v[52:53], v[42:43], -v[50:51]
	v_add_f64 v[42:43], v[42:43], -v[52:53]
	;; [unrolled: 1-line block ×4, first 2 shown]
	v_add_f64 v[26:27], v[26:27], v[42:43]
	v_add_f64 v[42:43], v[44:45], -v[48:49]
	v_add_f64 v[26:27], v[42:43], v[26:27]
	v_add_f64 v[42:43], v[52:53], v[26:27]
	v_add_f64 v[44:45], v[52:53], -v[42:43]
	v_add_f64 v[26:27], v[26:27], v[44:45]
	v_mul_f64 v[44:45], v[46:47], v[42:43]
	v_mul_f64 v[48:49], v[24:25], v[44:45]
	v_fma_f64 v[24:25], v[44:45], v[24:25], -v[48:49]
	v_fmac_f64_e32 v[24:25], v[44:45], v[22:23]
	v_add_f64 v[22:23], v[48:49], v[24:25]
	v_add_f64 v[50:51], v[42:43], -v[22:23]
	v_add_f64 v[42:43], v[42:43], -v[50:51]
	;; [unrolled: 1-line block ×4, first 2 shown]
	v_add_f64 v[22:23], v[26:27], v[22:23]
	v_add_f64 v[24:25], v[48:49], -v[24:25]
	v_add_f64 v[22:23], v[24:25], v[22:23]
	v_add_f64 v[24:25], v[40:41], v[44:45]
	;; [unrolled: 1-line block ×3, first 2 shown]
	v_add_f64 v[26:27], v[24:25], -v[40:41]
	v_mul_f64 v[22:23], v[46:47], v[22:23]
	v_add_f64 v[26:27], v[44:45], -v[26:27]
	v_add_f64 v[22:23], v[26:27], v[22:23]
	v_add_f64 v[26:27], v[24:25], v[22:23]
	v_add_f64 v[24:25], v[26:27], -v[24:25]
	s_mov_b32 s4, 0xbf559e2b
	v_add_f64 v[22:23], v[22:23], -v[24:25]
	v_mul_f64 v[24:25], v[26:27], v[26:27]
	v_mov_b32_e32 v40, 0x6b47b09a
	v_mov_b32_e32 v41, 0x3fc38538
	s_mov_b32 s5, 0x3fc3ab76
	v_fmac_f64_e32 v[40:41], s[4:5], v[24:25]
	v_mov_b32_e32 v42, 0xd7f4df2e
	v_mov_b32_e32 v43, 0x3fc7474d
	v_fmac_f64_e32 v[42:43], v[24:25], v[40:41]
	v_mov_b32_e32 v40, 0x16291751
	v_mov_b32_e32 v41, 0x3fcc71c0
	;; [unrolled: 3-line block ×5, first 2 shown]
	v_fmac_f64_e32 v[42:43], v[24:25], v[40:41]
	v_cvt_f64_i32_e32 v[40:41], v56
	s_mov_b32 s23, 0x3fe62e42
	v_mul_f64 v[44:45], v[40:41], s[22:23]
	v_fma_f64 v[46:47], v[40:41], s[22:23], -v[44:45]
	s_mov_b32 s39, 0x3c7abc9e
	v_fmac_f64_e32 v[46:47], s[38:39], v[40:41]
	v_add_f64 v[40:41], v[44:45], v[46:47]
	v_add_f64 v[44:45], v[40:41], -v[44:45]
	v_mul_f64 v[24:25], v[26:27], v[24:25]
	v_add_f64 v[44:45], v[46:47], -v[44:45]
	v_ldexp_f64 v[46:47], v[26:27], 1
	v_mul_f64 v[24:25], v[24:25], v[42:43]
	v_add_f64 v[26:27], v[46:47], v[24:25]
	v_add_f64 v[42:43], v[26:27], -v[46:47]
	v_ldexp_f64 v[22:23], v[22:23], 1
	v_add_f64 v[24:25], v[24:25], -v[42:43]
	v_add_f64 v[22:23], v[22:23], v[24:25]
	v_add_f64 v[24:25], v[26:27], v[22:23]
	v_add_f64 v[26:27], v[24:25], -v[26:27]
	v_add_f64 v[22:23], v[22:23], -v[26:27]
	v_add_f64 v[26:27], v[40:41], v[24:25]
	v_add_f64 v[42:43], v[26:27], -v[40:41]
	v_add_f64 v[46:47], v[26:27], -v[42:43]
	;; [unrolled: 1-line block ×4, first 2 shown]
	v_add_f64 v[24:25], v[24:25], v[40:41]
	v_add_f64 v[40:41], v[44:45], v[22:23]
	v_add_f64 v[42:43], v[40:41], -v[44:45]
	v_add_f64 v[24:25], v[40:41], v[24:25]
	v_add_f64 v[46:47], v[40:41], -v[42:43]
	;; [unrolled: 2-line block ×3, first 2 shown]
	v_add_f64 v[22:23], v[22:23], -v[42:43]
	v_add_f64 v[26:27], v[40:41], -v[26:27]
	v_add_f64 v[22:23], v[22:23], v[44:45]
	v_add_f64 v[24:25], v[24:25], -v[26:27]
	s_mov_b32 s4, 0
	v_add_f64 v[22:23], v[22:23], v[24:25]
	s_mov_b32 s5, 0x7ff00000
	v_add_f64 v[22:23], v[40:41], v[22:23]
	v_cmp_eq_f64_e64 s[4:5], s[4:5], v[20:21]
	v_cndmask_b32_e64 v22, v22, v20, s[4:5]
	v_cndmask_b32_e64 v23, v23, v21, s[4:5]
	v_mov_b32_e32 v24, 0x7ff80000
	v_cmp_ngt_f64_e64 s[4:5], -1.0, v[20:21]
	v_cndmask_b32_e64 v23, v24, v23, s[4:5]
	v_cmp_nge_f64_e64 s[4:5], -1.0, v[20:21]
	v_cndmask_b32_e64 v22, 0, v22, s[4:5]
	v_mov_b32_e32 v24, 0xfff00000
	v_cmp_neq_f64_e64 s[4:5], -1.0, v[20:21]
	v_cndmask_b32_e64 v23, v24, v23, s[4:5]
	v_add_f64 v[20:21], v[0:1], v[22:23]
.LBB77_84:
	s_or_b64 exec, exec, s[20:21]
	v_max_f64 v[0:1], v[20:21], v[20:21]
	v_min_f64 v[22:23], v[0:1], v[28:29]
	v_cmp_u_f64_e64 s[4:5], v[20:21], v[20:21]
	v_max_f64 v[0:1], v[0:1], v[28:29]
	v_cndmask_b32_e64 v22, v22, v20, s[4:5]
	v_cndmask_b32_e64 v23, v23, v21, s[4:5]
	;; [unrolled: 1-line block ×8, first 2 shown]
	v_cmp_neq_f64_e64 s[4:5], v[22:23], v[0:1]
	v_cmp_class_f64_e64 s[18:19], v[22:23], s33
	s_or_b64 s[4:5], s[4:5], s[18:19]
	v_pk_mov_b32 v[14:15], v[20:21], v[20:21] op_sel:[0,1]
	s_and_saveexec_b64 s[20:21], s[4:5]
	s_cbranch_execz .LBB77_86
; %bb.85:
	s_mov_b32 s4, 0x652b82fe
	v_add_f64 v[14:15], v[22:23], -v[0:1]
	s_mov_b32 s5, 0x3ff71547
	v_mul_f64 v[22:23], v[14:15], s[4:5]
	v_rndne_f64_e32 v[22:23], v[22:23]
	s_mov_b32 s23, 0xbfe62e42
	s_mov_b32 s22, 0xfefa39ef
	v_fma_f64 v[24:25], s[22:23], v[22:23], v[14:15]
	s_mov_b32 s25, 0xbc7abc9e
	s_mov_b32 s24, 0x3b39803f
	;; [unrolled: 1-line block ×3, first 2 shown]
	v_fmac_f64_e32 v[24:25], s[24:25], v[22:23]
	v_mov_b32_e32 v26, 0xfca7ab0c
	v_mov_b32_e32 v27, 0x3e928af3
	s_mov_b32 s5, 0x3e5ade15
	v_fmac_f64_e32 v[26:27], s[4:5], v[24:25]
	v_mov_b32_e32 v28, 0x623fde64
	v_mov_b32_e32 v29, 0x3ec71dee
	v_fmac_f64_e32 v[28:29], v[24:25], v[26:27]
	v_mov_b32_e32 v26, 0x7c89e6b0
	v_mov_b32_e32 v27, 0x3efa0199
	;; [unrolled: 3-line block ×8, first 2 shown]
	v_fmac_f64_e32 v[26:27], v[24:25], v[28:29]
	v_fma_f64 v[26:27], v[24:25], v[26:27], 1.0
	s_mov_b32 s4, 0
	s_mov_b32 s18, 0
	v_fma_f64 v[24:25], v[24:25], v[26:27], 1.0
	v_cvt_i32_f64_e32 v22, v[22:23]
	s_mov_b32 s5, 0x40900000
	s_mov_b32 s19, 0xc090cc00
	v_ldexp_f64 v[22:23], v[24:25], v22
	v_mov_b32_e32 v24, 0x7ff00000
	v_cmp_nlt_f64_e64 s[4:5], s[4:5], v[14:15]
	v_cmp_ngt_f64_e64 s[18:19], s[18:19], v[14:15]
	v_cndmask_b32_e64 v23, v24, v23, s[4:5]
	s_and_b64 s[4:5], s[18:19], s[4:5]
	v_cndmask_b32_e64 v15, 0, v23, s[18:19]
	v_cndmask_b32_e64 v14, 0, v22, s[4:5]
	v_add_f64 v[22:23], v[14:15], 1.0
	v_add_f64 v[24:25], v[22:23], -1.0
	v_add_f64 v[26:27], v[24:25], -v[22:23]
	v_add_f64 v[26:27], v[26:27], 1.0
	v_add_f64 v[24:25], v[14:15], -v[24:25]
	s_mov_b32 s4, 0x55555555
	v_add_f64 v[24:25], v[24:25], v[26:27]
	v_frexp_mant_f64_e32 v[26:27], v[22:23]
	s_mov_b32 s5, 0x3fe55555
	v_frexp_exp_i32_f64_e32 v28, v[22:23]
	v_cmp_gt_f64_e64 s[4:5], s[4:5], v[26:27]
	v_subbrev_co_u32_e64 v52, s[4:5], 0, v28, s[4:5]
	v_sub_u32_e32 v26, 0, v52
	v_ldexp_f64 v[22:23], v[22:23], v26
	v_ldexp_f64 v[24:25], v[24:25], v26
	v_add_f64 v[26:27], v[22:23], -1.0
	v_add_f64 v[42:43], v[22:23], 1.0
	v_add_f64 v[28:29], v[26:27], 1.0
	v_add_f64 v[44:45], v[42:43], -1.0
	v_add_f64 v[28:29], v[22:23], -v[28:29]
	v_add_f64 v[22:23], v[22:23], -v[44:45]
	v_add_f64 v[22:23], v[24:25], v[22:23]
	v_add_f64 v[28:29], v[24:25], v[28:29]
	;; [unrolled: 1-line block ×3, first 2 shown]
	v_rcp_f64_e32 v[44:45], v[24:25]
	v_add_f64 v[40:41], v[26:27], v[28:29]
	v_add_f64 v[26:27], v[40:41], -v[26:27]
	v_add_f64 v[26:27], v[28:29], -v[26:27]
	;; [unrolled: 1-line block ×4, first 2 shown]
	v_fma_f64 v[28:29], -v[24:25], v[44:45], 1.0
	v_fmac_f64_e32 v[44:45], v[28:29], v[44:45]
	v_fma_f64 v[28:29], -v[24:25], v[44:45], 1.0
	v_fmac_f64_e32 v[44:45], v[28:29], v[44:45]
	v_mul_f64 v[28:29], v[40:41], v[44:45]
	v_mul_f64 v[42:43], v[24:25], v[28:29]
	s_waitcnt lgkmcnt(0)
	v_fma_f64 v[46:47], v[28:29], v[24:25], -v[42:43]
	v_fmac_f64_e32 v[46:47], v[28:29], v[22:23]
	v_add_f64 v[48:49], v[42:43], v[46:47]
	v_add_f64 v[50:51], v[40:41], -v[48:49]
	v_add_f64 v[40:41], v[40:41], -v[50:51]
	;; [unrolled: 1-line block ×4, first 2 shown]
	v_add_f64 v[26:27], v[26:27], v[40:41]
	v_add_f64 v[40:41], v[42:43], -v[46:47]
	v_add_f64 v[26:27], v[40:41], v[26:27]
	v_add_f64 v[40:41], v[50:51], v[26:27]
	v_add_f64 v[42:43], v[50:51], -v[40:41]
	v_add_f64 v[26:27], v[26:27], v[42:43]
	v_mul_f64 v[42:43], v[44:45], v[40:41]
	v_mul_f64 v[46:47], v[24:25], v[42:43]
	v_fma_f64 v[24:25], v[42:43], v[24:25], -v[46:47]
	v_fmac_f64_e32 v[24:25], v[42:43], v[22:23]
	v_add_f64 v[22:23], v[46:47], v[24:25]
	v_add_f64 v[48:49], v[40:41], -v[22:23]
	v_add_f64 v[40:41], v[40:41], -v[48:49]
	;; [unrolled: 1-line block ×4, first 2 shown]
	v_add_f64 v[22:23], v[26:27], v[22:23]
	v_add_f64 v[24:25], v[46:47], -v[24:25]
	v_add_f64 v[22:23], v[24:25], v[22:23]
	v_add_f64 v[24:25], v[28:29], v[42:43]
	;; [unrolled: 1-line block ×3, first 2 shown]
	v_add_f64 v[26:27], v[24:25], -v[28:29]
	v_mul_f64 v[22:23], v[44:45], v[22:23]
	v_add_f64 v[26:27], v[42:43], -v[26:27]
	v_add_f64 v[22:23], v[26:27], v[22:23]
	v_add_f64 v[26:27], v[24:25], v[22:23]
	v_add_f64 v[24:25], v[26:27], -v[24:25]
	s_mov_b32 s4, 0xbf559e2b
	v_add_f64 v[22:23], v[22:23], -v[24:25]
	v_mul_f64 v[24:25], v[26:27], v[26:27]
	v_mov_b32_e32 v28, 0x6b47b09a
	v_mov_b32_e32 v29, 0x3fc38538
	s_mov_b32 s5, 0x3fc3ab76
	v_fmac_f64_e32 v[28:29], s[4:5], v[24:25]
	v_mov_b32_e32 v40, 0xd7f4df2e
	v_mov_b32_e32 v41, 0x3fc7474d
	v_fmac_f64_e32 v[40:41], v[24:25], v[28:29]
	v_mov_b32_e32 v28, 0x16291751
	v_mov_b32_e32 v29, 0x3fcc71c0
	;; [unrolled: 3-line block ×5, first 2 shown]
	v_fmac_f64_e32 v[40:41], v[24:25], v[28:29]
	v_cvt_f64_i32_e32 v[28:29], v52
	s_mov_b32 s23, 0x3fe62e42
	v_mul_f64 v[42:43], v[28:29], s[22:23]
	v_fma_f64 v[44:45], v[28:29], s[22:23], -v[42:43]
	s_mov_b32 s25, 0x3c7abc9e
	v_fmac_f64_e32 v[44:45], s[24:25], v[28:29]
	v_add_f64 v[28:29], v[42:43], v[44:45]
	v_add_f64 v[42:43], v[28:29], -v[42:43]
	v_mul_f64 v[24:25], v[26:27], v[24:25]
	v_add_f64 v[42:43], v[44:45], -v[42:43]
	v_ldexp_f64 v[44:45], v[26:27], 1
	v_mul_f64 v[24:25], v[24:25], v[40:41]
	v_add_f64 v[26:27], v[44:45], v[24:25]
	v_add_f64 v[40:41], v[26:27], -v[44:45]
	v_ldexp_f64 v[22:23], v[22:23], 1
	v_add_f64 v[24:25], v[24:25], -v[40:41]
	v_add_f64 v[22:23], v[22:23], v[24:25]
	v_add_f64 v[24:25], v[26:27], v[22:23]
	v_add_f64 v[26:27], v[24:25], -v[26:27]
	v_add_f64 v[22:23], v[22:23], -v[26:27]
	v_add_f64 v[26:27], v[28:29], v[24:25]
	v_add_f64 v[40:41], v[26:27], -v[28:29]
	v_add_f64 v[44:45], v[26:27], -v[40:41]
	;; [unrolled: 1-line block ×4, first 2 shown]
	v_add_f64 v[24:25], v[24:25], v[28:29]
	v_add_f64 v[28:29], v[42:43], v[22:23]
	v_add_f64 v[40:41], v[28:29], -v[42:43]
	v_add_f64 v[24:25], v[28:29], v[24:25]
	v_add_f64 v[44:45], v[28:29], -v[40:41]
	;; [unrolled: 2-line block ×3, first 2 shown]
	v_add_f64 v[22:23], v[22:23], -v[40:41]
	v_add_f64 v[26:27], v[28:29], -v[26:27]
	v_add_f64 v[22:23], v[22:23], v[42:43]
	v_add_f64 v[24:25], v[24:25], -v[26:27]
	s_mov_b32 s4, 0
	v_add_f64 v[22:23], v[22:23], v[24:25]
	s_mov_b32 s5, 0x7ff00000
	v_add_f64 v[22:23], v[28:29], v[22:23]
	v_cmp_eq_f64_e64 s[4:5], s[4:5], v[14:15]
	v_cndmask_b32_e64 v22, v22, v14, s[4:5]
	v_cndmask_b32_e64 v23, v23, v15, s[4:5]
	v_mov_b32_e32 v24, 0x7ff80000
	v_cmp_ngt_f64_e64 s[4:5], -1.0, v[14:15]
	v_cndmask_b32_e64 v23, v24, v23, s[4:5]
	v_cmp_nge_f64_e64 s[4:5], -1.0, v[14:15]
	v_cndmask_b32_e64 v22, 0, v22, s[4:5]
	v_mov_b32_e32 v24, 0xfff00000
	v_cmp_neq_f64_e64 s[4:5], -1.0, v[14:15]
	v_cndmask_b32_e64 v23, v24, v23, s[4:5]
	v_add_f64 v[14:15], v[0:1], v[22:23]
.LBB77_86:
	s_or_b64 exec, exec, s[20:21]
	v_max_f64 v[0:1], v[14:15], v[14:15]
	v_min_f64 v[22:23], v[0:1], v[30:31]
	v_cmp_u_f64_e64 s[4:5], v[14:15], v[14:15]
	v_max_f64 v[0:1], v[0:1], v[30:31]
	v_cndmask_b32_e64 v22, v22, v14, s[4:5]
	v_cndmask_b32_e64 v23, v23, v15, s[4:5]
	;; [unrolled: 1-line block ×8, first 2 shown]
	s_movk_i32 s26, 0x1f8
	v_cmp_neq_f64_e64 s[4:5], v[22:23], v[0:1]
	v_cmp_class_f64_e64 s[18:19], v[22:23], s26
	s_or_b64 s[4:5], s[4:5], s[18:19]
	v_pk_mov_b32 v[16:17], v[14:15], v[14:15] op_sel:[0,1]
	s_and_saveexec_b64 s[20:21], s[4:5]
	s_cbranch_execz .LBB77_88
; %bb.87:
	s_mov_b32 s4, 0x652b82fe
	v_add_f64 v[16:17], v[22:23], -v[0:1]
	s_mov_b32 s5, 0x3ff71547
	v_mul_f64 v[22:23], v[16:17], s[4:5]
	v_rndne_f64_e32 v[22:23], v[22:23]
	s_mov_b32 s23, 0xbfe62e42
	s_mov_b32 s22, 0xfefa39ef
	v_fma_f64 v[24:25], s[22:23], v[22:23], v[16:17]
	s_mov_b32 s25, 0xbc7abc9e
	s_mov_b32 s24, 0x3b39803f
	;; [unrolled: 1-line block ×3, first 2 shown]
	v_fmac_f64_e32 v[24:25], s[24:25], v[22:23]
	v_mov_b32_e32 v26, 0xfca7ab0c
	v_mov_b32_e32 v27, 0x3e928af3
	s_mov_b32 s5, 0x3e5ade15
	v_fmac_f64_e32 v[26:27], s[4:5], v[24:25]
	v_mov_b32_e32 v28, 0x623fde64
	v_mov_b32_e32 v29, 0x3ec71dee
	v_fmac_f64_e32 v[28:29], v[24:25], v[26:27]
	v_mov_b32_e32 v26, 0x7c89e6b0
	v_mov_b32_e32 v27, 0x3efa0199
	;; [unrolled: 3-line block ×8, first 2 shown]
	v_fmac_f64_e32 v[26:27], v[24:25], v[28:29]
	v_fma_f64 v[26:27], v[24:25], v[26:27], 1.0
	s_mov_b32 s4, 0
	s_mov_b32 s18, 0
	v_fma_f64 v[24:25], v[24:25], v[26:27], 1.0
	v_cvt_i32_f64_e32 v22, v[22:23]
	s_mov_b32 s5, 0x40900000
	s_mov_b32 s19, 0xc090cc00
	v_ldexp_f64 v[22:23], v[24:25], v22
	v_mov_b32_e32 v24, 0x7ff00000
	v_cmp_nlt_f64_e64 s[4:5], s[4:5], v[16:17]
	v_cmp_ngt_f64_e64 s[18:19], s[18:19], v[16:17]
	v_cndmask_b32_e64 v23, v24, v23, s[4:5]
	s_and_b64 s[4:5], s[18:19], s[4:5]
	v_cndmask_b32_e64 v17, 0, v23, s[18:19]
	v_cndmask_b32_e64 v16, 0, v22, s[4:5]
	v_add_f64 v[22:23], v[16:17], 1.0
	v_add_f64 v[24:25], v[22:23], -1.0
	v_add_f64 v[26:27], v[24:25], -v[22:23]
	v_add_f64 v[26:27], v[26:27], 1.0
	v_add_f64 v[24:25], v[16:17], -v[24:25]
	s_mov_b32 s4, 0x55555555
	v_add_f64 v[24:25], v[24:25], v[26:27]
	v_frexp_mant_f64_e32 v[26:27], v[22:23]
	s_mov_b32 s5, 0x3fe55555
	v_frexp_exp_i32_f64_e32 v28, v[22:23]
	v_cmp_gt_f64_e64 s[4:5], s[4:5], v[26:27]
	v_subbrev_co_u32_e64 v50, s[4:5], 0, v28, s[4:5]
	v_sub_u32_e32 v26, 0, v50
	v_ldexp_f64 v[22:23], v[22:23], v26
	v_ldexp_f64 v[24:25], v[24:25], v26
	v_add_f64 v[26:27], v[22:23], -1.0
	v_add_f64 v[40:41], v[22:23], 1.0
	v_add_f64 v[28:29], v[26:27], 1.0
	v_add_f64 v[42:43], v[40:41], -1.0
	v_add_f64 v[28:29], v[22:23], -v[28:29]
	v_add_f64 v[22:23], v[22:23], -v[42:43]
	v_add_f64 v[22:23], v[24:25], v[22:23]
	v_add_f64 v[28:29], v[24:25], v[28:29]
	;; [unrolled: 1-line block ×3, first 2 shown]
	v_rcp_f64_e32 v[42:43], v[24:25]
	v_add_f64 v[30:31], v[26:27], v[28:29]
	v_add_f64 v[26:27], v[30:31], -v[26:27]
	v_add_f64 v[26:27], v[28:29], -v[26:27]
	;; [unrolled: 1-line block ×4, first 2 shown]
	v_fma_f64 v[28:29], -v[24:25], v[42:43], 1.0
	v_fmac_f64_e32 v[42:43], v[28:29], v[42:43]
	v_fma_f64 v[28:29], -v[24:25], v[42:43], 1.0
	v_fmac_f64_e32 v[42:43], v[28:29], v[42:43]
	v_mul_f64 v[28:29], v[30:31], v[42:43]
	v_mul_f64 v[40:41], v[24:25], v[28:29]
	v_fma_f64 v[44:45], v[28:29], v[24:25], -v[40:41]
	v_fmac_f64_e32 v[44:45], v[28:29], v[22:23]
	s_waitcnt lgkmcnt(0)
	v_add_f64 v[46:47], v[40:41], v[44:45]
	v_add_f64 v[48:49], v[30:31], -v[46:47]
	v_add_f64 v[30:31], v[30:31], -v[48:49]
	v_add_f64 v[40:41], v[46:47], -v[40:41]
	v_add_f64 v[30:31], v[30:31], -v[46:47]
	v_add_f64 v[26:27], v[26:27], v[30:31]
	v_add_f64 v[30:31], v[40:41], -v[44:45]
	v_add_f64 v[26:27], v[30:31], v[26:27]
	v_add_f64 v[30:31], v[48:49], v[26:27]
	v_add_f64 v[40:41], v[48:49], -v[30:31]
	v_add_f64 v[26:27], v[26:27], v[40:41]
	v_mul_f64 v[40:41], v[42:43], v[30:31]
	v_mul_f64 v[44:45], v[24:25], v[40:41]
	v_fma_f64 v[24:25], v[40:41], v[24:25], -v[44:45]
	v_fmac_f64_e32 v[24:25], v[40:41], v[22:23]
	v_add_f64 v[22:23], v[44:45], v[24:25]
	v_add_f64 v[46:47], v[30:31], -v[22:23]
	v_add_f64 v[30:31], v[30:31], -v[46:47]
	v_add_f64 v[44:45], v[22:23], -v[44:45]
	v_add_f64 v[22:23], v[30:31], -v[22:23]
	v_add_f64 v[22:23], v[26:27], v[22:23]
	v_add_f64 v[24:25], v[44:45], -v[24:25]
	v_add_f64 v[22:23], v[24:25], v[22:23]
	v_add_f64 v[24:25], v[28:29], v[40:41]
	;; [unrolled: 1-line block ×3, first 2 shown]
	v_add_f64 v[26:27], v[24:25], -v[28:29]
	v_mul_f64 v[22:23], v[42:43], v[22:23]
	v_add_f64 v[26:27], v[40:41], -v[26:27]
	v_add_f64 v[22:23], v[26:27], v[22:23]
	v_add_f64 v[26:27], v[24:25], v[22:23]
	v_add_f64 v[24:25], v[26:27], -v[24:25]
	s_mov_b32 s4, 0xbf559e2b
	v_add_f64 v[22:23], v[22:23], -v[24:25]
	v_mul_f64 v[24:25], v[26:27], v[26:27]
	v_mov_b32_e32 v28, 0x6b47b09a
	v_mov_b32_e32 v29, 0x3fc38538
	s_mov_b32 s5, 0x3fc3ab76
	v_fmac_f64_e32 v[28:29], s[4:5], v[24:25]
	v_mov_b32_e32 v30, 0xd7f4df2e
	v_mov_b32_e32 v31, 0x3fc7474d
	v_fmac_f64_e32 v[30:31], v[24:25], v[28:29]
	v_mov_b32_e32 v28, 0x16291751
	v_mov_b32_e32 v29, 0x3fcc71c0
	;; [unrolled: 3-line block ×5, first 2 shown]
	v_fmac_f64_e32 v[30:31], v[24:25], v[28:29]
	v_cvt_f64_i32_e32 v[28:29], v50
	s_mov_b32 s23, 0x3fe62e42
	v_mul_f64 v[40:41], v[28:29], s[22:23]
	v_fma_f64 v[42:43], v[28:29], s[22:23], -v[40:41]
	s_mov_b32 s25, 0x3c7abc9e
	v_fmac_f64_e32 v[42:43], s[24:25], v[28:29]
	v_add_f64 v[28:29], v[40:41], v[42:43]
	v_add_f64 v[40:41], v[28:29], -v[40:41]
	v_mul_f64 v[24:25], v[26:27], v[24:25]
	v_add_f64 v[40:41], v[42:43], -v[40:41]
	v_ldexp_f64 v[42:43], v[26:27], 1
	v_mul_f64 v[24:25], v[24:25], v[30:31]
	v_add_f64 v[26:27], v[42:43], v[24:25]
	v_add_f64 v[30:31], v[26:27], -v[42:43]
	v_ldexp_f64 v[22:23], v[22:23], 1
	v_add_f64 v[24:25], v[24:25], -v[30:31]
	v_add_f64 v[22:23], v[22:23], v[24:25]
	v_add_f64 v[24:25], v[26:27], v[22:23]
	v_add_f64 v[26:27], v[24:25], -v[26:27]
	v_add_f64 v[22:23], v[22:23], -v[26:27]
	v_add_f64 v[26:27], v[28:29], v[24:25]
	v_add_f64 v[30:31], v[26:27], -v[28:29]
	v_add_f64 v[42:43], v[26:27], -v[30:31]
	;; [unrolled: 1-line block ×4, first 2 shown]
	v_add_f64 v[24:25], v[24:25], v[28:29]
	v_add_f64 v[28:29], v[40:41], v[22:23]
	v_add_f64 v[30:31], v[28:29], -v[40:41]
	v_add_f64 v[24:25], v[28:29], v[24:25]
	v_add_f64 v[42:43], v[28:29], -v[30:31]
	;; [unrolled: 2-line block ×3, first 2 shown]
	v_add_f64 v[22:23], v[22:23], -v[30:31]
	v_add_f64 v[26:27], v[28:29], -v[26:27]
	v_add_f64 v[22:23], v[22:23], v[40:41]
	v_add_f64 v[24:25], v[24:25], -v[26:27]
	s_mov_b32 s4, 0
	v_add_f64 v[22:23], v[22:23], v[24:25]
	s_mov_b32 s5, 0x7ff00000
	v_add_f64 v[22:23], v[28:29], v[22:23]
	v_cmp_eq_f64_e64 s[4:5], s[4:5], v[16:17]
	v_cndmask_b32_e64 v22, v22, v16, s[4:5]
	v_cndmask_b32_e64 v23, v23, v17, s[4:5]
	v_mov_b32_e32 v24, 0x7ff80000
	v_cmp_ngt_f64_e64 s[4:5], -1.0, v[16:17]
	v_cndmask_b32_e64 v23, v24, v23, s[4:5]
	v_cmp_nge_f64_e64 s[4:5], -1.0, v[16:17]
	v_cndmask_b32_e64 v22, 0, v22, s[4:5]
	v_mov_b32_e32 v24, 0xfff00000
	v_cmp_neq_f64_e64 s[4:5], -1.0, v[16:17]
	v_cndmask_b32_e64 v23, v24, v23, s[4:5]
	v_add_f64 v[16:17], v[0:1], v[22:23]
.LBB77_88:
	s_or_b64 exec, exec, s[20:21]
	v_max_f64 v[0:1], v[16:17], v[16:17]
	v_min_f64 v[22:23], v[0:1], v[32:33]
	v_cmp_u_f64_e64 s[4:5], v[16:17], v[16:17]
	v_max_f64 v[0:1], v[0:1], v[32:33]
	v_cndmask_b32_e64 v22, v22, v16, s[4:5]
	v_cndmask_b32_e64 v23, v23, v17, s[4:5]
	;; [unrolled: 1-line block ×8, first 2 shown]
	v_cmp_neq_f64_e64 s[4:5], v[22:23], v[0:1]
	v_cmp_class_f64_e64 s[18:19], v[22:23], s26
	s_or_b64 s[4:5], s[4:5], s[18:19]
	v_pk_mov_b32 v[10:11], v[16:17], v[16:17] op_sel:[0,1]
	s_and_saveexec_b64 s[20:21], s[4:5]
	s_cbranch_execz .LBB77_90
; %bb.89:
	s_mov_b32 s4, 0x652b82fe
	v_add_f64 v[10:11], v[22:23], -v[0:1]
	s_mov_b32 s5, 0x3ff71547
	v_mul_f64 v[22:23], v[10:11], s[4:5]
	v_rndne_f64_e32 v[22:23], v[22:23]
	s_mov_b32 s23, 0xbfe62e42
	s_mov_b32 s22, 0xfefa39ef
	v_fma_f64 v[24:25], s[22:23], v[22:23], v[10:11]
	s_mov_b32 s25, 0xbc7abc9e
	s_mov_b32 s24, 0x3b39803f
	;; [unrolled: 1-line block ×3, first 2 shown]
	v_fmac_f64_e32 v[24:25], s[24:25], v[22:23]
	v_mov_b32_e32 v26, 0xfca7ab0c
	v_mov_b32_e32 v27, 0x3e928af3
	s_mov_b32 s5, 0x3e5ade15
	v_fmac_f64_e32 v[26:27], s[4:5], v[24:25]
	v_mov_b32_e32 v28, 0x623fde64
	v_mov_b32_e32 v29, 0x3ec71dee
	v_fmac_f64_e32 v[28:29], v[24:25], v[26:27]
	v_mov_b32_e32 v26, 0x7c89e6b0
	v_mov_b32_e32 v27, 0x3efa0199
	;; [unrolled: 3-line block ×8, first 2 shown]
	v_fmac_f64_e32 v[26:27], v[24:25], v[28:29]
	v_fma_f64 v[26:27], v[24:25], v[26:27], 1.0
	s_mov_b32 s4, 0
	s_mov_b32 s18, 0
	v_fma_f64 v[24:25], v[24:25], v[26:27], 1.0
	v_cvt_i32_f64_e32 v22, v[22:23]
	s_mov_b32 s5, 0x40900000
	s_mov_b32 s19, 0xc090cc00
	v_ldexp_f64 v[22:23], v[24:25], v22
	v_mov_b32_e32 v24, 0x7ff00000
	v_cmp_nlt_f64_e64 s[4:5], s[4:5], v[10:11]
	v_cmp_ngt_f64_e64 s[18:19], s[18:19], v[10:11]
	v_cndmask_b32_e64 v23, v24, v23, s[4:5]
	s_and_b64 s[4:5], s[18:19], s[4:5]
	v_cndmask_b32_e64 v11, 0, v23, s[18:19]
	v_cndmask_b32_e64 v10, 0, v22, s[4:5]
	v_add_f64 v[22:23], v[10:11], 1.0
	v_add_f64 v[24:25], v[22:23], -1.0
	v_add_f64 v[26:27], v[24:25], -v[22:23]
	v_add_f64 v[26:27], v[26:27], 1.0
	v_add_f64 v[24:25], v[10:11], -v[24:25]
	s_mov_b32 s4, 0x55555555
	v_add_f64 v[24:25], v[24:25], v[26:27]
	v_frexp_mant_f64_e32 v[26:27], v[22:23]
	s_mov_b32 s5, 0x3fe55555
	v_frexp_exp_i32_f64_e32 v28, v[22:23]
	v_cmp_gt_f64_e64 s[4:5], s[4:5], v[26:27]
	v_subbrev_co_u32_e64 v48, s[4:5], 0, v28, s[4:5]
	v_sub_u32_e32 v26, 0, v48
	v_ldexp_f64 v[22:23], v[22:23], v26
	v_ldexp_f64 v[24:25], v[24:25], v26
	v_add_f64 v[26:27], v[22:23], -1.0
	v_add_f64 v[32:33], v[22:23], 1.0
	v_add_f64 v[28:29], v[26:27], 1.0
	v_add_f64 v[40:41], v[32:33], -1.0
	v_add_f64 v[28:29], v[22:23], -v[28:29]
	v_add_f64 v[22:23], v[22:23], -v[40:41]
	v_add_f64 v[22:23], v[24:25], v[22:23]
	v_add_f64 v[28:29], v[24:25], v[28:29]
	;; [unrolled: 1-line block ×3, first 2 shown]
	v_rcp_f64_e32 v[40:41], v[24:25]
	v_add_f64 v[30:31], v[26:27], v[28:29]
	v_add_f64 v[26:27], v[30:31], -v[26:27]
	v_add_f64 v[26:27], v[28:29], -v[26:27]
	;; [unrolled: 1-line block ×4, first 2 shown]
	v_fma_f64 v[28:29], -v[24:25], v[40:41], 1.0
	v_fmac_f64_e32 v[40:41], v[28:29], v[40:41]
	v_fma_f64 v[28:29], -v[24:25], v[40:41], 1.0
	v_fmac_f64_e32 v[40:41], v[28:29], v[40:41]
	v_mul_f64 v[28:29], v[30:31], v[40:41]
	v_mul_f64 v[32:33], v[24:25], v[28:29]
	v_fma_f64 v[42:43], v[28:29], v[24:25], -v[32:33]
	v_fmac_f64_e32 v[42:43], v[28:29], v[22:23]
	v_add_f64 v[44:45], v[32:33], v[42:43]
	s_waitcnt lgkmcnt(0)
	v_add_f64 v[46:47], v[30:31], -v[44:45]
	v_add_f64 v[30:31], v[30:31], -v[46:47]
	v_add_f64 v[32:33], v[44:45], -v[32:33]
	v_add_f64 v[30:31], v[30:31], -v[44:45]
	v_add_f64 v[26:27], v[26:27], v[30:31]
	v_add_f64 v[30:31], v[32:33], -v[42:43]
	v_add_f64 v[26:27], v[30:31], v[26:27]
	v_add_f64 v[30:31], v[46:47], v[26:27]
	v_add_f64 v[32:33], v[46:47], -v[30:31]
	v_add_f64 v[26:27], v[26:27], v[32:33]
	v_mul_f64 v[32:33], v[40:41], v[30:31]
	v_mul_f64 v[42:43], v[24:25], v[32:33]
	v_fma_f64 v[24:25], v[32:33], v[24:25], -v[42:43]
	v_fmac_f64_e32 v[24:25], v[32:33], v[22:23]
	v_add_f64 v[22:23], v[42:43], v[24:25]
	v_add_f64 v[44:45], v[30:31], -v[22:23]
	v_add_f64 v[30:31], v[30:31], -v[44:45]
	;; [unrolled: 1-line block ×4, first 2 shown]
	v_add_f64 v[22:23], v[26:27], v[22:23]
	v_add_f64 v[24:25], v[42:43], -v[24:25]
	v_add_f64 v[22:23], v[24:25], v[22:23]
	v_add_f64 v[24:25], v[28:29], v[32:33]
	;; [unrolled: 1-line block ×3, first 2 shown]
	v_add_f64 v[26:27], v[24:25], -v[28:29]
	v_mul_f64 v[22:23], v[40:41], v[22:23]
	v_add_f64 v[26:27], v[32:33], -v[26:27]
	v_add_f64 v[22:23], v[26:27], v[22:23]
	v_add_f64 v[26:27], v[24:25], v[22:23]
	v_add_f64 v[24:25], v[26:27], -v[24:25]
	s_mov_b32 s4, 0xbf559e2b
	v_add_f64 v[22:23], v[22:23], -v[24:25]
	v_mul_f64 v[24:25], v[26:27], v[26:27]
	v_mov_b32_e32 v28, 0x6b47b09a
	v_mov_b32_e32 v29, 0x3fc38538
	s_mov_b32 s5, 0x3fc3ab76
	v_fmac_f64_e32 v[28:29], s[4:5], v[24:25]
	v_mov_b32_e32 v30, 0xd7f4df2e
	v_mov_b32_e32 v31, 0x3fc7474d
	v_fmac_f64_e32 v[30:31], v[24:25], v[28:29]
	v_mov_b32_e32 v28, 0x16291751
	v_mov_b32_e32 v29, 0x3fcc71c0
	;; [unrolled: 3-line block ×5, first 2 shown]
	v_fmac_f64_e32 v[30:31], v[24:25], v[28:29]
	v_cvt_f64_i32_e32 v[28:29], v48
	s_mov_b32 s23, 0x3fe62e42
	v_mul_f64 v[32:33], v[28:29], s[22:23]
	v_fma_f64 v[40:41], v[28:29], s[22:23], -v[32:33]
	s_mov_b32 s25, 0x3c7abc9e
	v_fmac_f64_e32 v[40:41], s[24:25], v[28:29]
	v_add_f64 v[28:29], v[32:33], v[40:41]
	v_add_f64 v[32:33], v[28:29], -v[32:33]
	v_mul_f64 v[24:25], v[26:27], v[24:25]
	v_add_f64 v[32:33], v[40:41], -v[32:33]
	v_ldexp_f64 v[40:41], v[26:27], 1
	v_mul_f64 v[24:25], v[24:25], v[30:31]
	v_add_f64 v[26:27], v[40:41], v[24:25]
	v_add_f64 v[30:31], v[26:27], -v[40:41]
	v_ldexp_f64 v[22:23], v[22:23], 1
	v_add_f64 v[24:25], v[24:25], -v[30:31]
	v_add_f64 v[22:23], v[22:23], v[24:25]
	v_add_f64 v[24:25], v[26:27], v[22:23]
	v_add_f64 v[26:27], v[24:25], -v[26:27]
	v_add_f64 v[22:23], v[22:23], -v[26:27]
	v_add_f64 v[26:27], v[28:29], v[24:25]
	v_add_f64 v[30:31], v[26:27], -v[28:29]
	v_add_f64 v[40:41], v[26:27], -v[30:31]
	;; [unrolled: 1-line block ×4, first 2 shown]
	v_add_f64 v[24:25], v[24:25], v[28:29]
	v_add_f64 v[28:29], v[32:33], v[22:23]
	v_add_f64 v[30:31], v[28:29], -v[32:33]
	v_add_f64 v[24:25], v[28:29], v[24:25]
	v_add_f64 v[40:41], v[28:29], -v[30:31]
	;; [unrolled: 2-line block ×3, first 2 shown]
	v_add_f64 v[22:23], v[22:23], -v[30:31]
	v_add_f64 v[26:27], v[28:29], -v[26:27]
	v_add_f64 v[22:23], v[22:23], v[32:33]
	v_add_f64 v[24:25], v[24:25], -v[26:27]
	s_mov_b32 s4, 0
	v_add_f64 v[22:23], v[22:23], v[24:25]
	s_mov_b32 s5, 0x7ff00000
	v_add_f64 v[22:23], v[28:29], v[22:23]
	v_cmp_eq_f64_e64 s[4:5], s[4:5], v[10:11]
	v_cndmask_b32_e64 v22, v22, v10, s[4:5]
	v_cndmask_b32_e64 v23, v23, v11, s[4:5]
	v_mov_b32_e32 v24, 0x7ff80000
	v_cmp_ngt_f64_e64 s[4:5], -1.0, v[10:11]
	v_cndmask_b32_e64 v23, v24, v23, s[4:5]
	v_cmp_nge_f64_e64 s[4:5], -1.0, v[10:11]
	v_cndmask_b32_e64 v22, 0, v22, s[4:5]
	v_mov_b32_e32 v24, 0xfff00000
	v_cmp_neq_f64_e64 s[4:5], -1.0, v[10:11]
	v_cndmask_b32_e64 v23, v24, v23, s[4:5]
	v_add_f64 v[10:11], v[0:1], v[22:23]
.LBB77_90:
	s_or_b64 exec, exec, s[20:21]
	v_max_f64 v[0:1], v[10:11], v[10:11]
	v_min_f64 v[22:23], v[0:1], v[34:35]
	v_cmp_u_f64_e64 s[4:5], v[10:11], v[10:11]
	v_max_f64 v[0:1], v[0:1], v[34:35]
	v_cndmask_b32_e64 v22, v22, v10, s[4:5]
	v_cndmask_b32_e64 v23, v23, v11, s[4:5]
	;; [unrolled: 1-line block ×8, first 2 shown]
	v_cmp_neq_f64_e64 s[4:5], v[22:23], v[0:1]
	v_cmp_class_f64_e64 s[18:19], v[22:23], s26
	s_or_b64 s[4:5], s[4:5], s[18:19]
	v_pk_mov_b32 v[12:13], v[10:11], v[10:11] op_sel:[0,1]
	s_and_saveexec_b64 s[20:21], s[4:5]
	s_cbranch_execz .LBB77_92
; %bb.91:
	s_mov_b32 s4, 0x652b82fe
	v_add_f64 v[12:13], v[22:23], -v[0:1]
	s_mov_b32 s5, 0x3ff71547
	v_mul_f64 v[22:23], v[12:13], s[4:5]
	v_rndne_f64_e32 v[22:23], v[22:23]
	s_mov_b32 s23, 0xbfe62e42
	s_mov_b32 s22, 0xfefa39ef
	v_fma_f64 v[24:25], s[22:23], v[22:23], v[12:13]
	s_mov_b32 s25, 0xbc7abc9e
	s_mov_b32 s24, 0x3b39803f
	;; [unrolled: 1-line block ×3, first 2 shown]
	v_fmac_f64_e32 v[24:25], s[24:25], v[22:23]
	v_mov_b32_e32 v26, 0xfca7ab0c
	v_mov_b32_e32 v27, 0x3e928af3
	s_mov_b32 s5, 0x3e5ade15
	v_fmac_f64_e32 v[26:27], s[4:5], v[24:25]
	v_mov_b32_e32 v28, 0x623fde64
	v_mov_b32_e32 v29, 0x3ec71dee
	v_fmac_f64_e32 v[28:29], v[24:25], v[26:27]
	v_mov_b32_e32 v26, 0x7c89e6b0
	v_mov_b32_e32 v27, 0x3efa0199
	;; [unrolled: 3-line block ×8, first 2 shown]
	v_fmac_f64_e32 v[26:27], v[24:25], v[28:29]
	v_fma_f64 v[26:27], v[24:25], v[26:27], 1.0
	s_mov_b32 s4, 0
	s_mov_b32 s18, 0
	v_fma_f64 v[24:25], v[24:25], v[26:27], 1.0
	v_cvt_i32_f64_e32 v22, v[22:23]
	s_mov_b32 s5, 0x40900000
	s_mov_b32 s19, 0xc090cc00
	v_ldexp_f64 v[22:23], v[24:25], v22
	v_mov_b32_e32 v24, 0x7ff00000
	v_cmp_nlt_f64_e64 s[4:5], s[4:5], v[12:13]
	v_cmp_ngt_f64_e64 s[18:19], s[18:19], v[12:13]
	v_cndmask_b32_e64 v23, v24, v23, s[4:5]
	s_and_b64 s[4:5], s[18:19], s[4:5]
	v_cndmask_b32_e64 v13, 0, v23, s[18:19]
	v_cndmask_b32_e64 v12, 0, v22, s[4:5]
	v_add_f64 v[22:23], v[12:13], 1.0
	v_add_f64 v[24:25], v[22:23], -1.0
	v_add_f64 v[26:27], v[24:25], -v[22:23]
	v_add_f64 v[26:27], v[26:27], 1.0
	v_add_f64 v[24:25], v[12:13], -v[24:25]
	s_mov_b32 s4, 0x55555555
	v_add_f64 v[24:25], v[24:25], v[26:27]
	v_frexp_mant_f64_e32 v[26:27], v[22:23]
	s_mov_b32 s5, 0x3fe55555
	v_frexp_exp_i32_f64_e32 v28, v[22:23]
	v_cmp_gt_f64_e64 s[4:5], s[4:5], v[26:27]
	s_waitcnt lgkmcnt(1)
	v_subbrev_co_u32_e64 v46, s[4:5], 0, v28, s[4:5]
	v_sub_u32_e32 v26, 0, v46
	v_ldexp_f64 v[22:23], v[22:23], v26
	v_ldexp_f64 v[24:25], v[24:25], v26
	v_add_f64 v[26:27], v[22:23], -1.0
	v_add_f64 v[32:33], v[22:23], 1.0
	v_add_f64 v[28:29], v[26:27], 1.0
	v_add_f64 v[34:35], v[32:33], -1.0
	v_add_f64 v[28:29], v[22:23], -v[28:29]
	v_add_f64 v[22:23], v[22:23], -v[34:35]
	v_add_f64 v[22:23], v[24:25], v[22:23]
	v_add_f64 v[28:29], v[24:25], v[28:29]
	;; [unrolled: 1-line block ×3, first 2 shown]
	v_rcp_f64_e32 v[34:35], v[24:25]
	v_add_f64 v[30:31], v[26:27], v[28:29]
	v_add_f64 v[26:27], v[30:31], -v[26:27]
	v_add_f64 v[26:27], v[28:29], -v[26:27]
	;; [unrolled: 1-line block ×4, first 2 shown]
	v_fma_f64 v[28:29], -v[24:25], v[34:35], 1.0
	v_fmac_f64_e32 v[34:35], v[28:29], v[34:35]
	v_fma_f64 v[28:29], -v[24:25], v[34:35], 1.0
	v_fmac_f64_e32 v[34:35], v[28:29], v[34:35]
	v_mul_f64 v[28:29], v[30:31], v[34:35]
	v_mul_f64 v[32:33], v[24:25], v[28:29]
	v_fma_f64 v[40:41], v[28:29], v[24:25], -v[32:33]
	v_fmac_f64_e32 v[40:41], v[28:29], v[22:23]
	v_add_f64 v[42:43], v[32:33], v[40:41]
	v_add_f64 v[44:45], v[30:31], -v[42:43]
	v_add_f64 v[30:31], v[30:31], -v[44:45]
	v_add_f64 v[32:33], v[42:43], -v[32:33]
	v_add_f64 v[30:31], v[30:31], -v[42:43]
	v_add_f64 v[26:27], v[26:27], v[30:31]
	v_add_f64 v[30:31], v[32:33], -v[40:41]
	v_add_f64 v[26:27], v[30:31], v[26:27]
	v_add_f64 v[30:31], v[44:45], v[26:27]
	v_add_f64 v[32:33], v[44:45], -v[30:31]
	v_add_f64 v[26:27], v[26:27], v[32:33]
	v_mul_f64 v[32:33], v[34:35], v[30:31]
	v_mul_f64 v[40:41], v[24:25], v[32:33]
	v_fma_f64 v[24:25], v[32:33], v[24:25], -v[40:41]
	v_fmac_f64_e32 v[24:25], v[32:33], v[22:23]
	v_add_f64 v[22:23], v[40:41], v[24:25]
	v_add_f64 v[42:43], v[30:31], -v[22:23]
	v_add_f64 v[30:31], v[30:31], -v[42:43]
	v_add_f64 v[40:41], v[22:23], -v[40:41]
	v_add_f64 v[22:23], v[30:31], -v[22:23]
	v_add_f64 v[22:23], v[26:27], v[22:23]
	v_add_f64 v[24:25], v[40:41], -v[24:25]
	v_add_f64 v[22:23], v[24:25], v[22:23]
	v_add_f64 v[24:25], v[28:29], v[32:33]
	;; [unrolled: 1-line block ×3, first 2 shown]
	v_add_f64 v[26:27], v[24:25], -v[28:29]
	v_mul_f64 v[22:23], v[34:35], v[22:23]
	v_add_f64 v[26:27], v[32:33], -v[26:27]
	v_add_f64 v[22:23], v[26:27], v[22:23]
	v_add_f64 v[26:27], v[24:25], v[22:23]
	v_add_f64 v[24:25], v[26:27], -v[24:25]
	s_mov_b32 s4, 0xbf559e2b
	v_add_f64 v[22:23], v[22:23], -v[24:25]
	v_mul_f64 v[24:25], v[26:27], v[26:27]
	v_mov_b32_e32 v28, 0x6b47b09a
	v_mov_b32_e32 v29, 0x3fc38538
	s_mov_b32 s5, 0x3fc3ab76
	v_fmac_f64_e32 v[28:29], s[4:5], v[24:25]
	v_mov_b32_e32 v30, 0xd7f4df2e
	v_mov_b32_e32 v31, 0x3fc7474d
	v_fmac_f64_e32 v[30:31], v[24:25], v[28:29]
	v_mov_b32_e32 v28, 0x16291751
	v_mov_b32_e32 v29, 0x3fcc71c0
	;; [unrolled: 3-line block ×5, first 2 shown]
	v_fmac_f64_e32 v[30:31], v[24:25], v[28:29]
	v_cvt_f64_i32_e32 v[28:29], v46
	s_mov_b32 s23, 0x3fe62e42
	v_mul_f64 v[32:33], v[28:29], s[22:23]
	v_fma_f64 v[34:35], v[28:29], s[22:23], -v[32:33]
	s_mov_b32 s25, 0x3c7abc9e
	v_fmac_f64_e32 v[34:35], s[24:25], v[28:29]
	v_add_f64 v[28:29], v[32:33], v[34:35]
	v_add_f64 v[32:33], v[28:29], -v[32:33]
	v_mul_f64 v[24:25], v[26:27], v[24:25]
	v_add_f64 v[32:33], v[34:35], -v[32:33]
	v_ldexp_f64 v[34:35], v[26:27], 1
	v_mul_f64 v[24:25], v[24:25], v[30:31]
	v_add_f64 v[26:27], v[34:35], v[24:25]
	v_add_f64 v[30:31], v[26:27], -v[34:35]
	v_ldexp_f64 v[22:23], v[22:23], 1
	v_add_f64 v[24:25], v[24:25], -v[30:31]
	v_add_f64 v[22:23], v[22:23], v[24:25]
	v_add_f64 v[24:25], v[26:27], v[22:23]
	v_add_f64 v[26:27], v[24:25], -v[26:27]
	v_add_f64 v[22:23], v[22:23], -v[26:27]
	v_add_f64 v[26:27], v[28:29], v[24:25]
	v_add_f64 v[30:31], v[26:27], -v[28:29]
	v_add_f64 v[34:35], v[26:27], -v[30:31]
	;; [unrolled: 1-line block ×4, first 2 shown]
	v_add_f64 v[24:25], v[24:25], v[28:29]
	v_add_f64 v[28:29], v[32:33], v[22:23]
	v_add_f64 v[30:31], v[28:29], -v[32:33]
	v_add_f64 v[24:25], v[28:29], v[24:25]
	v_add_f64 v[34:35], v[28:29], -v[30:31]
	v_add_f64 v[28:29], v[26:27], v[24:25]
	v_add_f64 v[32:33], v[32:33], -v[34:35]
	v_add_f64 v[22:23], v[22:23], -v[30:31]
	v_add_f64 v[26:27], v[28:29], -v[26:27]
	v_add_f64 v[22:23], v[22:23], v[32:33]
	v_add_f64 v[24:25], v[24:25], -v[26:27]
	s_mov_b32 s4, 0
	v_add_f64 v[22:23], v[22:23], v[24:25]
	s_mov_b32 s5, 0x7ff00000
	v_add_f64 v[22:23], v[28:29], v[22:23]
	v_cmp_eq_f64_e64 s[4:5], s[4:5], v[12:13]
	v_cndmask_b32_e64 v22, v22, v12, s[4:5]
	v_cndmask_b32_e64 v23, v23, v13, s[4:5]
	v_mov_b32_e32 v24, 0x7ff80000
	v_cmp_ngt_f64_e64 s[4:5], -1.0, v[12:13]
	v_cndmask_b32_e64 v23, v24, v23, s[4:5]
	v_cmp_nge_f64_e64 s[4:5], -1.0, v[12:13]
	v_cndmask_b32_e64 v22, 0, v22, s[4:5]
	v_mov_b32_e32 v24, 0xfff00000
	v_cmp_neq_f64_e64 s[4:5], -1.0, v[12:13]
	v_cndmask_b32_e64 v23, v24, v23, s[4:5]
	v_add_f64 v[12:13], v[0:1], v[22:23]
.LBB77_92:
	s_or_b64 exec, exec, s[20:21]
	v_max_f64 v[0:1], v[12:13], v[12:13]
	v_min_f64 v[22:23], v[0:1], v[36:37]
	v_cmp_u_f64_e64 s[4:5], v[12:13], v[12:13]
	v_max_f64 v[0:1], v[0:1], v[36:37]
	v_cndmask_b32_e64 v22, v22, v12, s[4:5]
	v_cndmask_b32_e64 v23, v23, v13, s[4:5]
	;; [unrolled: 1-line block ×8, first 2 shown]
	v_cmp_neq_f64_e64 s[4:5], v[22:23], v[0:1]
	v_cmp_class_f64_e64 s[18:19], v[22:23], s26
	s_or_b64 s[4:5], s[4:5], s[18:19]
	v_pk_mov_b32 v[6:7], v[12:13], v[12:13] op_sel:[0,1]
	s_and_saveexec_b64 s[20:21], s[4:5]
	s_cbranch_execz .LBB77_94
; %bb.93:
	s_mov_b32 s4, 0x652b82fe
	v_add_f64 v[6:7], v[22:23], -v[0:1]
	s_mov_b32 s5, 0x3ff71547
	v_mul_f64 v[22:23], v[6:7], s[4:5]
	v_rndne_f64_e32 v[22:23], v[22:23]
	s_mov_b32 s23, 0xbfe62e42
	s_mov_b32 s22, 0xfefa39ef
	v_fma_f64 v[24:25], s[22:23], v[22:23], v[6:7]
	s_mov_b32 s25, 0xbc7abc9e
	s_mov_b32 s24, 0x3b39803f
	;; [unrolled: 1-line block ×3, first 2 shown]
	v_fmac_f64_e32 v[24:25], s[24:25], v[22:23]
	v_mov_b32_e32 v26, 0xfca7ab0c
	v_mov_b32_e32 v27, 0x3e928af3
	s_mov_b32 s5, 0x3e5ade15
	v_fmac_f64_e32 v[26:27], s[4:5], v[24:25]
	v_mov_b32_e32 v28, 0x623fde64
	v_mov_b32_e32 v29, 0x3ec71dee
	v_fmac_f64_e32 v[28:29], v[24:25], v[26:27]
	v_mov_b32_e32 v26, 0x7c89e6b0
	v_mov_b32_e32 v27, 0x3efa0199
	;; [unrolled: 3-line block ×8, first 2 shown]
	v_fmac_f64_e32 v[26:27], v[24:25], v[28:29]
	v_fma_f64 v[26:27], v[24:25], v[26:27], 1.0
	s_mov_b32 s4, 0
	s_mov_b32 s18, 0
	v_fma_f64 v[24:25], v[24:25], v[26:27], 1.0
	v_cvt_i32_f64_e32 v22, v[22:23]
	s_mov_b32 s5, 0x40900000
	s_mov_b32 s19, 0xc090cc00
	v_ldexp_f64 v[22:23], v[24:25], v22
	v_mov_b32_e32 v24, 0x7ff00000
	v_cmp_nlt_f64_e64 s[4:5], s[4:5], v[6:7]
	v_cmp_ngt_f64_e64 s[18:19], s[18:19], v[6:7]
	v_cndmask_b32_e64 v23, v24, v23, s[4:5]
	s_and_b64 s[4:5], s[18:19], s[4:5]
	v_cndmask_b32_e64 v7, 0, v23, s[18:19]
	v_cndmask_b32_e64 v6, 0, v22, s[4:5]
	v_add_f64 v[22:23], v[6:7], 1.0
	v_add_f64 v[24:25], v[22:23], -1.0
	v_add_f64 v[26:27], v[24:25], -v[22:23]
	v_add_f64 v[26:27], v[26:27], 1.0
	v_add_f64 v[24:25], v[6:7], -v[24:25]
	s_mov_b32 s4, 0x55555555
	v_add_f64 v[24:25], v[24:25], v[26:27]
	v_frexp_mant_f64_e32 v[26:27], v[22:23]
	s_mov_b32 s5, 0x3fe55555
	v_frexp_exp_i32_f64_e32 v28, v[22:23]
	v_cmp_gt_f64_e64 s[4:5], s[4:5], v[26:27]
	v_subbrev_co_u32_e64 v44, s[4:5], 0, v28, s[4:5]
	v_sub_u32_e32 v26, 0, v44
	v_ldexp_f64 v[22:23], v[22:23], v26
	v_ldexp_f64 v[24:25], v[24:25], v26
	v_add_f64 v[26:27], v[22:23], -1.0
	v_add_f64 v[32:33], v[22:23], 1.0
	v_add_f64 v[28:29], v[26:27], 1.0
	v_add_f64 v[34:35], v[32:33], -1.0
	v_add_f64 v[28:29], v[22:23], -v[28:29]
	v_add_f64 v[22:23], v[22:23], -v[34:35]
	v_add_f64 v[22:23], v[24:25], v[22:23]
	v_add_f64 v[28:29], v[24:25], v[28:29]
	v_add_f64 v[24:25], v[32:33], v[22:23]
	v_rcp_f64_e32 v[34:35], v[24:25]
	v_add_f64 v[30:31], v[26:27], v[28:29]
	v_add_f64 v[26:27], v[30:31], -v[26:27]
	v_add_f64 v[26:27], v[28:29], -v[26:27]
	v_add_f64 v[28:29], v[24:25], -v[32:33]
	v_add_f64 v[22:23], v[22:23], -v[28:29]
	v_fma_f64 v[28:29], -v[24:25], v[34:35], 1.0
	v_fmac_f64_e32 v[34:35], v[28:29], v[34:35]
	v_fma_f64 v[28:29], -v[24:25], v[34:35], 1.0
	v_fmac_f64_e32 v[34:35], v[28:29], v[34:35]
	v_mul_f64 v[28:29], v[30:31], v[34:35]
	v_mul_f64 v[32:33], v[24:25], v[28:29]
	v_fma_f64 v[36:37], v[28:29], v[24:25], -v[32:33]
	v_fmac_f64_e32 v[36:37], v[28:29], v[22:23]
	v_add_f64 v[40:41], v[32:33], v[36:37]
	v_add_f64 v[42:43], v[30:31], -v[40:41]
	v_add_f64 v[30:31], v[30:31], -v[42:43]
	;; [unrolled: 1-line block ×4, first 2 shown]
	v_add_f64 v[26:27], v[26:27], v[30:31]
	v_add_f64 v[30:31], v[32:33], -v[36:37]
	v_add_f64 v[26:27], v[30:31], v[26:27]
	v_add_f64 v[30:31], v[42:43], v[26:27]
	v_add_f64 v[32:33], v[42:43], -v[30:31]
	v_add_f64 v[26:27], v[26:27], v[32:33]
	v_mul_f64 v[32:33], v[34:35], v[30:31]
	v_mul_f64 v[36:37], v[24:25], v[32:33]
	v_fma_f64 v[24:25], v[32:33], v[24:25], -v[36:37]
	v_fmac_f64_e32 v[24:25], v[32:33], v[22:23]
	v_add_f64 v[22:23], v[36:37], v[24:25]
	v_add_f64 v[40:41], v[30:31], -v[22:23]
	v_add_f64 v[30:31], v[30:31], -v[40:41]
	;; [unrolled: 1-line block ×4, first 2 shown]
	v_add_f64 v[22:23], v[26:27], v[22:23]
	v_add_f64 v[24:25], v[36:37], -v[24:25]
	v_add_f64 v[22:23], v[24:25], v[22:23]
	v_add_f64 v[24:25], v[28:29], v[32:33]
	;; [unrolled: 1-line block ×3, first 2 shown]
	v_add_f64 v[26:27], v[24:25], -v[28:29]
	v_mul_f64 v[22:23], v[34:35], v[22:23]
	v_add_f64 v[26:27], v[32:33], -v[26:27]
	v_add_f64 v[22:23], v[26:27], v[22:23]
	v_add_f64 v[26:27], v[24:25], v[22:23]
	v_add_f64 v[24:25], v[26:27], -v[24:25]
	s_mov_b32 s4, 0xbf559e2b
	v_add_f64 v[22:23], v[22:23], -v[24:25]
	v_mul_f64 v[24:25], v[26:27], v[26:27]
	v_mov_b32_e32 v28, 0x6b47b09a
	v_mov_b32_e32 v29, 0x3fc38538
	s_mov_b32 s5, 0x3fc3ab76
	v_fmac_f64_e32 v[28:29], s[4:5], v[24:25]
	v_mov_b32_e32 v30, 0xd7f4df2e
	v_mov_b32_e32 v31, 0x3fc7474d
	v_fmac_f64_e32 v[30:31], v[24:25], v[28:29]
	v_mov_b32_e32 v28, 0x16291751
	v_mov_b32_e32 v29, 0x3fcc71c0
	;; [unrolled: 3-line block ×5, first 2 shown]
	v_fmac_f64_e32 v[30:31], v[24:25], v[28:29]
	v_cvt_f64_i32_e32 v[28:29], v44
	s_mov_b32 s23, 0x3fe62e42
	v_mul_f64 v[32:33], v[28:29], s[22:23]
	v_fma_f64 v[34:35], v[28:29], s[22:23], -v[32:33]
	s_mov_b32 s25, 0x3c7abc9e
	v_fmac_f64_e32 v[34:35], s[24:25], v[28:29]
	v_add_f64 v[28:29], v[32:33], v[34:35]
	v_add_f64 v[32:33], v[28:29], -v[32:33]
	v_mul_f64 v[24:25], v[26:27], v[24:25]
	v_add_f64 v[32:33], v[34:35], -v[32:33]
	v_ldexp_f64 v[34:35], v[26:27], 1
	v_mul_f64 v[24:25], v[24:25], v[30:31]
	v_add_f64 v[26:27], v[34:35], v[24:25]
	v_add_f64 v[30:31], v[26:27], -v[34:35]
	v_ldexp_f64 v[22:23], v[22:23], 1
	v_add_f64 v[24:25], v[24:25], -v[30:31]
	v_add_f64 v[22:23], v[22:23], v[24:25]
	v_add_f64 v[24:25], v[26:27], v[22:23]
	v_add_f64 v[26:27], v[24:25], -v[26:27]
	v_add_f64 v[22:23], v[22:23], -v[26:27]
	v_add_f64 v[26:27], v[28:29], v[24:25]
	v_add_f64 v[30:31], v[26:27], -v[28:29]
	v_add_f64 v[34:35], v[26:27], -v[30:31]
	;; [unrolled: 1-line block ×4, first 2 shown]
	v_add_f64 v[24:25], v[24:25], v[28:29]
	v_add_f64 v[28:29], v[32:33], v[22:23]
	v_add_f64 v[30:31], v[28:29], -v[32:33]
	v_add_f64 v[24:25], v[28:29], v[24:25]
	v_add_f64 v[34:35], v[28:29], -v[30:31]
	;; [unrolled: 2-line block ×3, first 2 shown]
	v_add_f64 v[22:23], v[22:23], -v[30:31]
	v_add_f64 v[26:27], v[28:29], -v[26:27]
	v_add_f64 v[22:23], v[22:23], v[32:33]
	v_add_f64 v[24:25], v[24:25], -v[26:27]
	s_mov_b32 s4, 0
	v_add_f64 v[22:23], v[22:23], v[24:25]
	s_mov_b32 s5, 0x7ff00000
	v_add_f64 v[22:23], v[28:29], v[22:23]
	v_cmp_eq_f64_e64 s[4:5], s[4:5], v[6:7]
	v_cndmask_b32_e64 v22, v22, v6, s[4:5]
	v_cndmask_b32_e64 v23, v23, v7, s[4:5]
	v_mov_b32_e32 v24, 0x7ff80000
	v_cmp_ngt_f64_e64 s[4:5], -1.0, v[6:7]
	v_cndmask_b32_e64 v23, v24, v23, s[4:5]
	v_cmp_nge_f64_e64 s[4:5], -1.0, v[6:7]
	v_cndmask_b32_e64 v22, 0, v22, s[4:5]
	v_mov_b32_e32 v24, 0xfff00000
	v_cmp_neq_f64_e64 s[4:5], -1.0, v[6:7]
	v_cndmask_b32_e64 v23, v24, v23, s[4:5]
	v_add_f64 v[6:7], v[0:1], v[22:23]
.LBB77_94:
	s_or_b64 exec, exec, s[20:21]
	v_max_f64 v[0:1], v[6:7], v[6:7]
	v_min_f64 v[22:23], v[0:1], v[38:39]
	v_cmp_u_f64_e64 s[4:5], v[6:7], v[6:7]
	v_max_f64 v[0:1], v[0:1], v[38:39]
	v_cndmask_b32_e64 v22, v22, v6, s[4:5]
	v_cndmask_b32_e64 v23, v23, v7, s[4:5]
	v_cndmask_b32_e64 v0, v0, v6, s[4:5]
	v_cndmask_b32_e64 v1, v1, v7, s[4:5]
	v_cndmask_b32_e64 v23, v23, v9, s[36:37]
	v_cndmask_b32_e64 v22, v22, v8, s[36:37]
	v_cndmask_b32_e64 v1, v1, v9, s[36:37]
	v_cndmask_b32_e64 v0, v0, v8, s[36:37]
	s_movk_i32 s18, 0x1f8
	v_cmp_neq_f64_e64 s[4:5], v[22:23], v[0:1]
	v_cmp_class_f64_e64 s[18:19], v[22:23], s18
	s_or_b64 s[4:5], s[4:5], s[18:19]
	v_pk_mov_b32 v[8:9], v[6:7], v[6:7] op_sel:[0,1]
	s_and_saveexec_b64 s[20:21], s[4:5]
	s_cbranch_execz .LBB77_96
; %bb.95:
	s_mov_b32 s4, 0x652b82fe
	v_add_f64 v[8:9], v[22:23], -v[0:1]
	s_mov_b32 s5, 0x3ff71547
	v_mul_f64 v[22:23], v[8:9], s[4:5]
	v_rndne_f64_e32 v[22:23], v[22:23]
	s_mov_b32 s23, 0xbfe62e42
	s_mov_b32 s22, 0xfefa39ef
	v_fma_f64 v[24:25], s[22:23], v[22:23], v[8:9]
	s_mov_b32 s25, 0xbc7abc9e
	s_mov_b32 s24, 0x3b39803f
	s_mov_b32 s4, 0x6a5dcb37
	v_fmac_f64_e32 v[24:25], s[24:25], v[22:23]
	v_mov_b32_e32 v26, 0xfca7ab0c
	v_mov_b32_e32 v27, 0x3e928af3
	s_mov_b32 s5, 0x3e5ade15
	v_fmac_f64_e32 v[26:27], s[4:5], v[24:25]
	v_mov_b32_e32 v28, 0x623fde64
	v_mov_b32_e32 v29, 0x3ec71dee
	v_fmac_f64_e32 v[28:29], v[24:25], v[26:27]
	v_mov_b32_e32 v26, 0x7c89e6b0
	v_mov_b32_e32 v27, 0x3efa0199
	;; [unrolled: 3-line block ×8, first 2 shown]
	v_fmac_f64_e32 v[26:27], v[24:25], v[28:29]
	v_fma_f64 v[26:27], v[24:25], v[26:27], 1.0
	s_mov_b32 s4, 0
	s_mov_b32 s18, 0
	v_fma_f64 v[24:25], v[24:25], v[26:27], 1.0
	v_cvt_i32_f64_e32 v22, v[22:23]
	s_mov_b32 s5, 0x40900000
	s_mov_b32 s19, 0xc090cc00
	v_ldexp_f64 v[22:23], v[24:25], v22
	v_mov_b32_e32 v24, 0x7ff00000
	v_cmp_nlt_f64_e64 s[4:5], s[4:5], v[8:9]
	v_cmp_ngt_f64_e64 s[18:19], s[18:19], v[8:9]
	v_cndmask_b32_e64 v23, v24, v23, s[4:5]
	s_and_b64 s[4:5], s[18:19], s[4:5]
	v_cndmask_b32_e64 v9, 0, v23, s[18:19]
	v_cndmask_b32_e64 v8, 0, v22, s[4:5]
	v_add_f64 v[22:23], v[8:9], 1.0
	v_add_f64 v[24:25], v[22:23], -1.0
	v_add_f64 v[26:27], v[24:25], -v[22:23]
	v_add_f64 v[26:27], v[26:27], 1.0
	v_add_f64 v[24:25], v[8:9], -v[24:25]
	s_mov_b32 s4, 0x55555555
	v_add_f64 v[24:25], v[24:25], v[26:27]
	v_frexp_mant_f64_e32 v[26:27], v[22:23]
	s_mov_b32 s5, 0x3fe55555
	v_frexp_exp_i32_f64_e32 v28, v[22:23]
	v_cmp_gt_f64_e64 s[4:5], s[4:5], v[26:27]
	v_subbrev_co_u32_e64 v42, s[4:5], 0, v28, s[4:5]
	v_sub_u32_e32 v26, 0, v42
	v_ldexp_f64 v[22:23], v[22:23], v26
	v_ldexp_f64 v[24:25], v[24:25], v26
	v_add_f64 v[26:27], v[22:23], -1.0
	v_add_f64 v[32:33], v[22:23], 1.0
	v_add_f64 v[28:29], v[26:27], 1.0
	v_add_f64 v[34:35], v[32:33], -1.0
	v_add_f64 v[28:29], v[22:23], -v[28:29]
	v_add_f64 v[22:23], v[22:23], -v[34:35]
	v_add_f64 v[22:23], v[24:25], v[22:23]
	v_add_f64 v[28:29], v[24:25], v[28:29]
	;; [unrolled: 1-line block ×3, first 2 shown]
	v_rcp_f64_e32 v[34:35], v[24:25]
	v_add_f64 v[30:31], v[26:27], v[28:29]
	v_add_f64 v[26:27], v[30:31], -v[26:27]
	v_add_f64 v[26:27], v[28:29], -v[26:27]
	;; [unrolled: 1-line block ×4, first 2 shown]
	v_fma_f64 v[28:29], -v[24:25], v[34:35], 1.0
	v_fmac_f64_e32 v[34:35], v[28:29], v[34:35]
	v_fma_f64 v[28:29], -v[24:25], v[34:35], 1.0
	v_fmac_f64_e32 v[34:35], v[28:29], v[34:35]
	v_mul_f64 v[28:29], v[30:31], v[34:35]
	v_mul_f64 v[32:33], v[24:25], v[28:29]
	v_fma_f64 v[36:37], v[28:29], v[24:25], -v[32:33]
	v_fmac_f64_e32 v[36:37], v[28:29], v[22:23]
	v_add_f64 v[38:39], v[32:33], v[36:37]
	v_add_f64 v[40:41], v[30:31], -v[38:39]
	v_add_f64 v[30:31], v[30:31], -v[40:41]
	;; [unrolled: 1-line block ×4, first 2 shown]
	v_add_f64 v[26:27], v[26:27], v[30:31]
	v_add_f64 v[30:31], v[32:33], -v[36:37]
	v_add_f64 v[26:27], v[30:31], v[26:27]
	v_add_f64 v[30:31], v[40:41], v[26:27]
	v_add_f64 v[32:33], v[40:41], -v[30:31]
	v_add_f64 v[26:27], v[26:27], v[32:33]
	v_mul_f64 v[32:33], v[34:35], v[30:31]
	v_mul_f64 v[36:37], v[24:25], v[32:33]
	v_fma_f64 v[24:25], v[32:33], v[24:25], -v[36:37]
	v_fmac_f64_e32 v[24:25], v[32:33], v[22:23]
	v_add_f64 v[22:23], v[36:37], v[24:25]
	v_add_f64 v[38:39], v[30:31], -v[22:23]
	v_add_f64 v[30:31], v[30:31], -v[38:39]
	;; [unrolled: 1-line block ×4, first 2 shown]
	v_add_f64 v[22:23], v[26:27], v[22:23]
	v_add_f64 v[24:25], v[36:37], -v[24:25]
	v_add_f64 v[22:23], v[24:25], v[22:23]
	v_add_f64 v[24:25], v[28:29], v[32:33]
	;; [unrolled: 1-line block ×3, first 2 shown]
	v_add_f64 v[26:27], v[24:25], -v[28:29]
	v_mul_f64 v[22:23], v[34:35], v[22:23]
	v_add_f64 v[26:27], v[32:33], -v[26:27]
	v_add_f64 v[22:23], v[26:27], v[22:23]
	v_add_f64 v[26:27], v[24:25], v[22:23]
	v_add_f64 v[24:25], v[26:27], -v[24:25]
	s_mov_b32 s4, 0xbf559e2b
	v_add_f64 v[22:23], v[22:23], -v[24:25]
	v_mul_f64 v[24:25], v[26:27], v[26:27]
	v_mov_b32_e32 v28, 0x6b47b09a
	v_mov_b32_e32 v29, 0x3fc38538
	s_mov_b32 s5, 0x3fc3ab76
	v_fmac_f64_e32 v[28:29], s[4:5], v[24:25]
	v_mov_b32_e32 v30, 0xd7f4df2e
	v_mov_b32_e32 v31, 0x3fc7474d
	v_fmac_f64_e32 v[30:31], v[24:25], v[28:29]
	v_mov_b32_e32 v28, 0x16291751
	v_mov_b32_e32 v29, 0x3fcc71c0
	;; [unrolled: 3-line block ×5, first 2 shown]
	v_fmac_f64_e32 v[30:31], v[24:25], v[28:29]
	v_cvt_f64_i32_e32 v[28:29], v42
	s_mov_b32 s23, 0x3fe62e42
	v_mul_f64 v[32:33], v[28:29], s[22:23]
	v_fma_f64 v[34:35], v[28:29], s[22:23], -v[32:33]
	s_mov_b32 s25, 0x3c7abc9e
	v_fmac_f64_e32 v[34:35], s[24:25], v[28:29]
	v_add_f64 v[28:29], v[32:33], v[34:35]
	v_add_f64 v[32:33], v[28:29], -v[32:33]
	v_mul_f64 v[24:25], v[26:27], v[24:25]
	v_add_f64 v[32:33], v[34:35], -v[32:33]
	v_ldexp_f64 v[34:35], v[26:27], 1
	v_mul_f64 v[24:25], v[24:25], v[30:31]
	v_add_f64 v[26:27], v[34:35], v[24:25]
	v_add_f64 v[30:31], v[26:27], -v[34:35]
	v_ldexp_f64 v[22:23], v[22:23], 1
	v_add_f64 v[24:25], v[24:25], -v[30:31]
	v_add_f64 v[22:23], v[22:23], v[24:25]
	v_add_f64 v[24:25], v[26:27], v[22:23]
	v_add_f64 v[26:27], v[24:25], -v[26:27]
	v_add_f64 v[22:23], v[22:23], -v[26:27]
	v_add_f64 v[26:27], v[28:29], v[24:25]
	v_add_f64 v[30:31], v[26:27], -v[28:29]
	v_add_f64 v[34:35], v[26:27], -v[30:31]
	;; [unrolled: 1-line block ×4, first 2 shown]
	v_add_f64 v[24:25], v[24:25], v[28:29]
	v_add_f64 v[28:29], v[32:33], v[22:23]
	v_add_f64 v[30:31], v[28:29], -v[32:33]
	v_add_f64 v[24:25], v[28:29], v[24:25]
	v_add_f64 v[34:35], v[28:29], -v[30:31]
	;; [unrolled: 2-line block ×3, first 2 shown]
	v_add_f64 v[22:23], v[22:23], -v[30:31]
	v_add_f64 v[26:27], v[28:29], -v[26:27]
	v_add_f64 v[22:23], v[22:23], v[32:33]
	v_add_f64 v[24:25], v[24:25], -v[26:27]
	s_mov_b32 s4, 0
	v_add_f64 v[22:23], v[22:23], v[24:25]
	s_mov_b32 s5, 0x7ff00000
	v_add_f64 v[22:23], v[28:29], v[22:23]
	v_cmp_eq_f64_e64 s[4:5], s[4:5], v[8:9]
	v_cndmask_b32_e64 v22, v22, v8, s[4:5]
	v_cndmask_b32_e64 v23, v23, v9, s[4:5]
	v_mov_b32_e32 v24, 0x7ff80000
	v_cmp_ngt_f64_e64 s[4:5], -1.0, v[8:9]
	v_cndmask_b32_e64 v23, v24, v23, s[4:5]
	v_cmp_nge_f64_e64 s[4:5], -1.0, v[8:9]
	v_cndmask_b32_e64 v22, 0, v22, s[4:5]
	v_mov_b32_e32 v24, 0xfff00000
	v_cmp_neq_f64_e64 s[4:5], -1.0, v[8:9]
	v_cndmask_b32_e64 v23, v24, v23, s[4:5]
	v_add_f64 v[8:9], v[0:1], v[22:23]
.LBB77_96:
	s_or_b64 exec, exec, s[20:21]
	v_add_u32_e32 v0, v54, v55
	s_waitcnt lgkmcnt(0)
	s_barrier
	ds_write_b128 v0, v[2:5]
	ds_write_b128 v0, v[18:21] offset:16
	ds_write_b128 v0, v[14:17] offset:32
	ds_write_b128 v0, v[10:13] offset:48
	ds_write_b128 v0, v[6:9] offset:64
	s_waitcnt lgkmcnt(0)
	s_barrier
	ds_read2st64_b64 v[12:15], v54 offset0:2 offset1:4
	ds_read2st64_b64 v[8:11], v54 offset0:6 offset1:8
	;; [unrolled: 1-line block ×4, first 2 shown]
	ds_read_b64 v[16:17], v54 offset:9216
	v_mov_b32_e32 v19, s45
	v_add_co_u32_e64 v18, s[4:5], s44, v54
	v_addc_co_u32_e64 v19, s[4:5], 0, v19, s[4:5]
	s_and_saveexec_b64 s[4:5], vcc
	s_cbranch_execnz .LBB77_107
; %bb.97:
	s_or_b64 exec, exec, s[4:5]
	s_and_saveexec_b64 s[4:5], s[0:1]
	s_cbranch_execnz .LBB77_108
.LBB77_98:
	s_or_b64 exec, exec, s[4:5]
	s_and_saveexec_b64 s[0:1], s[2:3]
	s_cbranch_execnz .LBB77_109
.LBB77_99:
	s_or_b64 exec, exec, s[0:1]
	s_and_saveexec_b64 s[0:1], s[40:41]
	s_cbranch_execnz .LBB77_110
.LBB77_100:
	s_or_b64 exec, exec, s[0:1]
	s_and_saveexec_b64 s[0:1], s[6:7]
	s_cbranch_execnz .LBB77_111
.LBB77_101:
	s_or_b64 exec, exec, s[0:1]
	s_and_saveexec_b64 s[0:1], s[8:9]
	s_cbranch_execnz .LBB77_112
.LBB77_102:
	s_or_b64 exec, exec, s[0:1]
	s_and_saveexec_b64 s[0:1], s[10:11]
	s_cbranch_execnz .LBB77_113
.LBB77_103:
	s_or_b64 exec, exec, s[0:1]
	s_and_saveexec_b64 s[0:1], s[12:13]
	s_cbranch_execnz .LBB77_114
.LBB77_104:
	s_or_b64 exec, exec, s[0:1]
	s_and_saveexec_b64 s[0:1], s[14:15]
	s_cbranch_execnz .LBB77_115
.LBB77_105:
	s_or_b64 exec, exec, s[0:1]
	s_and_saveexec_b64 s[0:1], s[16:17]
	s_cbranch_execnz .LBB77_116
.LBB77_106:
	s_endpgm
.LBB77_107:
	ds_read_b64 v[20:21], v54
	s_waitcnt lgkmcnt(0)
	global_store_dwordx2 v[18:19], v[20:21], off
	s_or_b64 exec, exec, s[4:5]
	s_and_saveexec_b64 s[4:5], s[0:1]
	s_cbranch_execz .LBB77_98
.LBB77_108:
	s_waitcnt lgkmcnt(4)
	global_store_dwordx2 v[18:19], v[12:13], off offset:1024
	s_or_b64 exec, exec, s[4:5]
	s_and_saveexec_b64 s[0:1], s[2:3]
	s_cbranch_execz .LBB77_99
.LBB77_109:
	s_waitcnt lgkmcnt(4)
	global_store_dwordx2 v[18:19], v[14:15], off offset:2048
	s_or_b64 exec, exec, s[0:1]
	s_and_saveexec_b64 s[0:1], s[40:41]
	s_cbranch_execz .LBB77_100
.LBB77_110:
	s_waitcnt lgkmcnt(3)
	global_store_dwordx2 v[18:19], v[8:9], off offset:3072
	s_or_b64 exec, exec, s[0:1]
	s_and_saveexec_b64 s[0:1], s[6:7]
	s_cbranch_execz .LBB77_101
.LBB77_111:
	s_waitcnt lgkmcnt(3)
	v_add_co_u32_e32 v8, vcc, 0x1000, v18
	v_addc_co_u32_e32 v9, vcc, 0, v19, vcc
	global_store_dwordx2 v[8:9], v[10:11], off
	s_or_b64 exec, exec, s[0:1]
	s_and_saveexec_b64 s[0:1], s[8:9]
	s_cbranch_execz .LBB77_102
.LBB77_112:
	s_waitcnt lgkmcnt(3)
	v_add_co_u32_e32 v8, vcc, 0x1000, v18
	v_addc_co_u32_e32 v9, vcc, 0, v19, vcc
	s_waitcnt lgkmcnt(2)
	global_store_dwordx2 v[8:9], v[4:5], off offset:1024
	s_or_b64 exec, exec, s[0:1]
	s_and_saveexec_b64 s[0:1], s[10:11]
	s_cbranch_execz .LBB77_103
.LBB77_113:
	s_waitcnt lgkmcnt(2)
	v_add_co_u32_e32 v4, vcc, 0x1000, v18
	v_addc_co_u32_e32 v5, vcc, 0, v19, vcc
	global_store_dwordx2 v[4:5], v[6:7], off offset:2048
	s_or_b64 exec, exec, s[0:1]
	s_and_saveexec_b64 s[0:1], s[12:13]
	s_cbranch_execz .LBB77_104
.LBB77_114:
	s_waitcnt lgkmcnt(2)
	v_add_co_u32_e32 v4, vcc, 0x1000, v18
	v_addc_co_u32_e32 v5, vcc, 0, v19, vcc
	s_waitcnt lgkmcnt(1)
	global_store_dwordx2 v[4:5], v[0:1], off offset:3072
	s_or_b64 exec, exec, s[0:1]
	s_and_saveexec_b64 s[0:1], s[14:15]
	s_cbranch_execz .LBB77_105
.LBB77_115:
	s_waitcnt lgkmcnt(1)
	v_add_co_u32_e32 v0, vcc, 0x2000, v18
	v_addc_co_u32_e32 v1, vcc, 0, v19, vcc
	global_store_dwordx2 v[0:1], v[2:3], off
	s_or_b64 exec, exec, s[0:1]
	s_and_saveexec_b64 s[0:1], s[16:17]
	s_cbranch_execz .LBB77_106
.LBB77_116:
	s_waitcnt lgkmcnt(1)
	v_add_co_u32_e32 v0, vcc, 0x2000, v18
	v_addc_co_u32_e32 v1, vcc, 0, v19, vcc
	s_waitcnt lgkmcnt(0)
	global_store_dwordx2 v[0:1], v[16:17], off offset:1024
	s_endpgm
	.section	.rodata,"a",@progbits
	.p2align	6, 0x0
	.amdhsa_kernel _ZN7rocprim17ROCPRIM_400000_NS6detail17trampoline_kernelINS0_14default_configENS1_20scan_config_selectorIdEEZZNS1_9scan_implILNS1_25lookback_scan_determinismE0ELb0ELb0ES3_PKdPddZZZN2at6native31launch_logcumsumexp_cuda_kernelERKNSB_10TensorBaseESF_lENKUlvE_clEvENKUlvE_clEvEUlddE_dEEDaPvRmT3_T4_T5_mT6_P12ihipStream_tbENKUlT_T0_E_clISt17integral_constantIbLb0EESV_IbLb1EEEEDaSR_SS_EUlSR_E0_NS1_11comp_targetILNS1_3genE4ELNS1_11target_archE910ELNS1_3gpuE8ELNS1_3repE0EEENS1_30default_config_static_selectorELNS0_4arch9wavefront6targetE1EEEvT1_
		.amdhsa_group_segment_fixed_size 10240
		.amdhsa_private_segment_fixed_size 0
		.amdhsa_kernarg_size 40
		.amdhsa_user_sgpr_count 6
		.amdhsa_user_sgpr_private_segment_buffer 1
		.amdhsa_user_sgpr_dispatch_ptr 0
		.amdhsa_user_sgpr_queue_ptr 0
		.amdhsa_user_sgpr_kernarg_segment_ptr 1
		.amdhsa_user_sgpr_dispatch_id 0
		.amdhsa_user_sgpr_flat_scratch_init 0
		.amdhsa_user_sgpr_kernarg_preload_length 0
		.amdhsa_user_sgpr_kernarg_preload_offset 0
		.amdhsa_user_sgpr_private_segment_size 0
		.amdhsa_uses_dynamic_stack 0
		.amdhsa_system_sgpr_private_segment_wavefront_offset 0
		.amdhsa_system_sgpr_workgroup_id_x 1
		.amdhsa_system_sgpr_workgroup_id_y 0
		.amdhsa_system_sgpr_workgroup_id_z 0
		.amdhsa_system_sgpr_workgroup_info 0
		.amdhsa_system_vgpr_workitem_id 0
		.amdhsa_next_free_vgpr 76
		.amdhsa_next_free_sgpr 56
		.amdhsa_accum_offset 76
		.amdhsa_reserve_vcc 1
		.amdhsa_reserve_flat_scratch 0
		.amdhsa_float_round_mode_32 0
		.amdhsa_float_round_mode_16_64 0
		.amdhsa_float_denorm_mode_32 3
		.amdhsa_float_denorm_mode_16_64 3
		.amdhsa_dx10_clamp 1
		.amdhsa_ieee_mode 1
		.amdhsa_fp16_overflow 0
		.amdhsa_tg_split 0
		.amdhsa_exception_fp_ieee_invalid_op 0
		.amdhsa_exception_fp_denorm_src 0
		.amdhsa_exception_fp_ieee_div_zero 0
		.amdhsa_exception_fp_ieee_overflow 0
		.amdhsa_exception_fp_ieee_underflow 0
		.amdhsa_exception_fp_ieee_inexact 0
		.amdhsa_exception_int_div_zero 0
	.end_amdhsa_kernel
	.section	.text._ZN7rocprim17ROCPRIM_400000_NS6detail17trampoline_kernelINS0_14default_configENS1_20scan_config_selectorIdEEZZNS1_9scan_implILNS1_25lookback_scan_determinismE0ELb0ELb0ES3_PKdPddZZZN2at6native31launch_logcumsumexp_cuda_kernelERKNSB_10TensorBaseESF_lENKUlvE_clEvENKUlvE_clEvEUlddE_dEEDaPvRmT3_T4_T5_mT6_P12ihipStream_tbENKUlT_T0_E_clISt17integral_constantIbLb0EESV_IbLb1EEEEDaSR_SS_EUlSR_E0_NS1_11comp_targetILNS1_3genE4ELNS1_11target_archE910ELNS1_3gpuE8ELNS1_3repE0EEENS1_30default_config_static_selectorELNS0_4arch9wavefront6targetE1EEEvT1_,"axG",@progbits,_ZN7rocprim17ROCPRIM_400000_NS6detail17trampoline_kernelINS0_14default_configENS1_20scan_config_selectorIdEEZZNS1_9scan_implILNS1_25lookback_scan_determinismE0ELb0ELb0ES3_PKdPddZZZN2at6native31launch_logcumsumexp_cuda_kernelERKNSB_10TensorBaseESF_lENKUlvE_clEvENKUlvE_clEvEUlddE_dEEDaPvRmT3_T4_T5_mT6_P12ihipStream_tbENKUlT_T0_E_clISt17integral_constantIbLb0EESV_IbLb1EEEEDaSR_SS_EUlSR_E0_NS1_11comp_targetILNS1_3genE4ELNS1_11target_archE910ELNS1_3gpuE8ELNS1_3repE0EEENS1_30default_config_static_selectorELNS0_4arch9wavefront6targetE1EEEvT1_,comdat
.Lfunc_end77:
	.size	_ZN7rocprim17ROCPRIM_400000_NS6detail17trampoline_kernelINS0_14default_configENS1_20scan_config_selectorIdEEZZNS1_9scan_implILNS1_25lookback_scan_determinismE0ELb0ELb0ES3_PKdPddZZZN2at6native31launch_logcumsumexp_cuda_kernelERKNSB_10TensorBaseESF_lENKUlvE_clEvENKUlvE_clEvEUlddE_dEEDaPvRmT3_T4_T5_mT6_P12ihipStream_tbENKUlT_T0_E_clISt17integral_constantIbLb0EESV_IbLb1EEEEDaSR_SS_EUlSR_E0_NS1_11comp_targetILNS1_3genE4ELNS1_11target_archE910ELNS1_3gpuE8ELNS1_3repE0EEENS1_30default_config_static_selectorELNS0_4arch9wavefront6targetE1EEEvT1_, .Lfunc_end77-_ZN7rocprim17ROCPRIM_400000_NS6detail17trampoline_kernelINS0_14default_configENS1_20scan_config_selectorIdEEZZNS1_9scan_implILNS1_25lookback_scan_determinismE0ELb0ELb0ES3_PKdPddZZZN2at6native31launch_logcumsumexp_cuda_kernelERKNSB_10TensorBaseESF_lENKUlvE_clEvENKUlvE_clEvEUlddE_dEEDaPvRmT3_T4_T5_mT6_P12ihipStream_tbENKUlT_T0_E_clISt17integral_constantIbLb0EESV_IbLb1EEEEDaSR_SS_EUlSR_E0_NS1_11comp_targetILNS1_3genE4ELNS1_11target_archE910ELNS1_3gpuE8ELNS1_3repE0EEENS1_30default_config_static_selectorELNS0_4arch9wavefront6targetE1EEEvT1_
                                        ; -- End function
	.section	.AMDGPU.csdata,"",@progbits
; Kernel info:
; codeLenInByte = 44864
; NumSgprs: 60
; NumVgprs: 76
; NumAgprs: 0
; TotalNumVgprs: 76
; ScratchSize: 0
; MemoryBound: 0
; FloatMode: 240
; IeeeMode: 1
; LDSByteSize: 10240 bytes/workgroup (compile time only)
; SGPRBlocks: 7
; VGPRBlocks: 9
; NumSGPRsForWavesPerEU: 60
; NumVGPRsForWavesPerEU: 76
; AccumOffset: 76
; Occupancy: 3
; WaveLimiterHint : 0
; COMPUTE_PGM_RSRC2:SCRATCH_EN: 0
; COMPUTE_PGM_RSRC2:USER_SGPR: 6
; COMPUTE_PGM_RSRC2:TRAP_HANDLER: 0
; COMPUTE_PGM_RSRC2:TGID_X_EN: 1
; COMPUTE_PGM_RSRC2:TGID_Y_EN: 0
; COMPUTE_PGM_RSRC2:TGID_Z_EN: 0
; COMPUTE_PGM_RSRC2:TIDIG_COMP_CNT: 0
; COMPUTE_PGM_RSRC3_GFX90A:ACCUM_OFFSET: 18
; COMPUTE_PGM_RSRC3_GFX90A:TG_SPLIT: 0
	.section	.text._ZN7rocprim17ROCPRIM_400000_NS6detail17trampoline_kernelINS0_14default_configENS1_20scan_config_selectorIdEEZZNS1_9scan_implILNS1_25lookback_scan_determinismE0ELb0ELb0ES3_PKdPddZZZN2at6native31launch_logcumsumexp_cuda_kernelERKNSB_10TensorBaseESF_lENKUlvE_clEvENKUlvE_clEvEUlddE_dEEDaPvRmT3_T4_T5_mT6_P12ihipStream_tbENKUlT_T0_E_clISt17integral_constantIbLb0EESV_IbLb1EEEEDaSR_SS_EUlSR_E0_NS1_11comp_targetILNS1_3genE3ELNS1_11target_archE908ELNS1_3gpuE7ELNS1_3repE0EEENS1_30default_config_static_selectorELNS0_4arch9wavefront6targetE1EEEvT1_,"axG",@progbits,_ZN7rocprim17ROCPRIM_400000_NS6detail17trampoline_kernelINS0_14default_configENS1_20scan_config_selectorIdEEZZNS1_9scan_implILNS1_25lookback_scan_determinismE0ELb0ELb0ES3_PKdPddZZZN2at6native31launch_logcumsumexp_cuda_kernelERKNSB_10TensorBaseESF_lENKUlvE_clEvENKUlvE_clEvEUlddE_dEEDaPvRmT3_T4_T5_mT6_P12ihipStream_tbENKUlT_T0_E_clISt17integral_constantIbLb0EESV_IbLb1EEEEDaSR_SS_EUlSR_E0_NS1_11comp_targetILNS1_3genE3ELNS1_11target_archE908ELNS1_3gpuE7ELNS1_3repE0EEENS1_30default_config_static_selectorELNS0_4arch9wavefront6targetE1EEEvT1_,comdat
	.globl	_ZN7rocprim17ROCPRIM_400000_NS6detail17trampoline_kernelINS0_14default_configENS1_20scan_config_selectorIdEEZZNS1_9scan_implILNS1_25lookback_scan_determinismE0ELb0ELb0ES3_PKdPddZZZN2at6native31launch_logcumsumexp_cuda_kernelERKNSB_10TensorBaseESF_lENKUlvE_clEvENKUlvE_clEvEUlddE_dEEDaPvRmT3_T4_T5_mT6_P12ihipStream_tbENKUlT_T0_E_clISt17integral_constantIbLb0EESV_IbLb1EEEEDaSR_SS_EUlSR_E0_NS1_11comp_targetILNS1_3genE3ELNS1_11target_archE908ELNS1_3gpuE7ELNS1_3repE0EEENS1_30default_config_static_selectorELNS0_4arch9wavefront6targetE1EEEvT1_ ; -- Begin function _ZN7rocprim17ROCPRIM_400000_NS6detail17trampoline_kernelINS0_14default_configENS1_20scan_config_selectorIdEEZZNS1_9scan_implILNS1_25lookback_scan_determinismE0ELb0ELb0ES3_PKdPddZZZN2at6native31launch_logcumsumexp_cuda_kernelERKNSB_10TensorBaseESF_lENKUlvE_clEvENKUlvE_clEvEUlddE_dEEDaPvRmT3_T4_T5_mT6_P12ihipStream_tbENKUlT_T0_E_clISt17integral_constantIbLb0EESV_IbLb1EEEEDaSR_SS_EUlSR_E0_NS1_11comp_targetILNS1_3genE3ELNS1_11target_archE908ELNS1_3gpuE7ELNS1_3repE0EEENS1_30default_config_static_selectorELNS0_4arch9wavefront6targetE1EEEvT1_
	.p2align	8
	.type	_ZN7rocprim17ROCPRIM_400000_NS6detail17trampoline_kernelINS0_14default_configENS1_20scan_config_selectorIdEEZZNS1_9scan_implILNS1_25lookback_scan_determinismE0ELb0ELb0ES3_PKdPddZZZN2at6native31launch_logcumsumexp_cuda_kernelERKNSB_10TensorBaseESF_lENKUlvE_clEvENKUlvE_clEvEUlddE_dEEDaPvRmT3_T4_T5_mT6_P12ihipStream_tbENKUlT_T0_E_clISt17integral_constantIbLb0EESV_IbLb1EEEEDaSR_SS_EUlSR_E0_NS1_11comp_targetILNS1_3genE3ELNS1_11target_archE908ELNS1_3gpuE7ELNS1_3repE0EEENS1_30default_config_static_selectorELNS0_4arch9wavefront6targetE1EEEvT1_,@function
_ZN7rocprim17ROCPRIM_400000_NS6detail17trampoline_kernelINS0_14default_configENS1_20scan_config_selectorIdEEZZNS1_9scan_implILNS1_25lookback_scan_determinismE0ELb0ELb0ES3_PKdPddZZZN2at6native31launch_logcumsumexp_cuda_kernelERKNSB_10TensorBaseESF_lENKUlvE_clEvENKUlvE_clEvEUlddE_dEEDaPvRmT3_T4_T5_mT6_P12ihipStream_tbENKUlT_T0_E_clISt17integral_constantIbLb0EESV_IbLb1EEEEDaSR_SS_EUlSR_E0_NS1_11comp_targetILNS1_3genE3ELNS1_11target_archE908ELNS1_3gpuE7ELNS1_3repE0EEENS1_30default_config_static_selectorELNS0_4arch9wavefront6targetE1EEEvT1_: ; @_ZN7rocprim17ROCPRIM_400000_NS6detail17trampoline_kernelINS0_14default_configENS1_20scan_config_selectorIdEEZZNS1_9scan_implILNS1_25lookback_scan_determinismE0ELb0ELb0ES3_PKdPddZZZN2at6native31launch_logcumsumexp_cuda_kernelERKNSB_10TensorBaseESF_lENKUlvE_clEvENKUlvE_clEvEUlddE_dEEDaPvRmT3_T4_T5_mT6_P12ihipStream_tbENKUlT_T0_E_clISt17integral_constantIbLb0EESV_IbLb1EEEEDaSR_SS_EUlSR_E0_NS1_11comp_targetILNS1_3genE3ELNS1_11target_archE908ELNS1_3gpuE7ELNS1_3repE0EEENS1_30default_config_static_selectorELNS0_4arch9wavefront6targetE1EEEvT1_
; %bb.0:
	.section	.rodata,"a",@progbits
	.p2align	6, 0x0
	.amdhsa_kernel _ZN7rocprim17ROCPRIM_400000_NS6detail17trampoline_kernelINS0_14default_configENS1_20scan_config_selectorIdEEZZNS1_9scan_implILNS1_25lookback_scan_determinismE0ELb0ELb0ES3_PKdPddZZZN2at6native31launch_logcumsumexp_cuda_kernelERKNSB_10TensorBaseESF_lENKUlvE_clEvENKUlvE_clEvEUlddE_dEEDaPvRmT3_T4_T5_mT6_P12ihipStream_tbENKUlT_T0_E_clISt17integral_constantIbLb0EESV_IbLb1EEEEDaSR_SS_EUlSR_E0_NS1_11comp_targetILNS1_3genE3ELNS1_11target_archE908ELNS1_3gpuE7ELNS1_3repE0EEENS1_30default_config_static_selectorELNS0_4arch9wavefront6targetE1EEEvT1_
		.amdhsa_group_segment_fixed_size 0
		.amdhsa_private_segment_fixed_size 0
		.amdhsa_kernarg_size 40
		.amdhsa_user_sgpr_count 6
		.amdhsa_user_sgpr_private_segment_buffer 1
		.amdhsa_user_sgpr_dispatch_ptr 0
		.amdhsa_user_sgpr_queue_ptr 0
		.amdhsa_user_sgpr_kernarg_segment_ptr 1
		.amdhsa_user_sgpr_dispatch_id 0
		.amdhsa_user_sgpr_flat_scratch_init 0
		.amdhsa_user_sgpr_kernarg_preload_length 0
		.amdhsa_user_sgpr_kernarg_preload_offset 0
		.amdhsa_user_sgpr_private_segment_size 0
		.amdhsa_uses_dynamic_stack 0
		.amdhsa_system_sgpr_private_segment_wavefront_offset 0
		.amdhsa_system_sgpr_workgroup_id_x 1
		.amdhsa_system_sgpr_workgroup_id_y 0
		.amdhsa_system_sgpr_workgroup_id_z 0
		.amdhsa_system_sgpr_workgroup_info 0
		.amdhsa_system_vgpr_workitem_id 0
		.amdhsa_next_free_vgpr 1
		.amdhsa_next_free_sgpr 0
		.amdhsa_accum_offset 4
		.amdhsa_reserve_vcc 0
		.amdhsa_reserve_flat_scratch 0
		.amdhsa_float_round_mode_32 0
		.amdhsa_float_round_mode_16_64 0
		.amdhsa_float_denorm_mode_32 3
		.amdhsa_float_denorm_mode_16_64 3
		.amdhsa_dx10_clamp 1
		.amdhsa_ieee_mode 1
		.amdhsa_fp16_overflow 0
		.amdhsa_tg_split 0
		.amdhsa_exception_fp_ieee_invalid_op 0
		.amdhsa_exception_fp_denorm_src 0
		.amdhsa_exception_fp_ieee_div_zero 0
		.amdhsa_exception_fp_ieee_overflow 0
		.amdhsa_exception_fp_ieee_underflow 0
		.amdhsa_exception_fp_ieee_inexact 0
		.amdhsa_exception_int_div_zero 0
	.end_amdhsa_kernel
	.section	.text._ZN7rocprim17ROCPRIM_400000_NS6detail17trampoline_kernelINS0_14default_configENS1_20scan_config_selectorIdEEZZNS1_9scan_implILNS1_25lookback_scan_determinismE0ELb0ELb0ES3_PKdPddZZZN2at6native31launch_logcumsumexp_cuda_kernelERKNSB_10TensorBaseESF_lENKUlvE_clEvENKUlvE_clEvEUlddE_dEEDaPvRmT3_T4_T5_mT6_P12ihipStream_tbENKUlT_T0_E_clISt17integral_constantIbLb0EESV_IbLb1EEEEDaSR_SS_EUlSR_E0_NS1_11comp_targetILNS1_3genE3ELNS1_11target_archE908ELNS1_3gpuE7ELNS1_3repE0EEENS1_30default_config_static_selectorELNS0_4arch9wavefront6targetE1EEEvT1_,"axG",@progbits,_ZN7rocprim17ROCPRIM_400000_NS6detail17trampoline_kernelINS0_14default_configENS1_20scan_config_selectorIdEEZZNS1_9scan_implILNS1_25lookback_scan_determinismE0ELb0ELb0ES3_PKdPddZZZN2at6native31launch_logcumsumexp_cuda_kernelERKNSB_10TensorBaseESF_lENKUlvE_clEvENKUlvE_clEvEUlddE_dEEDaPvRmT3_T4_T5_mT6_P12ihipStream_tbENKUlT_T0_E_clISt17integral_constantIbLb0EESV_IbLb1EEEEDaSR_SS_EUlSR_E0_NS1_11comp_targetILNS1_3genE3ELNS1_11target_archE908ELNS1_3gpuE7ELNS1_3repE0EEENS1_30default_config_static_selectorELNS0_4arch9wavefront6targetE1EEEvT1_,comdat
.Lfunc_end78:
	.size	_ZN7rocprim17ROCPRIM_400000_NS6detail17trampoline_kernelINS0_14default_configENS1_20scan_config_selectorIdEEZZNS1_9scan_implILNS1_25lookback_scan_determinismE0ELb0ELb0ES3_PKdPddZZZN2at6native31launch_logcumsumexp_cuda_kernelERKNSB_10TensorBaseESF_lENKUlvE_clEvENKUlvE_clEvEUlddE_dEEDaPvRmT3_T4_T5_mT6_P12ihipStream_tbENKUlT_T0_E_clISt17integral_constantIbLb0EESV_IbLb1EEEEDaSR_SS_EUlSR_E0_NS1_11comp_targetILNS1_3genE3ELNS1_11target_archE908ELNS1_3gpuE7ELNS1_3repE0EEENS1_30default_config_static_selectorELNS0_4arch9wavefront6targetE1EEEvT1_, .Lfunc_end78-_ZN7rocprim17ROCPRIM_400000_NS6detail17trampoline_kernelINS0_14default_configENS1_20scan_config_selectorIdEEZZNS1_9scan_implILNS1_25lookback_scan_determinismE0ELb0ELb0ES3_PKdPddZZZN2at6native31launch_logcumsumexp_cuda_kernelERKNSB_10TensorBaseESF_lENKUlvE_clEvENKUlvE_clEvEUlddE_dEEDaPvRmT3_T4_T5_mT6_P12ihipStream_tbENKUlT_T0_E_clISt17integral_constantIbLb0EESV_IbLb1EEEEDaSR_SS_EUlSR_E0_NS1_11comp_targetILNS1_3genE3ELNS1_11target_archE908ELNS1_3gpuE7ELNS1_3repE0EEENS1_30default_config_static_selectorELNS0_4arch9wavefront6targetE1EEEvT1_
                                        ; -- End function
	.section	.AMDGPU.csdata,"",@progbits
; Kernel info:
; codeLenInByte = 0
; NumSgprs: 4
; NumVgprs: 0
; NumAgprs: 0
; TotalNumVgprs: 0
; ScratchSize: 0
; MemoryBound: 0
; FloatMode: 240
; IeeeMode: 1
; LDSByteSize: 0 bytes/workgroup (compile time only)
; SGPRBlocks: 0
; VGPRBlocks: 0
; NumSGPRsForWavesPerEU: 4
; NumVGPRsForWavesPerEU: 1
; AccumOffset: 4
; Occupancy: 8
; WaveLimiterHint : 0
; COMPUTE_PGM_RSRC2:SCRATCH_EN: 0
; COMPUTE_PGM_RSRC2:USER_SGPR: 6
; COMPUTE_PGM_RSRC2:TRAP_HANDLER: 0
; COMPUTE_PGM_RSRC2:TGID_X_EN: 1
; COMPUTE_PGM_RSRC2:TGID_Y_EN: 0
; COMPUTE_PGM_RSRC2:TGID_Z_EN: 0
; COMPUTE_PGM_RSRC2:TIDIG_COMP_CNT: 0
; COMPUTE_PGM_RSRC3_GFX90A:ACCUM_OFFSET: 0
; COMPUTE_PGM_RSRC3_GFX90A:TG_SPLIT: 0
	.section	.text._ZN7rocprim17ROCPRIM_400000_NS6detail17trampoline_kernelINS0_14default_configENS1_20scan_config_selectorIdEEZZNS1_9scan_implILNS1_25lookback_scan_determinismE0ELb0ELb0ES3_PKdPddZZZN2at6native31launch_logcumsumexp_cuda_kernelERKNSB_10TensorBaseESF_lENKUlvE_clEvENKUlvE_clEvEUlddE_dEEDaPvRmT3_T4_T5_mT6_P12ihipStream_tbENKUlT_T0_E_clISt17integral_constantIbLb0EESV_IbLb1EEEEDaSR_SS_EUlSR_E0_NS1_11comp_targetILNS1_3genE2ELNS1_11target_archE906ELNS1_3gpuE6ELNS1_3repE0EEENS1_30default_config_static_selectorELNS0_4arch9wavefront6targetE1EEEvT1_,"axG",@progbits,_ZN7rocprim17ROCPRIM_400000_NS6detail17trampoline_kernelINS0_14default_configENS1_20scan_config_selectorIdEEZZNS1_9scan_implILNS1_25lookback_scan_determinismE0ELb0ELb0ES3_PKdPddZZZN2at6native31launch_logcumsumexp_cuda_kernelERKNSB_10TensorBaseESF_lENKUlvE_clEvENKUlvE_clEvEUlddE_dEEDaPvRmT3_T4_T5_mT6_P12ihipStream_tbENKUlT_T0_E_clISt17integral_constantIbLb0EESV_IbLb1EEEEDaSR_SS_EUlSR_E0_NS1_11comp_targetILNS1_3genE2ELNS1_11target_archE906ELNS1_3gpuE6ELNS1_3repE0EEENS1_30default_config_static_selectorELNS0_4arch9wavefront6targetE1EEEvT1_,comdat
	.globl	_ZN7rocprim17ROCPRIM_400000_NS6detail17trampoline_kernelINS0_14default_configENS1_20scan_config_selectorIdEEZZNS1_9scan_implILNS1_25lookback_scan_determinismE0ELb0ELb0ES3_PKdPddZZZN2at6native31launch_logcumsumexp_cuda_kernelERKNSB_10TensorBaseESF_lENKUlvE_clEvENKUlvE_clEvEUlddE_dEEDaPvRmT3_T4_T5_mT6_P12ihipStream_tbENKUlT_T0_E_clISt17integral_constantIbLb0EESV_IbLb1EEEEDaSR_SS_EUlSR_E0_NS1_11comp_targetILNS1_3genE2ELNS1_11target_archE906ELNS1_3gpuE6ELNS1_3repE0EEENS1_30default_config_static_selectorELNS0_4arch9wavefront6targetE1EEEvT1_ ; -- Begin function _ZN7rocprim17ROCPRIM_400000_NS6detail17trampoline_kernelINS0_14default_configENS1_20scan_config_selectorIdEEZZNS1_9scan_implILNS1_25lookback_scan_determinismE0ELb0ELb0ES3_PKdPddZZZN2at6native31launch_logcumsumexp_cuda_kernelERKNSB_10TensorBaseESF_lENKUlvE_clEvENKUlvE_clEvEUlddE_dEEDaPvRmT3_T4_T5_mT6_P12ihipStream_tbENKUlT_T0_E_clISt17integral_constantIbLb0EESV_IbLb1EEEEDaSR_SS_EUlSR_E0_NS1_11comp_targetILNS1_3genE2ELNS1_11target_archE906ELNS1_3gpuE6ELNS1_3repE0EEENS1_30default_config_static_selectorELNS0_4arch9wavefront6targetE1EEEvT1_
	.p2align	8
	.type	_ZN7rocprim17ROCPRIM_400000_NS6detail17trampoline_kernelINS0_14default_configENS1_20scan_config_selectorIdEEZZNS1_9scan_implILNS1_25lookback_scan_determinismE0ELb0ELb0ES3_PKdPddZZZN2at6native31launch_logcumsumexp_cuda_kernelERKNSB_10TensorBaseESF_lENKUlvE_clEvENKUlvE_clEvEUlddE_dEEDaPvRmT3_T4_T5_mT6_P12ihipStream_tbENKUlT_T0_E_clISt17integral_constantIbLb0EESV_IbLb1EEEEDaSR_SS_EUlSR_E0_NS1_11comp_targetILNS1_3genE2ELNS1_11target_archE906ELNS1_3gpuE6ELNS1_3repE0EEENS1_30default_config_static_selectorELNS0_4arch9wavefront6targetE1EEEvT1_,@function
_ZN7rocprim17ROCPRIM_400000_NS6detail17trampoline_kernelINS0_14default_configENS1_20scan_config_selectorIdEEZZNS1_9scan_implILNS1_25lookback_scan_determinismE0ELb0ELb0ES3_PKdPddZZZN2at6native31launch_logcumsumexp_cuda_kernelERKNSB_10TensorBaseESF_lENKUlvE_clEvENKUlvE_clEvEUlddE_dEEDaPvRmT3_T4_T5_mT6_P12ihipStream_tbENKUlT_T0_E_clISt17integral_constantIbLb0EESV_IbLb1EEEEDaSR_SS_EUlSR_E0_NS1_11comp_targetILNS1_3genE2ELNS1_11target_archE906ELNS1_3gpuE6ELNS1_3repE0EEENS1_30default_config_static_selectorELNS0_4arch9wavefront6targetE1EEEvT1_: ; @_ZN7rocprim17ROCPRIM_400000_NS6detail17trampoline_kernelINS0_14default_configENS1_20scan_config_selectorIdEEZZNS1_9scan_implILNS1_25lookback_scan_determinismE0ELb0ELb0ES3_PKdPddZZZN2at6native31launch_logcumsumexp_cuda_kernelERKNSB_10TensorBaseESF_lENKUlvE_clEvENKUlvE_clEvEUlddE_dEEDaPvRmT3_T4_T5_mT6_P12ihipStream_tbENKUlT_T0_E_clISt17integral_constantIbLb0EESV_IbLb1EEEEDaSR_SS_EUlSR_E0_NS1_11comp_targetILNS1_3genE2ELNS1_11target_archE906ELNS1_3gpuE6ELNS1_3repE0EEENS1_30default_config_static_selectorELNS0_4arch9wavefront6targetE1EEEvT1_
; %bb.0:
	.section	.rodata,"a",@progbits
	.p2align	6, 0x0
	.amdhsa_kernel _ZN7rocprim17ROCPRIM_400000_NS6detail17trampoline_kernelINS0_14default_configENS1_20scan_config_selectorIdEEZZNS1_9scan_implILNS1_25lookback_scan_determinismE0ELb0ELb0ES3_PKdPddZZZN2at6native31launch_logcumsumexp_cuda_kernelERKNSB_10TensorBaseESF_lENKUlvE_clEvENKUlvE_clEvEUlddE_dEEDaPvRmT3_T4_T5_mT6_P12ihipStream_tbENKUlT_T0_E_clISt17integral_constantIbLb0EESV_IbLb1EEEEDaSR_SS_EUlSR_E0_NS1_11comp_targetILNS1_3genE2ELNS1_11target_archE906ELNS1_3gpuE6ELNS1_3repE0EEENS1_30default_config_static_selectorELNS0_4arch9wavefront6targetE1EEEvT1_
		.amdhsa_group_segment_fixed_size 0
		.amdhsa_private_segment_fixed_size 0
		.amdhsa_kernarg_size 40
		.amdhsa_user_sgpr_count 6
		.amdhsa_user_sgpr_private_segment_buffer 1
		.amdhsa_user_sgpr_dispatch_ptr 0
		.amdhsa_user_sgpr_queue_ptr 0
		.amdhsa_user_sgpr_kernarg_segment_ptr 1
		.amdhsa_user_sgpr_dispatch_id 0
		.amdhsa_user_sgpr_flat_scratch_init 0
		.amdhsa_user_sgpr_kernarg_preload_length 0
		.amdhsa_user_sgpr_kernarg_preload_offset 0
		.amdhsa_user_sgpr_private_segment_size 0
		.amdhsa_uses_dynamic_stack 0
		.amdhsa_system_sgpr_private_segment_wavefront_offset 0
		.amdhsa_system_sgpr_workgroup_id_x 1
		.amdhsa_system_sgpr_workgroup_id_y 0
		.amdhsa_system_sgpr_workgroup_id_z 0
		.amdhsa_system_sgpr_workgroup_info 0
		.amdhsa_system_vgpr_workitem_id 0
		.amdhsa_next_free_vgpr 1
		.amdhsa_next_free_sgpr 0
		.amdhsa_accum_offset 4
		.amdhsa_reserve_vcc 0
		.amdhsa_reserve_flat_scratch 0
		.amdhsa_float_round_mode_32 0
		.amdhsa_float_round_mode_16_64 0
		.amdhsa_float_denorm_mode_32 3
		.amdhsa_float_denorm_mode_16_64 3
		.amdhsa_dx10_clamp 1
		.amdhsa_ieee_mode 1
		.amdhsa_fp16_overflow 0
		.amdhsa_tg_split 0
		.amdhsa_exception_fp_ieee_invalid_op 0
		.amdhsa_exception_fp_denorm_src 0
		.amdhsa_exception_fp_ieee_div_zero 0
		.amdhsa_exception_fp_ieee_overflow 0
		.amdhsa_exception_fp_ieee_underflow 0
		.amdhsa_exception_fp_ieee_inexact 0
		.amdhsa_exception_int_div_zero 0
	.end_amdhsa_kernel
	.section	.text._ZN7rocprim17ROCPRIM_400000_NS6detail17trampoline_kernelINS0_14default_configENS1_20scan_config_selectorIdEEZZNS1_9scan_implILNS1_25lookback_scan_determinismE0ELb0ELb0ES3_PKdPddZZZN2at6native31launch_logcumsumexp_cuda_kernelERKNSB_10TensorBaseESF_lENKUlvE_clEvENKUlvE_clEvEUlddE_dEEDaPvRmT3_T4_T5_mT6_P12ihipStream_tbENKUlT_T0_E_clISt17integral_constantIbLb0EESV_IbLb1EEEEDaSR_SS_EUlSR_E0_NS1_11comp_targetILNS1_3genE2ELNS1_11target_archE906ELNS1_3gpuE6ELNS1_3repE0EEENS1_30default_config_static_selectorELNS0_4arch9wavefront6targetE1EEEvT1_,"axG",@progbits,_ZN7rocprim17ROCPRIM_400000_NS6detail17trampoline_kernelINS0_14default_configENS1_20scan_config_selectorIdEEZZNS1_9scan_implILNS1_25lookback_scan_determinismE0ELb0ELb0ES3_PKdPddZZZN2at6native31launch_logcumsumexp_cuda_kernelERKNSB_10TensorBaseESF_lENKUlvE_clEvENKUlvE_clEvEUlddE_dEEDaPvRmT3_T4_T5_mT6_P12ihipStream_tbENKUlT_T0_E_clISt17integral_constantIbLb0EESV_IbLb1EEEEDaSR_SS_EUlSR_E0_NS1_11comp_targetILNS1_3genE2ELNS1_11target_archE906ELNS1_3gpuE6ELNS1_3repE0EEENS1_30default_config_static_selectorELNS0_4arch9wavefront6targetE1EEEvT1_,comdat
.Lfunc_end79:
	.size	_ZN7rocprim17ROCPRIM_400000_NS6detail17trampoline_kernelINS0_14default_configENS1_20scan_config_selectorIdEEZZNS1_9scan_implILNS1_25lookback_scan_determinismE0ELb0ELb0ES3_PKdPddZZZN2at6native31launch_logcumsumexp_cuda_kernelERKNSB_10TensorBaseESF_lENKUlvE_clEvENKUlvE_clEvEUlddE_dEEDaPvRmT3_T4_T5_mT6_P12ihipStream_tbENKUlT_T0_E_clISt17integral_constantIbLb0EESV_IbLb1EEEEDaSR_SS_EUlSR_E0_NS1_11comp_targetILNS1_3genE2ELNS1_11target_archE906ELNS1_3gpuE6ELNS1_3repE0EEENS1_30default_config_static_selectorELNS0_4arch9wavefront6targetE1EEEvT1_, .Lfunc_end79-_ZN7rocprim17ROCPRIM_400000_NS6detail17trampoline_kernelINS0_14default_configENS1_20scan_config_selectorIdEEZZNS1_9scan_implILNS1_25lookback_scan_determinismE0ELb0ELb0ES3_PKdPddZZZN2at6native31launch_logcumsumexp_cuda_kernelERKNSB_10TensorBaseESF_lENKUlvE_clEvENKUlvE_clEvEUlddE_dEEDaPvRmT3_T4_T5_mT6_P12ihipStream_tbENKUlT_T0_E_clISt17integral_constantIbLb0EESV_IbLb1EEEEDaSR_SS_EUlSR_E0_NS1_11comp_targetILNS1_3genE2ELNS1_11target_archE906ELNS1_3gpuE6ELNS1_3repE0EEENS1_30default_config_static_selectorELNS0_4arch9wavefront6targetE1EEEvT1_
                                        ; -- End function
	.section	.AMDGPU.csdata,"",@progbits
; Kernel info:
; codeLenInByte = 0
; NumSgprs: 4
; NumVgprs: 0
; NumAgprs: 0
; TotalNumVgprs: 0
; ScratchSize: 0
; MemoryBound: 0
; FloatMode: 240
; IeeeMode: 1
; LDSByteSize: 0 bytes/workgroup (compile time only)
; SGPRBlocks: 0
; VGPRBlocks: 0
; NumSGPRsForWavesPerEU: 4
; NumVGPRsForWavesPerEU: 1
; AccumOffset: 4
; Occupancy: 8
; WaveLimiterHint : 0
; COMPUTE_PGM_RSRC2:SCRATCH_EN: 0
; COMPUTE_PGM_RSRC2:USER_SGPR: 6
; COMPUTE_PGM_RSRC2:TRAP_HANDLER: 0
; COMPUTE_PGM_RSRC2:TGID_X_EN: 1
; COMPUTE_PGM_RSRC2:TGID_Y_EN: 0
; COMPUTE_PGM_RSRC2:TGID_Z_EN: 0
; COMPUTE_PGM_RSRC2:TIDIG_COMP_CNT: 0
; COMPUTE_PGM_RSRC3_GFX90A:ACCUM_OFFSET: 0
; COMPUTE_PGM_RSRC3_GFX90A:TG_SPLIT: 0
	.section	.text._ZN7rocprim17ROCPRIM_400000_NS6detail17trampoline_kernelINS0_14default_configENS1_20scan_config_selectorIdEEZZNS1_9scan_implILNS1_25lookback_scan_determinismE0ELb0ELb0ES3_PKdPddZZZN2at6native31launch_logcumsumexp_cuda_kernelERKNSB_10TensorBaseESF_lENKUlvE_clEvENKUlvE_clEvEUlddE_dEEDaPvRmT3_T4_T5_mT6_P12ihipStream_tbENKUlT_T0_E_clISt17integral_constantIbLb0EESV_IbLb1EEEEDaSR_SS_EUlSR_E0_NS1_11comp_targetILNS1_3genE10ELNS1_11target_archE1201ELNS1_3gpuE5ELNS1_3repE0EEENS1_30default_config_static_selectorELNS0_4arch9wavefront6targetE1EEEvT1_,"axG",@progbits,_ZN7rocprim17ROCPRIM_400000_NS6detail17trampoline_kernelINS0_14default_configENS1_20scan_config_selectorIdEEZZNS1_9scan_implILNS1_25lookback_scan_determinismE0ELb0ELb0ES3_PKdPddZZZN2at6native31launch_logcumsumexp_cuda_kernelERKNSB_10TensorBaseESF_lENKUlvE_clEvENKUlvE_clEvEUlddE_dEEDaPvRmT3_T4_T5_mT6_P12ihipStream_tbENKUlT_T0_E_clISt17integral_constantIbLb0EESV_IbLb1EEEEDaSR_SS_EUlSR_E0_NS1_11comp_targetILNS1_3genE10ELNS1_11target_archE1201ELNS1_3gpuE5ELNS1_3repE0EEENS1_30default_config_static_selectorELNS0_4arch9wavefront6targetE1EEEvT1_,comdat
	.globl	_ZN7rocprim17ROCPRIM_400000_NS6detail17trampoline_kernelINS0_14default_configENS1_20scan_config_selectorIdEEZZNS1_9scan_implILNS1_25lookback_scan_determinismE0ELb0ELb0ES3_PKdPddZZZN2at6native31launch_logcumsumexp_cuda_kernelERKNSB_10TensorBaseESF_lENKUlvE_clEvENKUlvE_clEvEUlddE_dEEDaPvRmT3_T4_T5_mT6_P12ihipStream_tbENKUlT_T0_E_clISt17integral_constantIbLb0EESV_IbLb1EEEEDaSR_SS_EUlSR_E0_NS1_11comp_targetILNS1_3genE10ELNS1_11target_archE1201ELNS1_3gpuE5ELNS1_3repE0EEENS1_30default_config_static_selectorELNS0_4arch9wavefront6targetE1EEEvT1_ ; -- Begin function _ZN7rocprim17ROCPRIM_400000_NS6detail17trampoline_kernelINS0_14default_configENS1_20scan_config_selectorIdEEZZNS1_9scan_implILNS1_25lookback_scan_determinismE0ELb0ELb0ES3_PKdPddZZZN2at6native31launch_logcumsumexp_cuda_kernelERKNSB_10TensorBaseESF_lENKUlvE_clEvENKUlvE_clEvEUlddE_dEEDaPvRmT3_T4_T5_mT6_P12ihipStream_tbENKUlT_T0_E_clISt17integral_constantIbLb0EESV_IbLb1EEEEDaSR_SS_EUlSR_E0_NS1_11comp_targetILNS1_3genE10ELNS1_11target_archE1201ELNS1_3gpuE5ELNS1_3repE0EEENS1_30default_config_static_selectorELNS0_4arch9wavefront6targetE1EEEvT1_
	.p2align	8
	.type	_ZN7rocprim17ROCPRIM_400000_NS6detail17trampoline_kernelINS0_14default_configENS1_20scan_config_selectorIdEEZZNS1_9scan_implILNS1_25lookback_scan_determinismE0ELb0ELb0ES3_PKdPddZZZN2at6native31launch_logcumsumexp_cuda_kernelERKNSB_10TensorBaseESF_lENKUlvE_clEvENKUlvE_clEvEUlddE_dEEDaPvRmT3_T4_T5_mT6_P12ihipStream_tbENKUlT_T0_E_clISt17integral_constantIbLb0EESV_IbLb1EEEEDaSR_SS_EUlSR_E0_NS1_11comp_targetILNS1_3genE10ELNS1_11target_archE1201ELNS1_3gpuE5ELNS1_3repE0EEENS1_30default_config_static_selectorELNS0_4arch9wavefront6targetE1EEEvT1_,@function
_ZN7rocprim17ROCPRIM_400000_NS6detail17trampoline_kernelINS0_14default_configENS1_20scan_config_selectorIdEEZZNS1_9scan_implILNS1_25lookback_scan_determinismE0ELb0ELb0ES3_PKdPddZZZN2at6native31launch_logcumsumexp_cuda_kernelERKNSB_10TensorBaseESF_lENKUlvE_clEvENKUlvE_clEvEUlddE_dEEDaPvRmT3_T4_T5_mT6_P12ihipStream_tbENKUlT_T0_E_clISt17integral_constantIbLb0EESV_IbLb1EEEEDaSR_SS_EUlSR_E0_NS1_11comp_targetILNS1_3genE10ELNS1_11target_archE1201ELNS1_3gpuE5ELNS1_3repE0EEENS1_30default_config_static_selectorELNS0_4arch9wavefront6targetE1EEEvT1_: ; @_ZN7rocprim17ROCPRIM_400000_NS6detail17trampoline_kernelINS0_14default_configENS1_20scan_config_selectorIdEEZZNS1_9scan_implILNS1_25lookback_scan_determinismE0ELb0ELb0ES3_PKdPddZZZN2at6native31launch_logcumsumexp_cuda_kernelERKNSB_10TensorBaseESF_lENKUlvE_clEvENKUlvE_clEvEUlddE_dEEDaPvRmT3_T4_T5_mT6_P12ihipStream_tbENKUlT_T0_E_clISt17integral_constantIbLb0EESV_IbLb1EEEEDaSR_SS_EUlSR_E0_NS1_11comp_targetILNS1_3genE10ELNS1_11target_archE1201ELNS1_3gpuE5ELNS1_3repE0EEENS1_30default_config_static_selectorELNS0_4arch9wavefront6targetE1EEEvT1_
; %bb.0:
	.section	.rodata,"a",@progbits
	.p2align	6, 0x0
	.amdhsa_kernel _ZN7rocprim17ROCPRIM_400000_NS6detail17trampoline_kernelINS0_14default_configENS1_20scan_config_selectorIdEEZZNS1_9scan_implILNS1_25lookback_scan_determinismE0ELb0ELb0ES3_PKdPddZZZN2at6native31launch_logcumsumexp_cuda_kernelERKNSB_10TensorBaseESF_lENKUlvE_clEvENKUlvE_clEvEUlddE_dEEDaPvRmT3_T4_T5_mT6_P12ihipStream_tbENKUlT_T0_E_clISt17integral_constantIbLb0EESV_IbLb1EEEEDaSR_SS_EUlSR_E0_NS1_11comp_targetILNS1_3genE10ELNS1_11target_archE1201ELNS1_3gpuE5ELNS1_3repE0EEENS1_30default_config_static_selectorELNS0_4arch9wavefront6targetE1EEEvT1_
		.amdhsa_group_segment_fixed_size 0
		.amdhsa_private_segment_fixed_size 0
		.amdhsa_kernarg_size 40
		.amdhsa_user_sgpr_count 6
		.amdhsa_user_sgpr_private_segment_buffer 1
		.amdhsa_user_sgpr_dispatch_ptr 0
		.amdhsa_user_sgpr_queue_ptr 0
		.amdhsa_user_sgpr_kernarg_segment_ptr 1
		.amdhsa_user_sgpr_dispatch_id 0
		.amdhsa_user_sgpr_flat_scratch_init 0
		.amdhsa_user_sgpr_kernarg_preload_length 0
		.amdhsa_user_sgpr_kernarg_preload_offset 0
		.amdhsa_user_sgpr_private_segment_size 0
		.amdhsa_uses_dynamic_stack 0
		.amdhsa_system_sgpr_private_segment_wavefront_offset 0
		.amdhsa_system_sgpr_workgroup_id_x 1
		.amdhsa_system_sgpr_workgroup_id_y 0
		.amdhsa_system_sgpr_workgroup_id_z 0
		.amdhsa_system_sgpr_workgroup_info 0
		.amdhsa_system_vgpr_workitem_id 0
		.amdhsa_next_free_vgpr 1
		.amdhsa_next_free_sgpr 0
		.amdhsa_accum_offset 4
		.amdhsa_reserve_vcc 0
		.amdhsa_reserve_flat_scratch 0
		.amdhsa_float_round_mode_32 0
		.amdhsa_float_round_mode_16_64 0
		.amdhsa_float_denorm_mode_32 3
		.amdhsa_float_denorm_mode_16_64 3
		.amdhsa_dx10_clamp 1
		.amdhsa_ieee_mode 1
		.amdhsa_fp16_overflow 0
		.amdhsa_tg_split 0
		.amdhsa_exception_fp_ieee_invalid_op 0
		.amdhsa_exception_fp_denorm_src 0
		.amdhsa_exception_fp_ieee_div_zero 0
		.amdhsa_exception_fp_ieee_overflow 0
		.amdhsa_exception_fp_ieee_underflow 0
		.amdhsa_exception_fp_ieee_inexact 0
		.amdhsa_exception_int_div_zero 0
	.end_amdhsa_kernel
	.section	.text._ZN7rocprim17ROCPRIM_400000_NS6detail17trampoline_kernelINS0_14default_configENS1_20scan_config_selectorIdEEZZNS1_9scan_implILNS1_25lookback_scan_determinismE0ELb0ELb0ES3_PKdPddZZZN2at6native31launch_logcumsumexp_cuda_kernelERKNSB_10TensorBaseESF_lENKUlvE_clEvENKUlvE_clEvEUlddE_dEEDaPvRmT3_T4_T5_mT6_P12ihipStream_tbENKUlT_T0_E_clISt17integral_constantIbLb0EESV_IbLb1EEEEDaSR_SS_EUlSR_E0_NS1_11comp_targetILNS1_3genE10ELNS1_11target_archE1201ELNS1_3gpuE5ELNS1_3repE0EEENS1_30default_config_static_selectorELNS0_4arch9wavefront6targetE1EEEvT1_,"axG",@progbits,_ZN7rocprim17ROCPRIM_400000_NS6detail17trampoline_kernelINS0_14default_configENS1_20scan_config_selectorIdEEZZNS1_9scan_implILNS1_25lookback_scan_determinismE0ELb0ELb0ES3_PKdPddZZZN2at6native31launch_logcumsumexp_cuda_kernelERKNSB_10TensorBaseESF_lENKUlvE_clEvENKUlvE_clEvEUlddE_dEEDaPvRmT3_T4_T5_mT6_P12ihipStream_tbENKUlT_T0_E_clISt17integral_constantIbLb0EESV_IbLb1EEEEDaSR_SS_EUlSR_E0_NS1_11comp_targetILNS1_3genE10ELNS1_11target_archE1201ELNS1_3gpuE5ELNS1_3repE0EEENS1_30default_config_static_selectorELNS0_4arch9wavefront6targetE1EEEvT1_,comdat
.Lfunc_end80:
	.size	_ZN7rocprim17ROCPRIM_400000_NS6detail17trampoline_kernelINS0_14default_configENS1_20scan_config_selectorIdEEZZNS1_9scan_implILNS1_25lookback_scan_determinismE0ELb0ELb0ES3_PKdPddZZZN2at6native31launch_logcumsumexp_cuda_kernelERKNSB_10TensorBaseESF_lENKUlvE_clEvENKUlvE_clEvEUlddE_dEEDaPvRmT3_T4_T5_mT6_P12ihipStream_tbENKUlT_T0_E_clISt17integral_constantIbLb0EESV_IbLb1EEEEDaSR_SS_EUlSR_E0_NS1_11comp_targetILNS1_3genE10ELNS1_11target_archE1201ELNS1_3gpuE5ELNS1_3repE0EEENS1_30default_config_static_selectorELNS0_4arch9wavefront6targetE1EEEvT1_, .Lfunc_end80-_ZN7rocprim17ROCPRIM_400000_NS6detail17trampoline_kernelINS0_14default_configENS1_20scan_config_selectorIdEEZZNS1_9scan_implILNS1_25lookback_scan_determinismE0ELb0ELb0ES3_PKdPddZZZN2at6native31launch_logcumsumexp_cuda_kernelERKNSB_10TensorBaseESF_lENKUlvE_clEvENKUlvE_clEvEUlddE_dEEDaPvRmT3_T4_T5_mT6_P12ihipStream_tbENKUlT_T0_E_clISt17integral_constantIbLb0EESV_IbLb1EEEEDaSR_SS_EUlSR_E0_NS1_11comp_targetILNS1_3genE10ELNS1_11target_archE1201ELNS1_3gpuE5ELNS1_3repE0EEENS1_30default_config_static_selectorELNS0_4arch9wavefront6targetE1EEEvT1_
                                        ; -- End function
	.section	.AMDGPU.csdata,"",@progbits
; Kernel info:
; codeLenInByte = 0
; NumSgprs: 4
; NumVgprs: 0
; NumAgprs: 0
; TotalNumVgprs: 0
; ScratchSize: 0
; MemoryBound: 0
; FloatMode: 240
; IeeeMode: 1
; LDSByteSize: 0 bytes/workgroup (compile time only)
; SGPRBlocks: 0
; VGPRBlocks: 0
; NumSGPRsForWavesPerEU: 4
; NumVGPRsForWavesPerEU: 1
; AccumOffset: 4
; Occupancy: 8
; WaveLimiterHint : 0
; COMPUTE_PGM_RSRC2:SCRATCH_EN: 0
; COMPUTE_PGM_RSRC2:USER_SGPR: 6
; COMPUTE_PGM_RSRC2:TRAP_HANDLER: 0
; COMPUTE_PGM_RSRC2:TGID_X_EN: 1
; COMPUTE_PGM_RSRC2:TGID_Y_EN: 0
; COMPUTE_PGM_RSRC2:TGID_Z_EN: 0
; COMPUTE_PGM_RSRC2:TIDIG_COMP_CNT: 0
; COMPUTE_PGM_RSRC3_GFX90A:ACCUM_OFFSET: 0
; COMPUTE_PGM_RSRC3_GFX90A:TG_SPLIT: 0
	.section	.text._ZN7rocprim17ROCPRIM_400000_NS6detail17trampoline_kernelINS0_14default_configENS1_20scan_config_selectorIdEEZZNS1_9scan_implILNS1_25lookback_scan_determinismE0ELb0ELb0ES3_PKdPddZZZN2at6native31launch_logcumsumexp_cuda_kernelERKNSB_10TensorBaseESF_lENKUlvE_clEvENKUlvE_clEvEUlddE_dEEDaPvRmT3_T4_T5_mT6_P12ihipStream_tbENKUlT_T0_E_clISt17integral_constantIbLb0EESV_IbLb1EEEEDaSR_SS_EUlSR_E0_NS1_11comp_targetILNS1_3genE10ELNS1_11target_archE1200ELNS1_3gpuE4ELNS1_3repE0EEENS1_30default_config_static_selectorELNS0_4arch9wavefront6targetE1EEEvT1_,"axG",@progbits,_ZN7rocprim17ROCPRIM_400000_NS6detail17trampoline_kernelINS0_14default_configENS1_20scan_config_selectorIdEEZZNS1_9scan_implILNS1_25lookback_scan_determinismE0ELb0ELb0ES3_PKdPddZZZN2at6native31launch_logcumsumexp_cuda_kernelERKNSB_10TensorBaseESF_lENKUlvE_clEvENKUlvE_clEvEUlddE_dEEDaPvRmT3_T4_T5_mT6_P12ihipStream_tbENKUlT_T0_E_clISt17integral_constantIbLb0EESV_IbLb1EEEEDaSR_SS_EUlSR_E0_NS1_11comp_targetILNS1_3genE10ELNS1_11target_archE1200ELNS1_3gpuE4ELNS1_3repE0EEENS1_30default_config_static_selectorELNS0_4arch9wavefront6targetE1EEEvT1_,comdat
	.globl	_ZN7rocprim17ROCPRIM_400000_NS6detail17trampoline_kernelINS0_14default_configENS1_20scan_config_selectorIdEEZZNS1_9scan_implILNS1_25lookback_scan_determinismE0ELb0ELb0ES3_PKdPddZZZN2at6native31launch_logcumsumexp_cuda_kernelERKNSB_10TensorBaseESF_lENKUlvE_clEvENKUlvE_clEvEUlddE_dEEDaPvRmT3_T4_T5_mT6_P12ihipStream_tbENKUlT_T0_E_clISt17integral_constantIbLb0EESV_IbLb1EEEEDaSR_SS_EUlSR_E0_NS1_11comp_targetILNS1_3genE10ELNS1_11target_archE1200ELNS1_3gpuE4ELNS1_3repE0EEENS1_30default_config_static_selectorELNS0_4arch9wavefront6targetE1EEEvT1_ ; -- Begin function _ZN7rocprim17ROCPRIM_400000_NS6detail17trampoline_kernelINS0_14default_configENS1_20scan_config_selectorIdEEZZNS1_9scan_implILNS1_25lookback_scan_determinismE0ELb0ELb0ES3_PKdPddZZZN2at6native31launch_logcumsumexp_cuda_kernelERKNSB_10TensorBaseESF_lENKUlvE_clEvENKUlvE_clEvEUlddE_dEEDaPvRmT3_T4_T5_mT6_P12ihipStream_tbENKUlT_T0_E_clISt17integral_constantIbLb0EESV_IbLb1EEEEDaSR_SS_EUlSR_E0_NS1_11comp_targetILNS1_3genE10ELNS1_11target_archE1200ELNS1_3gpuE4ELNS1_3repE0EEENS1_30default_config_static_selectorELNS0_4arch9wavefront6targetE1EEEvT1_
	.p2align	8
	.type	_ZN7rocprim17ROCPRIM_400000_NS6detail17trampoline_kernelINS0_14default_configENS1_20scan_config_selectorIdEEZZNS1_9scan_implILNS1_25lookback_scan_determinismE0ELb0ELb0ES3_PKdPddZZZN2at6native31launch_logcumsumexp_cuda_kernelERKNSB_10TensorBaseESF_lENKUlvE_clEvENKUlvE_clEvEUlddE_dEEDaPvRmT3_T4_T5_mT6_P12ihipStream_tbENKUlT_T0_E_clISt17integral_constantIbLb0EESV_IbLb1EEEEDaSR_SS_EUlSR_E0_NS1_11comp_targetILNS1_3genE10ELNS1_11target_archE1200ELNS1_3gpuE4ELNS1_3repE0EEENS1_30default_config_static_selectorELNS0_4arch9wavefront6targetE1EEEvT1_,@function
_ZN7rocprim17ROCPRIM_400000_NS6detail17trampoline_kernelINS0_14default_configENS1_20scan_config_selectorIdEEZZNS1_9scan_implILNS1_25lookback_scan_determinismE0ELb0ELb0ES3_PKdPddZZZN2at6native31launch_logcumsumexp_cuda_kernelERKNSB_10TensorBaseESF_lENKUlvE_clEvENKUlvE_clEvEUlddE_dEEDaPvRmT3_T4_T5_mT6_P12ihipStream_tbENKUlT_T0_E_clISt17integral_constantIbLb0EESV_IbLb1EEEEDaSR_SS_EUlSR_E0_NS1_11comp_targetILNS1_3genE10ELNS1_11target_archE1200ELNS1_3gpuE4ELNS1_3repE0EEENS1_30default_config_static_selectorELNS0_4arch9wavefront6targetE1EEEvT1_: ; @_ZN7rocprim17ROCPRIM_400000_NS6detail17trampoline_kernelINS0_14default_configENS1_20scan_config_selectorIdEEZZNS1_9scan_implILNS1_25lookback_scan_determinismE0ELb0ELb0ES3_PKdPddZZZN2at6native31launch_logcumsumexp_cuda_kernelERKNSB_10TensorBaseESF_lENKUlvE_clEvENKUlvE_clEvEUlddE_dEEDaPvRmT3_T4_T5_mT6_P12ihipStream_tbENKUlT_T0_E_clISt17integral_constantIbLb0EESV_IbLb1EEEEDaSR_SS_EUlSR_E0_NS1_11comp_targetILNS1_3genE10ELNS1_11target_archE1200ELNS1_3gpuE4ELNS1_3repE0EEENS1_30default_config_static_selectorELNS0_4arch9wavefront6targetE1EEEvT1_
; %bb.0:
	.section	.rodata,"a",@progbits
	.p2align	6, 0x0
	.amdhsa_kernel _ZN7rocprim17ROCPRIM_400000_NS6detail17trampoline_kernelINS0_14default_configENS1_20scan_config_selectorIdEEZZNS1_9scan_implILNS1_25lookback_scan_determinismE0ELb0ELb0ES3_PKdPddZZZN2at6native31launch_logcumsumexp_cuda_kernelERKNSB_10TensorBaseESF_lENKUlvE_clEvENKUlvE_clEvEUlddE_dEEDaPvRmT3_T4_T5_mT6_P12ihipStream_tbENKUlT_T0_E_clISt17integral_constantIbLb0EESV_IbLb1EEEEDaSR_SS_EUlSR_E0_NS1_11comp_targetILNS1_3genE10ELNS1_11target_archE1200ELNS1_3gpuE4ELNS1_3repE0EEENS1_30default_config_static_selectorELNS0_4arch9wavefront6targetE1EEEvT1_
		.amdhsa_group_segment_fixed_size 0
		.amdhsa_private_segment_fixed_size 0
		.amdhsa_kernarg_size 40
		.amdhsa_user_sgpr_count 6
		.amdhsa_user_sgpr_private_segment_buffer 1
		.amdhsa_user_sgpr_dispatch_ptr 0
		.amdhsa_user_sgpr_queue_ptr 0
		.amdhsa_user_sgpr_kernarg_segment_ptr 1
		.amdhsa_user_sgpr_dispatch_id 0
		.amdhsa_user_sgpr_flat_scratch_init 0
		.amdhsa_user_sgpr_kernarg_preload_length 0
		.amdhsa_user_sgpr_kernarg_preload_offset 0
		.amdhsa_user_sgpr_private_segment_size 0
		.amdhsa_uses_dynamic_stack 0
		.amdhsa_system_sgpr_private_segment_wavefront_offset 0
		.amdhsa_system_sgpr_workgroup_id_x 1
		.amdhsa_system_sgpr_workgroup_id_y 0
		.amdhsa_system_sgpr_workgroup_id_z 0
		.amdhsa_system_sgpr_workgroup_info 0
		.amdhsa_system_vgpr_workitem_id 0
		.amdhsa_next_free_vgpr 1
		.amdhsa_next_free_sgpr 0
		.amdhsa_accum_offset 4
		.amdhsa_reserve_vcc 0
		.amdhsa_reserve_flat_scratch 0
		.amdhsa_float_round_mode_32 0
		.amdhsa_float_round_mode_16_64 0
		.amdhsa_float_denorm_mode_32 3
		.amdhsa_float_denorm_mode_16_64 3
		.amdhsa_dx10_clamp 1
		.amdhsa_ieee_mode 1
		.amdhsa_fp16_overflow 0
		.amdhsa_tg_split 0
		.amdhsa_exception_fp_ieee_invalid_op 0
		.amdhsa_exception_fp_denorm_src 0
		.amdhsa_exception_fp_ieee_div_zero 0
		.amdhsa_exception_fp_ieee_overflow 0
		.amdhsa_exception_fp_ieee_underflow 0
		.amdhsa_exception_fp_ieee_inexact 0
		.amdhsa_exception_int_div_zero 0
	.end_amdhsa_kernel
	.section	.text._ZN7rocprim17ROCPRIM_400000_NS6detail17trampoline_kernelINS0_14default_configENS1_20scan_config_selectorIdEEZZNS1_9scan_implILNS1_25lookback_scan_determinismE0ELb0ELb0ES3_PKdPddZZZN2at6native31launch_logcumsumexp_cuda_kernelERKNSB_10TensorBaseESF_lENKUlvE_clEvENKUlvE_clEvEUlddE_dEEDaPvRmT3_T4_T5_mT6_P12ihipStream_tbENKUlT_T0_E_clISt17integral_constantIbLb0EESV_IbLb1EEEEDaSR_SS_EUlSR_E0_NS1_11comp_targetILNS1_3genE10ELNS1_11target_archE1200ELNS1_3gpuE4ELNS1_3repE0EEENS1_30default_config_static_selectorELNS0_4arch9wavefront6targetE1EEEvT1_,"axG",@progbits,_ZN7rocprim17ROCPRIM_400000_NS6detail17trampoline_kernelINS0_14default_configENS1_20scan_config_selectorIdEEZZNS1_9scan_implILNS1_25lookback_scan_determinismE0ELb0ELb0ES3_PKdPddZZZN2at6native31launch_logcumsumexp_cuda_kernelERKNSB_10TensorBaseESF_lENKUlvE_clEvENKUlvE_clEvEUlddE_dEEDaPvRmT3_T4_T5_mT6_P12ihipStream_tbENKUlT_T0_E_clISt17integral_constantIbLb0EESV_IbLb1EEEEDaSR_SS_EUlSR_E0_NS1_11comp_targetILNS1_3genE10ELNS1_11target_archE1200ELNS1_3gpuE4ELNS1_3repE0EEENS1_30default_config_static_selectorELNS0_4arch9wavefront6targetE1EEEvT1_,comdat
.Lfunc_end81:
	.size	_ZN7rocprim17ROCPRIM_400000_NS6detail17trampoline_kernelINS0_14default_configENS1_20scan_config_selectorIdEEZZNS1_9scan_implILNS1_25lookback_scan_determinismE0ELb0ELb0ES3_PKdPddZZZN2at6native31launch_logcumsumexp_cuda_kernelERKNSB_10TensorBaseESF_lENKUlvE_clEvENKUlvE_clEvEUlddE_dEEDaPvRmT3_T4_T5_mT6_P12ihipStream_tbENKUlT_T0_E_clISt17integral_constantIbLb0EESV_IbLb1EEEEDaSR_SS_EUlSR_E0_NS1_11comp_targetILNS1_3genE10ELNS1_11target_archE1200ELNS1_3gpuE4ELNS1_3repE0EEENS1_30default_config_static_selectorELNS0_4arch9wavefront6targetE1EEEvT1_, .Lfunc_end81-_ZN7rocprim17ROCPRIM_400000_NS6detail17trampoline_kernelINS0_14default_configENS1_20scan_config_selectorIdEEZZNS1_9scan_implILNS1_25lookback_scan_determinismE0ELb0ELb0ES3_PKdPddZZZN2at6native31launch_logcumsumexp_cuda_kernelERKNSB_10TensorBaseESF_lENKUlvE_clEvENKUlvE_clEvEUlddE_dEEDaPvRmT3_T4_T5_mT6_P12ihipStream_tbENKUlT_T0_E_clISt17integral_constantIbLb0EESV_IbLb1EEEEDaSR_SS_EUlSR_E0_NS1_11comp_targetILNS1_3genE10ELNS1_11target_archE1200ELNS1_3gpuE4ELNS1_3repE0EEENS1_30default_config_static_selectorELNS0_4arch9wavefront6targetE1EEEvT1_
                                        ; -- End function
	.section	.AMDGPU.csdata,"",@progbits
; Kernel info:
; codeLenInByte = 0
; NumSgprs: 4
; NumVgprs: 0
; NumAgprs: 0
; TotalNumVgprs: 0
; ScratchSize: 0
; MemoryBound: 0
; FloatMode: 240
; IeeeMode: 1
; LDSByteSize: 0 bytes/workgroup (compile time only)
; SGPRBlocks: 0
; VGPRBlocks: 0
; NumSGPRsForWavesPerEU: 4
; NumVGPRsForWavesPerEU: 1
; AccumOffset: 4
; Occupancy: 8
; WaveLimiterHint : 0
; COMPUTE_PGM_RSRC2:SCRATCH_EN: 0
; COMPUTE_PGM_RSRC2:USER_SGPR: 6
; COMPUTE_PGM_RSRC2:TRAP_HANDLER: 0
; COMPUTE_PGM_RSRC2:TGID_X_EN: 1
; COMPUTE_PGM_RSRC2:TGID_Y_EN: 0
; COMPUTE_PGM_RSRC2:TGID_Z_EN: 0
; COMPUTE_PGM_RSRC2:TIDIG_COMP_CNT: 0
; COMPUTE_PGM_RSRC3_GFX90A:ACCUM_OFFSET: 0
; COMPUTE_PGM_RSRC3_GFX90A:TG_SPLIT: 0
	.section	.text._ZN7rocprim17ROCPRIM_400000_NS6detail17trampoline_kernelINS0_14default_configENS1_20scan_config_selectorIdEEZZNS1_9scan_implILNS1_25lookback_scan_determinismE0ELb0ELb0ES3_PKdPddZZZN2at6native31launch_logcumsumexp_cuda_kernelERKNSB_10TensorBaseESF_lENKUlvE_clEvENKUlvE_clEvEUlddE_dEEDaPvRmT3_T4_T5_mT6_P12ihipStream_tbENKUlT_T0_E_clISt17integral_constantIbLb0EESV_IbLb1EEEEDaSR_SS_EUlSR_E0_NS1_11comp_targetILNS1_3genE9ELNS1_11target_archE1100ELNS1_3gpuE3ELNS1_3repE0EEENS1_30default_config_static_selectorELNS0_4arch9wavefront6targetE1EEEvT1_,"axG",@progbits,_ZN7rocprim17ROCPRIM_400000_NS6detail17trampoline_kernelINS0_14default_configENS1_20scan_config_selectorIdEEZZNS1_9scan_implILNS1_25lookback_scan_determinismE0ELb0ELb0ES3_PKdPddZZZN2at6native31launch_logcumsumexp_cuda_kernelERKNSB_10TensorBaseESF_lENKUlvE_clEvENKUlvE_clEvEUlddE_dEEDaPvRmT3_T4_T5_mT6_P12ihipStream_tbENKUlT_T0_E_clISt17integral_constantIbLb0EESV_IbLb1EEEEDaSR_SS_EUlSR_E0_NS1_11comp_targetILNS1_3genE9ELNS1_11target_archE1100ELNS1_3gpuE3ELNS1_3repE0EEENS1_30default_config_static_selectorELNS0_4arch9wavefront6targetE1EEEvT1_,comdat
	.globl	_ZN7rocprim17ROCPRIM_400000_NS6detail17trampoline_kernelINS0_14default_configENS1_20scan_config_selectorIdEEZZNS1_9scan_implILNS1_25lookback_scan_determinismE0ELb0ELb0ES3_PKdPddZZZN2at6native31launch_logcumsumexp_cuda_kernelERKNSB_10TensorBaseESF_lENKUlvE_clEvENKUlvE_clEvEUlddE_dEEDaPvRmT3_T4_T5_mT6_P12ihipStream_tbENKUlT_T0_E_clISt17integral_constantIbLb0EESV_IbLb1EEEEDaSR_SS_EUlSR_E0_NS1_11comp_targetILNS1_3genE9ELNS1_11target_archE1100ELNS1_3gpuE3ELNS1_3repE0EEENS1_30default_config_static_selectorELNS0_4arch9wavefront6targetE1EEEvT1_ ; -- Begin function _ZN7rocprim17ROCPRIM_400000_NS6detail17trampoline_kernelINS0_14default_configENS1_20scan_config_selectorIdEEZZNS1_9scan_implILNS1_25lookback_scan_determinismE0ELb0ELb0ES3_PKdPddZZZN2at6native31launch_logcumsumexp_cuda_kernelERKNSB_10TensorBaseESF_lENKUlvE_clEvENKUlvE_clEvEUlddE_dEEDaPvRmT3_T4_T5_mT6_P12ihipStream_tbENKUlT_T0_E_clISt17integral_constantIbLb0EESV_IbLb1EEEEDaSR_SS_EUlSR_E0_NS1_11comp_targetILNS1_3genE9ELNS1_11target_archE1100ELNS1_3gpuE3ELNS1_3repE0EEENS1_30default_config_static_selectorELNS0_4arch9wavefront6targetE1EEEvT1_
	.p2align	8
	.type	_ZN7rocprim17ROCPRIM_400000_NS6detail17trampoline_kernelINS0_14default_configENS1_20scan_config_selectorIdEEZZNS1_9scan_implILNS1_25lookback_scan_determinismE0ELb0ELb0ES3_PKdPddZZZN2at6native31launch_logcumsumexp_cuda_kernelERKNSB_10TensorBaseESF_lENKUlvE_clEvENKUlvE_clEvEUlddE_dEEDaPvRmT3_T4_T5_mT6_P12ihipStream_tbENKUlT_T0_E_clISt17integral_constantIbLb0EESV_IbLb1EEEEDaSR_SS_EUlSR_E0_NS1_11comp_targetILNS1_3genE9ELNS1_11target_archE1100ELNS1_3gpuE3ELNS1_3repE0EEENS1_30default_config_static_selectorELNS0_4arch9wavefront6targetE1EEEvT1_,@function
_ZN7rocprim17ROCPRIM_400000_NS6detail17trampoline_kernelINS0_14default_configENS1_20scan_config_selectorIdEEZZNS1_9scan_implILNS1_25lookback_scan_determinismE0ELb0ELb0ES3_PKdPddZZZN2at6native31launch_logcumsumexp_cuda_kernelERKNSB_10TensorBaseESF_lENKUlvE_clEvENKUlvE_clEvEUlddE_dEEDaPvRmT3_T4_T5_mT6_P12ihipStream_tbENKUlT_T0_E_clISt17integral_constantIbLb0EESV_IbLb1EEEEDaSR_SS_EUlSR_E0_NS1_11comp_targetILNS1_3genE9ELNS1_11target_archE1100ELNS1_3gpuE3ELNS1_3repE0EEENS1_30default_config_static_selectorELNS0_4arch9wavefront6targetE1EEEvT1_: ; @_ZN7rocprim17ROCPRIM_400000_NS6detail17trampoline_kernelINS0_14default_configENS1_20scan_config_selectorIdEEZZNS1_9scan_implILNS1_25lookback_scan_determinismE0ELb0ELb0ES3_PKdPddZZZN2at6native31launch_logcumsumexp_cuda_kernelERKNSB_10TensorBaseESF_lENKUlvE_clEvENKUlvE_clEvEUlddE_dEEDaPvRmT3_T4_T5_mT6_P12ihipStream_tbENKUlT_T0_E_clISt17integral_constantIbLb0EESV_IbLb1EEEEDaSR_SS_EUlSR_E0_NS1_11comp_targetILNS1_3genE9ELNS1_11target_archE1100ELNS1_3gpuE3ELNS1_3repE0EEENS1_30default_config_static_selectorELNS0_4arch9wavefront6targetE1EEEvT1_
; %bb.0:
	.section	.rodata,"a",@progbits
	.p2align	6, 0x0
	.amdhsa_kernel _ZN7rocprim17ROCPRIM_400000_NS6detail17trampoline_kernelINS0_14default_configENS1_20scan_config_selectorIdEEZZNS1_9scan_implILNS1_25lookback_scan_determinismE0ELb0ELb0ES3_PKdPddZZZN2at6native31launch_logcumsumexp_cuda_kernelERKNSB_10TensorBaseESF_lENKUlvE_clEvENKUlvE_clEvEUlddE_dEEDaPvRmT3_T4_T5_mT6_P12ihipStream_tbENKUlT_T0_E_clISt17integral_constantIbLb0EESV_IbLb1EEEEDaSR_SS_EUlSR_E0_NS1_11comp_targetILNS1_3genE9ELNS1_11target_archE1100ELNS1_3gpuE3ELNS1_3repE0EEENS1_30default_config_static_selectorELNS0_4arch9wavefront6targetE1EEEvT1_
		.amdhsa_group_segment_fixed_size 0
		.amdhsa_private_segment_fixed_size 0
		.amdhsa_kernarg_size 40
		.amdhsa_user_sgpr_count 6
		.amdhsa_user_sgpr_private_segment_buffer 1
		.amdhsa_user_sgpr_dispatch_ptr 0
		.amdhsa_user_sgpr_queue_ptr 0
		.amdhsa_user_sgpr_kernarg_segment_ptr 1
		.amdhsa_user_sgpr_dispatch_id 0
		.amdhsa_user_sgpr_flat_scratch_init 0
		.amdhsa_user_sgpr_kernarg_preload_length 0
		.amdhsa_user_sgpr_kernarg_preload_offset 0
		.amdhsa_user_sgpr_private_segment_size 0
		.amdhsa_uses_dynamic_stack 0
		.amdhsa_system_sgpr_private_segment_wavefront_offset 0
		.amdhsa_system_sgpr_workgroup_id_x 1
		.amdhsa_system_sgpr_workgroup_id_y 0
		.amdhsa_system_sgpr_workgroup_id_z 0
		.amdhsa_system_sgpr_workgroup_info 0
		.amdhsa_system_vgpr_workitem_id 0
		.amdhsa_next_free_vgpr 1
		.amdhsa_next_free_sgpr 0
		.amdhsa_accum_offset 4
		.amdhsa_reserve_vcc 0
		.amdhsa_reserve_flat_scratch 0
		.amdhsa_float_round_mode_32 0
		.amdhsa_float_round_mode_16_64 0
		.amdhsa_float_denorm_mode_32 3
		.amdhsa_float_denorm_mode_16_64 3
		.amdhsa_dx10_clamp 1
		.amdhsa_ieee_mode 1
		.amdhsa_fp16_overflow 0
		.amdhsa_tg_split 0
		.amdhsa_exception_fp_ieee_invalid_op 0
		.amdhsa_exception_fp_denorm_src 0
		.amdhsa_exception_fp_ieee_div_zero 0
		.amdhsa_exception_fp_ieee_overflow 0
		.amdhsa_exception_fp_ieee_underflow 0
		.amdhsa_exception_fp_ieee_inexact 0
		.amdhsa_exception_int_div_zero 0
	.end_amdhsa_kernel
	.section	.text._ZN7rocprim17ROCPRIM_400000_NS6detail17trampoline_kernelINS0_14default_configENS1_20scan_config_selectorIdEEZZNS1_9scan_implILNS1_25lookback_scan_determinismE0ELb0ELb0ES3_PKdPddZZZN2at6native31launch_logcumsumexp_cuda_kernelERKNSB_10TensorBaseESF_lENKUlvE_clEvENKUlvE_clEvEUlddE_dEEDaPvRmT3_T4_T5_mT6_P12ihipStream_tbENKUlT_T0_E_clISt17integral_constantIbLb0EESV_IbLb1EEEEDaSR_SS_EUlSR_E0_NS1_11comp_targetILNS1_3genE9ELNS1_11target_archE1100ELNS1_3gpuE3ELNS1_3repE0EEENS1_30default_config_static_selectorELNS0_4arch9wavefront6targetE1EEEvT1_,"axG",@progbits,_ZN7rocprim17ROCPRIM_400000_NS6detail17trampoline_kernelINS0_14default_configENS1_20scan_config_selectorIdEEZZNS1_9scan_implILNS1_25lookback_scan_determinismE0ELb0ELb0ES3_PKdPddZZZN2at6native31launch_logcumsumexp_cuda_kernelERKNSB_10TensorBaseESF_lENKUlvE_clEvENKUlvE_clEvEUlddE_dEEDaPvRmT3_T4_T5_mT6_P12ihipStream_tbENKUlT_T0_E_clISt17integral_constantIbLb0EESV_IbLb1EEEEDaSR_SS_EUlSR_E0_NS1_11comp_targetILNS1_3genE9ELNS1_11target_archE1100ELNS1_3gpuE3ELNS1_3repE0EEENS1_30default_config_static_selectorELNS0_4arch9wavefront6targetE1EEEvT1_,comdat
.Lfunc_end82:
	.size	_ZN7rocprim17ROCPRIM_400000_NS6detail17trampoline_kernelINS0_14default_configENS1_20scan_config_selectorIdEEZZNS1_9scan_implILNS1_25lookback_scan_determinismE0ELb0ELb0ES3_PKdPddZZZN2at6native31launch_logcumsumexp_cuda_kernelERKNSB_10TensorBaseESF_lENKUlvE_clEvENKUlvE_clEvEUlddE_dEEDaPvRmT3_T4_T5_mT6_P12ihipStream_tbENKUlT_T0_E_clISt17integral_constantIbLb0EESV_IbLb1EEEEDaSR_SS_EUlSR_E0_NS1_11comp_targetILNS1_3genE9ELNS1_11target_archE1100ELNS1_3gpuE3ELNS1_3repE0EEENS1_30default_config_static_selectorELNS0_4arch9wavefront6targetE1EEEvT1_, .Lfunc_end82-_ZN7rocprim17ROCPRIM_400000_NS6detail17trampoline_kernelINS0_14default_configENS1_20scan_config_selectorIdEEZZNS1_9scan_implILNS1_25lookback_scan_determinismE0ELb0ELb0ES3_PKdPddZZZN2at6native31launch_logcumsumexp_cuda_kernelERKNSB_10TensorBaseESF_lENKUlvE_clEvENKUlvE_clEvEUlddE_dEEDaPvRmT3_T4_T5_mT6_P12ihipStream_tbENKUlT_T0_E_clISt17integral_constantIbLb0EESV_IbLb1EEEEDaSR_SS_EUlSR_E0_NS1_11comp_targetILNS1_3genE9ELNS1_11target_archE1100ELNS1_3gpuE3ELNS1_3repE0EEENS1_30default_config_static_selectorELNS0_4arch9wavefront6targetE1EEEvT1_
                                        ; -- End function
	.section	.AMDGPU.csdata,"",@progbits
; Kernel info:
; codeLenInByte = 0
; NumSgprs: 4
; NumVgprs: 0
; NumAgprs: 0
; TotalNumVgprs: 0
; ScratchSize: 0
; MemoryBound: 0
; FloatMode: 240
; IeeeMode: 1
; LDSByteSize: 0 bytes/workgroup (compile time only)
; SGPRBlocks: 0
; VGPRBlocks: 0
; NumSGPRsForWavesPerEU: 4
; NumVGPRsForWavesPerEU: 1
; AccumOffset: 4
; Occupancy: 8
; WaveLimiterHint : 0
; COMPUTE_PGM_RSRC2:SCRATCH_EN: 0
; COMPUTE_PGM_RSRC2:USER_SGPR: 6
; COMPUTE_PGM_RSRC2:TRAP_HANDLER: 0
; COMPUTE_PGM_RSRC2:TGID_X_EN: 1
; COMPUTE_PGM_RSRC2:TGID_Y_EN: 0
; COMPUTE_PGM_RSRC2:TGID_Z_EN: 0
; COMPUTE_PGM_RSRC2:TIDIG_COMP_CNT: 0
; COMPUTE_PGM_RSRC3_GFX90A:ACCUM_OFFSET: 0
; COMPUTE_PGM_RSRC3_GFX90A:TG_SPLIT: 0
	.section	.text._ZN7rocprim17ROCPRIM_400000_NS6detail17trampoline_kernelINS0_14default_configENS1_20scan_config_selectorIdEEZZNS1_9scan_implILNS1_25lookback_scan_determinismE0ELb0ELb0ES3_PKdPddZZZN2at6native31launch_logcumsumexp_cuda_kernelERKNSB_10TensorBaseESF_lENKUlvE_clEvENKUlvE_clEvEUlddE_dEEDaPvRmT3_T4_T5_mT6_P12ihipStream_tbENKUlT_T0_E_clISt17integral_constantIbLb0EESV_IbLb1EEEEDaSR_SS_EUlSR_E0_NS1_11comp_targetILNS1_3genE8ELNS1_11target_archE1030ELNS1_3gpuE2ELNS1_3repE0EEENS1_30default_config_static_selectorELNS0_4arch9wavefront6targetE1EEEvT1_,"axG",@progbits,_ZN7rocprim17ROCPRIM_400000_NS6detail17trampoline_kernelINS0_14default_configENS1_20scan_config_selectorIdEEZZNS1_9scan_implILNS1_25lookback_scan_determinismE0ELb0ELb0ES3_PKdPddZZZN2at6native31launch_logcumsumexp_cuda_kernelERKNSB_10TensorBaseESF_lENKUlvE_clEvENKUlvE_clEvEUlddE_dEEDaPvRmT3_T4_T5_mT6_P12ihipStream_tbENKUlT_T0_E_clISt17integral_constantIbLb0EESV_IbLb1EEEEDaSR_SS_EUlSR_E0_NS1_11comp_targetILNS1_3genE8ELNS1_11target_archE1030ELNS1_3gpuE2ELNS1_3repE0EEENS1_30default_config_static_selectorELNS0_4arch9wavefront6targetE1EEEvT1_,comdat
	.globl	_ZN7rocprim17ROCPRIM_400000_NS6detail17trampoline_kernelINS0_14default_configENS1_20scan_config_selectorIdEEZZNS1_9scan_implILNS1_25lookback_scan_determinismE0ELb0ELb0ES3_PKdPddZZZN2at6native31launch_logcumsumexp_cuda_kernelERKNSB_10TensorBaseESF_lENKUlvE_clEvENKUlvE_clEvEUlddE_dEEDaPvRmT3_T4_T5_mT6_P12ihipStream_tbENKUlT_T0_E_clISt17integral_constantIbLb0EESV_IbLb1EEEEDaSR_SS_EUlSR_E0_NS1_11comp_targetILNS1_3genE8ELNS1_11target_archE1030ELNS1_3gpuE2ELNS1_3repE0EEENS1_30default_config_static_selectorELNS0_4arch9wavefront6targetE1EEEvT1_ ; -- Begin function _ZN7rocprim17ROCPRIM_400000_NS6detail17trampoline_kernelINS0_14default_configENS1_20scan_config_selectorIdEEZZNS1_9scan_implILNS1_25lookback_scan_determinismE0ELb0ELb0ES3_PKdPddZZZN2at6native31launch_logcumsumexp_cuda_kernelERKNSB_10TensorBaseESF_lENKUlvE_clEvENKUlvE_clEvEUlddE_dEEDaPvRmT3_T4_T5_mT6_P12ihipStream_tbENKUlT_T0_E_clISt17integral_constantIbLb0EESV_IbLb1EEEEDaSR_SS_EUlSR_E0_NS1_11comp_targetILNS1_3genE8ELNS1_11target_archE1030ELNS1_3gpuE2ELNS1_3repE0EEENS1_30default_config_static_selectorELNS0_4arch9wavefront6targetE1EEEvT1_
	.p2align	8
	.type	_ZN7rocprim17ROCPRIM_400000_NS6detail17trampoline_kernelINS0_14default_configENS1_20scan_config_selectorIdEEZZNS1_9scan_implILNS1_25lookback_scan_determinismE0ELb0ELb0ES3_PKdPddZZZN2at6native31launch_logcumsumexp_cuda_kernelERKNSB_10TensorBaseESF_lENKUlvE_clEvENKUlvE_clEvEUlddE_dEEDaPvRmT3_T4_T5_mT6_P12ihipStream_tbENKUlT_T0_E_clISt17integral_constantIbLb0EESV_IbLb1EEEEDaSR_SS_EUlSR_E0_NS1_11comp_targetILNS1_3genE8ELNS1_11target_archE1030ELNS1_3gpuE2ELNS1_3repE0EEENS1_30default_config_static_selectorELNS0_4arch9wavefront6targetE1EEEvT1_,@function
_ZN7rocprim17ROCPRIM_400000_NS6detail17trampoline_kernelINS0_14default_configENS1_20scan_config_selectorIdEEZZNS1_9scan_implILNS1_25lookback_scan_determinismE0ELb0ELb0ES3_PKdPddZZZN2at6native31launch_logcumsumexp_cuda_kernelERKNSB_10TensorBaseESF_lENKUlvE_clEvENKUlvE_clEvEUlddE_dEEDaPvRmT3_T4_T5_mT6_P12ihipStream_tbENKUlT_T0_E_clISt17integral_constantIbLb0EESV_IbLb1EEEEDaSR_SS_EUlSR_E0_NS1_11comp_targetILNS1_3genE8ELNS1_11target_archE1030ELNS1_3gpuE2ELNS1_3repE0EEENS1_30default_config_static_selectorELNS0_4arch9wavefront6targetE1EEEvT1_: ; @_ZN7rocprim17ROCPRIM_400000_NS6detail17trampoline_kernelINS0_14default_configENS1_20scan_config_selectorIdEEZZNS1_9scan_implILNS1_25lookback_scan_determinismE0ELb0ELb0ES3_PKdPddZZZN2at6native31launch_logcumsumexp_cuda_kernelERKNSB_10TensorBaseESF_lENKUlvE_clEvENKUlvE_clEvEUlddE_dEEDaPvRmT3_T4_T5_mT6_P12ihipStream_tbENKUlT_T0_E_clISt17integral_constantIbLb0EESV_IbLb1EEEEDaSR_SS_EUlSR_E0_NS1_11comp_targetILNS1_3genE8ELNS1_11target_archE1030ELNS1_3gpuE2ELNS1_3repE0EEENS1_30default_config_static_selectorELNS0_4arch9wavefront6targetE1EEEvT1_
; %bb.0:
	.section	.rodata,"a",@progbits
	.p2align	6, 0x0
	.amdhsa_kernel _ZN7rocprim17ROCPRIM_400000_NS6detail17trampoline_kernelINS0_14default_configENS1_20scan_config_selectorIdEEZZNS1_9scan_implILNS1_25lookback_scan_determinismE0ELb0ELb0ES3_PKdPddZZZN2at6native31launch_logcumsumexp_cuda_kernelERKNSB_10TensorBaseESF_lENKUlvE_clEvENKUlvE_clEvEUlddE_dEEDaPvRmT3_T4_T5_mT6_P12ihipStream_tbENKUlT_T0_E_clISt17integral_constantIbLb0EESV_IbLb1EEEEDaSR_SS_EUlSR_E0_NS1_11comp_targetILNS1_3genE8ELNS1_11target_archE1030ELNS1_3gpuE2ELNS1_3repE0EEENS1_30default_config_static_selectorELNS0_4arch9wavefront6targetE1EEEvT1_
		.amdhsa_group_segment_fixed_size 0
		.amdhsa_private_segment_fixed_size 0
		.amdhsa_kernarg_size 40
		.amdhsa_user_sgpr_count 6
		.amdhsa_user_sgpr_private_segment_buffer 1
		.amdhsa_user_sgpr_dispatch_ptr 0
		.amdhsa_user_sgpr_queue_ptr 0
		.amdhsa_user_sgpr_kernarg_segment_ptr 1
		.amdhsa_user_sgpr_dispatch_id 0
		.amdhsa_user_sgpr_flat_scratch_init 0
		.amdhsa_user_sgpr_kernarg_preload_length 0
		.amdhsa_user_sgpr_kernarg_preload_offset 0
		.amdhsa_user_sgpr_private_segment_size 0
		.amdhsa_uses_dynamic_stack 0
		.amdhsa_system_sgpr_private_segment_wavefront_offset 0
		.amdhsa_system_sgpr_workgroup_id_x 1
		.amdhsa_system_sgpr_workgroup_id_y 0
		.amdhsa_system_sgpr_workgroup_id_z 0
		.amdhsa_system_sgpr_workgroup_info 0
		.amdhsa_system_vgpr_workitem_id 0
		.amdhsa_next_free_vgpr 1
		.amdhsa_next_free_sgpr 0
		.amdhsa_accum_offset 4
		.amdhsa_reserve_vcc 0
		.amdhsa_reserve_flat_scratch 0
		.amdhsa_float_round_mode_32 0
		.amdhsa_float_round_mode_16_64 0
		.amdhsa_float_denorm_mode_32 3
		.amdhsa_float_denorm_mode_16_64 3
		.amdhsa_dx10_clamp 1
		.amdhsa_ieee_mode 1
		.amdhsa_fp16_overflow 0
		.amdhsa_tg_split 0
		.amdhsa_exception_fp_ieee_invalid_op 0
		.amdhsa_exception_fp_denorm_src 0
		.amdhsa_exception_fp_ieee_div_zero 0
		.amdhsa_exception_fp_ieee_overflow 0
		.amdhsa_exception_fp_ieee_underflow 0
		.amdhsa_exception_fp_ieee_inexact 0
		.amdhsa_exception_int_div_zero 0
	.end_amdhsa_kernel
	.section	.text._ZN7rocprim17ROCPRIM_400000_NS6detail17trampoline_kernelINS0_14default_configENS1_20scan_config_selectorIdEEZZNS1_9scan_implILNS1_25lookback_scan_determinismE0ELb0ELb0ES3_PKdPddZZZN2at6native31launch_logcumsumexp_cuda_kernelERKNSB_10TensorBaseESF_lENKUlvE_clEvENKUlvE_clEvEUlddE_dEEDaPvRmT3_T4_T5_mT6_P12ihipStream_tbENKUlT_T0_E_clISt17integral_constantIbLb0EESV_IbLb1EEEEDaSR_SS_EUlSR_E0_NS1_11comp_targetILNS1_3genE8ELNS1_11target_archE1030ELNS1_3gpuE2ELNS1_3repE0EEENS1_30default_config_static_selectorELNS0_4arch9wavefront6targetE1EEEvT1_,"axG",@progbits,_ZN7rocprim17ROCPRIM_400000_NS6detail17trampoline_kernelINS0_14default_configENS1_20scan_config_selectorIdEEZZNS1_9scan_implILNS1_25lookback_scan_determinismE0ELb0ELb0ES3_PKdPddZZZN2at6native31launch_logcumsumexp_cuda_kernelERKNSB_10TensorBaseESF_lENKUlvE_clEvENKUlvE_clEvEUlddE_dEEDaPvRmT3_T4_T5_mT6_P12ihipStream_tbENKUlT_T0_E_clISt17integral_constantIbLb0EESV_IbLb1EEEEDaSR_SS_EUlSR_E0_NS1_11comp_targetILNS1_3genE8ELNS1_11target_archE1030ELNS1_3gpuE2ELNS1_3repE0EEENS1_30default_config_static_selectorELNS0_4arch9wavefront6targetE1EEEvT1_,comdat
.Lfunc_end83:
	.size	_ZN7rocprim17ROCPRIM_400000_NS6detail17trampoline_kernelINS0_14default_configENS1_20scan_config_selectorIdEEZZNS1_9scan_implILNS1_25lookback_scan_determinismE0ELb0ELb0ES3_PKdPddZZZN2at6native31launch_logcumsumexp_cuda_kernelERKNSB_10TensorBaseESF_lENKUlvE_clEvENKUlvE_clEvEUlddE_dEEDaPvRmT3_T4_T5_mT6_P12ihipStream_tbENKUlT_T0_E_clISt17integral_constantIbLb0EESV_IbLb1EEEEDaSR_SS_EUlSR_E0_NS1_11comp_targetILNS1_3genE8ELNS1_11target_archE1030ELNS1_3gpuE2ELNS1_3repE0EEENS1_30default_config_static_selectorELNS0_4arch9wavefront6targetE1EEEvT1_, .Lfunc_end83-_ZN7rocprim17ROCPRIM_400000_NS6detail17trampoline_kernelINS0_14default_configENS1_20scan_config_selectorIdEEZZNS1_9scan_implILNS1_25lookback_scan_determinismE0ELb0ELb0ES3_PKdPddZZZN2at6native31launch_logcumsumexp_cuda_kernelERKNSB_10TensorBaseESF_lENKUlvE_clEvENKUlvE_clEvEUlddE_dEEDaPvRmT3_T4_T5_mT6_P12ihipStream_tbENKUlT_T0_E_clISt17integral_constantIbLb0EESV_IbLb1EEEEDaSR_SS_EUlSR_E0_NS1_11comp_targetILNS1_3genE8ELNS1_11target_archE1030ELNS1_3gpuE2ELNS1_3repE0EEENS1_30default_config_static_selectorELNS0_4arch9wavefront6targetE1EEEvT1_
                                        ; -- End function
	.section	.AMDGPU.csdata,"",@progbits
; Kernel info:
; codeLenInByte = 0
; NumSgprs: 4
; NumVgprs: 0
; NumAgprs: 0
; TotalNumVgprs: 0
; ScratchSize: 0
; MemoryBound: 0
; FloatMode: 240
; IeeeMode: 1
; LDSByteSize: 0 bytes/workgroup (compile time only)
; SGPRBlocks: 0
; VGPRBlocks: 0
; NumSGPRsForWavesPerEU: 4
; NumVGPRsForWavesPerEU: 1
; AccumOffset: 4
; Occupancy: 8
; WaveLimiterHint : 0
; COMPUTE_PGM_RSRC2:SCRATCH_EN: 0
; COMPUTE_PGM_RSRC2:USER_SGPR: 6
; COMPUTE_PGM_RSRC2:TRAP_HANDLER: 0
; COMPUTE_PGM_RSRC2:TGID_X_EN: 1
; COMPUTE_PGM_RSRC2:TGID_Y_EN: 0
; COMPUTE_PGM_RSRC2:TGID_Z_EN: 0
; COMPUTE_PGM_RSRC2:TIDIG_COMP_CNT: 0
; COMPUTE_PGM_RSRC3_GFX90A:ACCUM_OFFSET: 0
; COMPUTE_PGM_RSRC3_GFX90A:TG_SPLIT: 0
	.section	.text._ZN2at6native32tensor_kernel_scan_innermost_dimIdZZZNS0_31launch_logcumsumexp_cuda_kernelERKNS_10TensorBaseES4_lENKUlvE_clEvENKUlvE_clEvEUlddE_EEvPT_PKS8_jjjS8_T0_,"axG",@progbits,_ZN2at6native32tensor_kernel_scan_innermost_dimIdZZZNS0_31launch_logcumsumexp_cuda_kernelERKNS_10TensorBaseES4_lENKUlvE_clEvENKUlvE_clEvEUlddE_EEvPT_PKS8_jjjS8_T0_,comdat
	.globl	_ZN2at6native32tensor_kernel_scan_innermost_dimIdZZZNS0_31launch_logcumsumexp_cuda_kernelERKNS_10TensorBaseES4_lENKUlvE_clEvENKUlvE_clEvEUlddE_EEvPT_PKS8_jjjS8_T0_ ; -- Begin function _ZN2at6native32tensor_kernel_scan_innermost_dimIdZZZNS0_31launch_logcumsumexp_cuda_kernelERKNS_10TensorBaseES4_lENKUlvE_clEvENKUlvE_clEvEUlddE_EEvPT_PKS8_jjjS8_T0_
	.p2align	8
	.type	_ZN2at6native32tensor_kernel_scan_innermost_dimIdZZZNS0_31launch_logcumsumexp_cuda_kernelERKNS_10TensorBaseES4_lENKUlvE_clEvENKUlvE_clEvEUlddE_EEvPT_PKS8_jjjS8_T0_,@function
_ZN2at6native32tensor_kernel_scan_innermost_dimIdZZZNS0_31launch_logcumsumexp_cuda_kernelERKNS_10TensorBaseES4_lENKUlvE_clEvENKUlvE_clEvEUlddE_EEvPT_PKS8_jjjS8_T0_: ; @_ZN2at6native32tensor_kernel_scan_innermost_dimIdZZZNS0_31launch_logcumsumexp_cuda_kernelERKNS_10TensorBaseES4_lENKUlvE_clEvENKUlvE_clEvEUlddE_EEvPT_PKS8_jjjS8_T0_
; %bb.0:
	s_load_dwordx8 s[16:23], s[4:5], 0x0
	s_load_dwordx2 s[14:15], s[4:5], 0x20
	v_bfe_u32 v2, v0, 10, 10
	s_waitcnt lgkmcnt(0)
	s_lshl_b32 s7, 2, s22
	v_mul_lo_u32 v1, s7, v2
	s_mul_hi_u32 s0, s20, s21
	s_mov_b32 s24, s20
	v_lshl_add_u32 v3, v1, 3, 0
	s_cmp_lg_u32 s0, 0
	s_mov_b64 s[0:1], -1
	s_cbranch_scc1 .LBB84_30
; %bb.1:
	s_load_dword s2, s[4:5], 0x3c
	s_add_u32 s0, s4, 48
	s_addc_u32 s1, s5, 0
	s_waitcnt lgkmcnt(0)
	s_lshr_b32 s2, s2, 16
	s_mul_i32 s23, s6, s2
	s_cmp_ge_u32 s23, s20
	s_cbranch_scc1 .LBB84_29
; %bb.2:
	s_load_dword s33, s[0:1], 0x0
	s_lshl_b32 s25, 1, s22
	s_cmp_lg_u32 s21, 0
	v_and_b32_e32 v1, 0x3ff, v0
	v_lshl_add_u32 v44, v1, 3, v3
	s_waitcnt lgkmcnt(0)
	s_mul_i32 s33, s33, s2
	s_cselect_b64 s[2:3], -1, 0
	v_add_u32_e32 v46, -8, v3
	v_cndmask_b32_e64 v4, 0, 1, s[2:3]
	s_mov_b32 s26, 0x652b82fe
	s_mov_b32 s28, 0xfefa39ef
	;; [unrolled: 1-line block ×9, first 2 shown]
	v_lshl_add_u32 v45, s25, 3, v44
	v_cmp_eq_u32_e64 s[0:1], 0, v1
	v_lshl_add_u32 v47, s7, 3, v46
	s_add_i32 s56, s22, 1
	v_cmp_ne_u32_e64 s[2:3], 1, v4
	v_mov_b32_e32 v5, 0
	s_movk_i32 s57, 0x1f8
	s_mov_b32 s27, 0x3ff71547
	s_mov_b32 s29, 0xbfe62e42
	;; [unrolled: 1-line block ×11, first 2 shown]
	v_mov_b32_e32 v6, 0xfca7ab0c
	v_mov_b32_e32 v7, 0x3e928af3
	;; [unrolled: 1-line block ×33, first 2 shown]
	s_branch .LBB84_4
.LBB84_3:                               ;   in Loop: Header=BB84_4 Depth=1
	s_add_i32 s23, s23, s33
	s_cmp_ge_u32 s23, s20
	s_cbranch_scc1 .LBB84_29
.LBB84_4:                               ; =>This Loop Header: Depth=1
                                        ;     Child Loop BB84_7 Depth 2
                                        ;       Child Loop BB84_19 Depth 3
	s_and_b64 vcc, exec, s[2:3]
	s_cbranch_vccnz .LBB84_3
; %bb.5:                                ;   in Loop: Header=BB84_4 Depth=1
	v_add_u32_e32 v38, s23, v2
	v_mul_lo_u32 v4, v38, s21
	v_lshlrev_b64 v[36:37], 3, v[4:5]
	v_mov_b32_e32 v4, s19
	v_add_co_u32_e32 v51, vcc, s18, v36
	v_addc_co_u32_e32 v52, vcc, v4, v37, vcc
	v_mov_b32_e32 v4, s17
	v_add_co_u32_e32 v53, vcc, s16, v36
	v_addc_co_u32_e32 v54, vcc, v4, v37, vcc
	v_cmp_gt_u32_e32 vcc, s20, v38
	v_cmp_le_u32_e64 s[8:9], s20, v38
	s_mov_b32 s58, 0
	v_pk_mov_b32 v[38:39], s[14:15], s[14:15] op_sel:[0,1]
	s_branch .LBB84_7
.LBB84_6:                               ;   in Loop: Header=BB84_7 Depth=2
	s_or_b64 exec, exec, s[12:13]
	ds_read_b64 v[38:39], v47
	s_add_i32 s58, s58, s7
	s_cmp_ge_u32 s58, s21
	s_waitcnt lgkmcnt(0)
	s_barrier
	s_cbranch_scc1 .LBB84_3
.LBB84_7:                               ;   Parent Loop BB84_4 Depth=1
                                        ; =>  This Loop Header: Depth=2
                                        ;       Child Loop BB84_19 Depth 3
	v_add_u32_e32 v4, s58, v1
	v_add_u32_e32 v36, s25, v4
	s_and_saveexec_b64 s[50:51], vcc
	s_cbranch_execz .LBB84_16
; %bb.8:                                ;   in Loop: Header=BB84_7 Depth=2
	v_cmp_gt_u32_e64 s[10:11], s21, v4
	v_pk_mov_b32 v[40:41], s[14:15], s[14:15] op_sel:[0,1]
	s_and_saveexec_b64 s[12:13], s[10:11]
	s_cbranch_execz .LBB84_10
; %bb.9:                                ;   in Loop: Header=BB84_7 Depth=2
	v_lshlrev_b64 v[40:41], 3, v[4:5]
	v_add_co_u32_e64 v40, s[10:11], v51, v40
	v_addc_co_u32_e64 v41, s[10:11], v52, v41, s[10:11]
	global_load_dwordx2 v[40:41], v[40:41], off
.LBB84_10:                              ;   in Loop: Header=BB84_7 Depth=2
	s_or_b64 exec, exec, s[12:13]
	s_waitcnt vmcnt(0)
	ds_write_b64 v44, v[40:41]
	v_cmp_gt_u32_e64 s[10:11], s21, v36
	v_pk_mov_b32 v[40:41], s[14:15], s[14:15] op_sel:[0,1]
	s_and_saveexec_b64 s[12:13], s[10:11]
	s_cbranch_execz .LBB84_12
; %bb.11:                               ;   in Loop: Header=BB84_7 Depth=2
	v_mov_b32_e32 v37, v5
	v_lshlrev_b64 v[40:41], 3, v[36:37]
	v_add_co_u32_e64 v40, s[10:11], v51, v40
	v_addc_co_u32_e64 v41, s[10:11], v52, v41, s[10:11]
	global_load_dwordx2 v[40:41], v[40:41], off
.LBB84_12:                              ;   in Loop: Header=BB84_7 Depth=2
	s_or_b64 exec, exec, s[12:13]
	s_waitcnt vmcnt(0)
	ds_write_b64 v45, v[40:41]
	s_and_b64 exec, exec, s[0:1]
	s_cbranch_execz .LBB84_16
; %bb.13:                               ;   in Loop: Header=BB84_7 Depth=2
	ds_read_b64 v[40:41], v3
	v_max_f64 v[56:57], v[38:39], v[38:39]
	v_cmp_u_f64_e64 s[12:13], v[38:39], v[38:39]
	s_waitcnt lgkmcnt(0)
	v_max_f64 v[58:59], v[40:41], v[40:41]
	v_min_f64 v[42:43], v[58:59], v[56:57]
	v_cmp_u_f64_e64 s[10:11], v[40:41], v[40:41]
	v_cndmask_b32_e64 v37, v42, v40, s[10:11]
	v_cndmask_b32_e64 v42, v43, v41, s[10:11]
	v_max_f64 v[56:57], v[58:59], v[56:57]
	v_cndmask_b32_e64 v43, v42, v39, s[12:13]
	v_cndmask_b32_e64 v42, v37, v38, s[12:13]
	;; [unrolled: 1-line block ×6, first 2 shown]
	v_cmp_neq_f64_e64 s[10:11], v[42:43], v[38:39]
	v_cmp_class_f64_e64 s[12:13], v[42:43], s57
	s_or_b64 s[10:11], s[10:11], s[12:13]
	s_and_saveexec_b64 s[52:53], s[10:11]
	s_cbranch_execz .LBB84_15
; %bb.14:                               ;   in Loop: Header=BB84_7 Depth=2
	v_add_f64 v[40:41], v[42:43], -v[38:39]
	v_mul_f64 v[42:43], v[40:41], s[26:27]
	v_rndne_f64_e32 v[42:43], v[42:43]
	v_fma_f64 v[56:57], s[28:29], v[42:43], v[40:41]
	v_fmac_f64_e32 v[56:57], s[30:31], v[42:43]
	v_pk_mov_b32 v[58:59], v[6:7], v[6:7] op_sel:[0,1]
	v_fmac_f64_e32 v[58:59], s[34:35], v[56:57]
	v_pk_mov_b32 v[60:61], v[8:9], v[8:9] op_sel:[0,1]
	;; [unrolled: 2-line block ×9, first 2 shown]
	v_fmac_f64_e32 v[58:59], v[56:57], v[60:61]
	v_fma_f64 v[58:59], v[56:57], v[58:59], 1.0
	v_fma_f64 v[56:57], v[56:57], v[58:59], 1.0
	v_cvt_i32_f64_e32 v37, v[42:43]
	v_ldexp_f64 v[42:43], v[56:57], v37
	v_cmp_nlt_f64_e64 s[10:11], s[36:37], v[40:41]
	v_cmp_ngt_f64_e64 s[12:13], s[38:39], v[40:41]
	v_cndmask_b32_e64 v37, v48, v43, s[10:11]
	s_and_b64 s[10:11], s[12:13], s[10:11]
	v_cndmask_b32_e64 v41, 0, v37, s[12:13]
	v_cndmask_b32_e64 v40, 0, v42, s[10:11]
	v_add_f64 v[42:43], v[40:41], 1.0
	v_add_f64 v[56:57], v[42:43], -1.0
	v_add_f64 v[58:59], v[56:57], -v[42:43]
	v_add_f64 v[58:59], v[58:59], 1.0
	v_add_f64 v[56:57], v[40:41], -v[56:57]
	v_add_f64 v[56:57], v[56:57], v[58:59]
	v_frexp_mant_f64_e32 v[58:59], v[42:43]
	v_frexp_exp_i32_f64_e32 v37, v[42:43]
	v_cmp_gt_f64_e64 s[10:11], s[40:41], v[58:59]
	v_subbrev_co_u32_e64 v37, s[10:11], 0, v37, s[10:11]
	v_sub_u32_e32 v55, 0, v37
	v_ldexp_f64 v[42:43], v[42:43], v55
	v_add_f64 v[58:59], v[42:43], -1.0
	v_add_f64 v[64:65], v[42:43], 1.0
	v_add_f64 v[60:61], v[58:59], 1.0
	v_add_f64 v[66:67], v[64:65], -1.0
	v_ldexp_f64 v[56:57], v[56:57], v55
	v_add_f64 v[60:61], v[42:43], -v[60:61]
	v_add_f64 v[42:43], v[42:43], -v[66:67]
	v_add_f64 v[42:43], v[56:57], v[42:43]
	v_add_f64 v[60:61], v[56:57], v[60:61]
	;; [unrolled: 1-line block ×3, first 2 shown]
	v_rcp_f64_e32 v[66:67], v[56:57]
	v_add_f64 v[62:63], v[58:59], v[60:61]
	v_add_f64 v[58:59], v[62:63], -v[58:59]
	v_add_f64 v[58:59], v[60:61], -v[58:59]
	;; [unrolled: 1-line block ×4, first 2 shown]
	v_fma_f64 v[60:61], -v[56:57], v[66:67], 1.0
	v_fmac_f64_e32 v[66:67], v[60:61], v[66:67]
	v_fma_f64 v[60:61], -v[56:57], v[66:67], 1.0
	v_fmac_f64_e32 v[66:67], v[60:61], v[66:67]
	v_mul_f64 v[60:61], v[62:63], v[66:67]
	v_mul_f64 v[64:65], v[56:57], v[60:61]
	v_fma_f64 v[68:69], v[60:61], v[56:57], -v[64:65]
	v_fmac_f64_e32 v[68:69], v[60:61], v[42:43]
	v_add_f64 v[70:71], v[64:65], v[68:69]
	v_add_f64 v[72:73], v[62:63], -v[70:71]
	v_add_f64 v[62:63], v[62:63], -v[72:73]
	v_add_f64 v[64:65], v[70:71], -v[64:65]
	v_add_f64 v[62:63], v[62:63], -v[70:71]
	v_add_f64 v[58:59], v[58:59], v[62:63]
	v_add_f64 v[62:63], v[64:65], -v[68:69]
	v_add_f64 v[58:59], v[62:63], v[58:59]
	v_add_f64 v[62:63], v[72:73], v[58:59]
	v_add_f64 v[64:65], v[72:73], -v[62:63]
	v_add_f64 v[58:59], v[58:59], v[64:65]
	v_mul_f64 v[64:65], v[66:67], v[62:63]
	v_mul_f64 v[68:69], v[56:57], v[64:65]
	v_fma_f64 v[56:57], v[64:65], v[56:57], -v[68:69]
	v_fmac_f64_e32 v[56:57], v[64:65], v[42:43]
	v_add_f64 v[42:43], v[68:69], v[56:57]
	v_add_f64 v[70:71], v[62:63], -v[42:43]
	v_add_f64 v[62:63], v[62:63], -v[70:71]
	;; [unrolled: 1-line block ×4, first 2 shown]
	v_add_f64 v[42:43], v[58:59], v[42:43]
	v_add_f64 v[56:57], v[68:69], -v[56:57]
	v_add_f64 v[42:43], v[56:57], v[42:43]
	v_add_f64 v[56:57], v[60:61], v[64:65]
	;; [unrolled: 1-line block ×3, first 2 shown]
	v_add_f64 v[58:59], v[56:57], -v[60:61]
	v_mul_f64 v[42:43], v[66:67], v[42:43]
	v_add_f64 v[58:59], v[64:65], -v[58:59]
	v_add_f64 v[42:43], v[58:59], v[42:43]
	v_add_f64 v[58:59], v[56:57], v[42:43]
	v_add_f64 v[56:57], v[58:59], -v[56:57]
	v_add_f64 v[42:43], v[42:43], -v[56:57]
	v_mul_f64 v[56:57], v[58:59], v[58:59]
	v_pk_mov_b32 v[60:61], v[24:25], v[24:25] op_sel:[0,1]
	v_fmac_f64_e32 v[60:61], s[42:43], v[56:57]
	v_pk_mov_b32 v[62:63], v[26:27], v[26:27] op_sel:[0,1]
	v_fmac_f64_e32 v[62:63], v[56:57], v[60:61]
	;; [unrolled: 2-line block ×6, first 2 shown]
	v_cvt_f64_i32_e32 v[60:61], v37
	s_mov_b32 s44, s28
	v_mul_f64 v[64:65], v[60:61], s[44:45]
	v_fma_f64 v[66:67], v[60:61], s[44:45], -v[64:65]
	s_mov_b32 s46, s30
	v_fmac_f64_e32 v[66:67], s[46:47], v[60:61]
	v_add_f64 v[60:61], v[64:65], v[66:67]
	v_add_f64 v[64:65], v[60:61], -v[64:65]
	v_mul_f64 v[56:57], v[58:59], v[56:57]
	v_add_f64 v[64:65], v[66:67], -v[64:65]
	v_ldexp_f64 v[66:67], v[58:59], 1
	v_mul_f64 v[56:57], v[56:57], v[62:63]
	v_add_f64 v[58:59], v[66:67], v[56:57]
	v_add_f64 v[62:63], v[58:59], -v[66:67]
	v_ldexp_f64 v[42:43], v[42:43], 1
	v_add_f64 v[56:57], v[56:57], -v[62:63]
	v_add_f64 v[42:43], v[42:43], v[56:57]
	v_add_f64 v[56:57], v[58:59], v[42:43]
	v_add_f64 v[58:59], v[56:57], -v[58:59]
	v_add_f64 v[42:43], v[42:43], -v[58:59]
	v_add_f64 v[58:59], v[60:61], v[56:57]
	v_add_f64 v[62:63], v[58:59], -v[60:61]
	v_add_f64 v[66:67], v[58:59], -v[62:63]
	;; [unrolled: 1-line block ×4, first 2 shown]
	v_add_f64 v[56:57], v[56:57], v[60:61]
	v_add_f64 v[60:61], v[64:65], v[42:43]
	v_add_f64 v[62:63], v[60:61], -v[64:65]
	v_add_f64 v[56:57], v[60:61], v[56:57]
	v_add_f64 v[66:67], v[60:61], -v[62:63]
	;; [unrolled: 2-line block ×3, first 2 shown]
	v_add_f64 v[42:43], v[42:43], -v[62:63]
	v_add_f64 v[58:59], v[60:61], -v[58:59]
	v_add_f64 v[42:43], v[42:43], v[64:65]
	v_add_f64 v[56:57], v[56:57], -v[58:59]
	v_add_f64 v[42:43], v[42:43], v[56:57]
	v_add_f64 v[42:43], v[60:61], v[42:43]
	v_cmp_eq_f64_e64 s[10:11], s[48:49], v[40:41]
	v_cndmask_b32_e64 v37, v42, v40, s[10:11]
	v_cndmask_b32_e64 v42, v43, v41, s[10:11]
	v_cmp_ngt_f64_e64 s[10:11], -1.0, v[40:41]
	v_cndmask_b32_e64 v43, v49, v42, s[10:11]
	v_cmp_nge_f64_e64 s[10:11], -1.0, v[40:41]
	v_cndmask_b32_e64 v42, 0, v37, s[10:11]
	v_cmp_neq_f64_e64 s[10:11], -1.0, v[40:41]
	v_cndmask_b32_e64 v43, v50, v43, s[10:11]
	v_add_f64 v[40:41], v[38:39], v[42:43]
.LBB84_15:                              ;   in Loop: Header=BB84_7 Depth=2
	s_or_b64 exec, exec, s[52:53]
	ds_write_b64 v3, v[40:41]
.LBB84_16:                              ;   in Loop: Header=BB84_7 Depth=2
	s_or_b64 exec, exec, s[50:51]
	s_mov_b64 s[50:51], 0
	v_mov_b32_e32 v38, 0
	s_waitcnt lgkmcnt(0)
	s_barrier
	s_branch .LBB84_19
.LBB84_17:                              ;   in Loop: Header=BB84_19 Depth=3
	s_or_b64 exec, exec, s[54:55]
	ds_write_b64 v55, v[40:41]
.LBB84_18:                              ;   in Loop: Header=BB84_19 Depth=3
	s_or_b64 exec, exec, s[52:53]
	v_cmp_eq_u32_e64 s[10:11], s56, v37
	s_or_b64 s[50:51], s[10:11], s[50:51]
	v_mov_b32_e32 v38, v37
	s_waitcnt lgkmcnt(0)
	s_barrier
	s_andn2_b64 exec, exec, s[50:51]
	s_cbranch_execz .LBB84_24
.LBB84_19:                              ;   Parent Loop BB84_4 Depth=1
                                        ;     Parent Loop BB84_7 Depth=2
                                        ; =>    This Inner Loop Header: Depth=3
	v_add_u32_e32 v37, 1, v38
	s_and_saveexec_b64 s[10:11], s[8:9]
	s_xor_b64 s[10:11], exec, s[10:11]
; %bb.20:                               ;   in Loop: Header=BB84_19 Depth=3
	v_add_u32_e32 v37, 1, v38
                                        ; implicit-def: $vgpr38
; %bb.21:                               ;   in Loop: Header=BB84_19 Depth=3
	s_andn2_saveexec_b64 s[52:53], s[10:11]
	s_cbranch_execz .LBB84_18
; %bb.22:                               ;   in Loop: Header=BB84_19 Depth=3
	v_lshlrev_b32_e64 v39, v38, 1
	v_lshrrev_b32_e32 v40, v38, v1
	v_bfm_b32 v38, v38, 0
	v_lshl_or_b32 v39, v40, v37, v39
	v_and_b32_e32 v38, v38, v1
	v_lshlrev_b32_e32 v39, 3, v39
	v_lshlrev_b32_e32 v38, 3, v38
	v_add3_u32 v55, v3, v39, v38
	v_add_u32_e32 v38, v46, v39
	ds_read_b64 v[38:39], v38
	ds_read_b64 v[40:41], v55
	s_waitcnt lgkmcnt(1)
	v_max_f64 v[56:57], v[38:39], v[38:39]
	s_waitcnt lgkmcnt(0)
	v_max_f64 v[58:59], v[40:41], v[40:41]
	v_min_f64 v[42:43], v[58:59], v[56:57]
	v_cmp_u_f64_e64 s[10:11], v[40:41], v[40:41]
	v_max_f64 v[56:57], v[58:59], v[56:57]
	v_cndmask_b32_e64 v42, v42, v40, s[10:11]
	v_cndmask_b32_e64 v43, v43, v41, s[10:11]
	v_cmp_u_f64_e64 s[12:13], v[38:39], v[38:39]
	v_cndmask_b32_e64 v56, v56, v40, s[10:11]
	v_cndmask_b32_e64 v57, v57, v41, s[10:11]
	;; [unrolled: 1-line block ×6, first 2 shown]
	v_cmp_neq_f64_e64 s[10:11], v[42:43], v[38:39]
	v_cmp_class_f64_e64 s[12:13], v[42:43], s57
	s_or_b64 s[10:11], s[10:11], s[12:13]
	s_and_saveexec_b64 s[54:55], s[10:11]
	s_cbranch_execz .LBB84_17
; %bb.23:                               ;   in Loop: Header=BB84_19 Depth=3
	v_add_f64 v[40:41], v[42:43], -v[38:39]
	v_mul_f64 v[42:43], v[40:41], s[26:27]
	v_rndne_f64_e32 v[42:43], v[42:43]
	v_fma_f64 v[56:57], s[28:29], v[42:43], v[40:41]
	v_fmac_f64_e32 v[56:57], s[30:31], v[42:43]
	v_pk_mov_b32 v[58:59], v[6:7], v[6:7] op_sel:[0,1]
	v_fmac_f64_e32 v[58:59], s[34:35], v[56:57]
	v_pk_mov_b32 v[60:61], v[8:9], v[8:9] op_sel:[0,1]
	;; [unrolled: 2-line block ×9, first 2 shown]
	v_fmac_f64_e32 v[58:59], v[56:57], v[60:61]
	v_fma_f64 v[58:59], v[56:57], v[58:59], 1.0
	v_fma_f64 v[56:57], v[56:57], v[58:59], 1.0
	v_cvt_i32_f64_e32 v42, v[42:43]
	v_ldexp_f64 v[42:43], v[56:57], v42
	v_cmp_nlt_f64_e64 s[10:11], s[36:37], v[40:41]
	v_cmp_ngt_f64_e64 s[12:13], s[38:39], v[40:41]
	v_cndmask_b32_e64 v43, v48, v43, s[10:11]
	s_and_b64 s[10:11], s[12:13], s[10:11]
	v_cndmask_b32_e64 v41, 0, v43, s[12:13]
	v_cndmask_b32_e64 v40, 0, v42, s[10:11]
	v_add_f64 v[42:43], v[40:41], 1.0
	v_add_f64 v[56:57], v[42:43], -1.0
	v_add_f64 v[58:59], v[56:57], -v[42:43]
	v_add_f64 v[58:59], v[58:59], 1.0
	v_add_f64 v[56:57], v[40:41], -v[56:57]
	v_add_f64 v[56:57], v[56:57], v[58:59]
	v_frexp_mant_f64_e32 v[58:59], v[42:43]
	v_frexp_exp_i32_f64_e32 v60, v[42:43]
	v_cmp_gt_f64_e64 s[10:11], s[40:41], v[58:59]
	v_subbrev_co_u32_e64 v74, s[10:11], 0, v60, s[10:11]
	v_sub_u32_e32 v58, 0, v74
	v_ldexp_f64 v[42:43], v[42:43], v58
	v_ldexp_f64 v[56:57], v[56:57], v58
	v_add_f64 v[58:59], v[42:43], -1.0
	v_add_f64 v[64:65], v[42:43], 1.0
	v_add_f64 v[60:61], v[58:59], 1.0
	v_add_f64 v[66:67], v[64:65], -1.0
	v_add_f64 v[60:61], v[42:43], -v[60:61]
	v_add_f64 v[42:43], v[42:43], -v[66:67]
	v_add_f64 v[42:43], v[56:57], v[42:43]
	v_add_f64 v[60:61], v[56:57], v[60:61]
	;; [unrolled: 1-line block ×3, first 2 shown]
	v_rcp_f64_e32 v[66:67], v[56:57]
	v_add_f64 v[62:63], v[58:59], v[60:61]
	v_add_f64 v[58:59], v[62:63], -v[58:59]
	v_add_f64 v[58:59], v[60:61], -v[58:59]
	;; [unrolled: 1-line block ×4, first 2 shown]
	v_fma_f64 v[60:61], -v[56:57], v[66:67], 1.0
	v_fmac_f64_e32 v[66:67], v[60:61], v[66:67]
	v_fma_f64 v[60:61], -v[56:57], v[66:67], 1.0
	v_fmac_f64_e32 v[66:67], v[60:61], v[66:67]
	v_mul_f64 v[60:61], v[62:63], v[66:67]
	v_mul_f64 v[64:65], v[56:57], v[60:61]
	v_fma_f64 v[68:69], v[60:61], v[56:57], -v[64:65]
	v_fmac_f64_e32 v[68:69], v[60:61], v[42:43]
	v_add_f64 v[70:71], v[64:65], v[68:69]
	v_add_f64 v[72:73], v[62:63], -v[70:71]
	v_add_f64 v[62:63], v[62:63], -v[72:73]
	;; [unrolled: 1-line block ×4, first 2 shown]
	v_add_f64 v[58:59], v[58:59], v[62:63]
	v_add_f64 v[62:63], v[64:65], -v[68:69]
	v_add_f64 v[58:59], v[62:63], v[58:59]
	v_add_f64 v[62:63], v[72:73], v[58:59]
	v_add_f64 v[64:65], v[72:73], -v[62:63]
	v_add_f64 v[58:59], v[58:59], v[64:65]
	v_mul_f64 v[64:65], v[66:67], v[62:63]
	v_mul_f64 v[68:69], v[56:57], v[64:65]
	v_fma_f64 v[56:57], v[64:65], v[56:57], -v[68:69]
	v_fmac_f64_e32 v[56:57], v[64:65], v[42:43]
	v_add_f64 v[42:43], v[68:69], v[56:57]
	v_add_f64 v[70:71], v[62:63], -v[42:43]
	v_add_f64 v[62:63], v[62:63], -v[70:71]
	v_add_f64 v[68:69], v[42:43], -v[68:69]
	v_add_f64 v[42:43], v[62:63], -v[42:43]
	v_add_f64 v[42:43], v[58:59], v[42:43]
	v_add_f64 v[56:57], v[68:69], -v[56:57]
	v_add_f64 v[42:43], v[56:57], v[42:43]
	v_add_f64 v[56:57], v[60:61], v[64:65]
	;; [unrolled: 1-line block ×3, first 2 shown]
	v_add_f64 v[58:59], v[56:57], -v[60:61]
	v_mul_f64 v[42:43], v[66:67], v[42:43]
	v_add_f64 v[58:59], v[64:65], -v[58:59]
	v_add_f64 v[42:43], v[58:59], v[42:43]
	v_add_f64 v[58:59], v[56:57], v[42:43]
	v_add_f64 v[56:57], v[58:59], -v[56:57]
	v_add_f64 v[42:43], v[42:43], -v[56:57]
	v_mul_f64 v[56:57], v[58:59], v[58:59]
	v_pk_mov_b32 v[60:61], v[24:25], v[24:25] op_sel:[0,1]
	v_fmac_f64_e32 v[60:61], s[42:43], v[56:57]
	v_pk_mov_b32 v[62:63], v[26:27], v[26:27] op_sel:[0,1]
	v_fmac_f64_e32 v[62:63], v[56:57], v[60:61]
	;; [unrolled: 2-line block ×6, first 2 shown]
	v_cvt_f64_i32_e32 v[60:61], v74
	s_mov_b32 s44, s28
	v_mul_f64 v[64:65], v[60:61], s[44:45]
	v_fma_f64 v[66:67], v[60:61], s[44:45], -v[64:65]
	s_mov_b32 s46, s30
	v_fmac_f64_e32 v[66:67], s[46:47], v[60:61]
	v_add_f64 v[60:61], v[64:65], v[66:67]
	v_add_f64 v[64:65], v[60:61], -v[64:65]
	v_mul_f64 v[56:57], v[58:59], v[56:57]
	v_add_f64 v[64:65], v[66:67], -v[64:65]
	v_ldexp_f64 v[66:67], v[58:59], 1
	v_mul_f64 v[56:57], v[56:57], v[62:63]
	v_add_f64 v[58:59], v[66:67], v[56:57]
	v_add_f64 v[62:63], v[58:59], -v[66:67]
	v_ldexp_f64 v[42:43], v[42:43], 1
	v_add_f64 v[56:57], v[56:57], -v[62:63]
	v_add_f64 v[42:43], v[42:43], v[56:57]
	v_add_f64 v[56:57], v[58:59], v[42:43]
	v_add_f64 v[58:59], v[56:57], -v[58:59]
	v_add_f64 v[42:43], v[42:43], -v[58:59]
	v_add_f64 v[58:59], v[60:61], v[56:57]
	v_add_f64 v[62:63], v[58:59], -v[60:61]
	v_add_f64 v[66:67], v[58:59], -v[62:63]
	;; [unrolled: 1-line block ×4, first 2 shown]
	v_add_f64 v[56:57], v[56:57], v[60:61]
	v_add_f64 v[60:61], v[64:65], v[42:43]
	v_add_f64 v[62:63], v[60:61], -v[64:65]
	v_add_f64 v[56:57], v[60:61], v[56:57]
	v_add_f64 v[66:67], v[60:61], -v[62:63]
	v_add_f64 v[60:61], v[58:59], v[56:57]
	v_add_f64 v[64:65], v[64:65], -v[66:67]
	v_add_f64 v[42:43], v[42:43], -v[62:63]
	v_add_f64 v[58:59], v[60:61], -v[58:59]
	v_add_f64 v[42:43], v[42:43], v[64:65]
	v_add_f64 v[56:57], v[56:57], -v[58:59]
	v_add_f64 v[42:43], v[42:43], v[56:57]
	v_add_f64 v[42:43], v[60:61], v[42:43]
	v_cmp_eq_f64_e64 s[10:11], s[48:49], v[40:41]
	v_cndmask_b32_e64 v42, v42, v40, s[10:11]
	v_cndmask_b32_e64 v43, v43, v41, s[10:11]
	v_cmp_ngt_f64_e64 s[10:11], -1.0, v[40:41]
	v_cndmask_b32_e64 v43, v49, v43, s[10:11]
	v_cmp_nge_f64_e64 s[10:11], -1.0, v[40:41]
	v_cndmask_b32_e64 v42, 0, v42, s[10:11]
	v_cmp_neq_f64_e64 s[10:11], -1.0, v[40:41]
	v_cndmask_b32_e64 v43, v50, v43, s[10:11]
	v_add_f64 v[40:41], v[38:39], v[42:43]
	s_branch .LBB84_17
.LBB84_24:                              ;   in Loop: Header=BB84_7 Depth=2
	s_or_b64 exec, exec, s[50:51]
	s_and_saveexec_b64 s[12:13], vcc
	s_cbranch_execz .LBB84_6
; %bb.25:                               ;   in Loop: Header=BB84_7 Depth=2
	v_cmp_gt_u32_e64 s[10:11], s21, v4
	s_and_saveexec_b64 s[50:51], s[10:11]
	s_cbranch_execz .LBB84_27
; %bb.26:                               ;   in Loop: Header=BB84_7 Depth=2
	ds_read_b64 v[40:41], v44
	v_lshlrev_b64 v[38:39], 3, v[4:5]
	v_add_co_u32_e64 v38, s[10:11], v53, v38
	v_addc_co_u32_e64 v39, s[10:11], v54, v39, s[10:11]
	s_waitcnt lgkmcnt(0)
	global_store_dwordx2 v[38:39], v[40:41], off
.LBB84_27:                              ;   in Loop: Header=BB84_7 Depth=2
	s_or_b64 exec, exec, s[50:51]
	v_cmp_gt_u32_e64 s[10:11], s21, v36
	s_and_b64 exec, exec, s[10:11]
	s_cbranch_execz .LBB84_6
; %bb.28:                               ;   in Loop: Header=BB84_7 Depth=2
	ds_read_b64 v[38:39], v45
	v_mov_b32_e32 v37, v5
	v_lshlrev_b64 v[36:37], 3, v[36:37]
	v_add_co_u32_e64 v36, s[10:11], v53, v36
	v_addc_co_u32_e64 v37, s[10:11], v54, v37, s[10:11]
	s_waitcnt lgkmcnt(0)
	global_store_dwordx2 v[36:37], v[38:39], off
	s_branch .LBB84_6
.LBB84_29:
	s_mov_b64 s[0:1], 0
.LBB84_30:
	s_andn2_b64 vcc, exec, s[0:1]
	s_cbranch_vccnz .LBB84_61
; %bb.31:
	s_load_dword s0, s[4:5], 0x3c
	s_add_u32 s2, s4, 48
	s_mov_b32 s25, 0
	s_addc_u32 s3, s5, 0
	v_pk_mov_b32 v[4:5], s[24:25], s[24:25] op_sel:[0,1]
	s_waitcnt lgkmcnt(0)
	s_lshr_b32 s0, s0, 16
	s_mul_hi_u32 s11, s0, s6
	s_mul_i32 s10, s0, s6
	v_cmp_ge_u64_e32 vcc, s[10:11], v[4:5]
	s_cbranch_vccnz .LBB84_61
; %bb.32:
	s_lshl_b32 s12, 1, s22
	s_load_dword s5, s[2:3], 0x0
	s_and_b32 s4, 0xffff, s0
	s_ashr_i32 s13, s12, 31
	s_cmp_lg_u32 s21, 0
	s_mov_b32 s26, s21
	v_and_b32_e32 v0, 0x3ff, v0
	s_cselect_b64 s[2:3], -1, 0
	s_lshl_b64 s[20:21], s[12:13], 1
	v_lshl_add_u32 v44, v0, 3, v3
	s_lshl_b32 s6, s20, 3
	s_add_i32 s58, s22, 1
	v_cndmask_b32_e64 v4, 0, 1, s[2:3]
	s_mov_b32 s22, 0x652b82fe
	s_mov_b32 s28, 0xfefa39ef
	;; [unrolled: 1-line block ×9, first 2 shown]
	v_mov_b32_e32 v1, 0
	s_mov_b32 s27, s25
	v_lshl_add_u32 v45, s12, 3, v44
	v_cmp_eq_u32_e64 s[0:1], 0, v0
	v_add3_u32 v46, v3, s6, -8
	s_waitcnt lgkmcnt(0)
	s_mul_i32 s33, s5, s4
	v_cmp_ne_u32_e64 s[2:3], 1, v4
	s_movk_i32 s59, 0x1f8
	s_mov_b32 s23, 0x3ff71547
	s_mov_b32 s29, 0xbfe62e42
	s_mov_b32 s31, 0xbc7abc9e
	s_mov_b32 s35, 0x3e5ade15
	s_mov_b32 s37, 0x40900000
	s_mov_b32 s39, 0xc090cc00
	s_mov_b32 s41, 0x3fe55555
	s_mov_b32 s43, 0x3fc3ab76
	s_mov_b32 s45, 0x3fe62e42
	s_mov_b32 s47, 0x3c7abc9e
	s_mov_b32 s49, 0x7ff00000
	v_mov_b32_e32 v4, 0xfca7ab0c
	v_mov_b32_e32 v5, 0x3e928af3
	;; [unrolled: 1-line block ×33, first 2 shown]
	s_branch .LBB84_34
.LBB84_33:                              ;   in Loop: Header=BB84_34 Depth=1
	s_add_u32 s10, s10, s33
	s_addc_u32 s11, s11, 0
	v_pk_mov_b32 v[34:35], s[24:25], s[24:25] op_sel:[0,1]
	v_cmp_ge_u64_e32 vcc, s[10:11], v[34:35]
	s_cbranch_vccnz .LBB84_61
.LBB84_34:                              ; =>This Loop Header: Depth=1
                                        ;     Child Loop BB84_37 Depth 2
                                        ;       Child Loop BB84_49 Depth 3
	s_and_b64 vcc, exec, s[2:3]
	s_cbranch_vccnz .LBB84_33
; %bb.35:                               ;   in Loop: Header=BB84_34 Depth=1
	v_add_co_u32_e32 v34, vcc, s10, v2
	v_mov_b32_e32 v35, s11
	v_mad_u64_u32 v[36:37], s[4:5], v34, s26, 0
	v_addc_co_u32_e32 v35, vcc, 0, v35, vcc
	v_mov_b32_e32 v38, v37
	v_mad_u64_u32 v[38:39], s[4:5], v35, s26, v[38:39]
	v_mov_b32_e32 v37, v38
	v_lshlrev_b64 v[36:37], 3, v[36:37]
	v_mov_b32_e32 v38, s19
	v_add_co_u32_e32 v50, vcc, s18, v36
	v_addc_co_u32_e32 v51, vcc, v38, v37, vcc
	v_mov_b32_e32 v38, s17
	v_add_co_u32_e32 v52, vcc, s16, v36
	v_addc_co_u32_e32 v53, vcc, v38, v37, vcc
	v_cmp_gt_u64_e64 s[4:5], s[24:25], v[34:35]
	v_cmp_le_u64_e64 s[6:7], s[24:25], v[34:35]
	s_mov_b64 s[50:51], 0
	v_pk_mov_b32 v[38:39], s[14:15], s[14:15] op_sel:[0,1]
	s_branch .LBB84_37
.LBB84_36:                              ;   in Loop: Header=BB84_37 Depth=2
	s_or_b64 exec, exec, s[8:9]
	ds_read_b64 v[38:39], v46
	s_add_u32 s50, s50, s20
	s_addc_u32 s51, s51, s21
	v_pk_mov_b32 v[34:35], s[26:27], s[26:27] op_sel:[0,1]
	v_cmp_ge_u64_e32 vcc, s[50:51], v[34:35]
	s_waitcnt lgkmcnt(0)
	s_barrier
	s_cbranch_vccnz .LBB84_33
.LBB84_37:                              ;   Parent Loop BB84_34 Depth=1
                                        ; =>  This Loop Header: Depth=2
                                        ;       Child Loop BB84_49 Depth 3
	v_mov_b32_e32 v34, s51
	v_add_co_u32_e32 v36, vcc, s50, v0
	v_addc_co_u32_e32 v37, vcc, 0, v34, vcc
	v_mov_b32_e32 v35, s13
	v_add_co_u32_e32 v34, vcc, s12, v36
	v_addc_co_u32_e32 v35, vcc, v37, v35, vcc
	s_and_saveexec_b64 s[52:53], s[4:5]
	s_cbranch_execz .LBB84_46
; %bb.38:                               ;   in Loop: Header=BB84_37 Depth=2
	v_cmp_gt_u64_e32 vcc, s[26:27], v[36:37]
	v_pk_mov_b32 v[40:41], s[14:15], s[14:15] op_sel:[0,1]
	s_and_saveexec_b64 s[8:9], vcc
	s_cbranch_execz .LBB84_40
; %bb.39:                               ;   in Loop: Header=BB84_37 Depth=2
	v_lshlrev_b64 v[40:41], 3, v[36:37]
	v_add_co_u32_e32 v40, vcc, v50, v40
	v_addc_co_u32_e32 v41, vcc, v51, v41, vcc
	global_load_dwordx2 v[40:41], v[40:41], off
.LBB84_40:                              ;   in Loop: Header=BB84_37 Depth=2
	s_or_b64 exec, exec, s[8:9]
	s_waitcnt vmcnt(0)
	ds_write_b64 v44, v[40:41]
	v_cmp_gt_u64_e32 vcc, s[26:27], v[34:35]
	v_pk_mov_b32 v[40:41], s[14:15], s[14:15] op_sel:[0,1]
	s_and_saveexec_b64 s[8:9], vcc
	s_cbranch_execz .LBB84_42
; %bb.41:                               ;   in Loop: Header=BB84_37 Depth=2
	v_lshlrev_b64 v[40:41], 3, v[34:35]
	v_add_co_u32_e32 v40, vcc, v50, v40
	v_addc_co_u32_e32 v41, vcc, v51, v41, vcc
	global_load_dwordx2 v[40:41], v[40:41], off
.LBB84_42:                              ;   in Loop: Header=BB84_37 Depth=2
	s_or_b64 exec, exec, s[8:9]
	s_waitcnt vmcnt(0)
	ds_write_b64 v45, v[40:41]
	s_and_b64 exec, exec, s[0:1]
	s_cbranch_execz .LBB84_46
; %bb.43:                               ;   in Loop: Header=BB84_37 Depth=2
	ds_read_b64 v[40:41], v3
	v_max_f64 v[54:55], v[38:39], v[38:39]
	v_cmp_u_f64_e64 s[8:9], v[38:39], v[38:39]
	s_waitcnt lgkmcnt(0)
	v_max_f64 v[56:57], v[40:41], v[40:41]
	v_min_f64 v[42:43], v[56:57], v[54:55]
	v_cmp_u_f64_e32 vcc, v[40:41], v[40:41]
	v_max_f64 v[54:55], v[56:57], v[54:55]
	v_cndmask_b32_e32 v42, v42, v40, vcc
	v_cndmask_b32_e32 v43, v43, v41, vcc
	;; [unrolled: 1-line block ×4, first 2 shown]
	v_cndmask_b32_e64 v43, v43, v39, s[8:9]
	v_cndmask_b32_e64 v42, v42, v38, s[8:9]
	;; [unrolled: 1-line block ×4, first 2 shown]
	v_cmp_neq_f64_e32 vcc, v[42:43], v[38:39]
	v_cmp_class_f64_e64 s[8:9], v[42:43], s59
	s_or_b64 s[8:9], vcc, s[8:9]
	s_and_saveexec_b64 s[54:55], s[8:9]
	s_cbranch_execz .LBB84_45
; %bb.44:                               ;   in Loop: Header=BB84_37 Depth=2
	v_add_f64 v[40:41], v[42:43], -v[38:39]
	v_mul_f64 v[42:43], v[40:41], s[22:23]
	v_rndne_f64_e32 v[42:43], v[42:43]
	v_fma_f64 v[54:55], s[28:29], v[42:43], v[40:41]
	v_fmac_f64_e32 v[54:55], s[30:31], v[42:43]
	v_pk_mov_b32 v[56:57], v[4:5], v[4:5] op_sel:[0,1]
	v_fmac_f64_e32 v[56:57], s[34:35], v[54:55]
	v_pk_mov_b32 v[58:59], v[6:7], v[6:7] op_sel:[0,1]
	;; [unrolled: 2-line block ×9, first 2 shown]
	v_fmac_f64_e32 v[56:57], v[54:55], v[58:59]
	v_fma_f64 v[56:57], v[54:55], v[56:57], 1.0
	v_fma_f64 v[54:55], v[54:55], v[56:57], 1.0
	v_cvt_i32_f64_e32 v42, v[42:43]
	v_ldexp_f64 v[42:43], v[54:55], v42
	v_cmp_nlt_f64_e32 vcc, s[36:37], v[40:41]
	v_cmp_ngt_f64_e64 s[8:9], s[38:39], v[40:41]
	v_cndmask_b32_e32 v43, v47, v43, vcc
	s_and_b64 vcc, s[8:9], vcc
	v_cndmask_b32_e64 v41, 0, v43, s[8:9]
	v_cndmask_b32_e32 v40, 0, v42, vcc
	v_add_f64 v[42:43], v[40:41], 1.0
	v_add_f64 v[54:55], v[42:43], -1.0
	v_add_f64 v[56:57], v[54:55], -v[42:43]
	v_add_f64 v[56:57], v[56:57], 1.0
	v_add_f64 v[54:55], v[40:41], -v[54:55]
	v_add_f64 v[54:55], v[54:55], v[56:57]
	v_frexp_mant_f64_e32 v[56:57], v[42:43]
	v_frexp_exp_i32_f64_e32 v58, v[42:43]
	v_cmp_gt_f64_e32 vcc, s[40:41], v[56:57]
	v_subbrev_co_u32_e32 v72, vcc, 0, v58, vcc
	v_sub_u32_e32 v56, 0, v72
	v_ldexp_f64 v[42:43], v[42:43], v56
	v_ldexp_f64 v[54:55], v[54:55], v56
	v_add_f64 v[56:57], v[42:43], -1.0
	v_add_f64 v[62:63], v[42:43], 1.0
	v_add_f64 v[58:59], v[56:57], 1.0
	v_add_f64 v[64:65], v[62:63], -1.0
	v_add_f64 v[58:59], v[42:43], -v[58:59]
	v_add_f64 v[42:43], v[42:43], -v[64:65]
	v_add_f64 v[42:43], v[54:55], v[42:43]
	v_add_f64 v[58:59], v[54:55], v[58:59]
	;; [unrolled: 1-line block ×3, first 2 shown]
	v_rcp_f64_e32 v[64:65], v[54:55]
	v_add_f64 v[60:61], v[56:57], v[58:59]
	v_add_f64 v[56:57], v[60:61], -v[56:57]
	v_add_f64 v[56:57], v[58:59], -v[56:57]
	;; [unrolled: 1-line block ×4, first 2 shown]
	v_fma_f64 v[58:59], -v[54:55], v[64:65], 1.0
	v_fmac_f64_e32 v[64:65], v[58:59], v[64:65]
	v_fma_f64 v[58:59], -v[54:55], v[64:65], 1.0
	v_fmac_f64_e32 v[64:65], v[58:59], v[64:65]
	v_mul_f64 v[58:59], v[60:61], v[64:65]
	v_mul_f64 v[62:63], v[54:55], v[58:59]
	v_fma_f64 v[66:67], v[58:59], v[54:55], -v[62:63]
	v_fmac_f64_e32 v[66:67], v[58:59], v[42:43]
	v_add_f64 v[68:69], v[62:63], v[66:67]
	v_add_f64 v[70:71], v[60:61], -v[68:69]
	v_add_f64 v[60:61], v[60:61], -v[70:71]
	;; [unrolled: 1-line block ×4, first 2 shown]
	v_add_f64 v[56:57], v[56:57], v[60:61]
	v_add_f64 v[60:61], v[62:63], -v[66:67]
	v_add_f64 v[56:57], v[60:61], v[56:57]
	v_add_f64 v[60:61], v[70:71], v[56:57]
	v_add_f64 v[62:63], v[70:71], -v[60:61]
	v_add_f64 v[56:57], v[56:57], v[62:63]
	v_mul_f64 v[62:63], v[64:65], v[60:61]
	v_mul_f64 v[66:67], v[54:55], v[62:63]
	v_fma_f64 v[54:55], v[62:63], v[54:55], -v[66:67]
	v_fmac_f64_e32 v[54:55], v[62:63], v[42:43]
	v_add_f64 v[42:43], v[66:67], v[54:55]
	v_add_f64 v[68:69], v[60:61], -v[42:43]
	v_add_f64 v[60:61], v[60:61], -v[68:69]
	;; [unrolled: 1-line block ×4, first 2 shown]
	v_add_f64 v[42:43], v[56:57], v[42:43]
	v_add_f64 v[54:55], v[66:67], -v[54:55]
	v_add_f64 v[42:43], v[54:55], v[42:43]
	v_add_f64 v[54:55], v[58:59], v[62:63]
	;; [unrolled: 1-line block ×3, first 2 shown]
	v_add_f64 v[56:57], v[54:55], -v[58:59]
	v_mul_f64 v[42:43], v[64:65], v[42:43]
	v_add_f64 v[56:57], v[62:63], -v[56:57]
	v_add_f64 v[42:43], v[56:57], v[42:43]
	v_add_f64 v[56:57], v[54:55], v[42:43]
	v_add_f64 v[54:55], v[56:57], -v[54:55]
	v_add_f64 v[42:43], v[42:43], -v[54:55]
	v_mul_f64 v[54:55], v[56:57], v[56:57]
	v_pk_mov_b32 v[58:59], v[22:23], v[22:23] op_sel:[0,1]
	v_fmac_f64_e32 v[58:59], s[42:43], v[54:55]
	v_pk_mov_b32 v[60:61], v[24:25], v[24:25] op_sel:[0,1]
	v_fmac_f64_e32 v[60:61], v[54:55], v[58:59]
	;; [unrolled: 2-line block ×6, first 2 shown]
	v_cvt_f64_i32_e32 v[58:59], v72
	s_mov_b32 s44, s28
	v_mul_f64 v[62:63], v[58:59], s[44:45]
	v_fma_f64 v[64:65], v[58:59], s[44:45], -v[62:63]
	s_mov_b32 s46, s30
	v_fmac_f64_e32 v[64:65], s[46:47], v[58:59]
	v_add_f64 v[58:59], v[62:63], v[64:65]
	v_add_f64 v[62:63], v[58:59], -v[62:63]
	v_mul_f64 v[54:55], v[56:57], v[54:55]
	v_add_f64 v[62:63], v[64:65], -v[62:63]
	v_ldexp_f64 v[64:65], v[56:57], 1
	v_mul_f64 v[54:55], v[54:55], v[60:61]
	v_add_f64 v[56:57], v[64:65], v[54:55]
	v_add_f64 v[60:61], v[56:57], -v[64:65]
	v_ldexp_f64 v[42:43], v[42:43], 1
	v_add_f64 v[54:55], v[54:55], -v[60:61]
	v_add_f64 v[42:43], v[42:43], v[54:55]
	v_add_f64 v[54:55], v[56:57], v[42:43]
	v_add_f64 v[56:57], v[54:55], -v[56:57]
	v_add_f64 v[42:43], v[42:43], -v[56:57]
	v_add_f64 v[56:57], v[58:59], v[54:55]
	v_add_f64 v[60:61], v[56:57], -v[58:59]
	v_add_f64 v[64:65], v[56:57], -v[60:61]
	;; [unrolled: 1-line block ×4, first 2 shown]
	v_add_f64 v[54:55], v[54:55], v[58:59]
	v_add_f64 v[58:59], v[62:63], v[42:43]
	v_add_f64 v[60:61], v[58:59], -v[62:63]
	v_add_f64 v[54:55], v[58:59], v[54:55]
	v_add_f64 v[64:65], v[58:59], -v[60:61]
	;; [unrolled: 2-line block ×3, first 2 shown]
	v_add_f64 v[42:43], v[42:43], -v[60:61]
	v_add_f64 v[56:57], v[58:59], -v[56:57]
	v_add_f64 v[42:43], v[42:43], v[62:63]
	v_add_f64 v[54:55], v[54:55], -v[56:57]
	v_add_f64 v[42:43], v[42:43], v[54:55]
	v_add_f64 v[42:43], v[58:59], v[42:43]
	v_cmp_eq_f64_e32 vcc, s[48:49], v[40:41]
	v_cndmask_b32_e32 v42, v42, v40, vcc
	v_cndmask_b32_e32 v43, v43, v41, vcc
	v_cmp_ngt_f64_e32 vcc, -1.0, v[40:41]
	v_cndmask_b32_e32 v43, v48, v43, vcc
	v_cmp_nge_f64_e32 vcc, -1.0, v[40:41]
	v_cndmask_b32_e32 v42, 0, v42, vcc
	v_cmp_neq_f64_e32 vcc, -1.0, v[40:41]
	v_cndmask_b32_e32 v43, v49, v43, vcc
	v_add_f64 v[40:41], v[38:39], v[42:43]
.LBB84_45:                              ;   in Loop: Header=BB84_37 Depth=2
	s_or_b64 exec, exec, s[54:55]
	ds_write_b64 v3, v[40:41]
.LBB84_46:                              ;   in Loop: Header=BB84_37 Depth=2
	s_or_b64 exec, exec, s[52:53]
	s_mov_b64 s[52:53], 0
	v_mov_b32_e32 v42, 0
	s_waitcnt lgkmcnt(0)
	s_barrier
	s_branch .LBB84_49
.LBB84_47:                              ;   in Loop: Header=BB84_49 Depth=3
	s_or_b64 exec, exec, s[56:57]
	ds_write_b64 v55, v[40:41]
.LBB84_48:                              ;   in Loop: Header=BB84_49 Depth=3
	s_or_b64 exec, exec, s[54:55]
	v_cmp_eq_u32_e32 vcc, s58, v54
	s_or_b64 s[52:53], vcc, s[52:53]
	v_mov_b32_e32 v42, v54
	s_waitcnt lgkmcnt(0)
	s_barrier
	s_andn2_b64 exec, exec, s[52:53]
	s_cbranch_execz .LBB84_56
.LBB84_49:                              ;   Parent Loop BB84_34 Depth=1
                                        ;     Parent Loop BB84_37 Depth=2
                                        ; =>    This Inner Loop Header: Depth=3
	v_add_u32_e32 v54, 1, v42
	s_and_saveexec_b64 s[8:9], s[6:7]
	s_xor_b64 s[8:9], exec, s[8:9]
; %bb.50:                               ;   in Loop: Header=BB84_49 Depth=3
	v_add_u32_e32 v54, 1, v42
                                        ; implicit-def: $vgpr42
; %bb.51:                               ;   in Loop: Header=BB84_49 Depth=3
	s_andn2_saveexec_b64 s[54:55], s[8:9]
	s_cbranch_execz .LBB84_48
; %bb.52:                               ;   in Loop: Header=BB84_49 Depth=3
	v_lshlrev_b32_e64 v38, v42, 1
	v_ashrrev_i32_e32 v39, 31, v38
	v_cmp_ge_u64_e32 vcc, v[0:1], v[38:39]
	v_pk_mov_b32 v[40:41], v[0:1], v[0:1] op_sel:[0,1]
	s_and_saveexec_b64 s[8:9], vcc
	s_cbranch_execz .LBB84_54
; %bb.53:                               ;   in Loop: Header=BB84_49 Depth=3
	v_cvt_f32_u32_e32 v39, v38
	v_sub_u32_e32 v40, 0, v38
	v_rcp_iflag_f32_e32 v39, v39
	v_mul_f32_e32 v39, 0x4f7ffffe, v39
	v_cvt_u32_f32_e32 v39, v39
	v_mul_lo_u32 v40, v40, v39
	v_mul_hi_u32 v40, v39, v40
	v_add_u32_e32 v39, v39, v40
	v_mul_hi_u32 v39, v0, v39
	v_mul_lo_u32 v39, v39, v38
	v_sub_u32_e32 v39, v0, v39
	v_sub_u32_e32 v40, v39, v38
	v_cmp_ge_u32_e32 vcc, v39, v38
	v_cndmask_b32_e32 v39, v39, v40, vcc
	v_sub_u32_e32 v40, v39, v38
	v_cmp_ge_u32_e32 vcc, v39, v38
	v_cndmask_b32_e32 v40, v39, v40, vcc
.LBB84_54:                              ;   in Loop: Header=BB84_49 Depth=3
	s_or_b64 exec, exec, s[8:9]
	v_lshrrev_b32_e32 v39, v42, v0
	v_lshl_or_b32 v38, v39, v54, v38
	v_lshl_add_u32 v38, v38, 3, v3
	v_lshl_add_u32 v55, v40, 3, v38
	v_add_u32_e32 v38, -8, v38
	ds_read_b64 v[38:39], v38
	ds_read_b64 v[40:41], v55
	s_waitcnt lgkmcnt(1)
	v_max_f64 v[56:57], v[38:39], v[38:39]
	s_waitcnt lgkmcnt(0)
	v_max_f64 v[58:59], v[40:41], v[40:41]
	v_min_f64 v[42:43], v[58:59], v[56:57]
	v_cmp_u_f64_e32 vcc, v[40:41], v[40:41]
	v_max_f64 v[56:57], v[58:59], v[56:57]
	v_cndmask_b32_e32 v42, v42, v40, vcc
	v_cndmask_b32_e32 v43, v43, v41, vcc
	v_cmp_u_f64_e64 s[8:9], v[38:39], v[38:39]
	v_cndmask_b32_e32 v56, v56, v40, vcc
	v_cndmask_b32_e32 v57, v57, v41, vcc
	v_cndmask_b32_e64 v43, v43, v39, s[8:9]
	v_cndmask_b32_e64 v42, v42, v38, s[8:9]
	;; [unrolled: 1-line block ×4, first 2 shown]
	v_cmp_neq_f64_e32 vcc, v[42:43], v[38:39]
	v_cmp_class_f64_e64 s[8:9], v[42:43], s59
	s_or_b64 s[8:9], vcc, s[8:9]
	s_and_saveexec_b64 s[56:57], s[8:9]
	s_cbranch_execz .LBB84_47
; %bb.55:                               ;   in Loop: Header=BB84_49 Depth=3
	v_add_f64 v[40:41], v[42:43], -v[38:39]
	v_mul_f64 v[42:43], v[40:41], s[22:23]
	v_rndne_f64_e32 v[42:43], v[42:43]
	v_fma_f64 v[56:57], s[28:29], v[42:43], v[40:41]
	v_fmac_f64_e32 v[56:57], s[30:31], v[42:43]
	v_pk_mov_b32 v[58:59], v[4:5], v[4:5] op_sel:[0,1]
	v_fmac_f64_e32 v[58:59], s[34:35], v[56:57]
	v_pk_mov_b32 v[60:61], v[6:7], v[6:7] op_sel:[0,1]
	;; [unrolled: 2-line block ×9, first 2 shown]
	v_fmac_f64_e32 v[58:59], v[56:57], v[60:61]
	v_fma_f64 v[58:59], v[56:57], v[58:59], 1.0
	v_fma_f64 v[56:57], v[56:57], v[58:59], 1.0
	v_cvt_i32_f64_e32 v42, v[42:43]
	v_ldexp_f64 v[42:43], v[56:57], v42
	v_cmp_nlt_f64_e32 vcc, s[36:37], v[40:41]
	v_cmp_ngt_f64_e64 s[8:9], s[38:39], v[40:41]
	v_cndmask_b32_e32 v43, v47, v43, vcc
	s_and_b64 vcc, s[8:9], vcc
	v_cndmask_b32_e64 v41, 0, v43, s[8:9]
	v_cndmask_b32_e32 v40, 0, v42, vcc
	v_add_f64 v[42:43], v[40:41], 1.0
	v_add_f64 v[56:57], v[42:43], -1.0
	v_add_f64 v[58:59], v[56:57], -v[42:43]
	v_add_f64 v[58:59], v[58:59], 1.0
	v_add_f64 v[56:57], v[40:41], -v[56:57]
	v_add_f64 v[56:57], v[56:57], v[58:59]
	v_frexp_mant_f64_e32 v[58:59], v[42:43]
	v_frexp_exp_i32_f64_e32 v60, v[42:43]
	v_cmp_gt_f64_e32 vcc, s[40:41], v[58:59]
	v_subbrev_co_u32_e32 v74, vcc, 0, v60, vcc
	v_sub_u32_e32 v58, 0, v74
	v_ldexp_f64 v[42:43], v[42:43], v58
	v_ldexp_f64 v[56:57], v[56:57], v58
	v_add_f64 v[58:59], v[42:43], -1.0
	v_add_f64 v[64:65], v[42:43], 1.0
	v_add_f64 v[60:61], v[58:59], 1.0
	v_add_f64 v[66:67], v[64:65], -1.0
	v_add_f64 v[60:61], v[42:43], -v[60:61]
	v_add_f64 v[42:43], v[42:43], -v[66:67]
	v_add_f64 v[42:43], v[56:57], v[42:43]
	v_add_f64 v[60:61], v[56:57], v[60:61]
	;; [unrolled: 1-line block ×3, first 2 shown]
	v_rcp_f64_e32 v[66:67], v[56:57]
	v_add_f64 v[62:63], v[58:59], v[60:61]
	v_add_f64 v[58:59], v[62:63], -v[58:59]
	v_add_f64 v[58:59], v[60:61], -v[58:59]
	;; [unrolled: 1-line block ×4, first 2 shown]
	v_fma_f64 v[60:61], -v[56:57], v[66:67], 1.0
	v_fmac_f64_e32 v[66:67], v[60:61], v[66:67]
	v_fma_f64 v[60:61], -v[56:57], v[66:67], 1.0
	v_fmac_f64_e32 v[66:67], v[60:61], v[66:67]
	v_mul_f64 v[60:61], v[62:63], v[66:67]
	v_mul_f64 v[64:65], v[56:57], v[60:61]
	v_fma_f64 v[68:69], v[60:61], v[56:57], -v[64:65]
	v_fmac_f64_e32 v[68:69], v[60:61], v[42:43]
	v_add_f64 v[70:71], v[64:65], v[68:69]
	v_add_f64 v[72:73], v[62:63], -v[70:71]
	v_add_f64 v[62:63], v[62:63], -v[72:73]
	v_add_f64 v[64:65], v[70:71], -v[64:65]
	v_add_f64 v[62:63], v[62:63], -v[70:71]
	v_add_f64 v[58:59], v[58:59], v[62:63]
	v_add_f64 v[62:63], v[64:65], -v[68:69]
	v_add_f64 v[58:59], v[62:63], v[58:59]
	v_add_f64 v[62:63], v[72:73], v[58:59]
	v_add_f64 v[64:65], v[72:73], -v[62:63]
	v_add_f64 v[58:59], v[58:59], v[64:65]
	v_mul_f64 v[64:65], v[66:67], v[62:63]
	v_mul_f64 v[68:69], v[56:57], v[64:65]
	v_fma_f64 v[56:57], v[64:65], v[56:57], -v[68:69]
	v_fmac_f64_e32 v[56:57], v[64:65], v[42:43]
	v_add_f64 v[42:43], v[68:69], v[56:57]
	v_add_f64 v[70:71], v[62:63], -v[42:43]
	v_add_f64 v[62:63], v[62:63], -v[70:71]
	;; [unrolled: 1-line block ×4, first 2 shown]
	v_add_f64 v[42:43], v[58:59], v[42:43]
	v_add_f64 v[56:57], v[68:69], -v[56:57]
	v_add_f64 v[42:43], v[56:57], v[42:43]
	v_add_f64 v[56:57], v[60:61], v[64:65]
	;; [unrolled: 1-line block ×3, first 2 shown]
	v_add_f64 v[58:59], v[56:57], -v[60:61]
	v_mul_f64 v[42:43], v[66:67], v[42:43]
	v_add_f64 v[58:59], v[64:65], -v[58:59]
	v_add_f64 v[42:43], v[58:59], v[42:43]
	v_add_f64 v[58:59], v[56:57], v[42:43]
	v_add_f64 v[56:57], v[58:59], -v[56:57]
	v_add_f64 v[42:43], v[42:43], -v[56:57]
	v_mul_f64 v[56:57], v[58:59], v[58:59]
	v_pk_mov_b32 v[60:61], v[22:23], v[22:23] op_sel:[0,1]
	v_fmac_f64_e32 v[60:61], s[42:43], v[56:57]
	v_pk_mov_b32 v[62:63], v[24:25], v[24:25] op_sel:[0,1]
	v_fmac_f64_e32 v[62:63], v[56:57], v[60:61]
	v_pk_mov_b32 v[60:61], v[26:27], v[26:27] op_sel:[0,1]
	v_fmac_f64_e32 v[60:61], v[56:57], v[62:63]
	v_pk_mov_b32 v[62:63], v[28:29], v[28:29] op_sel:[0,1]
	v_fmac_f64_e32 v[62:63], v[56:57], v[60:61]
	v_pk_mov_b32 v[60:61], v[30:31], v[30:31] op_sel:[0,1]
	v_fmac_f64_e32 v[60:61], v[56:57], v[62:63]
	v_pk_mov_b32 v[62:63], v[32:33], v[32:33] op_sel:[0,1]
	v_fmac_f64_e32 v[62:63], v[56:57], v[60:61]
	v_cvt_f64_i32_e32 v[60:61], v74
	s_mov_b32 s44, s28
	v_mul_f64 v[64:65], v[60:61], s[44:45]
	v_fma_f64 v[66:67], v[60:61], s[44:45], -v[64:65]
	s_mov_b32 s46, s30
	v_fmac_f64_e32 v[66:67], s[46:47], v[60:61]
	v_add_f64 v[60:61], v[64:65], v[66:67]
	v_add_f64 v[64:65], v[60:61], -v[64:65]
	v_mul_f64 v[56:57], v[58:59], v[56:57]
	v_add_f64 v[64:65], v[66:67], -v[64:65]
	v_ldexp_f64 v[66:67], v[58:59], 1
	v_mul_f64 v[56:57], v[56:57], v[62:63]
	v_add_f64 v[58:59], v[66:67], v[56:57]
	v_add_f64 v[62:63], v[58:59], -v[66:67]
	v_ldexp_f64 v[42:43], v[42:43], 1
	v_add_f64 v[56:57], v[56:57], -v[62:63]
	v_add_f64 v[42:43], v[42:43], v[56:57]
	v_add_f64 v[56:57], v[58:59], v[42:43]
	v_add_f64 v[58:59], v[56:57], -v[58:59]
	v_add_f64 v[42:43], v[42:43], -v[58:59]
	v_add_f64 v[58:59], v[60:61], v[56:57]
	v_add_f64 v[62:63], v[58:59], -v[60:61]
	v_add_f64 v[66:67], v[58:59], -v[62:63]
	;; [unrolled: 1-line block ×4, first 2 shown]
	v_add_f64 v[56:57], v[56:57], v[60:61]
	v_add_f64 v[60:61], v[64:65], v[42:43]
	v_add_f64 v[62:63], v[60:61], -v[64:65]
	v_add_f64 v[56:57], v[60:61], v[56:57]
	v_add_f64 v[66:67], v[60:61], -v[62:63]
	;; [unrolled: 2-line block ×3, first 2 shown]
	v_add_f64 v[42:43], v[42:43], -v[62:63]
	v_add_f64 v[58:59], v[60:61], -v[58:59]
	v_add_f64 v[42:43], v[42:43], v[64:65]
	v_add_f64 v[56:57], v[56:57], -v[58:59]
	v_add_f64 v[42:43], v[42:43], v[56:57]
	v_add_f64 v[42:43], v[60:61], v[42:43]
	v_cmp_eq_f64_e32 vcc, s[48:49], v[40:41]
	v_cndmask_b32_e32 v42, v42, v40, vcc
	v_cndmask_b32_e32 v43, v43, v41, vcc
	v_cmp_ngt_f64_e32 vcc, -1.0, v[40:41]
	v_cndmask_b32_e32 v43, v48, v43, vcc
	v_cmp_nge_f64_e32 vcc, -1.0, v[40:41]
	v_cndmask_b32_e32 v42, 0, v42, vcc
	v_cmp_neq_f64_e32 vcc, -1.0, v[40:41]
	v_cndmask_b32_e32 v43, v49, v43, vcc
	v_add_f64 v[40:41], v[38:39], v[42:43]
	s_branch .LBB84_47
.LBB84_56:                              ;   in Loop: Header=BB84_37 Depth=2
	s_or_b64 exec, exec, s[52:53]
	s_and_saveexec_b64 s[8:9], s[4:5]
	s_cbranch_execz .LBB84_36
; %bb.57:                               ;   in Loop: Header=BB84_37 Depth=2
	v_cmp_gt_u64_e32 vcc, s[26:27], v[36:37]
	s_and_saveexec_b64 s[52:53], vcc
	s_cbranch_execz .LBB84_59
; %bb.58:                               ;   in Loop: Header=BB84_37 Depth=2
	ds_read_b64 v[38:39], v44
	v_lshlrev_b64 v[36:37], 3, v[36:37]
	v_add_co_u32_e32 v36, vcc, v52, v36
	v_addc_co_u32_e32 v37, vcc, v53, v37, vcc
	s_waitcnt lgkmcnt(0)
	global_store_dwordx2 v[36:37], v[38:39], off
.LBB84_59:                              ;   in Loop: Header=BB84_37 Depth=2
	s_or_b64 exec, exec, s[52:53]
	v_cmp_gt_u64_e32 vcc, s[26:27], v[34:35]
	s_and_b64 exec, exec, vcc
	s_cbranch_execz .LBB84_36
; %bb.60:                               ;   in Loop: Header=BB84_37 Depth=2
	ds_read_b64 v[36:37], v45
	v_lshlrev_b64 v[34:35], 3, v[34:35]
	v_add_co_u32_e32 v34, vcc, v52, v34
	v_addc_co_u32_e32 v35, vcc, v53, v35, vcc
	s_waitcnt lgkmcnt(0)
	global_store_dwordx2 v[34:35], v[36:37], off
	s_branch .LBB84_36
.LBB84_61:
	s_endpgm
	.section	.rodata,"a",@progbits
	.p2align	6, 0x0
	.amdhsa_kernel _ZN2at6native32tensor_kernel_scan_innermost_dimIdZZZNS0_31launch_logcumsumexp_cuda_kernelERKNS_10TensorBaseES4_lENKUlvE_clEvENKUlvE_clEvEUlddE_EEvPT_PKS8_jjjS8_T0_
		.amdhsa_group_segment_fixed_size 0
		.amdhsa_private_segment_fixed_size 0
		.amdhsa_kernarg_size 304
		.amdhsa_user_sgpr_count 6
		.amdhsa_user_sgpr_private_segment_buffer 1
		.amdhsa_user_sgpr_dispatch_ptr 0
		.amdhsa_user_sgpr_queue_ptr 0
		.amdhsa_user_sgpr_kernarg_segment_ptr 1
		.amdhsa_user_sgpr_dispatch_id 0
		.amdhsa_user_sgpr_flat_scratch_init 0
		.amdhsa_user_sgpr_kernarg_preload_length 0
		.amdhsa_user_sgpr_kernarg_preload_offset 0
		.amdhsa_user_sgpr_private_segment_size 0
		.amdhsa_uses_dynamic_stack 0
		.amdhsa_system_sgpr_private_segment_wavefront_offset 0
		.amdhsa_system_sgpr_workgroup_id_x 1
		.amdhsa_system_sgpr_workgroup_id_y 0
		.amdhsa_system_sgpr_workgroup_id_z 0
		.amdhsa_system_sgpr_workgroup_info 0
		.amdhsa_system_vgpr_workitem_id 1
		.amdhsa_next_free_vgpr 75
		.amdhsa_next_free_sgpr 60
		.amdhsa_accum_offset 76
		.amdhsa_reserve_vcc 1
		.amdhsa_reserve_flat_scratch 0
		.amdhsa_float_round_mode_32 0
		.amdhsa_float_round_mode_16_64 0
		.amdhsa_float_denorm_mode_32 3
		.amdhsa_float_denorm_mode_16_64 3
		.amdhsa_dx10_clamp 1
		.amdhsa_ieee_mode 1
		.amdhsa_fp16_overflow 0
		.amdhsa_tg_split 0
		.amdhsa_exception_fp_ieee_invalid_op 0
		.amdhsa_exception_fp_denorm_src 0
		.amdhsa_exception_fp_ieee_div_zero 0
		.amdhsa_exception_fp_ieee_overflow 0
		.amdhsa_exception_fp_ieee_underflow 0
		.amdhsa_exception_fp_ieee_inexact 0
		.amdhsa_exception_int_div_zero 0
	.end_amdhsa_kernel
	.section	.text._ZN2at6native32tensor_kernel_scan_innermost_dimIdZZZNS0_31launch_logcumsumexp_cuda_kernelERKNS_10TensorBaseES4_lENKUlvE_clEvENKUlvE_clEvEUlddE_EEvPT_PKS8_jjjS8_T0_,"axG",@progbits,_ZN2at6native32tensor_kernel_scan_innermost_dimIdZZZNS0_31launch_logcumsumexp_cuda_kernelERKNS_10TensorBaseES4_lENKUlvE_clEvENKUlvE_clEvEUlddE_EEvPT_PKS8_jjjS8_T0_,comdat
.Lfunc_end84:
	.size	_ZN2at6native32tensor_kernel_scan_innermost_dimIdZZZNS0_31launch_logcumsumexp_cuda_kernelERKNS_10TensorBaseES4_lENKUlvE_clEvENKUlvE_clEvEUlddE_EEvPT_PKS8_jjjS8_T0_, .Lfunc_end84-_ZN2at6native32tensor_kernel_scan_innermost_dimIdZZZNS0_31launch_logcumsumexp_cuda_kernelERKNS_10TensorBaseES4_lENKUlvE_clEvENKUlvE_clEvEUlddE_EEvPT_PKS8_jjjS8_T0_
                                        ; -- End function
	.section	.AMDGPU.csdata,"",@progbits
; Kernel info:
; codeLenInByte = 7700
; NumSgprs: 64
; NumVgprs: 75
; NumAgprs: 0
; TotalNumVgprs: 75
; ScratchSize: 0
; MemoryBound: 0
; FloatMode: 240
; IeeeMode: 1
; LDSByteSize: 0 bytes/workgroup (compile time only)
; SGPRBlocks: 7
; VGPRBlocks: 9
; NumSGPRsForWavesPerEU: 64
; NumVGPRsForWavesPerEU: 75
; AccumOffset: 76
; Occupancy: 6
; WaveLimiterHint : 0
; COMPUTE_PGM_RSRC2:SCRATCH_EN: 0
; COMPUTE_PGM_RSRC2:USER_SGPR: 6
; COMPUTE_PGM_RSRC2:TRAP_HANDLER: 0
; COMPUTE_PGM_RSRC2:TGID_X_EN: 1
; COMPUTE_PGM_RSRC2:TGID_Y_EN: 0
; COMPUTE_PGM_RSRC2:TGID_Z_EN: 0
; COMPUTE_PGM_RSRC2:TIDIG_COMP_CNT: 1
; COMPUTE_PGM_RSRC3_GFX90A:ACCUM_OFFSET: 18
; COMPUTE_PGM_RSRC3_GFX90A:TG_SPLIT: 0
	.section	.text._ZN2at6native28tensor_kernel_scan_outer_dimIdjZZZNS0_31launch_logcumsumexp_cuda_kernelERKNS_10TensorBaseES4_lENKUlvE_clEvENKUlvE_clEvEUlddE_EEvPT_PKS8_jjjS8_T1_,"axG",@progbits,_ZN2at6native28tensor_kernel_scan_outer_dimIdjZZZNS0_31launch_logcumsumexp_cuda_kernelERKNS_10TensorBaseES4_lENKUlvE_clEvENKUlvE_clEvEUlddE_EEvPT_PKS8_jjjS8_T1_,comdat
	.globl	_ZN2at6native28tensor_kernel_scan_outer_dimIdjZZZNS0_31launch_logcumsumexp_cuda_kernelERKNS_10TensorBaseES4_lENKUlvE_clEvENKUlvE_clEvEUlddE_EEvPT_PKS8_jjjS8_T1_ ; -- Begin function _ZN2at6native28tensor_kernel_scan_outer_dimIdjZZZNS0_31launch_logcumsumexp_cuda_kernelERKNS_10TensorBaseES4_lENKUlvE_clEvENKUlvE_clEvEUlddE_EEvPT_PKS8_jjjS8_T1_
	.p2align	8
	.type	_ZN2at6native28tensor_kernel_scan_outer_dimIdjZZZNS0_31launch_logcumsumexp_cuda_kernelERKNS_10TensorBaseES4_lENKUlvE_clEvENKUlvE_clEvEUlddE_EEvPT_PKS8_jjjS8_T1_,@function
_ZN2at6native28tensor_kernel_scan_outer_dimIdjZZZNS0_31launch_logcumsumexp_cuda_kernelERKNS_10TensorBaseES4_lENKUlvE_clEvENKUlvE_clEvEUlddE_EEvPT_PKS8_jjjS8_T1_: ; @_ZN2at6native28tensor_kernel_scan_outer_dimIdjZZZNS0_31launch_logcumsumexp_cuda_kernelERKNS_10TensorBaseES4_lENKUlvE_clEvENKUlvE_clEvEUlddE_EEvPT_PKS8_jjjS8_T1_
; %bb.0:
	s_load_dwordx4 s[8:11], s[4:5], 0x10
	s_waitcnt lgkmcnt(0)
	s_cmp_ge_u32 s6, s8
	s_cbranch_scc1 .LBB85_11
; %bb.1:
	s_load_dword s11, s[4:5], 0x30
	s_load_dword s0, s[4:5], 0x3c
	s_load_dwordx4 s[12:15], s[4:5], 0x0
	s_load_dwordx2 s[16:17], s[4:5], 0x20
	s_add_u32 s18, s4, 48
	s_addc_u32 s19, s5, 0
	s_waitcnt lgkmcnt(0)
	s_and_b32 s33, s0, 0xffff
	s_cmp_lg_u32 s10, 0
	s_mul_i32 s2, s6, s10
	s_mul_i32 s7, s7, s33
	;; [unrolled: 1-line block ×3, first 2 shown]
	s_cselect_b64 s[2:3], -1, 0
	v_add_u32_e32 v40, s7, v0
	s_mov_b32 s21, 0
	s_mov_b32 s20, s9
	s_mul_i32 s7, s11, s10
	v_cndmask_b32_e64 v0, 0, 1, s[2:3]
	s_mov_b32 s24, 0x652b82fe
	s_mov_b32 s26, 0xfefa39ef
	;; [unrolled: 1-line block ×9, first 2 shown]
	v_cmp_gt_u32_e64 s[0:1], s9, v40
	s_mul_i32 s7, s7, s9
	s_lshl_b64 s[22:23], s[20:21], 3
	v_cmp_ne_u32_e64 s[2:3], 1, v0
	v_mov_b32_e32 v1, 0
	s_movk_i32 s56, 0x1f8
	s_mov_b32 s25, 0x3ff71547
	s_mov_b32 s27, 0xbfe62e42
	;; [unrolled: 1-line block ×11, first 2 shown]
	v_mov_b32_e32 v2, 0xfca7ab0c
	v_mov_b32_e32 v3, 0x3e928af3
	;; [unrolled: 1-line block ×32, first 2 shown]
	s_mov_b32 s20, s4
	s_branch .LBB85_3
.LBB85_2:                               ;   in Loop: Header=BB85_3 Depth=1
	s_or_b64 exec, exec, s[48:49]
	s_add_i32 s6, s11, s6
	s_add_i32 s20, s20, s7
	s_cmp_ge_u32 s6, s8
	s_cbranch_scc1 .LBB85_11
.LBB85_3:                               ; =>This Loop Header: Depth=1
                                        ;     Child Loop BB85_6 Depth 2
                                        ;       Child Loop BB85_9 Depth 3
	s_and_saveexec_b64 s[48:49], s[0:1]
	s_cbranch_execz .LBB85_2
; %bb.4:                                ;   in Loop: Header=BB85_3 Depth=1
	s_load_dword s57, s[18:19], 0x4
	s_lshl_b64 s[50:51], s[20:21], 3
	s_mov_b64 s[52:53], 0
	v_mov_b32_e32 v0, v40
	s_waitcnt lgkmcnt(0)
	s_mul_i32 s57, s57, s33
	s_branch .LBB85_6
.LBB85_5:                               ;   in Loop: Header=BB85_6 Depth=2
	v_add_u32_e32 v0, s57, v0
	v_cmp_le_u32_e32 vcc, s9, v0
	s_or_b64 s[52:53], vcc, s[52:53]
	s_andn2_b64 exec, exec, s[52:53]
	s_cbranch_execz .LBB85_2
.LBB85_6:                               ;   Parent Loop BB85_3 Depth=1
                                        ; =>  This Loop Header: Depth=2
                                        ;       Child Loop BB85_9 Depth 3
	s_and_b64 vcc, exec, s[2:3]
	s_cbranch_vccnz .LBB85_5
; %bb.7:                                ;   in Loop: Header=BB85_6 Depth=2
	v_lshlrev_b64 v[32:33], 3, v[0:1]
	v_mov_b32_e32 v34, s51
	v_add_co_u32_e32 v32, vcc, s50, v32
	v_addc_co_u32_e32 v33, vcc, v34, v33, vcc
	v_pk_mov_b32 v[36:37], s[16:17], s[16:17] op_sel:[0,1]
	s_mov_b32 s58, s10
	s_branch .LBB85_9
.LBB85_8:                               ;   in Loop: Header=BB85_9 Depth=3
	s_or_b64 exec, exec, s[54:55]
	v_mov_b32_e32 v35, s13
	v_add_co_u32_e32 v34, vcc, s12, v32
	v_addc_co_u32_e32 v35, vcc, v35, v33, vcc
	global_store_dwordx2 v[34:35], v[36:37], off
	s_add_i32 s58, s58, -1
	v_mov_b32_e32 v34, s23
	v_add_co_u32_e32 v32, vcc, s22, v32
	s_cmp_eq_u32 s58, 0
	v_addc_co_u32_e32 v33, vcc, v33, v34, vcc
	s_cbranch_scc1 .LBB85_5
.LBB85_9:                               ;   Parent Loop BB85_3 Depth=1
                                        ;     Parent Loop BB85_6 Depth=2
                                        ; =>    This Inner Loop Header: Depth=3
	v_mov_b32_e32 v35, s15
	v_add_co_u32_e32 v34, vcc, s14, v32
	v_addc_co_u32_e32 v35, vcc, v35, v33, vcc
	global_load_dwordx2 v[34:35], v[34:35], off
	v_max_f64 v[38:39], v[36:37], v[36:37]
	v_cmp_u_f64_e32 vcc, v[36:37], v[36:37]
	s_waitcnt vmcnt(0)
	v_max_f64 v[44:45], v[34:35], v[34:35]
	v_min_f64 v[46:47], v[38:39], v[44:45]
	v_max_f64 v[38:39], v[38:39], v[44:45]
	v_cndmask_b32_e32 v43, v46, v36, vcc
	v_cndmask_b32_e32 v44, v47, v37, vcc
	;; [unrolled: 1-line block ×4, first 2 shown]
	v_cmp_u_f64_e32 vcc, v[34:35], v[34:35]
	v_cndmask_b32_e32 v39, v44, v35, vcc
	v_cndmask_b32_e32 v38, v43, v34, vcc
	v_cndmask_b32_e32 v35, v46, v35, vcc
	v_cndmask_b32_e32 v34, v45, v34, vcc
	v_cmp_neq_f64_e32 vcc, v[38:39], v[34:35]
	v_cmp_class_f64_e64 s[4:5], v[38:39], s56
	s_or_b64 s[4:5], vcc, s[4:5]
	s_and_saveexec_b64 s[54:55], s[4:5]
	s_cbranch_execz .LBB85_8
; %bb.10:                               ;   in Loop: Header=BB85_9 Depth=3
	v_add_f64 v[36:37], v[38:39], -v[34:35]
	v_mul_f64 v[38:39], v[36:37], s[24:25]
	v_rndne_f64_e32 v[38:39], v[38:39]
	v_fma_f64 v[44:45], s[26:27], v[38:39], v[36:37]
	v_fmac_f64_e32 v[44:45], s[28:29], v[38:39]
	v_pk_mov_b32 v[46:47], v[2:3], v[2:3] op_sel:[0,1]
	v_fmac_f64_e32 v[46:47], s[30:31], v[44:45]
	v_pk_mov_b32 v[48:49], v[4:5], v[4:5] op_sel:[0,1]
	;; [unrolled: 2-line block ×9, first 2 shown]
	v_fmac_f64_e32 v[46:47], v[44:45], v[48:49]
	v_fma_f64 v[46:47], v[44:45], v[46:47], 1.0
	v_fma_f64 v[44:45], v[44:45], v[46:47], 1.0
	v_cvt_i32_f64_e32 v38, v[38:39]
	v_ldexp_f64 v[38:39], v[44:45], v38
	v_mov_b32_e32 v43, 0x7ff00000
	v_cmp_nlt_f64_e32 vcc, s[34:35], v[36:37]
	v_cmp_ngt_f64_e64 s[4:5], s[36:37], v[36:37]
	v_cndmask_b32_e32 v39, v43, v39, vcc
	s_and_b64 vcc, s[4:5], vcc
	v_cndmask_b32_e64 v37, 0, v39, s[4:5]
	v_cndmask_b32_e32 v36, 0, v38, vcc
	v_add_f64 v[38:39], v[36:37], 1.0
	v_add_f64 v[44:45], v[38:39], -1.0
	v_add_f64 v[46:47], v[44:45], -v[38:39]
	v_add_f64 v[46:47], v[46:47], 1.0
	v_add_f64 v[44:45], v[36:37], -v[44:45]
	v_add_f64 v[44:45], v[44:45], v[46:47]
	v_frexp_mant_f64_e32 v[46:47], v[38:39]
	v_frexp_exp_i32_f64_e32 v43, v[38:39]
	v_cmp_gt_f64_e32 vcc, s[38:39], v[46:47]
	v_subbrev_co_u32_e32 v43, vcc, 0, v43, vcc
	v_sub_u32_e32 v46, 0, v43
	v_ldexp_f64 v[38:39], v[38:39], v46
	v_ldexp_f64 v[44:45], v[44:45], v46
	v_add_f64 v[46:47], v[38:39], -1.0
	v_add_f64 v[52:53], v[38:39], 1.0
	v_add_f64 v[48:49], v[46:47], 1.0
	v_add_f64 v[54:55], v[52:53], -1.0
	v_add_f64 v[48:49], v[38:39], -v[48:49]
	v_add_f64 v[38:39], v[38:39], -v[54:55]
	v_add_f64 v[38:39], v[44:45], v[38:39]
	v_add_f64 v[48:49], v[44:45], v[48:49]
	;; [unrolled: 1-line block ×3, first 2 shown]
	v_rcp_f64_e32 v[54:55], v[44:45]
	v_add_f64 v[50:51], v[46:47], v[48:49]
	v_add_f64 v[46:47], v[50:51], -v[46:47]
	v_add_f64 v[46:47], v[48:49], -v[46:47]
	;; [unrolled: 1-line block ×4, first 2 shown]
	v_fma_f64 v[48:49], -v[44:45], v[54:55], 1.0
	v_fmac_f64_e32 v[54:55], v[48:49], v[54:55]
	v_fma_f64 v[48:49], -v[44:45], v[54:55], 1.0
	v_fmac_f64_e32 v[54:55], v[48:49], v[54:55]
	v_mul_f64 v[48:49], v[50:51], v[54:55]
	v_mul_f64 v[52:53], v[44:45], v[48:49]
	v_fma_f64 v[56:57], v[48:49], v[44:45], -v[52:53]
	v_fmac_f64_e32 v[56:57], v[48:49], v[38:39]
	v_add_f64 v[58:59], v[52:53], v[56:57]
	v_add_f64 v[60:61], v[50:51], -v[58:59]
	v_add_f64 v[50:51], v[50:51], -v[60:61]
	;; [unrolled: 1-line block ×4, first 2 shown]
	v_add_f64 v[46:47], v[46:47], v[50:51]
	v_add_f64 v[50:51], v[52:53], -v[56:57]
	v_add_f64 v[46:47], v[50:51], v[46:47]
	v_add_f64 v[50:51], v[60:61], v[46:47]
	v_add_f64 v[52:53], v[60:61], -v[50:51]
	v_add_f64 v[46:47], v[46:47], v[52:53]
	v_mul_f64 v[52:53], v[54:55], v[50:51]
	v_mul_f64 v[56:57], v[44:45], v[52:53]
	v_fma_f64 v[44:45], v[52:53], v[44:45], -v[56:57]
	v_fmac_f64_e32 v[44:45], v[52:53], v[38:39]
	v_add_f64 v[38:39], v[56:57], v[44:45]
	v_add_f64 v[58:59], v[50:51], -v[38:39]
	v_add_f64 v[50:51], v[50:51], -v[58:59]
	;; [unrolled: 1-line block ×4, first 2 shown]
	v_add_f64 v[38:39], v[46:47], v[38:39]
	v_add_f64 v[44:45], v[56:57], -v[44:45]
	v_add_f64 v[38:39], v[44:45], v[38:39]
	v_add_f64 v[44:45], v[48:49], v[52:53]
	;; [unrolled: 1-line block ×3, first 2 shown]
	v_add_f64 v[46:47], v[44:45], -v[48:49]
	v_mul_f64 v[38:39], v[54:55], v[38:39]
	v_add_f64 v[46:47], v[52:53], -v[46:47]
	v_add_f64 v[38:39], v[46:47], v[38:39]
	v_add_f64 v[46:47], v[44:45], v[38:39]
	v_add_f64 v[44:45], v[46:47], -v[44:45]
	v_add_f64 v[38:39], v[38:39], -v[44:45]
	v_mul_f64 v[44:45], v[46:47], v[46:47]
	v_pk_mov_b32 v[48:49], v[20:21], v[20:21] op_sel:[0,1]
	v_fmac_f64_e32 v[48:49], s[40:41], v[44:45]
	v_pk_mov_b32 v[50:51], v[22:23], v[22:23] op_sel:[0,1]
	v_fmac_f64_e32 v[50:51], v[44:45], v[48:49]
	;; [unrolled: 2-line block ×6, first 2 shown]
	v_cvt_f64_i32_e32 v[48:49], v43
	s_mov_b32 s42, s26
	v_mul_f64 v[52:53], v[48:49], s[42:43]
	v_fma_f64 v[54:55], v[48:49], s[42:43], -v[52:53]
	s_mov_b32 s44, s28
	v_fmac_f64_e32 v[54:55], s[44:45], v[48:49]
	v_add_f64 v[48:49], v[52:53], v[54:55]
	v_add_f64 v[52:53], v[48:49], -v[52:53]
	v_mul_f64 v[44:45], v[46:47], v[44:45]
	v_add_f64 v[52:53], v[54:55], -v[52:53]
	v_ldexp_f64 v[54:55], v[46:47], 1
	v_mul_f64 v[44:45], v[44:45], v[50:51]
	v_add_f64 v[46:47], v[54:55], v[44:45]
	v_add_f64 v[50:51], v[46:47], -v[54:55]
	v_ldexp_f64 v[38:39], v[38:39], 1
	v_add_f64 v[44:45], v[44:45], -v[50:51]
	v_add_f64 v[38:39], v[38:39], v[44:45]
	v_add_f64 v[44:45], v[46:47], v[38:39]
	v_add_f64 v[46:47], v[44:45], -v[46:47]
	v_add_f64 v[38:39], v[38:39], -v[46:47]
	v_add_f64 v[46:47], v[48:49], v[44:45]
	v_add_f64 v[50:51], v[46:47], -v[48:49]
	v_add_f64 v[54:55], v[46:47], -v[50:51]
	;; [unrolled: 1-line block ×4, first 2 shown]
	v_add_f64 v[44:45], v[44:45], v[48:49]
	v_add_f64 v[48:49], v[52:53], v[38:39]
	v_add_f64 v[50:51], v[48:49], -v[52:53]
	v_add_f64 v[44:45], v[48:49], v[44:45]
	v_add_f64 v[54:55], v[48:49], -v[50:51]
	;; [unrolled: 2-line block ×3, first 2 shown]
	v_add_f64 v[38:39], v[38:39], -v[50:51]
	v_add_f64 v[46:47], v[48:49], -v[46:47]
	v_add_f64 v[38:39], v[38:39], v[52:53]
	v_add_f64 v[44:45], v[44:45], -v[46:47]
	v_add_f64 v[38:39], v[38:39], v[44:45]
	v_add_f64 v[38:39], v[48:49], v[38:39]
	v_cmp_eq_f64_e32 vcc, s[46:47], v[36:37]
	v_cndmask_b32_e32 v38, v38, v36, vcc
	v_cndmask_b32_e32 v39, v39, v37, vcc
	v_cmp_ngt_f64_e32 vcc, -1.0, v[36:37]
	v_cndmask_b32_e32 v39, v41, v39, vcc
	v_cmp_nge_f64_e32 vcc, -1.0, v[36:37]
	v_cndmask_b32_e32 v38, 0, v38, vcc
	v_cmp_neq_f64_e32 vcc, -1.0, v[36:37]
	v_cndmask_b32_e32 v39, v42, v39, vcc
	v_add_f64 v[36:37], v[34:35], v[38:39]
	s_branch .LBB85_8
.LBB85_11:
	s_endpgm
	.section	.rodata,"a",@progbits
	.p2align	6, 0x0
	.amdhsa_kernel _ZN2at6native28tensor_kernel_scan_outer_dimIdjZZZNS0_31launch_logcumsumexp_cuda_kernelERKNS_10TensorBaseES4_lENKUlvE_clEvENKUlvE_clEvEUlddE_EEvPT_PKS8_jjjS8_T1_
		.amdhsa_group_segment_fixed_size 0
		.amdhsa_private_segment_fixed_size 0
		.amdhsa_kernarg_size 304
		.amdhsa_user_sgpr_count 6
		.amdhsa_user_sgpr_private_segment_buffer 1
		.amdhsa_user_sgpr_dispatch_ptr 0
		.amdhsa_user_sgpr_queue_ptr 0
		.amdhsa_user_sgpr_kernarg_segment_ptr 1
		.amdhsa_user_sgpr_dispatch_id 0
		.amdhsa_user_sgpr_flat_scratch_init 0
		.amdhsa_user_sgpr_kernarg_preload_length 0
		.amdhsa_user_sgpr_kernarg_preload_offset 0
		.amdhsa_user_sgpr_private_segment_size 0
		.amdhsa_uses_dynamic_stack 0
		.amdhsa_system_sgpr_private_segment_wavefront_offset 0
		.amdhsa_system_sgpr_workgroup_id_x 1
		.amdhsa_system_sgpr_workgroup_id_y 1
		.amdhsa_system_sgpr_workgroup_id_z 0
		.amdhsa_system_sgpr_workgroup_info 0
		.amdhsa_system_vgpr_workitem_id 0
		.amdhsa_next_free_vgpr 62
		.amdhsa_next_free_sgpr 59
		.amdhsa_accum_offset 64
		.amdhsa_reserve_vcc 1
		.amdhsa_reserve_flat_scratch 0
		.amdhsa_float_round_mode_32 0
		.amdhsa_float_round_mode_16_64 0
		.amdhsa_float_denorm_mode_32 3
		.amdhsa_float_denorm_mode_16_64 3
		.amdhsa_dx10_clamp 1
		.amdhsa_ieee_mode 1
		.amdhsa_fp16_overflow 0
		.amdhsa_tg_split 0
		.amdhsa_exception_fp_ieee_invalid_op 0
		.amdhsa_exception_fp_denorm_src 0
		.amdhsa_exception_fp_ieee_div_zero 0
		.amdhsa_exception_fp_ieee_overflow 0
		.amdhsa_exception_fp_ieee_underflow 0
		.amdhsa_exception_fp_ieee_inexact 0
		.amdhsa_exception_int_div_zero 0
	.end_amdhsa_kernel
	.section	.text._ZN2at6native28tensor_kernel_scan_outer_dimIdjZZZNS0_31launch_logcumsumexp_cuda_kernelERKNS_10TensorBaseES4_lENKUlvE_clEvENKUlvE_clEvEUlddE_EEvPT_PKS8_jjjS8_T1_,"axG",@progbits,_ZN2at6native28tensor_kernel_scan_outer_dimIdjZZZNS0_31launch_logcumsumexp_cuda_kernelERKNS_10TensorBaseES4_lENKUlvE_clEvENKUlvE_clEvEUlddE_EEvPT_PKS8_jjjS8_T1_,comdat
.Lfunc_end85:
	.size	_ZN2at6native28tensor_kernel_scan_outer_dimIdjZZZNS0_31launch_logcumsumexp_cuda_kernelERKNS_10TensorBaseES4_lENKUlvE_clEvENKUlvE_clEvEUlddE_EEvPT_PKS8_jjjS8_T1_, .Lfunc_end85-_ZN2at6native28tensor_kernel_scan_outer_dimIdjZZZNS0_31launch_logcumsumexp_cuda_kernelERKNS_10TensorBaseES4_lENKUlvE_clEvENKUlvE_clEvEUlddE_EEvPT_PKS8_jjjS8_T1_
                                        ; -- End function
	.section	.AMDGPU.csdata,"",@progbits
; Kernel info:
; codeLenInByte = 1980
; NumSgprs: 63
; NumVgprs: 62
; NumAgprs: 0
; TotalNumVgprs: 62
; ScratchSize: 0
; MemoryBound: 0
; FloatMode: 240
; IeeeMode: 1
; LDSByteSize: 0 bytes/workgroup (compile time only)
; SGPRBlocks: 7
; VGPRBlocks: 7
; NumSGPRsForWavesPerEU: 63
; NumVGPRsForWavesPerEU: 62
; AccumOffset: 64
; Occupancy: 8
; WaveLimiterHint : 0
; COMPUTE_PGM_RSRC2:SCRATCH_EN: 0
; COMPUTE_PGM_RSRC2:USER_SGPR: 6
; COMPUTE_PGM_RSRC2:TRAP_HANDLER: 0
; COMPUTE_PGM_RSRC2:TGID_X_EN: 1
; COMPUTE_PGM_RSRC2:TGID_Y_EN: 1
; COMPUTE_PGM_RSRC2:TGID_Z_EN: 0
; COMPUTE_PGM_RSRC2:TIDIG_COMP_CNT: 0
; COMPUTE_PGM_RSRC3_GFX90A:ACCUM_OFFSET: 15
; COMPUTE_PGM_RSRC3_GFX90A:TG_SPLIT: 0
	.section	.text._ZN2at6native28tensor_kernel_scan_outer_dimIdmZZZNS0_31launch_logcumsumexp_cuda_kernelERKNS_10TensorBaseES4_lENKUlvE_clEvENKUlvE_clEvEUlddE_EEvPT_PKS8_jjjS8_T1_,"axG",@progbits,_ZN2at6native28tensor_kernel_scan_outer_dimIdmZZZNS0_31launch_logcumsumexp_cuda_kernelERKNS_10TensorBaseES4_lENKUlvE_clEvENKUlvE_clEvEUlddE_EEvPT_PKS8_jjjS8_T1_,comdat
	.globl	_ZN2at6native28tensor_kernel_scan_outer_dimIdmZZZNS0_31launch_logcumsumexp_cuda_kernelERKNS_10TensorBaseES4_lENKUlvE_clEvENKUlvE_clEvEUlddE_EEvPT_PKS8_jjjS8_T1_ ; -- Begin function _ZN2at6native28tensor_kernel_scan_outer_dimIdmZZZNS0_31launch_logcumsumexp_cuda_kernelERKNS_10TensorBaseES4_lENKUlvE_clEvENKUlvE_clEvEUlddE_EEvPT_PKS8_jjjS8_T1_
	.p2align	8
	.type	_ZN2at6native28tensor_kernel_scan_outer_dimIdmZZZNS0_31launch_logcumsumexp_cuda_kernelERKNS_10TensorBaseES4_lENKUlvE_clEvENKUlvE_clEvEUlddE_EEvPT_PKS8_jjjS8_T1_,@function
_ZN2at6native28tensor_kernel_scan_outer_dimIdmZZZNS0_31launch_logcumsumexp_cuda_kernelERKNS_10TensorBaseES4_lENKUlvE_clEvENKUlvE_clEvEUlddE_EEvPT_PKS8_jjjS8_T1_: ; @_ZN2at6native28tensor_kernel_scan_outer_dimIdmZZZNS0_31launch_logcumsumexp_cuda_kernelERKNS_10TensorBaseES4_lENKUlvE_clEvENKUlvE_clEvEUlddE_EEvPT_PKS8_jjjS8_T1_
; %bb.0:
	s_load_dwordx4 s[8:11], s[4:5], 0x10
	s_waitcnt lgkmcnt(0)
	s_cmp_ge_u32 s6, s8
	s_cbranch_scc1 .LBB86_11
; %bb.1:
	s_load_dword s11, s[4:5], 0x30
	s_load_dword s0, s[4:5], 0x3c
	s_load_dwordx4 s[12:15], s[4:5], 0x0
	s_load_dwordx2 s[16:17], s[4:5], 0x20
	s_add_u32 s18, s4, 48
	s_addc_u32 s19, s5, 0
	s_waitcnt lgkmcnt(0)
	s_and_b32 s33, s0, 0xffff
	s_cmp_lg_u32 s10, 0
	s_mul_i32 s7, s7, s33
	s_cselect_b64 s[24:25], -1, 0
	v_add_u32_e32 v40, s7, v0
	s_mov_b32 s3, 0
	s_mov_b32 s2, s9
	s_mul_hi_u32 s5, s10, s9
	s_mul_i32 s4, s10, s9
	v_cndmask_b32_e64 v0, 0, 1, s[24:25]
	s_mov_b32 s24, 0x652b82fe
	s_mov_b32 s26, 0xfefa39ef
	;; [unrolled: 1-line block ×9, first 2 shown]
	v_cmp_gt_u32_e64 s[0:1], s9, v40
	s_lshl_b64 s[20:21], s[4:5], 3
	s_lshl_b64 s[22:23], s[2:3], 3
	v_cmp_ne_u32_e64 s[2:3], 1, v0
	v_mov_b32_e32 v1, 0
	s_movk_i32 s7, 0x1f8
	s_mov_b32 s25, 0x3ff71547
	s_mov_b32 s27, 0xbfe62e42
	;; [unrolled: 1-line block ×11, first 2 shown]
	v_mov_b32_e32 v2, 0xfca7ab0c
	v_mov_b32_e32 v3, 0x3e928af3
	v_mov_b32_e32 v4, 0x623fde64
	v_mov_b32_e32 v5, 0x3ec71dee
	v_mov_b32_e32 v6, 0x7c89e6b0
	v_mov_b32_e32 v7, 0x3efa0199
	v_mov_b32_e32 v8, 0x14761f6e
	v_mov_b32_e32 v9, 0x3f2a01a0
	v_mov_b32_e32 v10, 0x1852b7b0
	v_mov_b32_e32 v11, 0x3f56c16c
	v_mov_b32_e32 v12, 0x11122322
	v_mov_b32_e32 v13, 0x3f811111
	v_mov_b32_e32 v14, 0x555502a1
	v_mov_b32_e32 v15, 0x3fa55555
	v_mov_b32_e32 v16, 0x55555511
	v_mov_b32_e32 v17, 0x3fc55555
	v_mov_b32_e32 v18, 11
	v_mov_b32_e32 v19, 0x3fe00000
	v_mov_b32_e32 v20, 0x6b47b09a
	v_mov_b32_e32 v21, 0x3fc38538
	v_mov_b32_e32 v22, 0xd7f4df2e
	v_mov_b32_e32 v23, 0x3fc7474d
	v_mov_b32_e32 v24, 0x16291751
	v_mov_b32_e32 v25, 0x3fcc71c0
	v_mov_b32_e32 v26, 0x9b27acf1
	v_mov_b32_e32 v27, 0x3fd24924
	v_mov_b32_e32 v28, 0x998ef7b6
	v_mov_b32_e32 v29, 0x3fd99999
	v_mov_b32_e32 v30, 0x55555780
	v_mov_b32_e32 v31, 0x3fe55555
	v_mov_b32_e32 v41, 0x7ff80000
	v_mov_b32_e32 v42, 0xfff00000
	s_branch .LBB86_3
.LBB86_2:                               ;   in Loop: Header=BB86_3 Depth=1
	s_or_b64 exec, exec, s[48:49]
	s_add_i32 s6, s6, s11
	s_cmp_ge_u32 s6, s8
	s_cbranch_scc1 .LBB86_11
.LBB86_3:                               ; =>This Loop Header: Depth=1
                                        ;     Child Loop BB86_6 Depth 2
                                        ;       Child Loop BB86_9 Depth 3
	s_and_saveexec_b64 s[48:49], s[0:1]
	s_cbranch_execz .LBB86_2
; %bb.4:                                ;   in Loop: Header=BB86_3 Depth=1
	s_load_dword s56, s[18:19], 0x4
	s_mul_i32 s4, s21, s6
	s_mul_hi_u32 s5, s20, s6
	s_mul_i32 s54, s20, s6
	s_add_i32 s55, s5, s4
	s_waitcnt lgkmcnt(0)
	s_mul_i32 s56, s56, s33
	s_mov_b64 s[50:51], 0
	v_mov_b32_e32 v0, v40
	s_branch .LBB86_6
.LBB86_5:                               ;   in Loop: Header=BB86_6 Depth=2
	v_add_u32_e32 v0, s56, v0
	v_cmp_le_u32_e32 vcc, s9, v0
	s_or_b64 s[50:51], vcc, s[50:51]
	s_andn2_b64 exec, exec, s[50:51]
	s_cbranch_execz .LBB86_2
.LBB86_6:                               ;   Parent Loop BB86_3 Depth=1
                                        ; =>  This Loop Header: Depth=2
                                        ;       Child Loop BB86_9 Depth 3
	s_and_b64 vcc, exec, s[2:3]
	s_cbranch_vccnz .LBB86_5
; %bb.7:                                ;   in Loop: Header=BB86_6 Depth=2
	v_lshlrev_b64 v[32:33], 3, v[0:1]
	v_mov_b32_e32 v34, s55
	v_add_co_u32_e32 v32, vcc, s54, v32
	v_addc_co_u32_e32 v33, vcc, v34, v33, vcc
	v_pk_mov_b32 v[36:37], s[16:17], s[16:17] op_sel:[0,1]
	s_mov_b32 s57, s10
	s_branch .LBB86_9
.LBB86_8:                               ;   in Loop: Header=BB86_9 Depth=3
	s_or_b64 exec, exec, s[52:53]
	v_mov_b32_e32 v35, s13
	v_add_co_u32_e32 v34, vcc, s12, v32
	v_addc_co_u32_e32 v35, vcc, v35, v33, vcc
	global_store_dwordx2 v[34:35], v[36:37], off
	s_add_i32 s57, s57, -1
	v_mov_b32_e32 v34, s23
	v_add_co_u32_e32 v32, vcc, s22, v32
	s_cmp_eq_u32 s57, 0
	v_addc_co_u32_e32 v33, vcc, v33, v34, vcc
	s_cbranch_scc1 .LBB86_5
.LBB86_9:                               ;   Parent Loop BB86_3 Depth=1
                                        ;     Parent Loop BB86_6 Depth=2
                                        ; =>    This Inner Loop Header: Depth=3
	v_mov_b32_e32 v35, s15
	v_add_co_u32_e32 v34, vcc, s14, v32
	v_addc_co_u32_e32 v35, vcc, v35, v33, vcc
	global_load_dwordx2 v[34:35], v[34:35], off
	v_max_f64 v[38:39], v[36:37], v[36:37]
	v_cmp_u_f64_e32 vcc, v[36:37], v[36:37]
	s_waitcnt vmcnt(0)
	v_max_f64 v[44:45], v[34:35], v[34:35]
	v_min_f64 v[46:47], v[38:39], v[44:45]
	v_max_f64 v[38:39], v[38:39], v[44:45]
	v_cndmask_b32_e32 v43, v46, v36, vcc
	v_cndmask_b32_e32 v44, v47, v37, vcc
	;; [unrolled: 1-line block ×4, first 2 shown]
	v_cmp_u_f64_e32 vcc, v[34:35], v[34:35]
	v_cndmask_b32_e32 v39, v44, v35, vcc
	v_cndmask_b32_e32 v38, v43, v34, vcc
	;; [unrolled: 1-line block ×4, first 2 shown]
	v_cmp_neq_f64_e32 vcc, v[38:39], v[34:35]
	v_cmp_class_f64_e64 s[4:5], v[38:39], s7
	s_or_b64 s[4:5], vcc, s[4:5]
	s_and_saveexec_b64 s[52:53], s[4:5]
	s_cbranch_execz .LBB86_8
; %bb.10:                               ;   in Loop: Header=BB86_9 Depth=3
	v_add_f64 v[36:37], v[38:39], -v[34:35]
	v_mul_f64 v[38:39], v[36:37], s[24:25]
	v_rndne_f64_e32 v[38:39], v[38:39]
	v_fma_f64 v[44:45], s[26:27], v[38:39], v[36:37]
	v_fmac_f64_e32 v[44:45], s[28:29], v[38:39]
	v_pk_mov_b32 v[46:47], v[2:3], v[2:3] op_sel:[0,1]
	v_fmac_f64_e32 v[46:47], s[30:31], v[44:45]
	v_pk_mov_b32 v[48:49], v[4:5], v[4:5] op_sel:[0,1]
	;; [unrolled: 2-line block ×9, first 2 shown]
	v_fmac_f64_e32 v[46:47], v[44:45], v[48:49]
	v_fma_f64 v[46:47], v[44:45], v[46:47], 1.0
	v_fma_f64 v[44:45], v[44:45], v[46:47], 1.0
	v_cvt_i32_f64_e32 v38, v[38:39]
	v_ldexp_f64 v[38:39], v[44:45], v38
	v_mov_b32_e32 v43, 0x7ff00000
	v_cmp_nlt_f64_e32 vcc, s[34:35], v[36:37]
	v_cmp_ngt_f64_e64 s[4:5], s[36:37], v[36:37]
	v_cndmask_b32_e32 v39, v43, v39, vcc
	s_and_b64 vcc, s[4:5], vcc
	v_cndmask_b32_e64 v37, 0, v39, s[4:5]
	v_cndmask_b32_e32 v36, 0, v38, vcc
	v_add_f64 v[38:39], v[36:37], 1.0
	v_add_f64 v[44:45], v[38:39], -1.0
	v_add_f64 v[46:47], v[44:45], -v[38:39]
	v_add_f64 v[46:47], v[46:47], 1.0
	v_add_f64 v[44:45], v[36:37], -v[44:45]
	v_add_f64 v[44:45], v[44:45], v[46:47]
	v_frexp_mant_f64_e32 v[46:47], v[38:39]
	v_frexp_exp_i32_f64_e32 v43, v[38:39]
	v_cmp_gt_f64_e32 vcc, s[38:39], v[46:47]
	v_subbrev_co_u32_e32 v43, vcc, 0, v43, vcc
	v_sub_u32_e32 v46, 0, v43
	v_ldexp_f64 v[38:39], v[38:39], v46
	v_ldexp_f64 v[44:45], v[44:45], v46
	v_add_f64 v[46:47], v[38:39], -1.0
	v_add_f64 v[52:53], v[38:39], 1.0
	v_add_f64 v[48:49], v[46:47], 1.0
	v_add_f64 v[54:55], v[52:53], -1.0
	v_add_f64 v[48:49], v[38:39], -v[48:49]
	v_add_f64 v[38:39], v[38:39], -v[54:55]
	v_add_f64 v[38:39], v[44:45], v[38:39]
	v_add_f64 v[48:49], v[44:45], v[48:49]
	;; [unrolled: 1-line block ×3, first 2 shown]
	v_rcp_f64_e32 v[54:55], v[44:45]
	v_add_f64 v[50:51], v[46:47], v[48:49]
	v_add_f64 v[46:47], v[50:51], -v[46:47]
	v_add_f64 v[46:47], v[48:49], -v[46:47]
	;; [unrolled: 1-line block ×4, first 2 shown]
	v_fma_f64 v[48:49], -v[44:45], v[54:55], 1.0
	v_fmac_f64_e32 v[54:55], v[48:49], v[54:55]
	v_fma_f64 v[48:49], -v[44:45], v[54:55], 1.0
	v_fmac_f64_e32 v[54:55], v[48:49], v[54:55]
	v_mul_f64 v[48:49], v[50:51], v[54:55]
	v_mul_f64 v[52:53], v[44:45], v[48:49]
	v_fma_f64 v[56:57], v[48:49], v[44:45], -v[52:53]
	v_fmac_f64_e32 v[56:57], v[48:49], v[38:39]
	v_add_f64 v[58:59], v[52:53], v[56:57]
	v_add_f64 v[60:61], v[50:51], -v[58:59]
	v_add_f64 v[50:51], v[50:51], -v[60:61]
	;; [unrolled: 1-line block ×4, first 2 shown]
	v_add_f64 v[46:47], v[46:47], v[50:51]
	v_add_f64 v[50:51], v[52:53], -v[56:57]
	v_add_f64 v[46:47], v[50:51], v[46:47]
	v_add_f64 v[50:51], v[60:61], v[46:47]
	v_add_f64 v[52:53], v[60:61], -v[50:51]
	v_add_f64 v[46:47], v[46:47], v[52:53]
	v_mul_f64 v[52:53], v[54:55], v[50:51]
	v_mul_f64 v[56:57], v[44:45], v[52:53]
	v_fma_f64 v[44:45], v[52:53], v[44:45], -v[56:57]
	v_fmac_f64_e32 v[44:45], v[52:53], v[38:39]
	v_add_f64 v[38:39], v[56:57], v[44:45]
	v_add_f64 v[58:59], v[50:51], -v[38:39]
	v_add_f64 v[50:51], v[50:51], -v[58:59]
	;; [unrolled: 1-line block ×4, first 2 shown]
	v_add_f64 v[38:39], v[46:47], v[38:39]
	v_add_f64 v[44:45], v[56:57], -v[44:45]
	v_add_f64 v[38:39], v[44:45], v[38:39]
	v_add_f64 v[44:45], v[48:49], v[52:53]
	;; [unrolled: 1-line block ×3, first 2 shown]
	v_add_f64 v[46:47], v[44:45], -v[48:49]
	v_mul_f64 v[38:39], v[54:55], v[38:39]
	v_add_f64 v[46:47], v[52:53], -v[46:47]
	v_add_f64 v[38:39], v[46:47], v[38:39]
	v_add_f64 v[46:47], v[44:45], v[38:39]
	v_add_f64 v[44:45], v[46:47], -v[44:45]
	v_add_f64 v[38:39], v[38:39], -v[44:45]
	v_mul_f64 v[44:45], v[46:47], v[46:47]
	v_pk_mov_b32 v[48:49], v[20:21], v[20:21] op_sel:[0,1]
	v_fmac_f64_e32 v[48:49], s[40:41], v[44:45]
	v_pk_mov_b32 v[50:51], v[22:23], v[22:23] op_sel:[0,1]
	v_fmac_f64_e32 v[50:51], v[44:45], v[48:49]
	;; [unrolled: 2-line block ×6, first 2 shown]
	v_cvt_f64_i32_e32 v[48:49], v43
	s_mov_b32 s42, s26
	v_mul_f64 v[52:53], v[48:49], s[42:43]
	v_fma_f64 v[54:55], v[48:49], s[42:43], -v[52:53]
	s_mov_b32 s44, s28
	v_fmac_f64_e32 v[54:55], s[44:45], v[48:49]
	v_add_f64 v[48:49], v[52:53], v[54:55]
	v_add_f64 v[52:53], v[48:49], -v[52:53]
	v_mul_f64 v[44:45], v[46:47], v[44:45]
	v_add_f64 v[52:53], v[54:55], -v[52:53]
	v_ldexp_f64 v[54:55], v[46:47], 1
	v_mul_f64 v[44:45], v[44:45], v[50:51]
	v_add_f64 v[46:47], v[54:55], v[44:45]
	v_add_f64 v[50:51], v[46:47], -v[54:55]
	v_ldexp_f64 v[38:39], v[38:39], 1
	v_add_f64 v[44:45], v[44:45], -v[50:51]
	v_add_f64 v[38:39], v[38:39], v[44:45]
	v_add_f64 v[44:45], v[46:47], v[38:39]
	v_add_f64 v[46:47], v[44:45], -v[46:47]
	v_add_f64 v[38:39], v[38:39], -v[46:47]
	v_add_f64 v[46:47], v[48:49], v[44:45]
	v_add_f64 v[50:51], v[46:47], -v[48:49]
	v_add_f64 v[54:55], v[46:47], -v[50:51]
	v_add_f64 v[48:49], v[48:49], -v[54:55]
	v_add_f64 v[44:45], v[44:45], -v[50:51]
	v_add_f64 v[44:45], v[44:45], v[48:49]
	v_add_f64 v[48:49], v[52:53], v[38:39]
	v_add_f64 v[50:51], v[48:49], -v[52:53]
	v_add_f64 v[44:45], v[48:49], v[44:45]
	v_add_f64 v[54:55], v[48:49], -v[50:51]
	;; [unrolled: 2-line block ×3, first 2 shown]
	v_add_f64 v[38:39], v[38:39], -v[50:51]
	v_add_f64 v[46:47], v[48:49], -v[46:47]
	v_add_f64 v[38:39], v[38:39], v[52:53]
	v_add_f64 v[44:45], v[44:45], -v[46:47]
	v_add_f64 v[38:39], v[38:39], v[44:45]
	v_add_f64 v[38:39], v[48:49], v[38:39]
	v_cmp_eq_f64_e32 vcc, s[46:47], v[36:37]
	v_cndmask_b32_e32 v38, v38, v36, vcc
	v_cndmask_b32_e32 v39, v39, v37, vcc
	v_cmp_ngt_f64_e32 vcc, -1.0, v[36:37]
	v_cndmask_b32_e32 v39, v41, v39, vcc
	v_cmp_nge_f64_e32 vcc, -1.0, v[36:37]
	v_cndmask_b32_e32 v38, 0, v38, vcc
	v_cmp_neq_f64_e32 vcc, -1.0, v[36:37]
	v_cndmask_b32_e32 v39, v42, v39, vcc
	v_add_f64 v[36:37], v[34:35], v[38:39]
	s_branch .LBB86_8
.LBB86_11:
	s_endpgm
	.section	.rodata,"a",@progbits
	.p2align	6, 0x0
	.amdhsa_kernel _ZN2at6native28tensor_kernel_scan_outer_dimIdmZZZNS0_31launch_logcumsumexp_cuda_kernelERKNS_10TensorBaseES4_lENKUlvE_clEvENKUlvE_clEvEUlddE_EEvPT_PKS8_jjjS8_T1_
		.amdhsa_group_segment_fixed_size 0
		.amdhsa_private_segment_fixed_size 0
		.amdhsa_kernarg_size 304
		.amdhsa_user_sgpr_count 6
		.amdhsa_user_sgpr_private_segment_buffer 1
		.amdhsa_user_sgpr_dispatch_ptr 0
		.amdhsa_user_sgpr_queue_ptr 0
		.amdhsa_user_sgpr_kernarg_segment_ptr 1
		.amdhsa_user_sgpr_dispatch_id 0
		.amdhsa_user_sgpr_flat_scratch_init 0
		.amdhsa_user_sgpr_kernarg_preload_length 0
		.amdhsa_user_sgpr_kernarg_preload_offset 0
		.amdhsa_user_sgpr_private_segment_size 0
		.amdhsa_uses_dynamic_stack 0
		.amdhsa_system_sgpr_private_segment_wavefront_offset 0
		.amdhsa_system_sgpr_workgroup_id_x 1
		.amdhsa_system_sgpr_workgroup_id_y 1
		.amdhsa_system_sgpr_workgroup_id_z 0
		.amdhsa_system_sgpr_workgroup_info 0
		.amdhsa_system_vgpr_workitem_id 0
		.amdhsa_next_free_vgpr 62
		.amdhsa_next_free_sgpr 58
		.amdhsa_accum_offset 64
		.amdhsa_reserve_vcc 1
		.amdhsa_reserve_flat_scratch 0
		.amdhsa_float_round_mode_32 0
		.amdhsa_float_round_mode_16_64 0
		.amdhsa_float_denorm_mode_32 3
		.amdhsa_float_denorm_mode_16_64 3
		.amdhsa_dx10_clamp 1
		.amdhsa_ieee_mode 1
		.amdhsa_fp16_overflow 0
		.amdhsa_tg_split 0
		.amdhsa_exception_fp_ieee_invalid_op 0
		.amdhsa_exception_fp_denorm_src 0
		.amdhsa_exception_fp_ieee_div_zero 0
		.amdhsa_exception_fp_ieee_overflow 0
		.amdhsa_exception_fp_ieee_underflow 0
		.amdhsa_exception_fp_ieee_inexact 0
		.amdhsa_exception_int_div_zero 0
	.end_amdhsa_kernel
	.section	.text._ZN2at6native28tensor_kernel_scan_outer_dimIdmZZZNS0_31launch_logcumsumexp_cuda_kernelERKNS_10TensorBaseES4_lENKUlvE_clEvENKUlvE_clEvEUlddE_EEvPT_PKS8_jjjS8_T1_,"axG",@progbits,_ZN2at6native28tensor_kernel_scan_outer_dimIdmZZZNS0_31launch_logcumsumexp_cuda_kernelERKNS_10TensorBaseES4_lENKUlvE_clEvENKUlvE_clEvEUlddE_EEvPT_PKS8_jjjS8_T1_,comdat
.Lfunc_end86:
	.size	_ZN2at6native28tensor_kernel_scan_outer_dimIdmZZZNS0_31launch_logcumsumexp_cuda_kernelERKNS_10TensorBaseES4_lENKUlvE_clEvENKUlvE_clEvEUlddE_EEvPT_PKS8_jjjS8_T1_, .Lfunc_end86-_ZN2at6native28tensor_kernel_scan_outer_dimIdmZZZNS0_31launch_logcumsumexp_cuda_kernelERKNS_10TensorBaseES4_lENKUlvE_clEvENKUlvE_clEvEUlddE_EEvPT_PKS8_jjjS8_T1_
                                        ; -- End function
	.section	.AMDGPU.csdata,"",@progbits
; Kernel info:
; codeLenInByte = 1980
; NumSgprs: 62
; NumVgprs: 62
; NumAgprs: 0
; TotalNumVgprs: 62
; ScratchSize: 0
; MemoryBound: 0
; FloatMode: 240
; IeeeMode: 1
; LDSByteSize: 0 bytes/workgroup (compile time only)
; SGPRBlocks: 7
; VGPRBlocks: 7
; NumSGPRsForWavesPerEU: 62
; NumVGPRsForWavesPerEU: 62
; AccumOffset: 64
; Occupancy: 8
; WaveLimiterHint : 0
; COMPUTE_PGM_RSRC2:SCRATCH_EN: 0
; COMPUTE_PGM_RSRC2:USER_SGPR: 6
; COMPUTE_PGM_RSRC2:TRAP_HANDLER: 0
; COMPUTE_PGM_RSRC2:TGID_X_EN: 1
; COMPUTE_PGM_RSRC2:TGID_Y_EN: 1
; COMPUTE_PGM_RSRC2:TGID_Z_EN: 0
; COMPUTE_PGM_RSRC2:TIDIG_COMP_CNT: 0
; COMPUTE_PGM_RSRC3_GFX90A:ACCUM_OFFSET: 15
; COMPUTE_PGM_RSRC3_GFX90A:TG_SPLIT: 0
	.section	.text._ZN7rocprim17ROCPRIM_400000_NS6detail31init_lookback_scan_state_kernelINS1_19lookback_scan_stateIfLb0ELb1EEENS1_16block_id_wrapperIjLb0EEEEEvT_jT0_jPNS7_10value_typeE,"axG",@progbits,_ZN7rocprim17ROCPRIM_400000_NS6detail31init_lookback_scan_state_kernelINS1_19lookback_scan_stateIfLb0ELb1EEENS1_16block_id_wrapperIjLb0EEEEEvT_jT0_jPNS7_10value_typeE,comdat
	.protected	_ZN7rocprim17ROCPRIM_400000_NS6detail31init_lookback_scan_state_kernelINS1_19lookback_scan_stateIfLb0ELb1EEENS1_16block_id_wrapperIjLb0EEEEEvT_jT0_jPNS7_10value_typeE ; -- Begin function _ZN7rocprim17ROCPRIM_400000_NS6detail31init_lookback_scan_state_kernelINS1_19lookback_scan_stateIfLb0ELb1EEENS1_16block_id_wrapperIjLb0EEEEEvT_jT0_jPNS7_10value_typeE
	.globl	_ZN7rocprim17ROCPRIM_400000_NS6detail31init_lookback_scan_state_kernelINS1_19lookback_scan_stateIfLb0ELb1EEENS1_16block_id_wrapperIjLb0EEEEEvT_jT0_jPNS7_10value_typeE
	.p2align	8
	.type	_ZN7rocprim17ROCPRIM_400000_NS6detail31init_lookback_scan_state_kernelINS1_19lookback_scan_stateIfLb0ELb1EEENS1_16block_id_wrapperIjLb0EEEEEvT_jT0_jPNS7_10value_typeE,@function
_ZN7rocprim17ROCPRIM_400000_NS6detail31init_lookback_scan_state_kernelINS1_19lookback_scan_stateIfLb0ELb1EEENS1_16block_id_wrapperIjLb0EEEEEvT_jT0_jPNS7_10value_typeE: ; @_ZN7rocprim17ROCPRIM_400000_NS6detail31init_lookback_scan_state_kernelINS1_19lookback_scan_stateIfLb0ELb1EEENS1_16block_id_wrapperIjLb0EEEEEvT_jT0_jPNS7_10value_typeE
; %bb.0:
	s_load_dword s7, s[4:5], 0x2c
	s_load_dwordx2 s[2:3], s[4:5], 0x18
	s_load_dwordx2 s[0:1], s[4:5], 0x0
	s_load_dword s8, s[4:5], 0x8
	s_waitcnt lgkmcnt(0)
	s_and_b32 s7, s7, 0xffff
	s_mul_i32 s6, s6, s7
	s_cmp_eq_u64 s[2:3], 0
	v_add_u32_e32 v0, s6, v0
	s_cbranch_scc1 .LBB87_6
; %bb.1:
	s_load_dword s6, s[4:5], 0x10
	s_mov_b32 s7, 0
	s_waitcnt lgkmcnt(0)
	s_cmp_lt_u32 s6, s8
	s_cselect_b32 s4, s6, 0
	v_cmp_eq_u32_e32 vcc, s4, v0
	s_and_saveexec_b64 s[4:5], vcc
	s_cbranch_execz .LBB87_5
; %bb.2:
	s_add_i32 s6, s6, 64
	s_lshl_b64 s[6:7], s[6:7], 3
	s_add_u32 s6, s0, s6
	s_addc_u32 s7, s1, s7
	v_mov_b32_e32 v4, 0
	global_load_dwordx2 v[2:3], v4, s[6:7] glc
	s_waitcnt vmcnt(0)
	v_and_b32_e32 v5, 0xff, v3
	v_cmp_ne_u64_e32 vcc, 0, v[4:5]
	s_cbranch_vccnz .LBB87_4
.LBB87_3:                               ; =>This Inner Loop Header: Depth=1
	global_load_dwordx2 v[2:3], v4, s[6:7] glc
	s_waitcnt vmcnt(0)
	v_and_b32_e32 v5, 0xff, v3
	v_cmp_eq_u64_e32 vcc, 0, v[4:5]
	s_cbranch_vccnz .LBB87_3
.LBB87_4:
	v_mov_b32_e32 v1, 0
	global_store_dword v1, v2, s[2:3]
.LBB87_5:
	s_or_b64 exec, exec, s[4:5]
.LBB87_6:
	v_cmp_gt_u32_e32 vcc, s8, v0
	s_and_saveexec_b64 s[2:3], vcc
	s_cbranch_execnz .LBB87_9
; %bb.7:
	s_or_b64 exec, exec, s[2:3]
	v_cmp_gt_u32_e32 vcc, 64, v0
	s_and_saveexec_b64 s[2:3], vcc
	s_cbranch_execnz .LBB87_10
.LBB87_8:
	s_endpgm
.LBB87_9:
	v_add_u32_e32 v2, 64, v0
	v_mov_b32_e32 v3, 0
	v_lshlrev_b64 v[4:5], 3, v[2:3]
	v_mov_b32_e32 v1, s1
	v_add_co_u32_e32 v4, vcc, s0, v4
	v_addc_co_u32_e32 v5, vcc, v1, v5, vcc
	v_mov_b32_e32 v2, v3
	global_store_dwordx2 v[4:5], v[2:3], off
	s_or_b64 exec, exec, s[2:3]
	v_cmp_gt_u32_e32 vcc, 64, v0
	s_and_saveexec_b64 s[2:3], vcc
	s_cbranch_execz .LBB87_8
.LBB87_10:
	v_mov_b32_e32 v1, 0
	v_lshlrev_b64 v[2:3], 3, v[0:1]
	v_mov_b32_e32 v0, s1
	v_add_co_u32_e32 v2, vcc, s0, v2
	v_addc_co_u32_e32 v3, vcc, v0, v3, vcc
	v_mov_b32_e32 v5, 0xff
	v_mov_b32_e32 v4, v1
	global_store_dwordx2 v[2:3], v[4:5], off
	s_endpgm
	.section	.rodata,"a",@progbits
	.p2align	6, 0x0
	.amdhsa_kernel _ZN7rocprim17ROCPRIM_400000_NS6detail31init_lookback_scan_state_kernelINS1_19lookback_scan_stateIfLb0ELb1EEENS1_16block_id_wrapperIjLb0EEEEEvT_jT0_jPNS7_10value_typeE
		.amdhsa_group_segment_fixed_size 0
		.amdhsa_private_segment_fixed_size 0
		.amdhsa_kernarg_size 288
		.amdhsa_user_sgpr_count 6
		.amdhsa_user_sgpr_private_segment_buffer 1
		.amdhsa_user_sgpr_dispatch_ptr 0
		.amdhsa_user_sgpr_queue_ptr 0
		.amdhsa_user_sgpr_kernarg_segment_ptr 1
		.amdhsa_user_sgpr_dispatch_id 0
		.amdhsa_user_sgpr_flat_scratch_init 0
		.amdhsa_user_sgpr_kernarg_preload_length 0
		.amdhsa_user_sgpr_kernarg_preload_offset 0
		.amdhsa_user_sgpr_private_segment_size 0
		.amdhsa_uses_dynamic_stack 0
		.amdhsa_system_sgpr_private_segment_wavefront_offset 0
		.amdhsa_system_sgpr_workgroup_id_x 1
		.amdhsa_system_sgpr_workgroup_id_y 0
		.amdhsa_system_sgpr_workgroup_id_z 0
		.amdhsa_system_sgpr_workgroup_info 0
		.amdhsa_system_vgpr_workitem_id 0
		.amdhsa_next_free_vgpr 6
		.amdhsa_next_free_sgpr 9
		.amdhsa_accum_offset 8
		.amdhsa_reserve_vcc 1
		.amdhsa_reserve_flat_scratch 0
		.amdhsa_float_round_mode_32 0
		.amdhsa_float_round_mode_16_64 0
		.amdhsa_float_denorm_mode_32 3
		.amdhsa_float_denorm_mode_16_64 3
		.amdhsa_dx10_clamp 1
		.amdhsa_ieee_mode 1
		.amdhsa_fp16_overflow 0
		.amdhsa_tg_split 0
		.amdhsa_exception_fp_ieee_invalid_op 0
		.amdhsa_exception_fp_denorm_src 0
		.amdhsa_exception_fp_ieee_div_zero 0
		.amdhsa_exception_fp_ieee_overflow 0
		.amdhsa_exception_fp_ieee_underflow 0
		.amdhsa_exception_fp_ieee_inexact 0
		.amdhsa_exception_int_div_zero 0
	.end_amdhsa_kernel
	.section	.text._ZN7rocprim17ROCPRIM_400000_NS6detail31init_lookback_scan_state_kernelINS1_19lookback_scan_stateIfLb0ELb1EEENS1_16block_id_wrapperIjLb0EEEEEvT_jT0_jPNS7_10value_typeE,"axG",@progbits,_ZN7rocprim17ROCPRIM_400000_NS6detail31init_lookback_scan_state_kernelINS1_19lookback_scan_stateIfLb0ELb1EEENS1_16block_id_wrapperIjLb0EEEEEvT_jT0_jPNS7_10value_typeE,comdat
.Lfunc_end87:
	.size	_ZN7rocprim17ROCPRIM_400000_NS6detail31init_lookback_scan_state_kernelINS1_19lookback_scan_stateIfLb0ELb1EEENS1_16block_id_wrapperIjLb0EEEEEvT_jT0_jPNS7_10value_typeE, .Lfunc_end87-_ZN7rocprim17ROCPRIM_400000_NS6detail31init_lookback_scan_state_kernelINS1_19lookback_scan_stateIfLb0ELb1EEENS1_16block_id_wrapperIjLb0EEEEEvT_jT0_jPNS7_10value_typeE
                                        ; -- End function
	.section	.AMDGPU.csdata,"",@progbits
; Kernel info:
; codeLenInByte = 324
; NumSgprs: 13
; NumVgprs: 6
; NumAgprs: 0
; TotalNumVgprs: 6
; ScratchSize: 0
; MemoryBound: 0
; FloatMode: 240
; IeeeMode: 1
; LDSByteSize: 0 bytes/workgroup (compile time only)
; SGPRBlocks: 1
; VGPRBlocks: 0
; NumSGPRsForWavesPerEU: 13
; NumVGPRsForWavesPerEU: 6
; AccumOffset: 8
; Occupancy: 8
; WaveLimiterHint : 0
; COMPUTE_PGM_RSRC2:SCRATCH_EN: 0
; COMPUTE_PGM_RSRC2:USER_SGPR: 6
; COMPUTE_PGM_RSRC2:TRAP_HANDLER: 0
; COMPUTE_PGM_RSRC2:TGID_X_EN: 1
; COMPUTE_PGM_RSRC2:TGID_Y_EN: 0
; COMPUTE_PGM_RSRC2:TGID_Z_EN: 0
; COMPUTE_PGM_RSRC2:TIDIG_COMP_CNT: 0
; COMPUTE_PGM_RSRC3_GFX90A:ACCUM_OFFSET: 1
; COMPUTE_PGM_RSRC3_GFX90A:TG_SPLIT: 0
	.section	.text._ZN7rocprim17ROCPRIM_400000_NS6detail17trampoline_kernelINS0_14default_configENS1_20scan_config_selectorIfEEZZNS1_9scan_implILNS1_25lookback_scan_determinismE0ELb0ELb0ES3_PKfPffZZZN2at6native31launch_logcumsumexp_cuda_kernelERKNSB_10TensorBaseESF_lENKUlvE_clEvENKUlvE0_clEvEUlffE_fEEDaPvRmT3_T4_T5_mT6_P12ihipStream_tbENKUlT_T0_E_clISt17integral_constantIbLb0EESW_EEDaSR_SS_EUlSR_E_NS1_11comp_targetILNS1_3genE0ELNS1_11target_archE4294967295ELNS1_3gpuE0ELNS1_3repE0EEENS1_30default_config_static_selectorELNS0_4arch9wavefront6targetE1EEEvT1_,"axG",@progbits,_ZN7rocprim17ROCPRIM_400000_NS6detail17trampoline_kernelINS0_14default_configENS1_20scan_config_selectorIfEEZZNS1_9scan_implILNS1_25lookback_scan_determinismE0ELb0ELb0ES3_PKfPffZZZN2at6native31launch_logcumsumexp_cuda_kernelERKNSB_10TensorBaseESF_lENKUlvE_clEvENKUlvE0_clEvEUlffE_fEEDaPvRmT3_T4_T5_mT6_P12ihipStream_tbENKUlT_T0_E_clISt17integral_constantIbLb0EESW_EEDaSR_SS_EUlSR_E_NS1_11comp_targetILNS1_3genE0ELNS1_11target_archE4294967295ELNS1_3gpuE0ELNS1_3repE0EEENS1_30default_config_static_selectorELNS0_4arch9wavefront6targetE1EEEvT1_,comdat
	.globl	_ZN7rocprim17ROCPRIM_400000_NS6detail17trampoline_kernelINS0_14default_configENS1_20scan_config_selectorIfEEZZNS1_9scan_implILNS1_25lookback_scan_determinismE0ELb0ELb0ES3_PKfPffZZZN2at6native31launch_logcumsumexp_cuda_kernelERKNSB_10TensorBaseESF_lENKUlvE_clEvENKUlvE0_clEvEUlffE_fEEDaPvRmT3_T4_T5_mT6_P12ihipStream_tbENKUlT_T0_E_clISt17integral_constantIbLb0EESW_EEDaSR_SS_EUlSR_E_NS1_11comp_targetILNS1_3genE0ELNS1_11target_archE4294967295ELNS1_3gpuE0ELNS1_3repE0EEENS1_30default_config_static_selectorELNS0_4arch9wavefront6targetE1EEEvT1_ ; -- Begin function _ZN7rocprim17ROCPRIM_400000_NS6detail17trampoline_kernelINS0_14default_configENS1_20scan_config_selectorIfEEZZNS1_9scan_implILNS1_25lookback_scan_determinismE0ELb0ELb0ES3_PKfPffZZZN2at6native31launch_logcumsumexp_cuda_kernelERKNSB_10TensorBaseESF_lENKUlvE_clEvENKUlvE0_clEvEUlffE_fEEDaPvRmT3_T4_T5_mT6_P12ihipStream_tbENKUlT_T0_E_clISt17integral_constantIbLb0EESW_EEDaSR_SS_EUlSR_E_NS1_11comp_targetILNS1_3genE0ELNS1_11target_archE4294967295ELNS1_3gpuE0ELNS1_3repE0EEENS1_30default_config_static_selectorELNS0_4arch9wavefront6targetE1EEEvT1_
	.p2align	8
	.type	_ZN7rocprim17ROCPRIM_400000_NS6detail17trampoline_kernelINS0_14default_configENS1_20scan_config_selectorIfEEZZNS1_9scan_implILNS1_25lookback_scan_determinismE0ELb0ELb0ES3_PKfPffZZZN2at6native31launch_logcumsumexp_cuda_kernelERKNSB_10TensorBaseESF_lENKUlvE_clEvENKUlvE0_clEvEUlffE_fEEDaPvRmT3_T4_T5_mT6_P12ihipStream_tbENKUlT_T0_E_clISt17integral_constantIbLb0EESW_EEDaSR_SS_EUlSR_E_NS1_11comp_targetILNS1_3genE0ELNS1_11target_archE4294967295ELNS1_3gpuE0ELNS1_3repE0EEENS1_30default_config_static_selectorELNS0_4arch9wavefront6targetE1EEEvT1_,@function
_ZN7rocprim17ROCPRIM_400000_NS6detail17trampoline_kernelINS0_14default_configENS1_20scan_config_selectorIfEEZZNS1_9scan_implILNS1_25lookback_scan_determinismE0ELb0ELb0ES3_PKfPffZZZN2at6native31launch_logcumsumexp_cuda_kernelERKNSB_10TensorBaseESF_lENKUlvE_clEvENKUlvE0_clEvEUlffE_fEEDaPvRmT3_T4_T5_mT6_P12ihipStream_tbENKUlT_T0_E_clISt17integral_constantIbLb0EESW_EEDaSR_SS_EUlSR_E_NS1_11comp_targetILNS1_3genE0ELNS1_11target_archE4294967295ELNS1_3gpuE0ELNS1_3repE0EEENS1_30default_config_static_selectorELNS0_4arch9wavefront6targetE1EEEvT1_: ; @_ZN7rocprim17ROCPRIM_400000_NS6detail17trampoline_kernelINS0_14default_configENS1_20scan_config_selectorIfEEZZNS1_9scan_implILNS1_25lookback_scan_determinismE0ELb0ELb0ES3_PKfPffZZZN2at6native31launch_logcumsumexp_cuda_kernelERKNSB_10TensorBaseESF_lENKUlvE_clEvENKUlvE0_clEvEUlffE_fEEDaPvRmT3_T4_T5_mT6_P12ihipStream_tbENKUlT_T0_E_clISt17integral_constantIbLb0EESW_EEDaSR_SS_EUlSR_E_NS1_11comp_targetILNS1_3genE0ELNS1_11target_archE4294967295ELNS1_3gpuE0ELNS1_3repE0EEENS1_30default_config_static_selectorELNS0_4arch9wavefront6targetE1EEEvT1_
; %bb.0:
	.section	.rodata,"a",@progbits
	.p2align	6, 0x0
	.amdhsa_kernel _ZN7rocprim17ROCPRIM_400000_NS6detail17trampoline_kernelINS0_14default_configENS1_20scan_config_selectorIfEEZZNS1_9scan_implILNS1_25lookback_scan_determinismE0ELb0ELb0ES3_PKfPffZZZN2at6native31launch_logcumsumexp_cuda_kernelERKNSB_10TensorBaseESF_lENKUlvE_clEvENKUlvE0_clEvEUlffE_fEEDaPvRmT3_T4_T5_mT6_P12ihipStream_tbENKUlT_T0_E_clISt17integral_constantIbLb0EESW_EEDaSR_SS_EUlSR_E_NS1_11comp_targetILNS1_3genE0ELNS1_11target_archE4294967295ELNS1_3gpuE0ELNS1_3repE0EEENS1_30default_config_static_selectorELNS0_4arch9wavefront6targetE1EEEvT1_
		.amdhsa_group_segment_fixed_size 0
		.amdhsa_private_segment_fixed_size 0
		.amdhsa_kernarg_size 96
		.amdhsa_user_sgpr_count 6
		.amdhsa_user_sgpr_private_segment_buffer 1
		.amdhsa_user_sgpr_dispatch_ptr 0
		.amdhsa_user_sgpr_queue_ptr 0
		.amdhsa_user_sgpr_kernarg_segment_ptr 1
		.amdhsa_user_sgpr_dispatch_id 0
		.amdhsa_user_sgpr_flat_scratch_init 0
		.amdhsa_user_sgpr_kernarg_preload_length 0
		.amdhsa_user_sgpr_kernarg_preload_offset 0
		.amdhsa_user_sgpr_private_segment_size 0
		.amdhsa_uses_dynamic_stack 0
		.amdhsa_system_sgpr_private_segment_wavefront_offset 0
		.amdhsa_system_sgpr_workgroup_id_x 1
		.amdhsa_system_sgpr_workgroup_id_y 0
		.amdhsa_system_sgpr_workgroup_id_z 0
		.amdhsa_system_sgpr_workgroup_info 0
		.amdhsa_system_vgpr_workitem_id 0
		.amdhsa_next_free_vgpr 1
		.amdhsa_next_free_sgpr 0
		.amdhsa_accum_offset 4
		.amdhsa_reserve_vcc 0
		.amdhsa_reserve_flat_scratch 0
		.amdhsa_float_round_mode_32 0
		.amdhsa_float_round_mode_16_64 0
		.amdhsa_float_denorm_mode_32 3
		.amdhsa_float_denorm_mode_16_64 3
		.amdhsa_dx10_clamp 1
		.amdhsa_ieee_mode 1
		.amdhsa_fp16_overflow 0
		.amdhsa_tg_split 0
		.amdhsa_exception_fp_ieee_invalid_op 0
		.amdhsa_exception_fp_denorm_src 0
		.amdhsa_exception_fp_ieee_div_zero 0
		.amdhsa_exception_fp_ieee_overflow 0
		.amdhsa_exception_fp_ieee_underflow 0
		.amdhsa_exception_fp_ieee_inexact 0
		.amdhsa_exception_int_div_zero 0
	.end_amdhsa_kernel
	.section	.text._ZN7rocprim17ROCPRIM_400000_NS6detail17trampoline_kernelINS0_14default_configENS1_20scan_config_selectorIfEEZZNS1_9scan_implILNS1_25lookback_scan_determinismE0ELb0ELb0ES3_PKfPffZZZN2at6native31launch_logcumsumexp_cuda_kernelERKNSB_10TensorBaseESF_lENKUlvE_clEvENKUlvE0_clEvEUlffE_fEEDaPvRmT3_T4_T5_mT6_P12ihipStream_tbENKUlT_T0_E_clISt17integral_constantIbLb0EESW_EEDaSR_SS_EUlSR_E_NS1_11comp_targetILNS1_3genE0ELNS1_11target_archE4294967295ELNS1_3gpuE0ELNS1_3repE0EEENS1_30default_config_static_selectorELNS0_4arch9wavefront6targetE1EEEvT1_,"axG",@progbits,_ZN7rocprim17ROCPRIM_400000_NS6detail17trampoline_kernelINS0_14default_configENS1_20scan_config_selectorIfEEZZNS1_9scan_implILNS1_25lookback_scan_determinismE0ELb0ELb0ES3_PKfPffZZZN2at6native31launch_logcumsumexp_cuda_kernelERKNSB_10TensorBaseESF_lENKUlvE_clEvENKUlvE0_clEvEUlffE_fEEDaPvRmT3_T4_T5_mT6_P12ihipStream_tbENKUlT_T0_E_clISt17integral_constantIbLb0EESW_EEDaSR_SS_EUlSR_E_NS1_11comp_targetILNS1_3genE0ELNS1_11target_archE4294967295ELNS1_3gpuE0ELNS1_3repE0EEENS1_30default_config_static_selectorELNS0_4arch9wavefront6targetE1EEEvT1_,comdat
.Lfunc_end88:
	.size	_ZN7rocprim17ROCPRIM_400000_NS6detail17trampoline_kernelINS0_14default_configENS1_20scan_config_selectorIfEEZZNS1_9scan_implILNS1_25lookback_scan_determinismE0ELb0ELb0ES3_PKfPffZZZN2at6native31launch_logcumsumexp_cuda_kernelERKNSB_10TensorBaseESF_lENKUlvE_clEvENKUlvE0_clEvEUlffE_fEEDaPvRmT3_T4_T5_mT6_P12ihipStream_tbENKUlT_T0_E_clISt17integral_constantIbLb0EESW_EEDaSR_SS_EUlSR_E_NS1_11comp_targetILNS1_3genE0ELNS1_11target_archE4294967295ELNS1_3gpuE0ELNS1_3repE0EEENS1_30default_config_static_selectorELNS0_4arch9wavefront6targetE1EEEvT1_, .Lfunc_end88-_ZN7rocprim17ROCPRIM_400000_NS6detail17trampoline_kernelINS0_14default_configENS1_20scan_config_selectorIfEEZZNS1_9scan_implILNS1_25lookback_scan_determinismE0ELb0ELb0ES3_PKfPffZZZN2at6native31launch_logcumsumexp_cuda_kernelERKNSB_10TensorBaseESF_lENKUlvE_clEvENKUlvE0_clEvEUlffE_fEEDaPvRmT3_T4_T5_mT6_P12ihipStream_tbENKUlT_T0_E_clISt17integral_constantIbLb0EESW_EEDaSR_SS_EUlSR_E_NS1_11comp_targetILNS1_3genE0ELNS1_11target_archE4294967295ELNS1_3gpuE0ELNS1_3repE0EEENS1_30default_config_static_selectorELNS0_4arch9wavefront6targetE1EEEvT1_
                                        ; -- End function
	.section	.AMDGPU.csdata,"",@progbits
; Kernel info:
; codeLenInByte = 0
; NumSgprs: 4
; NumVgprs: 0
; NumAgprs: 0
; TotalNumVgprs: 0
; ScratchSize: 0
; MemoryBound: 0
; FloatMode: 240
; IeeeMode: 1
; LDSByteSize: 0 bytes/workgroup (compile time only)
; SGPRBlocks: 0
; VGPRBlocks: 0
; NumSGPRsForWavesPerEU: 4
; NumVGPRsForWavesPerEU: 1
; AccumOffset: 4
; Occupancy: 8
; WaveLimiterHint : 0
; COMPUTE_PGM_RSRC2:SCRATCH_EN: 0
; COMPUTE_PGM_RSRC2:USER_SGPR: 6
; COMPUTE_PGM_RSRC2:TRAP_HANDLER: 0
; COMPUTE_PGM_RSRC2:TGID_X_EN: 1
; COMPUTE_PGM_RSRC2:TGID_Y_EN: 0
; COMPUTE_PGM_RSRC2:TGID_Z_EN: 0
; COMPUTE_PGM_RSRC2:TIDIG_COMP_CNT: 0
; COMPUTE_PGM_RSRC3_GFX90A:ACCUM_OFFSET: 0
; COMPUTE_PGM_RSRC3_GFX90A:TG_SPLIT: 0
	.section	.text._ZN7rocprim17ROCPRIM_400000_NS6detail17trampoline_kernelINS0_14default_configENS1_20scan_config_selectorIfEEZZNS1_9scan_implILNS1_25lookback_scan_determinismE0ELb0ELb0ES3_PKfPffZZZN2at6native31launch_logcumsumexp_cuda_kernelERKNSB_10TensorBaseESF_lENKUlvE_clEvENKUlvE0_clEvEUlffE_fEEDaPvRmT3_T4_T5_mT6_P12ihipStream_tbENKUlT_T0_E_clISt17integral_constantIbLb0EESW_EEDaSR_SS_EUlSR_E_NS1_11comp_targetILNS1_3genE5ELNS1_11target_archE942ELNS1_3gpuE9ELNS1_3repE0EEENS1_30default_config_static_selectorELNS0_4arch9wavefront6targetE1EEEvT1_,"axG",@progbits,_ZN7rocprim17ROCPRIM_400000_NS6detail17trampoline_kernelINS0_14default_configENS1_20scan_config_selectorIfEEZZNS1_9scan_implILNS1_25lookback_scan_determinismE0ELb0ELb0ES3_PKfPffZZZN2at6native31launch_logcumsumexp_cuda_kernelERKNSB_10TensorBaseESF_lENKUlvE_clEvENKUlvE0_clEvEUlffE_fEEDaPvRmT3_T4_T5_mT6_P12ihipStream_tbENKUlT_T0_E_clISt17integral_constantIbLb0EESW_EEDaSR_SS_EUlSR_E_NS1_11comp_targetILNS1_3genE5ELNS1_11target_archE942ELNS1_3gpuE9ELNS1_3repE0EEENS1_30default_config_static_selectorELNS0_4arch9wavefront6targetE1EEEvT1_,comdat
	.globl	_ZN7rocprim17ROCPRIM_400000_NS6detail17trampoline_kernelINS0_14default_configENS1_20scan_config_selectorIfEEZZNS1_9scan_implILNS1_25lookback_scan_determinismE0ELb0ELb0ES3_PKfPffZZZN2at6native31launch_logcumsumexp_cuda_kernelERKNSB_10TensorBaseESF_lENKUlvE_clEvENKUlvE0_clEvEUlffE_fEEDaPvRmT3_T4_T5_mT6_P12ihipStream_tbENKUlT_T0_E_clISt17integral_constantIbLb0EESW_EEDaSR_SS_EUlSR_E_NS1_11comp_targetILNS1_3genE5ELNS1_11target_archE942ELNS1_3gpuE9ELNS1_3repE0EEENS1_30default_config_static_selectorELNS0_4arch9wavefront6targetE1EEEvT1_ ; -- Begin function _ZN7rocprim17ROCPRIM_400000_NS6detail17trampoline_kernelINS0_14default_configENS1_20scan_config_selectorIfEEZZNS1_9scan_implILNS1_25lookback_scan_determinismE0ELb0ELb0ES3_PKfPffZZZN2at6native31launch_logcumsumexp_cuda_kernelERKNSB_10TensorBaseESF_lENKUlvE_clEvENKUlvE0_clEvEUlffE_fEEDaPvRmT3_T4_T5_mT6_P12ihipStream_tbENKUlT_T0_E_clISt17integral_constantIbLb0EESW_EEDaSR_SS_EUlSR_E_NS1_11comp_targetILNS1_3genE5ELNS1_11target_archE942ELNS1_3gpuE9ELNS1_3repE0EEENS1_30default_config_static_selectorELNS0_4arch9wavefront6targetE1EEEvT1_
	.p2align	8
	.type	_ZN7rocprim17ROCPRIM_400000_NS6detail17trampoline_kernelINS0_14default_configENS1_20scan_config_selectorIfEEZZNS1_9scan_implILNS1_25lookback_scan_determinismE0ELb0ELb0ES3_PKfPffZZZN2at6native31launch_logcumsumexp_cuda_kernelERKNSB_10TensorBaseESF_lENKUlvE_clEvENKUlvE0_clEvEUlffE_fEEDaPvRmT3_T4_T5_mT6_P12ihipStream_tbENKUlT_T0_E_clISt17integral_constantIbLb0EESW_EEDaSR_SS_EUlSR_E_NS1_11comp_targetILNS1_3genE5ELNS1_11target_archE942ELNS1_3gpuE9ELNS1_3repE0EEENS1_30default_config_static_selectorELNS0_4arch9wavefront6targetE1EEEvT1_,@function
_ZN7rocprim17ROCPRIM_400000_NS6detail17trampoline_kernelINS0_14default_configENS1_20scan_config_selectorIfEEZZNS1_9scan_implILNS1_25lookback_scan_determinismE0ELb0ELb0ES3_PKfPffZZZN2at6native31launch_logcumsumexp_cuda_kernelERKNSB_10TensorBaseESF_lENKUlvE_clEvENKUlvE0_clEvEUlffE_fEEDaPvRmT3_T4_T5_mT6_P12ihipStream_tbENKUlT_T0_E_clISt17integral_constantIbLb0EESW_EEDaSR_SS_EUlSR_E_NS1_11comp_targetILNS1_3genE5ELNS1_11target_archE942ELNS1_3gpuE9ELNS1_3repE0EEENS1_30default_config_static_selectorELNS0_4arch9wavefront6targetE1EEEvT1_: ; @_ZN7rocprim17ROCPRIM_400000_NS6detail17trampoline_kernelINS0_14default_configENS1_20scan_config_selectorIfEEZZNS1_9scan_implILNS1_25lookback_scan_determinismE0ELb0ELb0ES3_PKfPffZZZN2at6native31launch_logcumsumexp_cuda_kernelERKNSB_10TensorBaseESF_lENKUlvE_clEvENKUlvE0_clEvEUlffE_fEEDaPvRmT3_T4_T5_mT6_P12ihipStream_tbENKUlT_T0_E_clISt17integral_constantIbLb0EESW_EEDaSR_SS_EUlSR_E_NS1_11comp_targetILNS1_3genE5ELNS1_11target_archE942ELNS1_3gpuE9ELNS1_3repE0EEENS1_30default_config_static_selectorELNS0_4arch9wavefront6targetE1EEEvT1_
; %bb.0:
	.section	.rodata,"a",@progbits
	.p2align	6, 0x0
	.amdhsa_kernel _ZN7rocprim17ROCPRIM_400000_NS6detail17trampoline_kernelINS0_14default_configENS1_20scan_config_selectorIfEEZZNS1_9scan_implILNS1_25lookback_scan_determinismE0ELb0ELb0ES3_PKfPffZZZN2at6native31launch_logcumsumexp_cuda_kernelERKNSB_10TensorBaseESF_lENKUlvE_clEvENKUlvE0_clEvEUlffE_fEEDaPvRmT3_T4_T5_mT6_P12ihipStream_tbENKUlT_T0_E_clISt17integral_constantIbLb0EESW_EEDaSR_SS_EUlSR_E_NS1_11comp_targetILNS1_3genE5ELNS1_11target_archE942ELNS1_3gpuE9ELNS1_3repE0EEENS1_30default_config_static_selectorELNS0_4arch9wavefront6targetE1EEEvT1_
		.amdhsa_group_segment_fixed_size 0
		.amdhsa_private_segment_fixed_size 0
		.amdhsa_kernarg_size 96
		.amdhsa_user_sgpr_count 6
		.amdhsa_user_sgpr_private_segment_buffer 1
		.amdhsa_user_sgpr_dispatch_ptr 0
		.amdhsa_user_sgpr_queue_ptr 0
		.amdhsa_user_sgpr_kernarg_segment_ptr 1
		.amdhsa_user_sgpr_dispatch_id 0
		.amdhsa_user_sgpr_flat_scratch_init 0
		.amdhsa_user_sgpr_kernarg_preload_length 0
		.amdhsa_user_sgpr_kernarg_preload_offset 0
		.amdhsa_user_sgpr_private_segment_size 0
		.amdhsa_uses_dynamic_stack 0
		.amdhsa_system_sgpr_private_segment_wavefront_offset 0
		.amdhsa_system_sgpr_workgroup_id_x 1
		.amdhsa_system_sgpr_workgroup_id_y 0
		.amdhsa_system_sgpr_workgroup_id_z 0
		.amdhsa_system_sgpr_workgroup_info 0
		.amdhsa_system_vgpr_workitem_id 0
		.amdhsa_next_free_vgpr 1
		.amdhsa_next_free_sgpr 0
		.amdhsa_accum_offset 4
		.amdhsa_reserve_vcc 0
		.amdhsa_reserve_flat_scratch 0
		.amdhsa_float_round_mode_32 0
		.amdhsa_float_round_mode_16_64 0
		.amdhsa_float_denorm_mode_32 3
		.amdhsa_float_denorm_mode_16_64 3
		.amdhsa_dx10_clamp 1
		.amdhsa_ieee_mode 1
		.amdhsa_fp16_overflow 0
		.amdhsa_tg_split 0
		.amdhsa_exception_fp_ieee_invalid_op 0
		.amdhsa_exception_fp_denorm_src 0
		.amdhsa_exception_fp_ieee_div_zero 0
		.amdhsa_exception_fp_ieee_overflow 0
		.amdhsa_exception_fp_ieee_underflow 0
		.amdhsa_exception_fp_ieee_inexact 0
		.amdhsa_exception_int_div_zero 0
	.end_amdhsa_kernel
	.section	.text._ZN7rocprim17ROCPRIM_400000_NS6detail17trampoline_kernelINS0_14default_configENS1_20scan_config_selectorIfEEZZNS1_9scan_implILNS1_25lookback_scan_determinismE0ELb0ELb0ES3_PKfPffZZZN2at6native31launch_logcumsumexp_cuda_kernelERKNSB_10TensorBaseESF_lENKUlvE_clEvENKUlvE0_clEvEUlffE_fEEDaPvRmT3_T4_T5_mT6_P12ihipStream_tbENKUlT_T0_E_clISt17integral_constantIbLb0EESW_EEDaSR_SS_EUlSR_E_NS1_11comp_targetILNS1_3genE5ELNS1_11target_archE942ELNS1_3gpuE9ELNS1_3repE0EEENS1_30default_config_static_selectorELNS0_4arch9wavefront6targetE1EEEvT1_,"axG",@progbits,_ZN7rocprim17ROCPRIM_400000_NS6detail17trampoline_kernelINS0_14default_configENS1_20scan_config_selectorIfEEZZNS1_9scan_implILNS1_25lookback_scan_determinismE0ELb0ELb0ES3_PKfPffZZZN2at6native31launch_logcumsumexp_cuda_kernelERKNSB_10TensorBaseESF_lENKUlvE_clEvENKUlvE0_clEvEUlffE_fEEDaPvRmT3_T4_T5_mT6_P12ihipStream_tbENKUlT_T0_E_clISt17integral_constantIbLb0EESW_EEDaSR_SS_EUlSR_E_NS1_11comp_targetILNS1_3genE5ELNS1_11target_archE942ELNS1_3gpuE9ELNS1_3repE0EEENS1_30default_config_static_selectorELNS0_4arch9wavefront6targetE1EEEvT1_,comdat
.Lfunc_end89:
	.size	_ZN7rocprim17ROCPRIM_400000_NS6detail17trampoline_kernelINS0_14default_configENS1_20scan_config_selectorIfEEZZNS1_9scan_implILNS1_25lookback_scan_determinismE0ELb0ELb0ES3_PKfPffZZZN2at6native31launch_logcumsumexp_cuda_kernelERKNSB_10TensorBaseESF_lENKUlvE_clEvENKUlvE0_clEvEUlffE_fEEDaPvRmT3_T4_T5_mT6_P12ihipStream_tbENKUlT_T0_E_clISt17integral_constantIbLb0EESW_EEDaSR_SS_EUlSR_E_NS1_11comp_targetILNS1_3genE5ELNS1_11target_archE942ELNS1_3gpuE9ELNS1_3repE0EEENS1_30default_config_static_selectorELNS0_4arch9wavefront6targetE1EEEvT1_, .Lfunc_end89-_ZN7rocprim17ROCPRIM_400000_NS6detail17trampoline_kernelINS0_14default_configENS1_20scan_config_selectorIfEEZZNS1_9scan_implILNS1_25lookback_scan_determinismE0ELb0ELb0ES3_PKfPffZZZN2at6native31launch_logcumsumexp_cuda_kernelERKNSB_10TensorBaseESF_lENKUlvE_clEvENKUlvE0_clEvEUlffE_fEEDaPvRmT3_T4_T5_mT6_P12ihipStream_tbENKUlT_T0_E_clISt17integral_constantIbLb0EESW_EEDaSR_SS_EUlSR_E_NS1_11comp_targetILNS1_3genE5ELNS1_11target_archE942ELNS1_3gpuE9ELNS1_3repE0EEENS1_30default_config_static_selectorELNS0_4arch9wavefront6targetE1EEEvT1_
                                        ; -- End function
	.section	.AMDGPU.csdata,"",@progbits
; Kernel info:
; codeLenInByte = 0
; NumSgprs: 4
; NumVgprs: 0
; NumAgprs: 0
; TotalNumVgprs: 0
; ScratchSize: 0
; MemoryBound: 0
; FloatMode: 240
; IeeeMode: 1
; LDSByteSize: 0 bytes/workgroup (compile time only)
; SGPRBlocks: 0
; VGPRBlocks: 0
; NumSGPRsForWavesPerEU: 4
; NumVGPRsForWavesPerEU: 1
; AccumOffset: 4
; Occupancy: 8
; WaveLimiterHint : 0
; COMPUTE_PGM_RSRC2:SCRATCH_EN: 0
; COMPUTE_PGM_RSRC2:USER_SGPR: 6
; COMPUTE_PGM_RSRC2:TRAP_HANDLER: 0
; COMPUTE_PGM_RSRC2:TGID_X_EN: 1
; COMPUTE_PGM_RSRC2:TGID_Y_EN: 0
; COMPUTE_PGM_RSRC2:TGID_Z_EN: 0
; COMPUTE_PGM_RSRC2:TIDIG_COMP_CNT: 0
; COMPUTE_PGM_RSRC3_GFX90A:ACCUM_OFFSET: 0
; COMPUTE_PGM_RSRC3_GFX90A:TG_SPLIT: 0
	.section	.text._ZN7rocprim17ROCPRIM_400000_NS6detail17trampoline_kernelINS0_14default_configENS1_20scan_config_selectorIfEEZZNS1_9scan_implILNS1_25lookback_scan_determinismE0ELb0ELb0ES3_PKfPffZZZN2at6native31launch_logcumsumexp_cuda_kernelERKNSB_10TensorBaseESF_lENKUlvE_clEvENKUlvE0_clEvEUlffE_fEEDaPvRmT3_T4_T5_mT6_P12ihipStream_tbENKUlT_T0_E_clISt17integral_constantIbLb0EESW_EEDaSR_SS_EUlSR_E_NS1_11comp_targetILNS1_3genE4ELNS1_11target_archE910ELNS1_3gpuE8ELNS1_3repE0EEENS1_30default_config_static_selectorELNS0_4arch9wavefront6targetE1EEEvT1_,"axG",@progbits,_ZN7rocprim17ROCPRIM_400000_NS6detail17trampoline_kernelINS0_14default_configENS1_20scan_config_selectorIfEEZZNS1_9scan_implILNS1_25lookback_scan_determinismE0ELb0ELb0ES3_PKfPffZZZN2at6native31launch_logcumsumexp_cuda_kernelERKNSB_10TensorBaseESF_lENKUlvE_clEvENKUlvE0_clEvEUlffE_fEEDaPvRmT3_T4_T5_mT6_P12ihipStream_tbENKUlT_T0_E_clISt17integral_constantIbLb0EESW_EEDaSR_SS_EUlSR_E_NS1_11comp_targetILNS1_3genE4ELNS1_11target_archE910ELNS1_3gpuE8ELNS1_3repE0EEENS1_30default_config_static_selectorELNS0_4arch9wavefront6targetE1EEEvT1_,comdat
	.globl	_ZN7rocprim17ROCPRIM_400000_NS6detail17trampoline_kernelINS0_14default_configENS1_20scan_config_selectorIfEEZZNS1_9scan_implILNS1_25lookback_scan_determinismE0ELb0ELb0ES3_PKfPffZZZN2at6native31launch_logcumsumexp_cuda_kernelERKNSB_10TensorBaseESF_lENKUlvE_clEvENKUlvE0_clEvEUlffE_fEEDaPvRmT3_T4_T5_mT6_P12ihipStream_tbENKUlT_T0_E_clISt17integral_constantIbLb0EESW_EEDaSR_SS_EUlSR_E_NS1_11comp_targetILNS1_3genE4ELNS1_11target_archE910ELNS1_3gpuE8ELNS1_3repE0EEENS1_30default_config_static_selectorELNS0_4arch9wavefront6targetE1EEEvT1_ ; -- Begin function _ZN7rocprim17ROCPRIM_400000_NS6detail17trampoline_kernelINS0_14default_configENS1_20scan_config_selectorIfEEZZNS1_9scan_implILNS1_25lookback_scan_determinismE0ELb0ELb0ES3_PKfPffZZZN2at6native31launch_logcumsumexp_cuda_kernelERKNSB_10TensorBaseESF_lENKUlvE_clEvENKUlvE0_clEvEUlffE_fEEDaPvRmT3_T4_T5_mT6_P12ihipStream_tbENKUlT_T0_E_clISt17integral_constantIbLb0EESW_EEDaSR_SS_EUlSR_E_NS1_11comp_targetILNS1_3genE4ELNS1_11target_archE910ELNS1_3gpuE8ELNS1_3repE0EEENS1_30default_config_static_selectorELNS0_4arch9wavefront6targetE1EEEvT1_
	.p2align	8
	.type	_ZN7rocprim17ROCPRIM_400000_NS6detail17trampoline_kernelINS0_14default_configENS1_20scan_config_selectorIfEEZZNS1_9scan_implILNS1_25lookback_scan_determinismE0ELb0ELb0ES3_PKfPffZZZN2at6native31launch_logcumsumexp_cuda_kernelERKNSB_10TensorBaseESF_lENKUlvE_clEvENKUlvE0_clEvEUlffE_fEEDaPvRmT3_T4_T5_mT6_P12ihipStream_tbENKUlT_T0_E_clISt17integral_constantIbLb0EESW_EEDaSR_SS_EUlSR_E_NS1_11comp_targetILNS1_3genE4ELNS1_11target_archE910ELNS1_3gpuE8ELNS1_3repE0EEENS1_30default_config_static_selectorELNS0_4arch9wavefront6targetE1EEEvT1_,@function
_ZN7rocprim17ROCPRIM_400000_NS6detail17trampoline_kernelINS0_14default_configENS1_20scan_config_selectorIfEEZZNS1_9scan_implILNS1_25lookback_scan_determinismE0ELb0ELb0ES3_PKfPffZZZN2at6native31launch_logcumsumexp_cuda_kernelERKNSB_10TensorBaseESF_lENKUlvE_clEvENKUlvE0_clEvEUlffE_fEEDaPvRmT3_T4_T5_mT6_P12ihipStream_tbENKUlT_T0_E_clISt17integral_constantIbLb0EESW_EEDaSR_SS_EUlSR_E_NS1_11comp_targetILNS1_3genE4ELNS1_11target_archE910ELNS1_3gpuE8ELNS1_3repE0EEENS1_30default_config_static_selectorELNS0_4arch9wavefront6targetE1EEEvT1_: ; @_ZN7rocprim17ROCPRIM_400000_NS6detail17trampoline_kernelINS0_14default_configENS1_20scan_config_selectorIfEEZZNS1_9scan_implILNS1_25lookback_scan_determinismE0ELb0ELb0ES3_PKfPffZZZN2at6native31launch_logcumsumexp_cuda_kernelERKNSB_10TensorBaseESF_lENKUlvE_clEvENKUlvE0_clEvEUlffE_fEEDaPvRmT3_T4_T5_mT6_P12ihipStream_tbENKUlT_T0_E_clISt17integral_constantIbLb0EESW_EEDaSR_SS_EUlSR_E_NS1_11comp_targetILNS1_3genE4ELNS1_11target_archE910ELNS1_3gpuE8ELNS1_3repE0EEENS1_30default_config_static_selectorELNS0_4arch9wavefront6targetE1EEEvT1_
; %bb.0:
	s_load_dwordx8 s[40:47], s[4:5], 0x0
	s_load_dword s1, s[4:5], 0x30
	s_mul_i32 s0, s6, 0x700
	v_lshlrev_b32_e32 v32, 2, v0
	s_waitcnt lgkmcnt(0)
	s_lshl_b64 s[48:49], s[42:43], 2
	s_add_u32 s2, s40, s48
	s_addc_u32 s3, s41, s49
	s_add_i32 s7, s1, -1
	s_mul_i32 s8, s7, 0x700
	s_sub_u32 s33, s46, s8
	s_subb_u32 s56, s47, 0
	s_mov_b32 s1, 0
	s_cmp_lg_u32 s6, s7
	s_cselect_b64 s[46:47], -1, 0
	s_lshl_b64 s[50:51], s[0:1], 2
	s_add_u32 s2, s2, s50
	s_addc_u32 s3, s3, s51
	s_mov_b64 s[0:1], -1
	s_and_b64 vcc, exec, s[46:47]
	s_cbranch_vccz .LBB90_2
; %bb.1:
	v_mov_b32_e32 v1, s3
	v_add_co_u32_e32 v2, vcc, s2, v32
	v_addc_co_u32_e32 v1, vcc, 0, v1, vcc
	v_add_co_u32_e32 v2, vcc, 0x1000, v2
	v_addc_co_u32_e32 v3, vcc, 0, v1, vcc
	global_load_dword v4, v32, s[2:3]
	global_load_dword v5, v32, s[2:3] offset:512
	global_load_dword v6, v32, s[2:3] offset:1024
	;; [unrolled: 1-line block ×7, first 2 shown]
	global_load_dword v1, v[2:3], off
	global_load_dword v12, v[2:3], off offset:512
	global_load_dword v13, v[2:3], off offset:1024
	;; [unrolled: 1-line block ×5, first 2 shown]
	s_mov_b64 s[0:1], 0
	s_waitcnt vmcnt(12)
	ds_write2st64_b32 v32, v4, v5 offset1:2
	s_waitcnt vmcnt(10)
	ds_write2st64_b32 v32, v6, v7 offset0:4 offset1:6
	s_waitcnt vmcnt(8)
	ds_write2st64_b32 v32, v8, v9 offset0:8 offset1:10
	;; [unrolled: 2-line block ×6, first 2 shown]
	s_waitcnt lgkmcnt(0)
	s_barrier
.LBB90_2:
	s_load_dwordx2 s[52:53], s[4:5], 0x28
	s_andn2_b64 vcc, exec, s[0:1]
	v_cmp_gt_u32_e64 s[0:1], s33, v0
	s_cbranch_vccnz .LBB90_32
; %bb.3:
	s_load_dword s8, s[2:3], 0x0
	s_waitcnt lgkmcnt(0)
	s_mov_b32 s9, s8
	s_mov_b32 s10, s8
	;; [unrolled: 1-line block ×13, first 2 shown]
	v_pk_mov_b32 v[2:3], s[8:9], s[8:9] op_sel:[0,1]
	v_pk_mov_b32 v[4:5], s[10:11], s[10:11] op_sel:[0,1]
	;; [unrolled: 1-line block ×7, first 2 shown]
	v_mov_b32_e32 v1, s8
	v_pk_mov_b32 v[16:17], s[22:23], s[22:23] op_sel:[0,1]
	s_and_saveexec_b64 s[10:11], s[0:1]
	s_cbranch_execz .LBB90_5
; %bb.4:
	global_load_dword v1, v32, s[2:3]
	v_mov_b32_e32 v3, s8
	v_mov_b32_e32 v4, s8
	;; [unrolled: 1-line block ×13, first 2 shown]
.LBB90_5:
	s_or_b64 exec, exec, s[10:11]
	v_or_b32_e32 v2, 0x80, v0
	v_cmp_gt_u32_e32 vcc, s33, v2
	s_and_saveexec_b64 s[0:1], vcc
	s_cbranch_execz .LBB90_7
; %bb.6:
	global_load_dword v3, v32, s[2:3] offset:512
.LBB90_7:
	s_or_b64 exec, exec, s[0:1]
	v_or_b32_e32 v2, 0x100, v0
	v_cmp_gt_u32_e32 vcc, s33, v2
	s_and_saveexec_b64 s[0:1], vcc
	s_cbranch_execz .LBB90_9
; %bb.8:
	global_load_dword v4, v32, s[2:3] offset:1024
.LBB90_9:
	;; [unrolled: 8-line block ×7, first 2 shown]
	s_or_b64 exec, exec, s[0:1]
	v_or_b32_e32 v2, 0x400, v0
	v_cmp_gt_u32_e32 vcc, s33, v2
	s_and_saveexec_b64 s[0:1], vcc
	s_cbranch_execz .LBB90_21
; %bb.20:
	v_lshlrev_b32_e32 v2, 2, v2
	global_load_dword v10, v2, s[2:3]
.LBB90_21:
	s_or_b64 exec, exec, s[0:1]
	v_or_b32_e32 v2, 0x480, v0
	v_cmp_gt_u32_e32 vcc, s33, v2
	s_and_saveexec_b64 s[0:1], vcc
	s_cbranch_execz .LBB90_23
; %bb.22:
	v_lshlrev_b32_e32 v2, 2, v2
	global_load_dword v11, v2, s[2:3]
.LBB90_23:
	;; [unrolled: 9-line block ×6, first 2 shown]
	s_or_b64 exec, exec, s[0:1]
	s_waitcnt vmcnt(0)
	ds_write2st64_b32 v32, v1, v3 offset1:2
	ds_write2st64_b32 v32, v4, v5 offset0:4 offset1:6
	ds_write2st64_b32 v32, v6, v7 offset0:8 offset1:10
	;; [unrolled: 1-line block ×6, first 2 shown]
	s_waitcnt lgkmcnt(0)
	s_barrier
.LBB90_32:
	v_mul_u32_u24_e32 v33, 14, v0
	v_lshlrev_b32_e32 v1, 2, v33
	s_waitcnt lgkmcnt(0)
	ds_read2_b64 v[2:5], v1 offset1:1
	ds_read2_b64 v[26:29], v1 offset0:2 offset1:3
	ds_read2_b64 v[22:25], v1 offset0:4 offset1:5
	ds_read_b64 v[30:31], v1 offset:48
	s_cmp_lg_u32 s6, 0
	s_waitcnt lgkmcnt(0)
	s_barrier
	s_cbranch_scc0 .LBB90_197
; %bb.33:
	v_max_f32_e32 v18, v3, v3
	v_max_f32_e32 v43, v2, v2
	v_min_f32_e32 v6, v43, v18
	v_cmp_u_f32_e64 s[28:29], v2, v2
	v_cndmask_b32_e64 v6, v6, v2, s[28:29]
	v_cmp_u_f32_e64 s[0:1], v3, v3
	v_cndmask_b32_e64 v7, v6, v3, s[0:1]
	v_max_f32_e32 v6, v43, v18
	v_cndmask_b32_e64 v6, v6, v2, s[28:29]
	v_cndmask_b32_e64 v6, v6, v3, s[0:1]
	s_movk_i32 s7, 0x1f8
	v_cmp_neq_f32_e32 vcc, v7, v6
	v_cmp_class_f32_e64 s[2:3], v7, s7
	s_or_b64 s[8:9], vcc, s[2:3]
	v_mov_b32_e32 v44, v2
	s_and_saveexec_b64 s[2:3], s[8:9]
	s_cbranch_execz .LBB90_35
; %bb.34:
	v_sub_f32_e32 v7, v7, v6
	s_mov_b32 s8, 0x3fb8aa3b
	v_mul_f32_e32 v8, 0x3fb8aa3b, v7
	v_fma_f32 v9, v7, s8, -v8
	v_rndne_f32_e32 v10, v8
	v_fmac_f32_e32 v9, 0x32a5705f, v7
	v_sub_f32_e32 v8, v8, v10
	v_add_f32_e32 v8, v8, v9
	v_exp_f32_e32 v8, v8
	v_cvt_i32_f32_e32 v9, v10
	s_mov_b32 s8, 0xc2ce8ed0
	v_cmp_ngt_f32_e32 vcc, s8, v7
	s_mov_b32 s8, 0x42b17218
	v_ldexp_f32 v8, v8, v9
	v_cndmask_b32_e32 v8, 0, v8, vcc
	v_mov_b32_e32 v9, 0x7f800000
	v_cmp_nlt_f32_e32 vcc, s8, v7
	v_cndmask_b32_e32 v19, v9, v8, vcc
	v_add_f32_e32 v7, 1.0, v19
	v_add_f32_e32 v8, -1.0, v7
	v_sub_f32_e32 v9, v8, v7
	v_add_f32_e32 v9, 1.0, v9
	v_sub_f32_e32 v8, v19, v8
	v_add_f32_e32 v10, v8, v9
	v_frexp_mant_f32_e32 v11, v7
	s_mov_b32 s8, 0x3f2aaaab
	v_cvt_f64_f32_e32 v[8:9], v7
	v_frexp_exp_i32_f64_e32 v8, v[8:9]
	v_cmp_gt_f32_e32 vcc, s8, v11
	v_subbrev_co_u32_e32 v16, vcc, 0, v8, vcc
	v_sub_u32_e32 v8, 0, v16
	v_ldexp_f32 v7, v7, v8
	v_ldexp_f32 v8, v10, v8
	v_add_f32_e32 v10, -1.0, v7
	v_add_f32_e32 v9, 1.0, v10
	v_sub_f32_e32 v9, v7, v9
	v_add_f32_e32 v11, v8, v9
	v_add_f32_e32 v9, 1.0, v7
	v_add_f32_e32 v12, -1.0, v9
	v_sub_f32_e32 v7, v7, v12
	v_add_f32_e32 v7, v8, v7
	v_add_f32_e32 v17, v9, v7
	v_rcp_f32_e32 v20, v17
	v_sub_f32_e32 v8, v9, v17
	v_add_f32_e32 v9, v10, v11
	v_add_f32_e32 v7, v7, v8
	v_mul_f32_e32 v34, v9, v20
	v_sub_f32_e32 v8, v10, v9
	v_mul_f32_e32 v10, v17, v34
	v_fma_f32 v12, v34, v17, -v10
	v_fmac_f32_e32 v12, v34, v7
	v_add_f32_e32 v21, v11, v8
	v_add_f32_e32 v8, v10, v12
	v_sub_f32_e32 v11, v9, v8
	v_pk_add_f32 v[14:15], v[8:9], v[10:11] neg_lo:[0,1] neg_hi:[0,1]
	v_mov_b32_e32 v13, v8
	v_pk_add_f32 v[8:9], v[14:15], v[12:13] neg_lo:[0,1] neg_hi:[0,1]
	v_add_f32_e32 v9, v21, v9
	v_add_f32_e32 v8, v8, v9
	;; [unrolled: 1-line block ×3, first 2 shown]
	v_mul_f32_e32 v21, v20, v9
	v_mul_f32_e32 v10, v17, v21
	v_fma_f32 v12, v21, v17, -v10
	v_fmac_f32_e32 v12, v21, v7
	v_sub_f32_e32 v7, v11, v9
	v_add_f32_e32 v7, v8, v7
	v_add_f32_e32 v8, v10, v12
	v_sub_f32_e32 v11, v9, v8
	v_pk_add_f32 v[14:15], v[8:9], v[10:11] neg_lo:[0,1] neg_hi:[0,1]
	v_mov_b32_e32 v13, v8
	v_pk_add_f32 v[8:9], v[14:15], v[12:13] neg_lo:[0,1] neg_hi:[0,1]
	v_add_f32_e32 v7, v7, v9
	v_add_f32_e32 v7, v8, v7
	;; [unrolled: 1-line block ×4, first 2 shown]
	v_sub_f32_e32 v9, v8, v34
	v_mul_f32_e32 v7, v20, v7
	v_sub_f32_e32 v9, v21, v9
	v_add_f32_e32 v7, v9, v7
	v_add_f32_e32 v11, v8, v7
	v_mul_f32_e32 v12, v11, v11
	v_mov_b32_e32 v10, 0x3ecc95a3
	v_fmac_f32_e32 v10, 0x3e9b6dac, v12
	v_mov_b32_e32 v9, 0x3f2aaada
	v_fmac_f32_e32 v9, v12, v10
	v_cvt_f32_i32_e32 v10, v16
	v_sub_f32_e32 v8, v11, v8
	v_sub_f32_e32 v7, v7, v8
	v_ldexp_f32 v13, v11, 1
	v_mul_f32_e32 v11, v11, v12
	v_mov_b32_e32 v8, 0x3f317218
	s_mov_b32 s8, 0x3f317218
	v_pk_mul_f32 v[8:9], v[10:11], v[8:9]
	v_fma_f32 v12, v10, s8, -v8
	v_fmac_f32_e32 v12, 0xb102e308, v10
	v_pk_add_f32 v[10:11], v[8:9], v[12:13]
	v_sub_f32_e32 v13, v11, v13
	v_ldexp_f32 v7, v7, 1
	v_sub_f32_e32 v13, v9, v13
	v_add_f32_e32 v15, v7, v13
	v_mov_b32_e32 v14, v8
	v_pk_add_f32 v[8:9], v[10:11], v[8:9] neg_lo:[0,1] neg_hi:[0,1]
	v_pk_add_f32 v[16:17], v[10:11], v[14:15]
	v_mov_b32_e32 v9, v17
	v_mov_b32_e32 v13, v10
	v_pk_add_f32 v[20:21], v[12:13], v[8:9] neg_lo:[0,1] neg_hi:[0,1]
	v_pk_add_f32 v[8:9], v[12:13], v[8:9]
	v_mov_b32_e32 v12, v9
	v_pk_add_f32 v[34:35], v[12:13], v[10:11] neg_lo:[0,1] neg_hi:[0,1]
	v_mov_b32_e32 v7, v34
	v_pk_add_f32 v[36:37], v[16:17], v[6:7] neg_lo:[0,1] neg_hi:[0,1]
	v_mov_b32_e32 v8, v17
	v_mov_b32_e32 v16, v11
	v_mov_b32_e32 v17, v34
	v_mov_b32_e32 v21, v9
	v_pk_add_f32 v[8:9], v[8:9], v[16:17] neg_lo:[0,1] neg_hi:[0,1]
	v_mov_b32_e32 v14, v15
	v_mov_b32_e32 v15, v10
	v_pk_add_f32 v[8:9], v[14:15], v[8:9] neg_lo:[0,1] neg_hi:[0,1]
	v_mov_b32_e32 v36, v20
	v_pk_add_f32 v[10:11], v[36:37], v[8:9]
	v_mov_b32_e32 v14, v11
	v_pk_add_f32 v[14:15], v[10:11], v[14:15]
	v_pk_add_f32 v[12:13], v[12:13], v[14:15]
	v_mov_b32_e32 v11, v12
	v_pk_add_f32 v[16:17], v[10:11], v[20:21] neg_lo:[0,1] neg_hi:[0,1]
	v_mov_b32_e32 v9, v14
	v_sub_f32_e32 v7, v10, v16
	v_pk_add_f32 v[8:9], v[8:9], v[16:17] neg_lo:[0,1] neg_hi:[0,1]
	v_sub_f32_e32 v7, v20, v7
	s_mov_b32 s9, 0x7f800000
	v_add_f32_e32 v7, v8, v7
	s_mov_b32 s8, 0x33800000
	v_add_f32_e32 v7, v7, v9
	v_cmp_eq_f32_e32 vcc, s9, v19
	v_cmp_lt_f32_e64 s[8:9], |v19|, s8
	v_add_f32_e32 v7, v12, v7
	s_or_b64 vcc, vcc, s[8:9]
	v_cndmask_b32_e32 v7, v7, v19, vcc
	v_add_f32_e32 v44, v6, v7
.LBB90_35:
	s_or_b64 exec, exec, s[2:3]
	v_max_f32_e32 v6, v44, v44
	v_max_f32_e32 v19, v4, v4
	v_min_f32_e32 v7, v6, v19
	v_cmp_u_f32_e32 vcc, v44, v44
	v_max_f32_e32 v6, v6, v19
	v_cndmask_b32_e32 v7, v7, v44, vcc
	v_cmp_u_f32_e64 s[2:3], v4, v4
	v_cndmask_b32_e32 v6, v6, v44, vcc
	v_cndmask_b32_e64 v7, v7, v4, s[2:3]
	v_cndmask_b32_e64 v6, v6, v4, s[2:3]
	v_cmp_neq_f32_e32 vcc, v7, v6
	v_cmp_class_f32_e64 s[8:9], v7, s7
	s_or_b64 s[10:11], vcc, s[8:9]
	s_and_saveexec_b64 s[8:9], s[10:11]
	s_cbranch_execz .LBB90_37
; %bb.36:
	v_sub_f32_e32 v7, v7, v6
	s_mov_b32 s7, 0x3fb8aa3b
	v_mul_f32_e32 v8, 0x3fb8aa3b, v7
	v_fma_f32 v9, v7, s7, -v8
	v_rndne_f32_e32 v10, v8
	v_fmac_f32_e32 v9, 0x32a5705f, v7
	v_sub_f32_e32 v8, v8, v10
	v_add_f32_e32 v8, v8, v9
	v_exp_f32_e32 v8, v8
	v_cvt_i32_f32_e32 v9, v10
	s_mov_b32 s7, 0xc2ce8ed0
	v_cmp_ngt_f32_e32 vcc, s7, v7
	s_mov_b32 s7, 0x42b17218
	v_ldexp_f32 v8, v8, v9
	v_cndmask_b32_e32 v8, 0, v8, vcc
	v_mov_b32_e32 v9, 0x7f800000
	v_cmp_nlt_f32_e32 vcc, s7, v7
	v_cndmask_b32_e32 v38, v9, v8, vcc
	v_add_f32_e32 v7, 1.0, v38
	v_add_f32_e32 v8, -1.0, v7
	v_sub_f32_e32 v9, v8, v7
	v_add_f32_e32 v9, 1.0, v9
	v_sub_f32_e32 v8, v38, v8
	v_add_f32_e32 v10, v8, v9
	v_frexp_mant_f32_e32 v11, v7
	s_mov_b32 s7, 0x3f2aaaab
	v_cvt_f64_f32_e32 v[8:9], v7
	v_frexp_exp_i32_f64_e32 v8, v[8:9]
	v_cmp_gt_f32_e32 vcc, s7, v11
	v_subbrev_co_u32_e32 v16, vcc, 0, v8, vcc
	v_sub_u32_e32 v8, 0, v16
	v_ldexp_f32 v7, v7, v8
	v_ldexp_f32 v8, v10, v8
	v_add_f32_e32 v10, -1.0, v7
	v_add_f32_e32 v9, 1.0, v10
	v_sub_f32_e32 v9, v7, v9
	v_add_f32_e32 v11, v8, v9
	v_add_f32_e32 v9, 1.0, v7
	v_add_f32_e32 v12, -1.0, v9
	v_sub_f32_e32 v7, v7, v12
	v_add_f32_e32 v7, v8, v7
	v_add_f32_e32 v17, v9, v7
	v_rcp_f32_e32 v20, v17
	v_sub_f32_e32 v8, v9, v17
	v_add_f32_e32 v9, v10, v11
	v_add_f32_e32 v7, v7, v8
	v_mul_f32_e32 v34, v9, v20
	v_sub_f32_e32 v8, v10, v9
	v_mul_f32_e32 v10, v17, v34
	v_fma_f32 v12, v34, v17, -v10
	v_fmac_f32_e32 v12, v34, v7
	v_add_f32_e32 v21, v11, v8
	v_add_f32_e32 v8, v10, v12
	v_sub_f32_e32 v11, v9, v8
	v_pk_add_f32 v[14:15], v[8:9], v[10:11] neg_lo:[0,1] neg_hi:[0,1]
	v_mov_b32_e32 v13, v8
	v_pk_add_f32 v[8:9], v[14:15], v[12:13] neg_lo:[0,1] neg_hi:[0,1]
	v_add_f32_e32 v9, v21, v9
	v_add_f32_e32 v8, v8, v9
	;; [unrolled: 1-line block ×3, first 2 shown]
	v_mul_f32_e32 v21, v20, v9
	v_mul_f32_e32 v10, v17, v21
	v_fma_f32 v12, v21, v17, -v10
	v_fmac_f32_e32 v12, v21, v7
	v_sub_f32_e32 v7, v11, v9
	v_add_f32_e32 v7, v8, v7
	v_add_f32_e32 v8, v10, v12
	v_sub_f32_e32 v11, v9, v8
	v_pk_add_f32 v[14:15], v[8:9], v[10:11] neg_lo:[0,1] neg_hi:[0,1]
	v_mov_b32_e32 v13, v8
	v_pk_add_f32 v[8:9], v[14:15], v[12:13] neg_lo:[0,1] neg_hi:[0,1]
	v_add_f32_e32 v7, v7, v9
	v_add_f32_e32 v7, v8, v7
	;; [unrolled: 1-line block ×4, first 2 shown]
	v_sub_f32_e32 v9, v8, v34
	v_mul_f32_e32 v7, v20, v7
	v_sub_f32_e32 v9, v21, v9
	v_add_f32_e32 v7, v9, v7
	v_add_f32_e32 v11, v8, v7
	v_mul_f32_e32 v12, v11, v11
	v_mov_b32_e32 v10, 0x3ecc95a3
	v_fmac_f32_e32 v10, 0x3e9b6dac, v12
	v_mov_b32_e32 v9, 0x3f2aaada
	v_fmac_f32_e32 v9, v12, v10
	v_cvt_f32_i32_e32 v10, v16
	v_sub_f32_e32 v8, v11, v8
	v_sub_f32_e32 v7, v7, v8
	v_ldexp_f32 v13, v11, 1
	v_mul_f32_e32 v11, v11, v12
	v_mov_b32_e32 v8, 0x3f317218
	s_mov_b32 s7, 0x3f317218
	v_pk_mul_f32 v[8:9], v[10:11], v[8:9]
	v_fma_f32 v12, v10, s7, -v8
	v_fmac_f32_e32 v12, 0xb102e308, v10
	v_pk_add_f32 v[10:11], v[8:9], v[12:13]
	v_sub_f32_e32 v13, v11, v13
	v_ldexp_f32 v7, v7, 1
	v_sub_f32_e32 v13, v9, v13
	v_add_f32_e32 v15, v7, v13
	v_mov_b32_e32 v14, v8
	v_pk_add_f32 v[8:9], v[10:11], v[8:9] neg_lo:[0,1] neg_hi:[0,1]
	v_pk_add_f32 v[16:17], v[10:11], v[14:15]
	v_mov_b32_e32 v9, v17
	v_mov_b32_e32 v13, v10
	v_pk_add_f32 v[20:21], v[12:13], v[8:9] neg_lo:[0,1] neg_hi:[0,1]
	v_pk_add_f32 v[8:9], v[12:13], v[8:9]
	v_mov_b32_e32 v12, v9
	v_pk_add_f32 v[34:35], v[12:13], v[10:11] neg_lo:[0,1] neg_hi:[0,1]
	v_mov_b32_e32 v7, v34
	v_pk_add_f32 v[36:37], v[16:17], v[6:7] neg_lo:[0,1] neg_hi:[0,1]
	v_mov_b32_e32 v8, v17
	v_mov_b32_e32 v16, v11
	;; [unrolled: 1-line block ×4, first 2 shown]
	v_pk_add_f32 v[8:9], v[8:9], v[16:17] neg_lo:[0,1] neg_hi:[0,1]
	v_mov_b32_e32 v14, v15
	v_mov_b32_e32 v15, v10
	v_pk_add_f32 v[8:9], v[14:15], v[8:9] neg_lo:[0,1] neg_hi:[0,1]
	v_mov_b32_e32 v36, v20
	v_pk_add_f32 v[10:11], v[36:37], v[8:9]
	v_mov_b32_e32 v14, v11
	v_pk_add_f32 v[14:15], v[10:11], v[14:15]
	v_pk_add_f32 v[12:13], v[12:13], v[14:15]
	v_mov_b32_e32 v11, v12
	v_pk_add_f32 v[16:17], v[10:11], v[20:21] neg_lo:[0,1] neg_hi:[0,1]
	v_mov_b32_e32 v9, v14
	v_sub_f32_e32 v7, v10, v16
	v_pk_add_f32 v[8:9], v[8:9], v[16:17] neg_lo:[0,1] neg_hi:[0,1]
	v_sub_f32_e32 v7, v20, v7
	s_mov_b32 s10, 0x7f800000
	v_add_f32_e32 v7, v8, v7
	s_mov_b32 s7, 0x33800000
	v_add_f32_e32 v7, v7, v9
	v_cmp_eq_f32_e32 vcc, s10, v38
	v_cmp_lt_f32_e64 s[10:11], |v38|, s7
	v_add_f32_e32 v7, v12, v7
	s_or_b64 vcc, vcc, s[10:11]
	v_cndmask_b32_e32 v7, v7, v38, vcc
	v_add_f32_e32 v44, v6, v7
.LBB90_37:
	s_or_b64 exec, exec, s[8:9]
	v_max_f32_e32 v6, v44, v44
	v_max_f32_e32 v20, v5, v5
	v_min_f32_e32 v7, v6, v20
	v_cmp_u_f32_e32 vcc, v44, v44
	v_max_f32_e32 v6, v6, v20
	v_cndmask_b32_e32 v7, v7, v44, vcc
	v_cmp_u_f32_e64 s[38:39], v5, v5
	v_cndmask_b32_e32 v6, v6, v44, vcc
	v_cndmask_b32_e64 v7, v7, v5, s[38:39]
	v_cndmask_b32_e64 v6, v6, v5, s[38:39]
	s_movk_i32 s7, 0x1f8
	v_cmp_neq_f32_e32 vcc, v7, v6
	v_cmp_class_f32_e64 s[8:9], v7, s7
	s_or_b64 s[10:11], vcc, s[8:9]
	s_and_saveexec_b64 s[8:9], s[10:11]
	s_cbranch_execz .LBB90_39
; %bb.38:
	v_sub_f32_e32 v7, v7, v6
	s_mov_b32 s10, 0x3fb8aa3b
	v_mul_f32_e32 v8, 0x3fb8aa3b, v7
	v_fma_f32 v9, v7, s10, -v8
	v_rndne_f32_e32 v10, v8
	v_fmac_f32_e32 v9, 0x32a5705f, v7
	v_sub_f32_e32 v8, v8, v10
	v_add_f32_e32 v8, v8, v9
	v_exp_f32_e32 v8, v8
	v_cvt_i32_f32_e32 v9, v10
	s_mov_b32 s10, 0xc2ce8ed0
	v_cmp_ngt_f32_e32 vcc, s10, v7
	s_mov_b32 s10, 0x42b17218
	v_ldexp_f32 v8, v8, v9
	v_cndmask_b32_e32 v8, 0, v8, vcc
	v_mov_b32_e32 v9, 0x7f800000
	v_cmp_nlt_f32_e32 vcc, s10, v7
	v_cndmask_b32_e32 v21, v9, v8, vcc
	v_add_f32_e32 v7, 1.0, v21
	v_add_f32_e32 v8, -1.0, v7
	v_sub_f32_e32 v9, v8, v7
	v_add_f32_e32 v9, 1.0, v9
	v_sub_f32_e32 v8, v21, v8
	v_add_f32_e32 v10, v8, v9
	v_frexp_mant_f32_e32 v11, v7
	s_mov_b32 s10, 0x3f2aaaab
	v_cvt_f64_f32_e32 v[8:9], v7
	v_frexp_exp_i32_f64_e32 v8, v[8:9]
	v_cmp_gt_f32_e32 vcc, s10, v11
	v_subbrev_co_u32_e32 v16, vcc, 0, v8, vcc
	v_sub_u32_e32 v8, 0, v16
	v_ldexp_f32 v7, v7, v8
	v_ldexp_f32 v8, v10, v8
	v_add_f32_e32 v10, -1.0, v7
	v_add_f32_e32 v9, 1.0, v10
	v_sub_f32_e32 v9, v7, v9
	v_add_f32_e32 v11, v8, v9
	v_add_f32_e32 v9, 1.0, v7
	v_add_f32_e32 v12, -1.0, v9
	v_sub_f32_e32 v7, v7, v12
	v_add_f32_e32 v7, v8, v7
	v_add_f32_e32 v17, v9, v7
	v_rcp_f32_e32 v34, v17
	v_sub_f32_e32 v8, v9, v17
	v_add_f32_e32 v9, v10, v11
	v_add_f32_e32 v7, v7, v8
	v_mul_f32_e32 v36, v9, v34
	v_sub_f32_e32 v8, v10, v9
	v_mul_f32_e32 v10, v17, v36
	v_fma_f32 v12, v36, v17, -v10
	v_fmac_f32_e32 v12, v36, v7
	v_add_f32_e32 v35, v11, v8
	v_add_f32_e32 v8, v10, v12
	v_sub_f32_e32 v11, v9, v8
	v_pk_add_f32 v[14:15], v[8:9], v[10:11] neg_lo:[0,1] neg_hi:[0,1]
	v_mov_b32_e32 v13, v8
	v_pk_add_f32 v[8:9], v[14:15], v[12:13] neg_lo:[0,1] neg_hi:[0,1]
	v_add_f32_e32 v9, v35, v9
	v_add_f32_e32 v8, v8, v9
	;; [unrolled: 1-line block ×3, first 2 shown]
	v_mul_f32_e32 v35, v34, v9
	v_mul_f32_e32 v10, v17, v35
	v_fma_f32 v12, v35, v17, -v10
	v_fmac_f32_e32 v12, v35, v7
	v_sub_f32_e32 v7, v11, v9
	v_add_f32_e32 v7, v8, v7
	v_add_f32_e32 v8, v10, v12
	v_sub_f32_e32 v11, v9, v8
	v_pk_add_f32 v[14:15], v[8:9], v[10:11] neg_lo:[0,1] neg_hi:[0,1]
	v_mov_b32_e32 v13, v8
	v_pk_add_f32 v[8:9], v[14:15], v[12:13] neg_lo:[0,1] neg_hi:[0,1]
	v_add_f32_e32 v7, v7, v9
	v_add_f32_e32 v7, v8, v7
	;; [unrolled: 1-line block ×4, first 2 shown]
	v_sub_f32_e32 v9, v8, v36
	v_mul_f32_e32 v7, v34, v7
	v_sub_f32_e32 v9, v35, v9
	v_add_f32_e32 v7, v9, v7
	v_add_f32_e32 v11, v8, v7
	v_mul_f32_e32 v12, v11, v11
	v_mov_b32_e32 v10, 0x3ecc95a3
	v_fmac_f32_e32 v10, 0x3e9b6dac, v12
	v_mov_b32_e32 v9, 0x3f2aaada
	v_fmac_f32_e32 v9, v12, v10
	v_cvt_f32_i32_e32 v10, v16
	v_sub_f32_e32 v8, v11, v8
	v_sub_f32_e32 v7, v7, v8
	v_ldexp_f32 v13, v11, 1
	v_mul_f32_e32 v11, v11, v12
	v_mov_b32_e32 v8, 0x3f317218
	s_mov_b32 s10, 0x3f317218
	v_pk_mul_f32 v[8:9], v[10:11], v[8:9]
	v_fma_f32 v12, v10, s10, -v8
	v_fmac_f32_e32 v12, 0xb102e308, v10
	v_pk_add_f32 v[10:11], v[8:9], v[12:13]
	v_sub_f32_e32 v13, v11, v13
	v_ldexp_f32 v7, v7, 1
	v_sub_f32_e32 v13, v9, v13
	v_add_f32_e32 v15, v7, v13
	v_mov_b32_e32 v14, v8
	v_pk_add_f32 v[8:9], v[10:11], v[8:9] neg_lo:[0,1] neg_hi:[0,1]
	v_pk_add_f32 v[16:17], v[10:11], v[14:15]
	v_mov_b32_e32 v9, v17
	v_mov_b32_e32 v13, v10
	v_pk_add_f32 v[34:35], v[12:13], v[8:9] neg_lo:[0,1] neg_hi:[0,1]
	v_pk_add_f32 v[8:9], v[12:13], v[8:9]
	v_mov_b32_e32 v12, v9
	v_pk_add_f32 v[36:37], v[12:13], v[10:11] neg_lo:[0,1] neg_hi:[0,1]
	v_mov_b32_e32 v7, v36
	v_pk_add_f32 v[38:39], v[16:17], v[6:7] neg_lo:[0,1] neg_hi:[0,1]
	v_mov_b32_e32 v8, v17
	v_mov_b32_e32 v16, v11
	;; [unrolled: 1-line block ×4, first 2 shown]
	v_pk_add_f32 v[8:9], v[8:9], v[16:17] neg_lo:[0,1] neg_hi:[0,1]
	v_mov_b32_e32 v14, v15
	v_mov_b32_e32 v15, v10
	v_pk_add_f32 v[8:9], v[14:15], v[8:9] neg_lo:[0,1] neg_hi:[0,1]
	v_mov_b32_e32 v38, v34
	v_pk_add_f32 v[10:11], v[38:39], v[8:9]
	v_mov_b32_e32 v14, v11
	v_pk_add_f32 v[14:15], v[10:11], v[14:15]
	v_pk_add_f32 v[12:13], v[12:13], v[14:15]
	v_mov_b32_e32 v11, v12
	v_pk_add_f32 v[16:17], v[10:11], v[34:35] neg_lo:[0,1] neg_hi:[0,1]
	v_mov_b32_e32 v9, v14
	v_sub_f32_e32 v7, v10, v16
	v_pk_add_f32 v[8:9], v[8:9], v[16:17] neg_lo:[0,1] neg_hi:[0,1]
	v_sub_f32_e32 v7, v34, v7
	s_mov_b32 s11, 0x7f800000
	v_add_f32_e32 v7, v8, v7
	s_mov_b32 s10, 0x33800000
	v_add_f32_e32 v7, v7, v9
	v_cmp_eq_f32_e32 vcc, s11, v21
	v_cmp_lt_f32_e64 s[10:11], |v21|, s10
	v_add_f32_e32 v7, v12, v7
	s_or_b64 vcc, vcc, s[10:11]
	v_cndmask_b32_e32 v7, v7, v21, vcc
	v_add_f32_e32 v44, v6, v7
.LBB90_39:
	s_or_b64 exec, exec, s[8:9]
	v_max_f32_e32 v6, v44, v44
	v_max_f32_e32 v21, v26, v26
	v_min_f32_e32 v7, v6, v21
	v_cmp_u_f32_e32 vcc, v44, v44
	v_max_f32_e32 v6, v6, v21
	v_cndmask_b32_e32 v7, v7, v44, vcc
	v_cmp_u_f32_e64 s[8:9], v26, v26
	v_cndmask_b32_e32 v6, v6, v44, vcc
	v_cndmask_b32_e64 v7, v7, v26, s[8:9]
	v_cndmask_b32_e64 v6, v6, v26, s[8:9]
	v_cmp_neq_f32_e32 vcc, v7, v6
	v_cmp_class_f32_e64 s[10:11], v7, s7
	s_or_b64 s[12:13], vcc, s[10:11]
	s_and_saveexec_b64 s[10:11], s[12:13]
	s_cbranch_execz .LBB90_41
; %bb.40:
	v_sub_f32_e32 v7, v7, v6
	s_mov_b32 s7, 0x3fb8aa3b
	v_mul_f32_e32 v8, 0x3fb8aa3b, v7
	v_fma_f32 v9, v7, s7, -v8
	v_rndne_f32_e32 v10, v8
	v_fmac_f32_e32 v9, 0x32a5705f, v7
	v_sub_f32_e32 v8, v8, v10
	v_add_f32_e32 v8, v8, v9
	v_exp_f32_e32 v8, v8
	v_cvt_i32_f32_e32 v9, v10
	s_mov_b32 s7, 0xc2ce8ed0
	v_cmp_ngt_f32_e32 vcc, s7, v7
	s_mov_b32 s7, 0x42b17218
	v_ldexp_f32 v8, v8, v9
	v_cndmask_b32_e32 v8, 0, v8, vcc
	v_mov_b32_e32 v9, 0x7f800000
	v_cmp_nlt_f32_e32 vcc, s7, v7
	v_cndmask_b32_e32 v40, v9, v8, vcc
	v_add_f32_e32 v7, 1.0, v40
	v_add_f32_e32 v8, -1.0, v7
	v_sub_f32_e32 v9, v8, v7
	v_add_f32_e32 v9, 1.0, v9
	v_sub_f32_e32 v8, v40, v8
	v_add_f32_e32 v10, v8, v9
	v_frexp_mant_f32_e32 v11, v7
	s_mov_b32 s7, 0x3f2aaaab
	v_cvt_f64_f32_e32 v[8:9], v7
	v_frexp_exp_i32_f64_e32 v8, v[8:9]
	v_cmp_gt_f32_e32 vcc, s7, v11
	v_subbrev_co_u32_e32 v16, vcc, 0, v8, vcc
	v_sub_u32_e32 v8, 0, v16
	v_ldexp_f32 v7, v7, v8
	v_ldexp_f32 v8, v10, v8
	v_add_f32_e32 v10, -1.0, v7
	v_add_f32_e32 v9, 1.0, v10
	v_sub_f32_e32 v9, v7, v9
	v_add_f32_e32 v11, v8, v9
	v_add_f32_e32 v9, 1.0, v7
	v_add_f32_e32 v12, -1.0, v9
	v_sub_f32_e32 v7, v7, v12
	v_add_f32_e32 v7, v8, v7
	v_add_f32_e32 v17, v9, v7
	v_rcp_f32_e32 v34, v17
	v_sub_f32_e32 v8, v9, v17
	v_add_f32_e32 v9, v10, v11
	v_add_f32_e32 v7, v7, v8
	v_mul_f32_e32 v36, v9, v34
	v_sub_f32_e32 v8, v10, v9
	v_mul_f32_e32 v10, v17, v36
	v_fma_f32 v12, v36, v17, -v10
	v_fmac_f32_e32 v12, v36, v7
	v_add_f32_e32 v35, v11, v8
	v_add_f32_e32 v8, v10, v12
	v_sub_f32_e32 v11, v9, v8
	v_pk_add_f32 v[14:15], v[8:9], v[10:11] neg_lo:[0,1] neg_hi:[0,1]
	v_mov_b32_e32 v13, v8
	v_pk_add_f32 v[8:9], v[14:15], v[12:13] neg_lo:[0,1] neg_hi:[0,1]
	v_add_f32_e32 v9, v35, v9
	v_add_f32_e32 v8, v8, v9
	;; [unrolled: 1-line block ×3, first 2 shown]
	v_mul_f32_e32 v35, v34, v9
	v_mul_f32_e32 v10, v17, v35
	v_fma_f32 v12, v35, v17, -v10
	v_fmac_f32_e32 v12, v35, v7
	v_sub_f32_e32 v7, v11, v9
	v_add_f32_e32 v7, v8, v7
	v_add_f32_e32 v8, v10, v12
	v_sub_f32_e32 v11, v9, v8
	v_pk_add_f32 v[14:15], v[8:9], v[10:11] neg_lo:[0,1] neg_hi:[0,1]
	v_mov_b32_e32 v13, v8
	v_pk_add_f32 v[8:9], v[14:15], v[12:13] neg_lo:[0,1] neg_hi:[0,1]
	v_add_f32_e32 v7, v7, v9
	v_add_f32_e32 v7, v8, v7
	;; [unrolled: 1-line block ×4, first 2 shown]
	v_sub_f32_e32 v9, v8, v36
	v_mul_f32_e32 v7, v34, v7
	v_sub_f32_e32 v9, v35, v9
	v_add_f32_e32 v7, v9, v7
	v_add_f32_e32 v11, v8, v7
	v_mul_f32_e32 v12, v11, v11
	v_mov_b32_e32 v10, 0x3ecc95a3
	v_fmac_f32_e32 v10, 0x3e9b6dac, v12
	v_mov_b32_e32 v9, 0x3f2aaada
	v_fmac_f32_e32 v9, v12, v10
	v_cvt_f32_i32_e32 v10, v16
	v_sub_f32_e32 v8, v11, v8
	v_sub_f32_e32 v7, v7, v8
	v_ldexp_f32 v13, v11, 1
	v_mul_f32_e32 v11, v11, v12
	v_mov_b32_e32 v8, 0x3f317218
	s_mov_b32 s7, 0x3f317218
	v_pk_mul_f32 v[8:9], v[10:11], v[8:9]
	v_fma_f32 v12, v10, s7, -v8
	v_fmac_f32_e32 v12, 0xb102e308, v10
	v_pk_add_f32 v[10:11], v[8:9], v[12:13]
	v_sub_f32_e32 v13, v11, v13
	v_ldexp_f32 v7, v7, 1
	v_sub_f32_e32 v13, v9, v13
	v_add_f32_e32 v15, v7, v13
	v_mov_b32_e32 v14, v8
	v_pk_add_f32 v[8:9], v[10:11], v[8:9] neg_lo:[0,1] neg_hi:[0,1]
	v_pk_add_f32 v[16:17], v[10:11], v[14:15]
	v_mov_b32_e32 v9, v17
	v_mov_b32_e32 v13, v10
	v_pk_add_f32 v[34:35], v[12:13], v[8:9] neg_lo:[0,1] neg_hi:[0,1]
	v_pk_add_f32 v[8:9], v[12:13], v[8:9]
	v_mov_b32_e32 v12, v9
	v_pk_add_f32 v[36:37], v[12:13], v[10:11] neg_lo:[0,1] neg_hi:[0,1]
	v_mov_b32_e32 v7, v36
	v_pk_add_f32 v[38:39], v[16:17], v[6:7] neg_lo:[0,1] neg_hi:[0,1]
	v_mov_b32_e32 v8, v17
	v_mov_b32_e32 v16, v11
	;; [unrolled: 1-line block ×4, first 2 shown]
	v_pk_add_f32 v[8:9], v[8:9], v[16:17] neg_lo:[0,1] neg_hi:[0,1]
	v_mov_b32_e32 v14, v15
	v_mov_b32_e32 v15, v10
	v_pk_add_f32 v[8:9], v[14:15], v[8:9] neg_lo:[0,1] neg_hi:[0,1]
	v_mov_b32_e32 v38, v34
	v_pk_add_f32 v[10:11], v[38:39], v[8:9]
	v_mov_b32_e32 v14, v11
	v_pk_add_f32 v[14:15], v[10:11], v[14:15]
	v_pk_add_f32 v[12:13], v[12:13], v[14:15]
	v_mov_b32_e32 v11, v12
	v_pk_add_f32 v[16:17], v[10:11], v[34:35] neg_lo:[0,1] neg_hi:[0,1]
	v_mov_b32_e32 v9, v14
	v_sub_f32_e32 v7, v10, v16
	v_pk_add_f32 v[8:9], v[8:9], v[16:17] neg_lo:[0,1] neg_hi:[0,1]
	v_sub_f32_e32 v7, v34, v7
	s_mov_b32 s12, 0x7f800000
	v_add_f32_e32 v7, v8, v7
	s_mov_b32 s7, 0x33800000
	v_add_f32_e32 v7, v7, v9
	v_cmp_eq_f32_e32 vcc, s12, v40
	v_cmp_lt_f32_e64 s[12:13], |v40|, s7
	v_add_f32_e32 v7, v12, v7
	s_or_b64 vcc, vcc, s[12:13]
	v_cndmask_b32_e32 v7, v7, v40, vcc
	v_add_f32_e32 v44, v6, v7
.LBB90_41:
	s_or_b64 exec, exec, s[10:11]
	v_max_f32_e32 v6, v44, v44
	v_max_f32_e32 v34, v27, v27
	v_min_f32_e32 v7, v6, v34
	v_cmp_u_f32_e32 vcc, v44, v44
	v_max_f32_e32 v6, v6, v34
	v_cndmask_b32_e32 v7, v7, v44, vcc
	v_cmp_u_f32_e64 s[10:11], v27, v27
	v_cndmask_b32_e32 v6, v6, v44, vcc
	v_cndmask_b32_e64 v7, v7, v27, s[10:11]
	v_cndmask_b32_e64 v6, v6, v27, s[10:11]
	s_movk_i32 s7, 0x1f8
	v_cmp_neq_f32_e32 vcc, v7, v6
	v_cmp_class_f32_e64 s[12:13], v7, s7
	s_or_b64 s[14:15], vcc, s[12:13]
	s_and_saveexec_b64 s[12:13], s[14:15]
	s_cbranch_execz .LBB90_43
; %bb.42:
	v_sub_f32_e32 v7, v7, v6
	s_mov_b32 s14, 0x3fb8aa3b
	v_mul_f32_e32 v8, 0x3fb8aa3b, v7
	v_fma_f32 v9, v7, s14, -v8
	v_rndne_f32_e32 v10, v8
	v_fmac_f32_e32 v9, 0x32a5705f, v7
	v_sub_f32_e32 v8, v8, v10
	v_add_f32_e32 v8, v8, v9
	v_exp_f32_e32 v8, v8
	v_cvt_i32_f32_e32 v9, v10
	s_mov_b32 s14, 0xc2ce8ed0
	v_cmp_ngt_f32_e32 vcc, s14, v7
	s_mov_b32 s14, 0x42b17218
	v_ldexp_f32 v8, v8, v9
	v_cndmask_b32_e32 v8, 0, v8, vcc
	v_mov_b32_e32 v9, 0x7f800000
	v_cmp_nlt_f32_e32 vcc, s14, v7
	v_cndmask_b32_e32 v35, v9, v8, vcc
	v_add_f32_e32 v7, 1.0, v35
	v_add_f32_e32 v8, -1.0, v7
	v_sub_f32_e32 v9, v8, v7
	v_add_f32_e32 v9, 1.0, v9
	v_sub_f32_e32 v8, v35, v8
	v_add_f32_e32 v10, v8, v9
	v_frexp_mant_f32_e32 v11, v7
	s_mov_b32 s14, 0x3f2aaaab
	v_cvt_f64_f32_e32 v[8:9], v7
	v_frexp_exp_i32_f64_e32 v8, v[8:9]
	v_cmp_gt_f32_e32 vcc, s14, v11
	v_subbrev_co_u32_e32 v16, vcc, 0, v8, vcc
	v_sub_u32_e32 v8, 0, v16
	v_ldexp_f32 v7, v7, v8
	v_ldexp_f32 v8, v10, v8
	v_add_f32_e32 v10, -1.0, v7
	v_add_f32_e32 v9, 1.0, v10
	v_sub_f32_e32 v9, v7, v9
	v_add_f32_e32 v11, v8, v9
	v_add_f32_e32 v9, 1.0, v7
	v_add_f32_e32 v12, -1.0, v9
	v_sub_f32_e32 v7, v7, v12
	v_add_f32_e32 v7, v8, v7
	v_add_f32_e32 v17, v9, v7
	v_rcp_f32_e32 v36, v17
	v_sub_f32_e32 v8, v9, v17
	v_add_f32_e32 v9, v10, v11
	v_add_f32_e32 v7, v7, v8
	v_mul_f32_e32 v38, v9, v36
	v_sub_f32_e32 v8, v10, v9
	v_mul_f32_e32 v10, v17, v38
	v_fma_f32 v12, v38, v17, -v10
	v_fmac_f32_e32 v12, v38, v7
	v_add_f32_e32 v37, v11, v8
	v_add_f32_e32 v8, v10, v12
	v_sub_f32_e32 v11, v9, v8
	v_pk_add_f32 v[14:15], v[8:9], v[10:11] neg_lo:[0,1] neg_hi:[0,1]
	v_mov_b32_e32 v13, v8
	v_pk_add_f32 v[8:9], v[14:15], v[12:13] neg_lo:[0,1] neg_hi:[0,1]
	v_add_f32_e32 v9, v37, v9
	v_add_f32_e32 v8, v8, v9
	;; [unrolled: 1-line block ×3, first 2 shown]
	v_mul_f32_e32 v37, v36, v9
	v_mul_f32_e32 v10, v17, v37
	v_fma_f32 v12, v37, v17, -v10
	v_fmac_f32_e32 v12, v37, v7
	v_sub_f32_e32 v7, v11, v9
	v_add_f32_e32 v7, v8, v7
	v_add_f32_e32 v8, v10, v12
	v_sub_f32_e32 v11, v9, v8
	v_pk_add_f32 v[14:15], v[8:9], v[10:11] neg_lo:[0,1] neg_hi:[0,1]
	v_mov_b32_e32 v13, v8
	v_pk_add_f32 v[8:9], v[14:15], v[12:13] neg_lo:[0,1] neg_hi:[0,1]
	v_add_f32_e32 v7, v7, v9
	v_add_f32_e32 v7, v8, v7
	;; [unrolled: 1-line block ×4, first 2 shown]
	v_sub_f32_e32 v9, v8, v38
	v_mul_f32_e32 v7, v36, v7
	v_sub_f32_e32 v9, v37, v9
	v_add_f32_e32 v7, v9, v7
	v_add_f32_e32 v11, v8, v7
	v_mul_f32_e32 v12, v11, v11
	v_mov_b32_e32 v10, 0x3ecc95a3
	v_fmac_f32_e32 v10, 0x3e9b6dac, v12
	v_mov_b32_e32 v9, 0x3f2aaada
	v_fmac_f32_e32 v9, v12, v10
	v_cvt_f32_i32_e32 v10, v16
	v_sub_f32_e32 v8, v11, v8
	v_sub_f32_e32 v7, v7, v8
	v_ldexp_f32 v13, v11, 1
	v_mul_f32_e32 v11, v11, v12
	v_mov_b32_e32 v8, 0x3f317218
	s_mov_b32 s14, 0x3f317218
	v_pk_mul_f32 v[8:9], v[10:11], v[8:9]
	v_fma_f32 v12, v10, s14, -v8
	v_fmac_f32_e32 v12, 0xb102e308, v10
	v_pk_add_f32 v[10:11], v[8:9], v[12:13]
	v_sub_f32_e32 v13, v11, v13
	v_ldexp_f32 v7, v7, 1
	v_sub_f32_e32 v13, v9, v13
	v_add_f32_e32 v15, v7, v13
	v_mov_b32_e32 v14, v8
	v_pk_add_f32 v[8:9], v[10:11], v[8:9] neg_lo:[0,1] neg_hi:[0,1]
	v_pk_add_f32 v[16:17], v[10:11], v[14:15]
	v_mov_b32_e32 v9, v17
	v_mov_b32_e32 v13, v10
	v_pk_add_f32 v[36:37], v[12:13], v[8:9] neg_lo:[0,1] neg_hi:[0,1]
	v_pk_add_f32 v[8:9], v[12:13], v[8:9]
	v_mov_b32_e32 v12, v9
	v_pk_add_f32 v[38:39], v[12:13], v[10:11] neg_lo:[0,1] neg_hi:[0,1]
	v_mov_b32_e32 v7, v38
	v_pk_add_f32 v[40:41], v[16:17], v[6:7] neg_lo:[0,1] neg_hi:[0,1]
	v_mov_b32_e32 v8, v17
	v_mov_b32_e32 v16, v11
	;; [unrolled: 1-line block ×4, first 2 shown]
	v_pk_add_f32 v[8:9], v[8:9], v[16:17] neg_lo:[0,1] neg_hi:[0,1]
	v_mov_b32_e32 v14, v15
	v_mov_b32_e32 v15, v10
	v_pk_add_f32 v[8:9], v[14:15], v[8:9] neg_lo:[0,1] neg_hi:[0,1]
	v_mov_b32_e32 v40, v36
	v_pk_add_f32 v[10:11], v[40:41], v[8:9]
	v_mov_b32_e32 v14, v11
	v_pk_add_f32 v[14:15], v[10:11], v[14:15]
	v_pk_add_f32 v[12:13], v[12:13], v[14:15]
	v_mov_b32_e32 v11, v12
	v_pk_add_f32 v[16:17], v[10:11], v[36:37] neg_lo:[0,1] neg_hi:[0,1]
	v_mov_b32_e32 v9, v14
	v_sub_f32_e32 v7, v10, v16
	v_pk_add_f32 v[8:9], v[8:9], v[16:17] neg_lo:[0,1] neg_hi:[0,1]
	v_sub_f32_e32 v7, v36, v7
	s_mov_b32 s15, 0x7f800000
	v_add_f32_e32 v7, v8, v7
	s_mov_b32 s14, 0x33800000
	v_add_f32_e32 v7, v7, v9
	v_cmp_eq_f32_e32 vcc, s15, v35
	v_cmp_lt_f32_e64 s[14:15], |v35|, s14
	v_add_f32_e32 v7, v12, v7
	s_or_b64 vcc, vcc, s[14:15]
	v_cndmask_b32_e32 v7, v7, v35, vcc
	v_add_f32_e32 v44, v6, v7
.LBB90_43:
	s_or_b64 exec, exec, s[12:13]
	v_max_f32_e32 v6, v44, v44
	v_max_f32_e32 v35, v28, v28
	v_min_f32_e32 v7, v6, v35
	v_cmp_u_f32_e32 vcc, v44, v44
	v_max_f32_e32 v6, v6, v35
	v_cndmask_b32_e32 v7, v7, v44, vcc
	v_cmp_u_f32_e64 s[12:13], v28, v28
	v_cndmask_b32_e32 v6, v6, v44, vcc
	v_cndmask_b32_e64 v7, v7, v28, s[12:13]
	v_cndmask_b32_e64 v6, v6, v28, s[12:13]
	v_cmp_neq_f32_e32 vcc, v7, v6
	v_cmp_class_f32_e64 s[14:15], v7, s7
	s_or_b64 s[16:17], vcc, s[14:15]
	s_and_saveexec_b64 s[14:15], s[16:17]
	s_cbranch_execz .LBB90_45
; %bb.44:
	v_sub_f32_e32 v7, v7, v6
	s_mov_b32 s7, 0x3fb8aa3b
	v_mul_f32_e32 v8, 0x3fb8aa3b, v7
	v_fma_f32 v9, v7, s7, -v8
	v_rndne_f32_e32 v10, v8
	v_fmac_f32_e32 v9, 0x32a5705f, v7
	v_sub_f32_e32 v8, v8, v10
	v_add_f32_e32 v8, v8, v9
	v_exp_f32_e32 v8, v8
	v_cvt_i32_f32_e32 v9, v10
	s_mov_b32 s7, 0xc2ce8ed0
	v_cmp_ngt_f32_e32 vcc, s7, v7
	s_mov_b32 s7, 0x42b17218
	v_ldexp_f32 v8, v8, v9
	v_cndmask_b32_e32 v8, 0, v8, vcc
	v_mov_b32_e32 v9, 0x7f800000
	v_cmp_nlt_f32_e32 vcc, s7, v7
	v_cndmask_b32_e32 v42, v9, v8, vcc
	v_add_f32_e32 v7, 1.0, v42
	v_add_f32_e32 v8, -1.0, v7
	v_sub_f32_e32 v9, v8, v7
	v_add_f32_e32 v9, 1.0, v9
	v_sub_f32_e32 v8, v42, v8
	v_add_f32_e32 v10, v8, v9
	v_frexp_mant_f32_e32 v11, v7
	s_mov_b32 s7, 0x3f2aaaab
	v_cvt_f64_f32_e32 v[8:9], v7
	v_frexp_exp_i32_f64_e32 v8, v[8:9]
	v_cmp_gt_f32_e32 vcc, s7, v11
	v_subbrev_co_u32_e32 v16, vcc, 0, v8, vcc
	v_sub_u32_e32 v8, 0, v16
	v_ldexp_f32 v7, v7, v8
	v_ldexp_f32 v8, v10, v8
	v_add_f32_e32 v10, -1.0, v7
	v_add_f32_e32 v9, 1.0, v10
	v_sub_f32_e32 v9, v7, v9
	v_add_f32_e32 v11, v8, v9
	v_add_f32_e32 v9, 1.0, v7
	v_add_f32_e32 v12, -1.0, v9
	v_sub_f32_e32 v7, v7, v12
	v_add_f32_e32 v7, v8, v7
	v_add_f32_e32 v17, v9, v7
	v_rcp_f32_e32 v36, v17
	v_sub_f32_e32 v8, v9, v17
	v_add_f32_e32 v9, v10, v11
	v_add_f32_e32 v7, v7, v8
	v_mul_f32_e32 v38, v9, v36
	v_sub_f32_e32 v8, v10, v9
	v_mul_f32_e32 v10, v17, v38
	v_fma_f32 v12, v38, v17, -v10
	v_fmac_f32_e32 v12, v38, v7
	v_add_f32_e32 v37, v11, v8
	v_add_f32_e32 v8, v10, v12
	v_sub_f32_e32 v11, v9, v8
	v_pk_add_f32 v[14:15], v[8:9], v[10:11] neg_lo:[0,1] neg_hi:[0,1]
	v_mov_b32_e32 v13, v8
	v_pk_add_f32 v[8:9], v[14:15], v[12:13] neg_lo:[0,1] neg_hi:[0,1]
	v_add_f32_e32 v9, v37, v9
	v_add_f32_e32 v8, v8, v9
	;; [unrolled: 1-line block ×3, first 2 shown]
	v_mul_f32_e32 v37, v36, v9
	v_mul_f32_e32 v10, v17, v37
	v_fma_f32 v12, v37, v17, -v10
	v_fmac_f32_e32 v12, v37, v7
	v_sub_f32_e32 v7, v11, v9
	v_add_f32_e32 v7, v8, v7
	v_add_f32_e32 v8, v10, v12
	v_sub_f32_e32 v11, v9, v8
	v_pk_add_f32 v[14:15], v[8:9], v[10:11] neg_lo:[0,1] neg_hi:[0,1]
	v_mov_b32_e32 v13, v8
	v_pk_add_f32 v[8:9], v[14:15], v[12:13] neg_lo:[0,1] neg_hi:[0,1]
	v_add_f32_e32 v7, v7, v9
	v_add_f32_e32 v7, v8, v7
	;; [unrolled: 1-line block ×4, first 2 shown]
	v_sub_f32_e32 v9, v8, v38
	v_mul_f32_e32 v7, v36, v7
	v_sub_f32_e32 v9, v37, v9
	v_add_f32_e32 v7, v9, v7
	v_add_f32_e32 v11, v8, v7
	v_mul_f32_e32 v12, v11, v11
	v_mov_b32_e32 v10, 0x3ecc95a3
	v_fmac_f32_e32 v10, 0x3e9b6dac, v12
	v_mov_b32_e32 v9, 0x3f2aaada
	v_fmac_f32_e32 v9, v12, v10
	v_cvt_f32_i32_e32 v10, v16
	v_sub_f32_e32 v8, v11, v8
	v_sub_f32_e32 v7, v7, v8
	v_ldexp_f32 v13, v11, 1
	v_mul_f32_e32 v11, v11, v12
	v_mov_b32_e32 v8, 0x3f317218
	s_mov_b32 s7, 0x3f317218
	v_pk_mul_f32 v[8:9], v[10:11], v[8:9]
	v_fma_f32 v12, v10, s7, -v8
	v_fmac_f32_e32 v12, 0xb102e308, v10
	v_pk_add_f32 v[10:11], v[8:9], v[12:13]
	v_sub_f32_e32 v13, v11, v13
	v_ldexp_f32 v7, v7, 1
	v_sub_f32_e32 v13, v9, v13
	v_add_f32_e32 v15, v7, v13
	v_mov_b32_e32 v14, v8
	v_pk_add_f32 v[8:9], v[10:11], v[8:9] neg_lo:[0,1] neg_hi:[0,1]
	v_pk_add_f32 v[16:17], v[10:11], v[14:15]
	v_mov_b32_e32 v9, v17
	v_mov_b32_e32 v13, v10
	v_pk_add_f32 v[36:37], v[12:13], v[8:9] neg_lo:[0,1] neg_hi:[0,1]
	v_pk_add_f32 v[8:9], v[12:13], v[8:9]
	v_mov_b32_e32 v12, v9
	v_pk_add_f32 v[38:39], v[12:13], v[10:11] neg_lo:[0,1] neg_hi:[0,1]
	v_mov_b32_e32 v7, v38
	v_pk_add_f32 v[40:41], v[16:17], v[6:7] neg_lo:[0,1] neg_hi:[0,1]
	v_mov_b32_e32 v8, v17
	v_mov_b32_e32 v16, v11
	;; [unrolled: 1-line block ×4, first 2 shown]
	v_pk_add_f32 v[8:9], v[8:9], v[16:17] neg_lo:[0,1] neg_hi:[0,1]
	v_mov_b32_e32 v14, v15
	v_mov_b32_e32 v15, v10
	v_pk_add_f32 v[8:9], v[14:15], v[8:9] neg_lo:[0,1] neg_hi:[0,1]
	v_mov_b32_e32 v40, v36
	v_pk_add_f32 v[10:11], v[40:41], v[8:9]
	v_mov_b32_e32 v14, v11
	v_pk_add_f32 v[14:15], v[10:11], v[14:15]
	v_pk_add_f32 v[12:13], v[12:13], v[14:15]
	v_mov_b32_e32 v11, v12
	v_pk_add_f32 v[16:17], v[10:11], v[36:37] neg_lo:[0,1] neg_hi:[0,1]
	v_mov_b32_e32 v9, v14
	v_sub_f32_e32 v7, v10, v16
	v_pk_add_f32 v[8:9], v[8:9], v[16:17] neg_lo:[0,1] neg_hi:[0,1]
	v_sub_f32_e32 v7, v36, v7
	s_mov_b32 s16, 0x7f800000
	v_add_f32_e32 v7, v8, v7
	s_mov_b32 s7, 0x33800000
	v_add_f32_e32 v7, v7, v9
	v_cmp_eq_f32_e32 vcc, s16, v42
	v_cmp_lt_f32_e64 s[16:17], |v42|, s7
	v_add_f32_e32 v7, v12, v7
	s_or_b64 vcc, vcc, s[16:17]
	v_cndmask_b32_e32 v7, v7, v42, vcc
	v_add_f32_e32 v44, v6, v7
.LBB90_45:
	s_or_b64 exec, exec, s[14:15]
	v_max_f32_e32 v6, v44, v44
	v_max_f32_e32 v36, v29, v29
	v_min_f32_e32 v7, v6, v36
	v_cmp_u_f32_e32 vcc, v44, v44
	v_max_f32_e32 v6, v6, v36
	v_cndmask_b32_e32 v7, v7, v44, vcc
	v_cmp_u_f32_e64 s[14:15], v29, v29
	v_cndmask_b32_e32 v6, v6, v44, vcc
	v_cndmask_b32_e64 v7, v7, v29, s[14:15]
	v_cndmask_b32_e64 v6, v6, v29, s[14:15]
	s_movk_i32 s7, 0x1f8
	v_cmp_neq_f32_e32 vcc, v7, v6
	v_cmp_class_f32_e64 s[16:17], v7, s7
	s_or_b64 s[18:19], vcc, s[16:17]
	s_and_saveexec_b64 s[16:17], s[18:19]
	s_cbranch_execz .LBB90_47
; %bb.46:
	v_sub_f32_e32 v7, v7, v6
	s_mov_b32 s18, 0x3fb8aa3b
	v_mul_f32_e32 v8, 0x3fb8aa3b, v7
	v_fma_f32 v9, v7, s18, -v8
	v_rndne_f32_e32 v10, v8
	v_fmac_f32_e32 v9, 0x32a5705f, v7
	v_sub_f32_e32 v8, v8, v10
	v_add_f32_e32 v8, v8, v9
	v_exp_f32_e32 v8, v8
	v_cvt_i32_f32_e32 v9, v10
	s_mov_b32 s18, 0xc2ce8ed0
	v_cmp_ngt_f32_e32 vcc, s18, v7
	s_mov_b32 s18, 0x42b17218
	v_ldexp_f32 v8, v8, v9
	v_cndmask_b32_e32 v8, 0, v8, vcc
	v_mov_b32_e32 v9, 0x7f800000
	v_cmp_nlt_f32_e32 vcc, s18, v7
	v_cndmask_b32_e32 v37, v9, v8, vcc
	v_add_f32_e32 v7, 1.0, v37
	v_add_f32_e32 v8, -1.0, v7
	v_sub_f32_e32 v9, v8, v7
	v_add_f32_e32 v9, 1.0, v9
	v_sub_f32_e32 v8, v37, v8
	v_add_f32_e32 v10, v8, v9
	v_frexp_mant_f32_e32 v11, v7
	s_mov_b32 s18, 0x3f2aaaab
	v_cvt_f64_f32_e32 v[8:9], v7
	v_frexp_exp_i32_f64_e32 v8, v[8:9]
	v_cmp_gt_f32_e32 vcc, s18, v11
	v_subbrev_co_u32_e32 v16, vcc, 0, v8, vcc
	v_sub_u32_e32 v8, 0, v16
	v_ldexp_f32 v7, v7, v8
	v_ldexp_f32 v8, v10, v8
	v_add_f32_e32 v10, -1.0, v7
	v_add_f32_e32 v9, 1.0, v10
	v_sub_f32_e32 v9, v7, v9
	v_add_f32_e32 v11, v8, v9
	v_add_f32_e32 v9, 1.0, v7
	v_add_f32_e32 v12, -1.0, v9
	v_sub_f32_e32 v7, v7, v12
	v_add_f32_e32 v7, v8, v7
	v_add_f32_e32 v17, v9, v7
	v_rcp_f32_e32 v38, v17
	v_sub_f32_e32 v8, v9, v17
	v_add_f32_e32 v9, v10, v11
	v_add_f32_e32 v7, v7, v8
	v_mul_f32_e32 v40, v9, v38
	v_sub_f32_e32 v8, v10, v9
	v_mul_f32_e32 v10, v17, v40
	v_fma_f32 v12, v40, v17, -v10
	v_fmac_f32_e32 v12, v40, v7
	v_add_f32_e32 v39, v11, v8
	v_add_f32_e32 v8, v10, v12
	v_sub_f32_e32 v11, v9, v8
	v_pk_add_f32 v[14:15], v[8:9], v[10:11] neg_lo:[0,1] neg_hi:[0,1]
	v_mov_b32_e32 v13, v8
	v_pk_add_f32 v[8:9], v[14:15], v[12:13] neg_lo:[0,1] neg_hi:[0,1]
	v_add_f32_e32 v9, v39, v9
	v_add_f32_e32 v8, v8, v9
	v_add_f32_e32 v9, v11, v8
	v_mul_f32_e32 v39, v38, v9
	v_mul_f32_e32 v10, v17, v39
	v_fma_f32 v12, v39, v17, -v10
	v_fmac_f32_e32 v12, v39, v7
	v_sub_f32_e32 v7, v11, v9
	v_add_f32_e32 v7, v8, v7
	v_add_f32_e32 v8, v10, v12
	v_sub_f32_e32 v11, v9, v8
	v_pk_add_f32 v[14:15], v[8:9], v[10:11] neg_lo:[0,1] neg_hi:[0,1]
	v_mov_b32_e32 v13, v8
	v_pk_add_f32 v[8:9], v[14:15], v[12:13] neg_lo:[0,1] neg_hi:[0,1]
	v_add_f32_e32 v7, v7, v9
	v_add_f32_e32 v7, v8, v7
	;; [unrolled: 1-line block ×4, first 2 shown]
	v_sub_f32_e32 v9, v8, v40
	v_mul_f32_e32 v7, v38, v7
	v_sub_f32_e32 v9, v39, v9
	v_add_f32_e32 v7, v9, v7
	v_add_f32_e32 v11, v8, v7
	v_mul_f32_e32 v12, v11, v11
	v_mov_b32_e32 v10, 0x3ecc95a3
	v_fmac_f32_e32 v10, 0x3e9b6dac, v12
	v_mov_b32_e32 v9, 0x3f2aaada
	v_fmac_f32_e32 v9, v12, v10
	v_cvt_f32_i32_e32 v10, v16
	v_sub_f32_e32 v8, v11, v8
	v_sub_f32_e32 v7, v7, v8
	v_ldexp_f32 v13, v11, 1
	v_mul_f32_e32 v11, v11, v12
	v_mov_b32_e32 v8, 0x3f317218
	s_mov_b32 s18, 0x3f317218
	v_pk_mul_f32 v[8:9], v[10:11], v[8:9]
	v_fma_f32 v12, v10, s18, -v8
	v_fmac_f32_e32 v12, 0xb102e308, v10
	v_pk_add_f32 v[10:11], v[8:9], v[12:13]
	v_sub_f32_e32 v13, v11, v13
	v_ldexp_f32 v7, v7, 1
	v_sub_f32_e32 v13, v9, v13
	v_add_f32_e32 v15, v7, v13
	v_mov_b32_e32 v14, v8
	v_pk_add_f32 v[8:9], v[10:11], v[8:9] neg_lo:[0,1] neg_hi:[0,1]
	v_pk_add_f32 v[16:17], v[10:11], v[14:15]
	v_mov_b32_e32 v9, v17
	v_mov_b32_e32 v13, v10
	v_pk_add_f32 v[38:39], v[12:13], v[8:9] neg_lo:[0,1] neg_hi:[0,1]
	v_pk_add_f32 v[8:9], v[12:13], v[8:9]
	v_mov_b32_e32 v12, v9
	v_pk_add_f32 v[40:41], v[12:13], v[10:11] neg_lo:[0,1] neg_hi:[0,1]
	v_mov_b32_e32 v7, v40
	v_pk_add_f32 v[44:45], v[16:17], v[6:7] neg_lo:[0,1] neg_hi:[0,1]
	v_mov_b32_e32 v8, v17
	v_mov_b32_e32 v16, v11
	;; [unrolled: 1-line block ×4, first 2 shown]
	v_pk_add_f32 v[8:9], v[8:9], v[16:17] neg_lo:[0,1] neg_hi:[0,1]
	v_mov_b32_e32 v14, v15
	v_mov_b32_e32 v15, v10
	v_pk_add_f32 v[8:9], v[14:15], v[8:9] neg_lo:[0,1] neg_hi:[0,1]
	v_mov_b32_e32 v44, v38
	v_pk_add_f32 v[10:11], v[44:45], v[8:9]
	v_mov_b32_e32 v14, v11
	v_pk_add_f32 v[14:15], v[10:11], v[14:15]
	v_pk_add_f32 v[12:13], v[12:13], v[14:15]
	v_mov_b32_e32 v11, v12
	v_pk_add_f32 v[16:17], v[10:11], v[38:39] neg_lo:[0,1] neg_hi:[0,1]
	v_mov_b32_e32 v9, v14
	v_sub_f32_e32 v7, v10, v16
	v_pk_add_f32 v[8:9], v[8:9], v[16:17] neg_lo:[0,1] neg_hi:[0,1]
	v_sub_f32_e32 v7, v38, v7
	s_mov_b32 s19, 0x7f800000
	v_add_f32_e32 v7, v8, v7
	s_mov_b32 s18, 0x33800000
	v_add_f32_e32 v7, v7, v9
	v_cmp_eq_f32_e32 vcc, s19, v37
	v_cmp_lt_f32_e64 s[18:19], |v37|, s18
	v_add_f32_e32 v7, v12, v7
	s_or_b64 vcc, vcc, s[18:19]
	v_cndmask_b32_e32 v7, v7, v37, vcc
	v_add_f32_e32 v44, v6, v7
.LBB90_47:
	s_or_b64 exec, exec, s[16:17]
	v_max_f32_e32 v6, v44, v44
	v_max_f32_e32 v37, v22, v22
	v_min_f32_e32 v7, v6, v37
	v_cmp_u_f32_e32 vcc, v44, v44
	v_max_f32_e32 v6, v6, v37
	v_cndmask_b32_e32 v7, v7, v44, vcc
	v_cmp_u_f32_e64 s[16:17], v22, v22
	v_cndmask_b32_e32 v6, v6, v44, vcc
	v_cndmask_b32_e64 v7, v7, v22, s[16:17]
	v_cndmask_b32_e64 v6, v6, v22, s[16:17]
	v_cmp_neq_f32_e32 vcc, v7, v6
	v_cmp_class_f32_e64 s[18:19], v7, s7
	s_or_b64 s[20:21], vcc, s[18:19]
	s_and_saveexec_b64 s[18:19], s[20:21]
	s_cbranch_execz .LBB90_49
; %bb.48:
	v_sub_f32_e32 v7, v7, v6
	s_mov_b32 s7, 0x3fb8aa3b
	v_mul_f32_e32 v8, 0x3fb8aa3b, v7
	v_fma_f32 v9, v7, s7, -v8
	v_rndne_f32_e32 v10, v8
	v_fmac_f32_e32 v9, 0x32a5705f, v7
	v_sub_f32_e32 v8, v8, v10
	v_add_f32_e32 v8, v8, v9
	v_exp_f32_e32 v8, v8
	v_cvt_i32_f32_e32 v9, v10
	s_mov_b32 s7, 0xc2ce8ed0
	v_cmp_ngt_f32_e32 vcc, s7, v7
	s_mov_b32 s7, 0x42b17218
	v_ldexp_f32 v8, v8, v9
	v_cndmask_b32_e32 v8, 0, v8, vcc
	v_mov_b32_e32 v9, 0x7f800000
	v_cmp_nlt_f32_e32 vcc, s7, v7
	v_cndmask_b32_e32 v42, v9, v8, vcc
	v_add_f32_e32 v7, 1.0, v42
	v_add_f32_e32 v8, -1.0, v7
	v_sub_f32_e32 v9, v8, v7
	v_add_f32_e32 v9, 1.0, v9
	v_sub_f32_e32 v8, v42, v8
	v_add_f32_e32 v10, v8, v9
	v_frexp_mant_f32_e32 v11, v7
	s_mov_b32 s7, 0x3f2aaaab
	v_cvt_f64_f32_e32 v[8:9], v7
	v_frexp_exp_i32_f64_e32 v8, v[8:9]
	v_cmp_gt_f32_e32 vcc, s7, v11
	v_subbrev_co_u32_e32 v16, vcc, 0, v8, vcc
	v_sub_u32_e32 v8, 0, v16
	v_ldexp_f32 v7, v7, v8
	v_ldexp_f32 v8, v10, v8
	v_add_f32_e32 v10, -1.0, v7
	v_add_f32_e32 v9, 1.0, v10
	v_sub_f32_e32 v9, v7, v9
	v_add_f32_e32 v11, v8, v9
	v_add_f32_e32 v9, 1.0, v7
	v_add_f32_e32 v12, -1.0, v9
	v_sub_f32_e32 v7, v7, v12
	v_add_f32_e32 v7, v8, v7
	v_add_f32_e32 v17, v9, v7
	v_rcp_f32_e32 v38, v17
	v_sub_f32_e32 v8, v9, v17
	v_add_f32_e32 v9, v10, v11
	v_add_f32_e32 v7, v7, v8
	v_mul_f32_e32 v40, v9, v38
	v_sub_f32_e32 v8, v10, v9
	v_mul_f32_e32 v10, v17, v40
	v_fma_f32 v12, v40, v17, -v10
	v_fmac_f32_e32 v12, v40, v7
	v_add_f32_e32 v39, v11, v8
	v_add_f32_e32 v8, v10, v12
	v_sub_f32_e32 v11, v9, v8
	v_pk_add_f32 v[14:15], v[8:9], v[10:11] neg_lo:[0,1] neg_hi:[0,1]
	v_mov_b32_e32 v13, v8
	v_pk_add_f32 v[8:9], v[14:15], v[12:13] neg_lo:[0,1] neg_hi:[0,1]
	v_add_f32_e32 v9, v39, v9
	v_add_f32_e32 v8, v8, v9
	;; [unrolled: 1-line block ×3, first 2 shown]
	v_mul_f32_e32 v39, v38, v9
	v_mul_f32_e32 v10, v17, v39
	v_fma_f32 v12, v39, v17, -v10
	v_fmac_f32_e32 v12, v39, v7
	v_sub_f32_e32 v7, v11, v9
	v_add_f32_e32 v7, v8, v7
	v_add_f32_e32 v8, v10, v12
	v_sub_f32_e32 v11, v9, v8
	v_pk_add_f32 v[14:15], v[8:9], v[10:11] neg_lo:[0,1] neg_hi:[0,1]
	v_mov_b32_e32 v13, v8
	v_pk_add_f32 v[8:9], v[14:15], v[12:13] neg_lo:[0,1] neg_hi:[0,1]
	v_add_f32_e32 v7, v7, v9
	v_add_f32_e32 v7, v8, v7
	;; [unrolled: 1-line block ×4, first 2 shown]
	v_sub_f32_e32 v9, v8, v40
	v_mul_f32_e32 v7, v38, v7
	v_sub_f32_e32 v9, v39, v9
	v_add_f32_e32 v7, v9, v7
	v_add_f32_e32 v11, v8, v7
	v_mul_f32_e32 v12, v11, v11
	v_mov_b32_e32 v10, 0x3ecc95a3
	v_fmac_f32_e32 v10, 0x3e9b6dac, v12
	v_mov_b32_e32 v9, 0x3f2aaada
	v_fmac_f32_e32 v9, v12, v10
	v_cvt_f32_i32_e32 v10, v16
	v_sub_f32_e32 v8, v11, v8
	v_sub_f32_e32 v7, v7, v8
	v_ldexp_f32 v13, v11, 1
	v_mul_f32_e32 v11, v11, v12
	v_mov_b32_e32 v8, 0x3f317218
	s_mov_b32 s7, 0x3f317218
	v_pk_mul_f32 v[8:9], v[10:11], v[8:9]
	v_fma_f32 v12, v10, s7, -v8
	v_fmac_f32_e32 v12, 0xb102e308, v10
	v_pk_add_f32 v[10:11], v[8:9], v[12:13]
	v_sub_f32_e32 v13, v11, v13
	v_ldexp_f32 v7, v7, 1
	v_sub_f32_e32 v13, v9, v13
	v_add_f32_e32 v15, v7, v13
	v_mov_b32_e32 v14, v8
	v_pk_add_f32 v[8:9], v[10:11], v[8:9] neg_lo:[0,1] neg_hi:[0,1]
	v_pk_add_f32 v[16:17], v[10:11], v[14:15]
	v_mov_b32_e32 v9, v17
	v_mov_b32_e32 v13, v10
	v_pk_add_f32 v[38:39], v[12:13], v[8:9] neg_lo:[0,1] neg_hi:[0,1]
	v_pk_add_f32 v[8:9], v[12:13], v[8:9]
	v_mov_b32_e32 v12, v9
	v_pk_add_f32 v[40:41], v[12:13], v[10:11] neg_lo:[0,1] neg_hi:[0,1]
	v_mov_b32_e32 v7, v40
	v_pk_add_f32 v[44:45], v[16:17], v[6:7] neg_lo:[0,1] neg_hi:[0,1]
	v_mov_b32_e32 v8, v17
	v_mov_b32_e32 v16, v11
	v_mov_b32_e32 v17, v40
	v_mov_b32_e32 v39, v9
	v_pk_add_f32 v[8:9], v[8:9], v[16:17] neg_lo:[0,1] neg_hi:[0,1]
	v_mov_b32_e32 v14, v15
	v_mov_b32_e32 v15, v10
	v_pk_add_f32 v[8:9], v[14:15], v[8:9] neg_lo:[0,1] neg_hi:[0,1]
	v_mov_b32_e32 v44, v38
	v_pk_add_f32 v[10:11], v[44:45], v[8:9]
	v_mov_b32_e32 v14, v11
	v_pk_add_f32 v[14:15], v[10:11], v[14:15]
	v_pk_add_f32 v[12:13], v[12:13], v[14:15]
	v_mov_b32_e32 v11, v12
	v_pk_add_f32 v[16:17], v[10:11], v[38:39] neg_lo:[0,1] neg_hi:[0,1]
	v_mov_b32_e32 v9, v14
	v_sub_f32_e32 v7, v10, v16
	v_pk_add_f32 v[8:9], v[8:9], v[16:17] neg_lo:[0,1] neg_hi:[0,1]
	v_sub_f32_e32 v7, v38, v7
	s_mov_b32 s20, 0x7f800000
	v_add_f32_e32 v7, v8, v7
	s_mov_b32 s7, 0x33800000
	v_add_f32_e32 v7, v7, v9
	v_cmp_eq_f32_e32 vcc, s20, v42
	v_cmp_lt_f32_e64 s[20:21], |v42|, s7
	v_add_f32_e32 v7, v12, v7
	s_or_b64 vcc, vcc, s[20:21]
	v_cndmask_b32_e32 v7, v7, v42, vcc
	v_add_f32_e32 v44, v6, v7
.LBB90_49:
	s_or_b64 exec, exec, s[18:19]
	v_max_f32_e32 v6, v44, v44
	v_max_f32_e32 v38, v23, v23
	v_min_f32_e32 v7, v6, v38
	v_cmp_u_f32_e32 vcc, v44, v44
	v_max_f32_e32 v6, v6, v38
	v_cndmask_b32_e32 v7, v7, v44, vcc
	v_cmp_u_f32_e64 s[18:19], v23, v23
	v_cndmask_b32_e32 v6, v6, v44, vcc
	v_cndmask_b32_e64 v7, v7, v23, s[18:19]
	v_cndmask_b32_e64 v6, v6, v23, s[18:19]
	s_movk_i32 s7, 0x1f8
	v_cmp_neq_f32_e32 vcc, v7, v6
	v_cmp_class_f32_e64 s[20:21], v7, s7
	s_or_b64 s[22:23], vcc, s[20:21]
	s_and_saveexec_b64 s[20:21], s[22:23]
	s_cbranch_execz .LBB90_51
; %bb.50:
	v_sub_f32_e32 v7, v7, v6
	s_mov_b32 s22, 0x3fb8aa3b
	v_mul_f32_e32 v8, 0x3fb8aa3b, v7
	v_fma_f32 v9, v7, s22, -v8
	v_rndne_f32_e32 v10, v8
	v_fmac_f32_e32 v9, 0x32a5705f, v7
	v_sub_f32_e32 v8, v8, v10
	v_add_f32_e32 v8, v8, v9
	v_exp_f32_e32 v8, v8
	v_cvt_i32_f32_e32 v9, v10
	s_mov_b32 s22, 0xc2ce8ed0
	v_cmp_ngt_f32_e32 vcc, s22, v7
	s_mov_b32 s22, 0x42b17218
	v_ldexp_f32 v8, v8, v9
	v_cndmask_b32_e32 v8, 0, v8, vcc
	v_mov_b32_e32 v9, 0x7f800000
	v_cmp_nlt_f32_e32 vcc, s22, v7
	v_cndmask_b32_e32 v39, v9, v8, vcc
	v_add_f32_e32 v7, 1.0, v39
	v_add_f32_e32 v8, -1.0, v7
	v_sub_f32_e32 v9, v8, v7
	v_add_f32_e32 v9, 1.0, v9
	v_sub_f32_e32 v8, v39, v8
	v_add_f32_e32 v10, v8, v9
	v_frexp_mant_f32_e32 v11, v7
	s_mov_b32 s22, 0x3f2aaaab
	v_cvt_f64_f32_e32 v[8:9], v7
	v_frexp_exp_i32_f64_e32 v8, v[8:9]
	v_cmp_gt_f32_e32 vcc, s22, v11
	v_subbrev_co_u32_e32 v16, vcc, 0, v8, vcc
	v_sub_u32_e32 v8, 0, v16
	v_ldexp_f32 v7, v7, v8
	v_ldexp_f32 v8, v10, v8
	v_add_f32_e32 v10, -1.0, v7
	v_add_f32_e32 v9, 1.0, v10
	v_sub_f32_e32 v9, v7, v9
	v_add_f32_e32 v11, v8, v9
	v_add_f32_e32 v9, 1.0, v7
	v_add_f32_e32 v12, -1.0, v9
	v_sub_f32_e32 v7, v7, v12
	v_add_f32_e32 v7, v8, v7
	v_add_f32_e32 v17, v9, v7
	v_rcp_f32_e32 v40, v17
	v_sub_f32_e32 v8, v9, v17
	v_add_f32_e32 v9, v10, v11
	v_add_f32_e32 v7, v7, v8
	v_mul_f32_e32 v42, v9, v40
	v_sub_f32_e32 v8, v10, v9
	v_mul_f32_e32 v10, v17, v42
	v_fma_f32 v12, v42, v17, -v10
	v_fmac_f32_e32 v12, v42, v7
	v_add_f32_e32 v41, v11, v8
	v_add_f32_e32 v8, v10, v12
	v_sub_f32_e32 v11, v9, v8
	v_pk_add_f32 v[14:15], v[8:9], v[10:11] neg_lo:[0,1] neg_hi:[0,1]
	v_mov_b32_e32 v13, v8
	v_pk_add_f32 v[8:9], v[14:15], v[12:13] neg_lo:[0,1] neg_hi:[0,1]
	v_add_f32_e32 v9, v41, v9
	v_add_f32_e32 v8, v8, v9
	;; [unrolled: 1-line block ×3, first 2 shown]
	v_mul_f32_e32 v41, v40, v9
	v_mul_f32_e32 v10, v17, v41
	v_fma_f32 v12, v41, v17, -v10
	v_fmac_f32_e32 v12, v41, v7
	v_sub_f32_e32 v7, v11, v9
	v_add_f32_e32 v7, v8, v7
	v_add_f32_e32 v8, v10, v12
	v_sub_f32_e32 v11, v9, v8
	v_pk_add_f32 v[14:15], v[8:9], v[10:11] neg_lo:[0,1] neg_hi:[0,1]
	v_mov_b32_e32 v13, v8
	v_pk_add_f32 v[8:9], v[14:15], v[12:13] neg_lo:[0,1] neg_hi:[0,1]
	v_add_f32_e32 v7, v7, v9
	v_add_f32_e32 v7, v8, v7
	;; [unrolled: 1-line block ×4, first 2 shown]
	v_sub_f32_e32 v9, v8, v42
	v_mul_f32_e32 v7, v40, v7
	v_sub_f32_e32 v9, v41, v9
	v_add_f32_e32 v7, v9, v7
	v_add_f32_e32 v11, v8, v7
	v_mul_f32_e32 v12, v11, v11
	v_mov_b32_e32 v10, 0x3ecc95a3
	v_fmac_f32_e32 v10, 0x3e9b6dac, v12
	v_mov_b32_e32 v9, 0x3f2aaada
	v_fmac_f32_e32 v9, v12, v10
	v_cvt_f32_i32_e32 v10, v16
	v_sub_f32_e32 v8, v11, v8
	v_sub_f32_e32 v7, v7, v8
	v_ldexp_f32 v13, v11, 1
	v_mul_f32_e32 v11, v11, v12
	v_mov_b32_e32 v8, 0x3f317218
	s_mov_b32 s22, 0x3f317218
	v_pk_mul_f32 v[8:9], v[10:11], v[8:9]
	v_fma_f32 v12, v10, s22, -v8
	v_fmac_f32_e32 v12, 0xb102e308, v10
	v_pk_add_f32 v[10:11], v[8:9], v[12:13]
	v_sub_f32_e32 v13, v11, v13
	v_ldexp_f32 v7, v7, 1
	v_sub_f32_e32 v13, v9, v13
	v_add_f32_e32 v15, v7, v13
	v_mov_b32_e32 v14, v8
	v_pk_add_f32 v[8:9], v[10:11], v[8:9] neg_lo:[0,1] neg_hi:[0,1]
	v_pk_add_f32 v[16:17], v[10:11], v[14:15]
	v_mov_b32_e32 v9, v17
	v_mov_b32_e32 v13, v10
	v_pk_add_f32 v[40:41], v[12:13], v[8:9] neg_lo:[0,1] neg_hi:[0,1]
	v_pk_add_f32 v[8:9], v[12:13], v[8:9]
	v_mov_b32_e32 v12, v9
	v_pk_add_f32 v[44:45], v[12:13], v[10:11] neg_lo:[0,1] neg_hi:[0,1]
	v_mov_b32_e32 v7, v44
	v_pk_add_f32 v[46:47], v[16:17], v[6:7] neg_lo:[0,1] neg_hi:[0,1]
	v_mov_b32_e32 v8, v17
	v_mov_b32_e32 v16, v11
	;; [unrolled: 1-line block ×4, first 2 shown]
	v_pk_add_f32 v[8:9], v[8:9], v[16:17] neg_lo:[0,1] neg_hi:[0,1]
	v_mov_b32_e32 v14, v15
	v_mov_b32_e32 v15, v10
	v_pk_add_f32 v[8:9], v[14:15], v[8:9] neg_lo:[0,1] neg_hi:[0,1]
	v_mov_b32_e32 v46, v40
	v_pk_add_f32 v[10:11], v[46:47], v[8:9]
	v_mov_b32_e32 v14, v11
	v_pk_add_f32 v[14:15], v[10:11], v[14:15]
	v_pk_add_f32 v[12:13], v[12:13], v[14:15]
	v_mov_b32_e32 v11, v12
	v_pk_add_f32 v[16:17], v[10:11], v[40:41] neg_lo:[0,1] neg_hi:[0,1]
	v_mov_b32_e32 v9, v14
	v_sub_f32_e32 v7, v10, v16
	v_pk_add_f32 v[8:9], v[8:9], v[16:17] neg_lo:[0,1] neg_hi:[0,1]
	v_sub_f32_e32 v7, v40, v7
	s_mov_b32 s23, 0x7f800000
	v_add_f32_e32 v7, v8, v7
	s_mov_b32 s22, 0x33800000
	v_add_f32_e32 v7, v7, v9
	v_cmp_eq_f32_e32 vcc, s23, v39
	v_cmp_lt_f32_e64 s[22:23], |v39|, s22
	v_add_f32_e32 v7, v12, v7
	s_or_b64 vcc, vcc, s[22:23]
	v_cndmask_b32_e32 v7, v7, v39, vcc
	v_add_f32_e32 v44, v6, v7
.LBB90_51:
	s_or_b64 exec, exec, s[20:21]
	v_max_f32_e32 v6, v44, v44
	v_max_f32_e32 v39, v24, v24
	v_min_f32_e32 v7, v6, v39
	v_cmp_u_f32_e32 vcc, v44, v44
	v_max_f32_e32 v6, v6, v39
	v_cndmask_b32_e32 v7, v7, v44, vcc
	v_cmp_u_f32_e64 s[20:21], v24, v24
	v_cndmask_b32_e32 v6, v6, v44, vcc
	v_cndmask_b32_e64 v7, v7, v24, s[20:21]
	v_cndmask_b32_e64 v6, v6, v24, s[20:21]
	v_cmp_neq_f32_e32 vcc, v7, v6
	v_cmp_class_f32_e64 s[22:23], v7, s7
	s_or_b64 s[24:25], vcc, s[22:23]
	s_and_saveexec_b64 s[22:23], s[24:25]
	s_cbranch_execz .LBB90_53
; %bb.52:
	v_sub_f32_e32 v7, v7, v6
	s_mov_b32 s7, 0x3fb8aa3b
	v_mul_f32_e32 v8, 0x3fb8aa3b, v7
	v_fma_f32 v9, v7, s7, -v8
	v_rndne_f32_e32 v10, v8
	v_fmac_f32_e32 v9, 0x32a5705f, v7
	v_sub_f32_e32 v8, v8, v10
	v_add_f32_e32 v8, v8, v9
	v_exp_f32_e32 v8, v8
	v_cvt_i32_f32_e32 v9, v10
	s_mov_b32 s7, 0xc2ce8ed0
	v_cmp_ngt_f32_e32 vcc, s7, v7
	s_mov_b32 s7, 0x42b17218
	v_ldexp_f32 v8, v8, v9
	v_cndmask_b32_e32 v8, 0, v8, vcc
	v_mov_b32_e32 v9, 0x7f800000
	v_cmp_nlt_f32_e32 vcc, s7, v7
	v_cndmask_b32_e32 v42, v9, v8, vcc
	v_add_f32_e32 v7, 1.0, v42
	v_add_f32_e32 v8, -1.0, v7
	v_sub_f32_e32 v9, v8, v7
	v_add_f32_e32 v9, 1.0, v9
	v_sub_f32_e32 v8, v42, v8
	v_add_f32_e32 v10, v8, v9
	v_frexp_mant_f32_e32 v11, v7
	s_mov_b32 s7, 0x3f2aaaab
	v_cvt_f64_f32_e32 v[8:9], v7
	v_frexp_exp_i32_f64_e32 v8, v[8:9]
	v_cmp_gt_f32_e32 vcc, s7, v11
	v_subbrev_co_u32_e32 v16, vcc, 0, v8, vcc
	v_sub_u32_e32 v8, 0, v16
	v_ldexp_f32 v7, v7, v8
	v_ldexp_f32 v8, v10, v8
	v_add_f32_e32 v10, -1.0, v7
	v_add_f32_e32 v9, 1.0, v10
	v_sub_f32_e32 v9, v7, v9
	v_add_f32_e32 v11, v8, v9
	v_add_f32_e32 v9, 1.0, v7
	v_add_f32_e32 v12, -1.0, v9
	v_sub_f32_e32 v7, v7, v12
	v_add_f32_e32 v7, v8, v7
	v_add_f32_e32 v17, v9, v7
	v_rcp_f32_e32 v40, v17
	v_sub_f32_e32 v8, v9, v17
	v_add_f32_e32 v9, v10, v11
	v_add_f32_e32 v7, v7, v8
	v_mul_f32_e32 v44, v9, v40
	v_sub_f32_e32 v8, v10, v9
	v_mul_f32_e32 v10, v17, v44
	v_fma_f32 v12, v44, v17, -v10
	v_fmac_f32_e32 v12, v44, v7
	v_add_f32_e32 v41, v11, v8
	v_add_f32_e32 v8, v10, v12
	v_sub_f32_e32 v11, v9, v8
	v_pk_add_f32 v[14:15], v[8:9], v[10:11] neg_lo:[0,1] neg_hi:[0,1]
	v_mov_b32_e32 v13, v8
	v_pk_add_f32 v[8:9], v[14:15], v[12:13] neg_lo:[0,1] neg_hi:[0,1]
	v_add_f32_e32 v9, v41, v9
	v_add_f32_e32 v8, v8, v9
	;; [unrolled: 1-line block ×3, first 2 shown]
	v_mul_f32_e32 v41, v40, v9
	v_mul_f32_e32 v10, v17, v41
	v_fma_f32 v12, v41, v17, -v10
	v_fmac_f32_e32 v12, v41, v7
	v_sub_f32_e32 v7, v11, v9
	v_add_f32_e32 v7, v8, v7
	v_add_f32_e32 v8, v10, v12
	v_sub_f32_e32 v11, v9, v8
	v_pk_add_f32 v[14:15], v[8:9], v[10:11] neg_lo:[0,1] neg_hi:[0,1]
	v_mov_b32_e32 v13, v8
	v_pk_add_f32 v[8:9], v[14:15], v[12:13] neg_lo:[0,1] neg_hi:[0,1]
	v_add_f32_e32 v7, v7, v9
	v_add_f32_e32 v7, v8, v7
	;; [unrolled: 1-line block ×4, first 2 shown]
	v_sub_f32_e32 v9, v8, v44
	v_mul_f32_e32 v7, v40, v7
	v_sub_f32_e32 v9, v41, v9
	v_add_f32_e32 v7, v9, v7
	v_add_f32_e32 v11, v8, v7
	v_mul_f32_e32 v12, v11, v11
	v_mov_b32_e32 v10, 0x3ecc95a3
	v_fmac_f32_e32 v10, 0x3e9b6dac, v12
	v_mov_b32_e32 v9, 0x3f2aaada
	v_fmac_f32_e32 v9, v12, v10
	v_cvt_f32_i32_e32 v10, v16
	v_sub_f32_e32 v8, v11, v8
	v_sub_f32_e32 v7, v7, v8
	v_ldexp_f32 v13, v11, 1
	v_mul_f32_e32 v11, v11, v12
	v_mov_b32_e32 v8, 0x3f317218
	s_mov_b32 s7, 0x3f317218
	v_pk_mul_f32 v[8:9], v[10:11], v[8:9]
	v_fma_f32 v12, v10, s7, -v8
	v_fmac_f32_e32 v12, 0xb102e308, v10
	v_pk_add_f32 v[10:11], v[8:9], v[12:13]
	v_sub_f32_e32 v13, v11, v13
	v_ldexp_f32 v7, v7, 1
	v_sub_f32_e32 v13, v9, v13
	v_add_f32_e32 v15, v7, v13
	v_mov_b32_e32 v14, v8
	v_pk_add_f32 v[8:9], v[10:11], v[8:9] neg_lo:[0,1] neg_hi:[0,1]
	v_pk_add_f32 v[16:17], v[10:11], v[14:15]
	v_mov_b32_e32 v9, v17
	v_mov_b32_e32 v13, v10
	v_pk_add_f32 v[40:41], v[12:13], v[8:9] neg_lo:[0,1] neg_hi:[0,1]
	v_pk_add_f32 v[8:9], v[12:13], v[8:9]
	v_mov_b32_e32 v12, v9
	v_pk_add_f32 v[44:45], v[12:13], v[10:11] neg_lo:[0,1] neg_hi:[0,1]
	v_mov_b32_e32 v7, v44
	v_pk_add_f32 v[46:47], v[16:17], v[6:7] neg_lo:[0,1] neg_hi:[0,1]
	v_mov_b32_e32 v8, v17
	v_mov_b32_e32 v16, v11
	v_mov_b32_e32 v17, v44
	v_mov_b32_e32 v41, v9
	v_pk_add_f32 v[8:9], v[8:9], v[16:17] neg_lo:[0,1] neg_hi:[0,1]
	v_mov_b32_e32 v14, v15
	v_mov_b32_e32 v15, v10
	v_pk_add_f32 v[8:9], v[14:15], v[8:9] neg_lo:[0,1] neg_hi:[0,1]
	v_mov_b32_e32 v46, v40
	v_pk_add_f32 v[10:11], v[46:47], v[8:9]
	v_mov_b32_e32 v14, v11
	v_pk_add_f32 v[14:15], v[10:11], v[14:15]
	v_pk_add_f32 v[12:13], v[12:13], v[14:15]
	v_mov_b32_e32 v11, v12
	v_pk_add_f32 v[16:17], v[10:11], v[40:41] neg_lo:[0,1] neg_hi:[0,1]
	v_mov_b32_e32 v9, v14
	v_sub_f32_e32 v7, v10, v16
	v_pk_add_f32 v[8:9], v[8:9], v[16:17] neg_lo:[0,1] neg_hi:[0,1]
	v_sub_f32_e32 v7, v40, v7
	s_mov_b32 s24, 0x7f800000
	v_add_f32_e32 v7, v8, v7
	s_mov_b32 s7, 0x33800000
	v_add_f32_e32 v7, v7, v9
	v_cmp_eq_f32_e32 vcc, s24, v42
	v_cmp_lt_f32_e64 s[24:25], |v42|, s7
	v_add_f32_e32 v7, v12, v7
	s_or_b64 vcc, vcc, s[24:25]
	v_cndmask_b32_e32 v7, v7, v42, vcc
	v_add_f32_e32 v44, v6, v7
.LBB90_53:
	s_or_b64 exec, exec, s[22:23]
	v_max_f32_e32 v6, v44, v44
	v_max_f32_e32 v40, v25, v25
	v_min_f32_e32 v7, v6, v40
	v_cmp_u_f32_e32 vcc, v44, v44
	v_max_f32_e32 v6, v6, v40
	v_cndmask_b32_e32 v7, v7, v44, vcc
	v_cmp_u_f32_e64 s[22:23], v25, v25
	v_cndmask_b32_e32 v6, v6, v44, vcc
	v_cndmask_b32_e64 v7, v7, v25, s[22:23]
	v_cndmask_b32_e64 v6, v6, v25, s[22:23]
	s_movk_i32 s7, 0x1f8
	v_cmp_neq_f32_e32 vcc, v7, v6
	v_cmp_class_f32_e64 s[24:25], v7, s7
	s_or_b64 s[26:27], vcc, s[24:25]
	s_and_saveexec_b64 s[24:25], s[26:27]
	s_cbranch_execz .LBB90_55
; %bb.54:
	v_sub_f32_e32 v7, v7, v6
	s_mov_b32 s26, 0x3fb8aa3b
	v_mul_f32_e32 v8, 0x3fb8aa3b, v7
	v_fma_f32 v9, v7, s26, -v8
	v_rndne_f32_e32 v10, v8
	v_fmac_f32_e32 v9, 0x32a5705f, v7
	v_sub_f32_e32 v8, v8, v10
	v_add_f32_e32 v8, v8, v9
	v_exp_f32_e32 v8, v8
	v_cvt_i32_f32_e32 v9, v10
	s_mov_b32 s26, 0xc2ce8ed0
	v_cmp_ngt_f32_e32 vcc, s26, v7
	s_mov_b32 s26, 0x42b17218
	v_ldexp_f32 v8, v8, v9
	v_cndmask_b32_e32 v8, 0, v8, vcc
	v_mov_b32_e32 v9, 0x7f800000
	v_cmp_nlt_f32_e32 vcc, s26, v7
	v_cndmask_b32_e32 v41, v9, v8, vcc
	v_add_f32_e32 v7, 1.0, v41
	v_add_f32_e32 v8, -1.0, v7
	v_sub_f32_e32 v9, v8, v7
	v_add_f32_e32 v9, 1.0, v9
	v_sub_f32_e32 v8, v41, v8
	v_add_f32_e32 v10, v8, v9
	v_frexp_mant_f32_e32 v11, v7
	s_mov_b32 s26, 0x3f2aaaab
	v_cvt_f64_f32_e32 v[8:9], v7
	v_frexp_exp_i32_f64_e32 v8, v[8:9]
	v_cmp_gt_f32_e32 vcc, s26, v11
	v_subbrev_co_u32_e32 v16, vcc, 0, v8, vcc
	v_sub_u32_e32 v8, 0, v16
	v_ldexp_f32 v7, v7, v8
	v_ldexp_f32 v8, v10, v8
	v_add_f32_e32 v10, -1.0, v7
	v_add_f32_e32 v9, 1.0, v10
	v_sub_f32_e32 v9, v7, v9
	v_add_f32_e32 v11, v8, v9
	v_add_f32_e32 v9, 1.0, v7
	v_add_f32_e32 v12, -1.0, v9
	v_sub_f32_e32 v7, v7, v12
	v_add_f32_e32 v7, v8, v7
	v_add_f32_e32 v17, v9, v7
	v_rcp_f32_e32 v42, v17
	v_sub_f32_e32 v8, v9, v17
	v_add_f32_e32 v9, v10, v11
	v_add_f32_e32 v7, v7, v8
	v_mul_f32_e32 v45, v9, v42
	v_sub_f32_e32 v8, v10, v9
	v_mul_f32_e32 v10, v17, v45
	v_fma_f32 v12, v45, v17, -v10
	v_fmac_f32_e32 v12, v45, v7
	v_add_f32_e32 v44, v11, v8
	v_add_f32_e32 v8, v10, v12
	v_sub_f32_e32 v11, v9, v8
	v_pk_add_f32 v[14:15], v[8:9], v[10:11] neg_lo:[0,1] neg_hi:[0,1]
	v_mov_b32_e32 v13, v8
	v_pk_add_f32 v[8:9], v[14:15], v[12:13] neg_lo:[0,1] neg_hi:[0,1]
	v_add_f32_e32 v9, v44, v9
	v_add_f32_e32 v8, v8, v9
	;; [unrolled: 1-line block ×3, first 2 shown]
	v_mul_f32_e32 v44, v42, v9
	v_mul_f32_e32 v10, v17, v44
	v_fma_f32 v12, v44, v17, -v10
	v_fmac_f32_e32 v12, v44, v7
	v_sub_f32_e32 v7, v11, v9
	v_add_f32_e32 v7, v8, v7
	v_add_f32_e32 v8, v10, v12
	v_sub_f32_e32 v11, v9, v8
	v_pk_add_f32 v[14:15], v[8:9], v[10:11] neg_lo:[0,1] neg_hi:[0,1]
	v_mov_b32_e32 v13, v8
	v_pk_add_f32 v[8:9], v[14:15], v[12:13] neg_lo:[0,1] neg_hi:[0,1]
	v_add_f32_e32 v7, v7, v9
	v_add_f32_e32 v7, v8, v7
	;; [unrolled: 1-line block ×4, first 2 shown]
	v_sub_f32_e32 v9, v8, v45
	v_mul_f32_e32 v7, v42, v7
	v_sub_f32_e32 v9, v44, v9
	v_add_f32_e32 v7, v9, v7
	v_add_f32_e32 v11, v8, v7
	v_mul_f32_e32 v12, v11, v11
	v_mov_b32_e32 v10, 0x3ecc95a3
	v_fmac_f32_e32 v10, 0x3e9b6dac, v12
	v_mov_b32_e32 v9, 0x3f2aaada
	v_fmac_f32_e32 v9, v12, v10
	v_cvt_f32_i32_e32 v10, v16
	v_sub_f32_e32 v8, v11, v8
	v_sub_f32_e32 v7, v7, v8
	v_ldexp_f32 v13, v11, 1
	v_mul_f32_e32 v11, v11, v12
	v_mov_b32_e32 v8, 0x3f317218
	s_mov_b32 s26, 0x3f317218
	v_pk_mul_f32 v[8:9], v[10:11], v[8:9]
	v_fma_f32 v12, v10, s26, -v8
	v_fmac_f32_e32 v12, 0xb102e308, v10
	v_pk_add_f32 v[10:11], v[8:9], v[12:13]
	v_sub_f32_e32 v13, v11, v13
	v_ldexp_f32 v7, v7, 1
	v_sub_f32_e32 v13, v9, v13
	v_add_f32_e32 v15, v7, v13
	v_mov_b32_e32 v14, v8
	v_pk_add_f32 v[8:9], v[10:11], v[8:9] neg_lo:[0,1] neg_hi:[0,1]
	v_pk_add_f32 v[16:17], v[10:11], v[14:15]
	v_mov_b32_e32 v9, v17
	v_mov_b32_e32 v13, v10
	v_pk_add_f32 v[44:45], v[12:13], v[8:9] neg_lo:[0,1] neg_hi:[0,1]
	v_pk_add_f32 v[8:9], v[12:13], v[8:9]
	v_mov_b32_e32 v12, v9
	v_pk_add_f32 v[46:47], v[12:13], v[10:11] neg_lo:[0,1] neg_hi:[0,1]
	v_mov_b32_e32 v7, v46
	v_pk_add_f32 v[48:49], v[16:17], v[6:7] neg_lo:[0,1] neg_hi:[0,1]
	v_mov_b32_e32 v8, v17
	v_mov_b32_e32 v16, v11
	;; [unrolled: 1-line block ×4, first 2 shown]
	v_pk_add_f32 v[8:9], v[8:9], v[16:17] neg_lo:[0,1] neg_hi:[0,1]
	v_mov_b32_e32 v14, v15
	v_mov_b32_e32 v15, v10
	v_pk_add_f32 v[8:9], v[14:15], v[8:9] neg_lo:[0,1] neg_hi:[0,1]
	v_mov_b32_e32 v48, v44
	v_pk_add_f32 v[10:11], v[48:49], v[8:9]
	v_mov_b32_e32 v14, v11
	v_pk_add_f32 v[14:15], v[10:11], v[14:15]
	v_pk_add_f32 v[12:13], v[12:13], v[14:15]
	v_mov_b32_e32 v11, v12
	v_pk_add_f32 v[16:17], v[10:11], v[44:45] neg_lo:[0,1] neg_hi:[0,1]
	v_mov_b32_e32 v9, v14
	v_sub_f32_e32 v7, v10, v16
	v_pk_add_f32 v[8:9], v[8:9], v[16:17] neg_lo:[0,1] neg_hi:[0,1]
	v_sub_f32_e32 v7, v44, v7
	s_mov_b32 s27, 0x7f800000
	v_add_f32_e32 v7, v8, v7
	s_mov_b32 s26, 0x33800000
	v_add_f32_e32 v7, v7, v9
	v_cmp_eq_f32_e32 vcc, s27, v41
	v_cmp_lt_f32_e64 s[26:27], |v41|, s26
	v_add_f32_e32 v7, v12, v7
	s_or_b64 vcc, vcc, s[26:27]
	v_cndmask_b32_e32 v7, v7, v41, vcc
	v_add_f32_e32 v44, v6, v7
.LBB90_55:
	s_or_b64 exec, exec, s[24:25]
	v_max_f32_e32 v6, v44, v44
	v_max_f32_e32 v41, v30, v30
	v_min_f32_e32 v7, v6, v41
	v_cmp_u_f32_e32 vcc, v44, v44
	v_max_f32_e32 v6, v6, v41
	v_cndmask_b32_e32 v7, v7, v44, vcc
	v_cmp_u_f32_e64 s[24:25], v30, v30
	v_cndmask_b32_e32 v6, v6, v44, vcc
	v_cndmask_b32_e64 v7, v7, v30, s[24:25]
	v_cndmask_b32_e64 v6, v6, v30, s[24:25]
	v_cmp_neq_f32_e32 vcc, v7, v6
	v_cmp_class_f32_e64 s[26:27], v7, s7
	s_or_b64 s[30:31], vcc, s[26:27]
	s_and_saveexec_b64 s[26:27], s[30:31]
	s_cbranch_execz .LBB90_57
; %bb.56:
	v_sub_f32_e32 v7, v7, v6
	s_mov_b32 s7, 0x3fb8aa3b
	v_mul_f32_e32 v8, 0x3fb8aa3b, v7
	v_fma_f32 v9, v7, s7, -v8
	v_rndne_f32_e32 v10, v8
	v_fmac_f32_e32 v9, 0x32a5705f, v7
	v_sub_f32_e32 v8, v8, v10
	v_add_f32_e32 v8, v8, v9
	v_exp_f32_e32 v8, v8
	v_cvt_i32_f32_e32 v9, v10
	s_mov_b32 s7, 0xc2ce8ed0
	v_cmp_ngt_f32_e32 vcc, s7, v7
	s_mov_b32 s7, 0x42b17218
	v_ldexp_f32 v8, v8, v9
	v_cndmask_b32_e32 v8, 0, v8, vcc
	v_mov_b32_e32 v9, 0x7f800000
	v_cmp_nlt_f32_e32 vcc, s7, v7
	v_cndmask_b32_e32 v42, v9, v8, vcc
	v_add_f32_e32 v7, 1.0, v42
	v_add_f32_e32 v8, -1.0, v7
	v_sub_f32_e32 v9, v8, v7
	v_add_f32_e32 v9, 1.0, v9
	v_sub_f32_e32 v8, v42, v8
	v_add_f32_e32 v10, v8, v9
	v_frexp_mant_f32_e32 v11, v7
	s_mov_b32 s7, 0x3f2aaaab
	v_cvt_f64_f32_e32 v[8:9], v7
	v_frexp_exp_i32_f64_e32 v8, v[8:9]
	v_cmp_gt_f32_e32 vcc, s7, v11
	v_subbrev_co_u32_e32 v16, vcc, 0, v8, vcc
	v_sub_u32_e32 v8, 0, v16
	v_ldexp_f32 v7, v7, v8
	v_ldexp_f32 v8, v10, v8
	v_add_f32_e32 v10, -1.0, v7
	v_add_f32_e32 v9, 1.0, v10
	v_sub_f32_e32 v9, v7, v9
	v_add_f32_e32 v11, v8, v9
	v_add_f32_e32 v9, 1.0, v7
	v_add_f32_e32 v12, -1.0, v9
	v_sub_f32_e32 v7, v7, v12
	v_add_f32_e32 v7, v8, v7
	v_add_f32_e32 v17, v9, v7
	v_rcp_f32_e32 v44, v17
	v_sub_f32_e32 v8, v9, v17
	v_add_f32_e32 v9, v10, v11
	v_add_f32_e32 v7, v7, v8
	v_mul_f32_e32 v46, v9, v44
	v_sub_f32_e32 v8, v10, v9
	v_mul_f32_e32 v10, v17, v46
	v_fma_f32 v12, v46, v17, -v10
	v_fmac_f32_e32 v12, v46, v7
	v_add_f32_e32 v45, v11, v8
	v_add_f32_e32 v8, v10, v12
	v_sub_f32_e32 v11, v9, v8
	v_pk_add_f32 v[14:15], v[8:9], v[10:11] neg_lo:[0,1] neg_hi:[0,1]
	v_mov_b32_e32 v13, v8
	v_pk_add_f32 v[8:9], v[14:15], v[12:13] neg_lo:[0,1] neg_hi:[0,1]
	v_add_f32_e32 v9, v45, v9
	v_add_f32_e32 v8, v8, v9
	;; [unrolled: 1-line block ×3, first 2 shown]
	v_mul_f32_e32 v45, v44, v9
	v_mul_f32_e32 v10, v17, v45
	v_fma_f32 v12, v45, v17, -v10
	v_fmac_f32_e32 v12, v45, v7
	v_sub_f32_e32 v7, v11, v9
	v_add_f32_e32 v7, v8, v7
	v_add_f32_e32 v8, v10, v12
	v_sub_f32_e32 v11, v9, v8
	v_pk_add_f32 v[14:15], v[8:9], v[10:11] neg_lo:[0,1] neg_hi:[0,1]
	v_mov_b32_e32 v13, v8
	v_pk_add_f32 v[8:9], v[14:15], v[12:13] neg_lo:[0,1] neg_hi:[0,1]
	v_add_f32_e32 v7, v7, v9
	v_add_f32_e32 v7, v8, v7
	;; [unrolled: 1-line block ×4, first 2 shown]
	v_sub_f32_e32 v9, v8, v46
	v_mul_f32_e32 v7, v44, v7
	v_sub_f32_e32 v9, v45, v9
	v_add_f32_e32 v7, v9, v7
	v_add_f32_e32 v11, v8, v7
	v_mul_f32_e32 v12, v11, v11
	v_mov_b32_e32 v10, 0x3ecc95a3
	v_fmac_f32_e32 v10, 0x3e9b6dac, v12
	v_mov_b32_e32 v9, 0x3f2aaada
	v_fmac_f32_e32 v9, v12, v10
	v_cvt_f32_i32_e32 v10, v16
	v_sub_f32_e32 v8, v11, v8
	v_sub_f32_e32 v7, v7, v8
	v_ldexp_f32 v13, v11, 1
	v_mul_f32_e32 v11, v11, v12
	v_mov_b32_e32 v8, 0x3f317218
	s_mov_b32 s7, 0x3f317218
	v_pk_mul_f32 v[8:9], v[10:11], v[8:9]
	v_fma_f32 v12, v10, s7, -v8
	v_fmac_f32_e32 v12, 0xb102e308, v10
	v_pk_add_f32 v[10:11], v[8:9], v[12:13]
	v_sub_f32_e32 v13, v11, v13
	v_ldexp_f32 v7, v7, 1
	v_sub_f32_e32 v13, v9, v13
	v_add_f32_e32 v15, v7, v13
	v_mov_b32_e32 v14, v8
	v_pk_add_f32 v[8:9], v[10:11], v[8:9] neg_lo:[0,1] neg_hi:[0,1]
	v_pk_add_f32 v[16:17], v[10:11], v[14:15]
	v_mov_b32_e32 v9, v17
	v_mov_b32_e32 v13, v10
	v_pk_add_f32 v[44:45], v[12:13], v[8:9] neg_lo:[0,1] neg_hi:[0,1]
	v_pk_add_f32 v[8:9], v[12:13], v[8:9]
	v_mov_b32_e32 v12, v9
	v_pk_add_f32 v[46:47], v[12:13], v[10:11] neg_lo:[0,1] neg_hi:[0,1]
	v_mov_b32_e32 v7, v46
	v_pk_add_f32 v[48:49], v[16:17], v[6:7] neg_lo:[0,1] neg_hi:[0,1]
	v_mov_b32_e32 v8, v17
	v_mov_b32_e32 v16, v11
	;; [unrolled: 1-line block ×4, first 2 shown]
	v_pk_add_f32 v[8:9], v[8:9], v[16:17] neg_lo:[0,1] neg_hi:[0,1]
	v_mov_b32_e32 v14, v15
	v_mov_b32_e32 v15, v10
	v_pk_add_f32 v[8:9], v[14:15], v[8:9] neg_lo:[0,1] neg_hi:[0,1]
	v_mov_b32_e32 v48, v44
	v_pk_add_f32 v[10:11], v[48:49], v[8:9]
	v_mov_b32_e32 v14, v11
	v_pk_add_f32 v[14:15], v[10:11], v[14:15]
	v_pk_add_f32 v[12:13], v[12:13], v[14:15]
	v_mov_b32_e32 v11, v12
	v_pk_add_f32 v[16:17], v[10:11], v[44:45] neg_lo:[0,1] neg_hi:[0,1]
	v_mov_b32_e32 v9, v14
	v_sub_f32_e32 v7, v10, v16
	v_pk_add_f32 v[8:9], v[8:9], v[16:17] neg_lo:[0,1] neg_hi:[0,1]
	v_sub_f32_e32 v7, v44, v7
	s_mov_b32 s30, 0x7f800000
	v_add_f32_e32 v7, v8, v7
	s_mov_b32 s7, 0x33800000
	v_add_f32_e32 v7, v7, v9
	v_cmp_eq_f32_e32 vcc, s30, v42
	v_cmp_lt_f32_e64 s[30:31], |v42|, s7
	v_add_f32_e32 v7, v12, v7
	s_or_b64 vcc, vcc, s[30:31]
	v_cndmask_b32_e32 v7, v7, v42, vcc
	v_add_f32_e32 v44, v6, v7
.LBB90_57:
	s_or_b64 exec, exec, s[26:27]
	v_max_f32_e32 v6, v44, v44
	v_max_f32_e32 v42, v31, v31
	v_min_f32_e32 v7, v6, v42
	v_cmp_u_f32_e32 vcc, v44, v44
	v_max_f32_e32 v6, v6, v42
	v_cndmask_b32_e32 v7, v7, v44, vcc
	v_cmp_u_f32_e64 s[26:27], v31, v31
	v_cndmask_b32_e32 v6, v6, v44, vcc
	v_cndmask_b32_e64 v7, v7, v31, s[26:27]
	v_cndmask_b32_e64 v6, v6, v31, s[26:27]
	s_movk_i32 s7, 0x1f8
	v_cmp_neq_f32_e32 vcc, v7, v6
	v_cmp_class_f32_e64 s[30:31], v7, s7
	s_or_b64 s[34:35], vcc, s[30:31]
	s_and_saveexec_b64 s[30:31], s[34:35]
	s_cbranch_execz .LBB90_59
; %bb.58:
	v_sub_f32_e32 v7, v7, v6
	s_mov_b32 s7, 0x3fb8aa3b
	v_mul_f32_e32 v8, 0x3fb8aa3b, v7
	v_fma_f32 v9, v7, s7, -v8
	v_rndne_f32_e32 v10, v8
	v_fmac_f32_e32 v9, 0x32a5705f, v7
	v_sub_f32_e32 v8, v8, v10
	v_add_f32_e32 v8, v8, v9
	v_exp_f32_e32 v8, v8
	v_cvt_i32_f32_e32 v9, v10
	s_mov_b32 s7, 0xc2ce8ed0
	v_cmp_ngt_f32_e32 vcc, s7, v7
	s_mov_b32 s7, 0x42b17218
	v_ldexp_f32 v8, v8, v9
	v_cndmask_b32_e32 v8, 0, v8, vcc
	v_mov_b32_e32 v9, 0x7f800000
	v_cmp_nlt_f32_e32 vcc, s7, v7
	v_cndmask_b32_e32 v50, v9, v8, vcc
	v_add_f32_e32 v7, 1.0, v50
	v_add_f32_e32 v8, -1.0, v7
	v_sub_f32_e32 v9, v8, v7
	v_add_f32_e32 v9, 1.0, v9
	v_sub_f32_e32 v8, v50, v8
	v_add_f32_e32 v10, v8, v9
	v_frexp_mant_f32_e32 v11, v7
	s_mov_b32 s7, 0x3f2aaaab
	v_cvt_f64_f32_e32 v[8:9], v7
	v_frexp_exp_i32_f64_e32 v8, v[8:9]
	v_cmp_gt_f32_e32 vcc, s7, v11
	v_subbrev_co_u32_e32 v16, vcc, 0, v8, vcc
	v_sub_u32_e32 v8, 0, v16
	v_ldexp_f32 v7, v7, v8
	v_ldexp_f32 v8, v10, v8
	v_add_f32_e32 v10, -1.0, v7
	v_add_f32_e32 v9, 1.0, v10
	v_sub_f32_e32 v9, v7, v9
	v_add_f32_e32 v11, v8, v9
	v_add_f32_e32 v9, 1.0, v7
	v_add_f32_e32 v12, -1.0, v9
	v_sub_f32_e32 v7, v7, v12
	v_add_f32_e32 v7, v8, v7
	v_add_f32_e32 v17, v9, v7
	v_rcp_f32_e32 v44, v17
	v_sub_f32_e32 v8, v9, v17
	v_add_f32_e32 v9, v10, v11
	v_add_f32_e32 v7, v7, v8
	v_mul_f32_e32 v46, v9, v44
	v_sub_f32_e32 v8, v10, v9
	v_mul_f32_e32 v10, v17, v46
	v_fma_f32 v12, v46, v17, -v10
	v_fmac_f32_e32 v12, v46, v7
	v_add_f32_e32 v45, v11, v8
	v_add_f32_e32 v8, v10, v12
	v_sub_f32_e32 v11, v9, v8
	v_pk_add_f32 v[14:15], v[8:9], v[10:11] neg_lo:[0,1] neg_hi:[0,1]
	v_mov_b32_e32 v13, v8
	v_pk_add_f32 v[8:9], v[14:15], v[12:13] neg_lo:[0,1] neg_hi:[0,1]
	v_add_f32_e32 v9, v45, v9
	v_add_f32_e32 v8, v8, v9
	;; [unrolled: 1-line block ×3, first 2 shown]
	v_mul_f32_e32 v45, v44, v9
	v_mul_f32_e32 v10, v17, v45
	v_fma_f32 v12, v45, v17, -v10
	v_fmac_f32_e32 v12, v45, v7
	v_sub_f32_e32 v7, v11, v9
	v_add_f32_e32 v7, v8, v7
	v_add_f32_e32 v8, v10, v12
	v_sub_f32_e32 v11, v9, v8
	v_pk_add_f32 v[14:15], v[8:9], v[10:11] neg_lo:[0,1] neg_hi:[0,1]
	v_mov_b32_e32 v13, v8
	v_pk_add_f32 v[8:9], v[14:15], v[12:13] neg_lo:[0,1] neg_hi:[0,1]
	v_add_f32_e32 v7, v7, v9
	v_add_f32_e32 v7, v8, v7
	v_add_f32_e32 v8, v46, v45
	v_add_f32_e32 v7, v11, v7
	v_sub_f32_e32 v9, v8, v46
	v_mul_f32_e32 v7, v44, v7
	v_sub_f32_e32 v9, v45, v9
	v_add_f32_e32 v7, v9, v7
	v_add_f32_e32 v11, v8, v7
	v_mul_f32_e32 v12, v11, v11
	v_mov_b32_e32 v10, 0x3ecc95a3
	v_fmac_f32_e32 v10, 0x3e9b6dac, v12
	v_mov_b32_e32 v9, 0x3f2aaada
	v_fmac_f32_e32 v9, v12, v10
	v_cvt_f32_i32_e32 v10, v16
	v_sub_f32_e32 v8, v11, v8
	v_sub_f32_e32 v7, v7, v8
	v_ldexp_f32 v13, v11, 1
	v_mul_f32_e32 v11, v11, v12
	v_mov_b32_e32 v8, 0x3f317218
	s_mov_b32 s7, 0x3f317218
	v_pk_mul_f32 v[8:9], v[10:11], v[8:9]
	v_fma_f32 v12, v10, s7, -v8
	v_fmac_f32_e32 v12, 0xb102e308, v10
	v_pk_add_f32 v[10:11], v[8:9], v[12:13]
	v_sub_f32_e32 v13, v11, v13
	v_ldexp_f32 v7, v7, 1
	v_sub_f32_e32 v13, v9, v13
	v_add_f32_e32 v15, v7, v13
	v_mov_b32_e32 v14, v8
	v_pk_add_f32 v[8:9], v[10:11], v[8:9] neg_lo:[0,1] neg_hi:[0,1]
	v_pk_add_f32 v[16:17], v[10:11], v[14:15]
	v_mov_b32_e32 v9, v17
	v_mov_b32_e32 v13, v10
	v_pk_add_f32 v[44:45], v[12:13], v[8:9] neg_lo:[0,1] neg_hi:[0,1]
	v_pk_add_f32 v[8:9], v[12:13], v[8:9]
	v_mov_b32_e32 v12, v9
	v_pk_add_f32 v[46:47], v[12:13], v[10:11] neg_lo:[0,1] neg_hi:[0,1]
	v_mov_b32_e32 v7, v46
	v_pk_add_f32 v[48:49], v[16:17], v[6:7] neg_lo:[0,1] neg_hi:[0,1]
	v_mov_b32_e32 v8, v17
	v_mov_b32_e32 v16, v11
	v_mov_b32_e32 v17, v46
	v_mov_b32_e32 v45, v9
	v_pk_add_f32 v[8:9], v[8:9], v[16:17] neg_lo:[0,1] neg_hi:[0,1]
	v_mov_b32_e32 v14, v15
	v_mov_b32_e32 v15, v10
	v_pk_add_f32 v[8:9], v[14:15], v[8:9] neg_lo:[0,1] neg_hi:[0,1]
	v_mov_b32_e32 v48, v44
	v_pk_add_f32 v[10:11], v[48:49], v[8:9]
	v_mov_b32_e32 v14, v11
	v_pk_add_f32 v[14:15], v[10:11], v[14:15]
	v_pk_add_f32 v[12:13], v[12:13], v[14:15]
	v_mov_b32_e32 v11, v12
	v_pk_add_f32 v[16:17], v[10:11], v[44:45] neg_lo:[0,1] neg_hi:[0,1]
	v_mov_b32_e32 v9, v14
	v_sub_f32_e32 v7, v10, v16
	v_pk_add_f32 v[8:9], v[8:9], v[16:17] neg_lo:[0,1] neg_hi:[0,1]
	v_sub_f32_e32 v7, v44, v7
	s_mov_b32 s34, 0x7f800000
	v_add_f32_e32 v7, v8, v7
	s_mov_b32 s7, 0x33800000
	v_add_f32_e32 v7, v7, v9
	v_cmp_eq_f32_e32 vcc, s34, v50
	v_cmp_lt_f32_e64 s[34:35], |v50|, s7
	v_add_f32_e32 v7, v12, v7
	s_or_b64 vcc, vcc, s[34:35]
	v_cndmask_b32_e32 v7, v7, v50, vcc
	v_add_f32_e32 v44, v6, v7
.LBB90_59:
	s_or_b64 exec, exec, s[30:31]
	v_lshrrev_b32_e32 v6, 5, v0
	v_add_lshl_u32 v6, v6, v0, 2
	v_cmp_gt_u32_e32 vcc, 64, v0
	ds_write_b32 v6, v44
	s_waitcnt lgkmcnt(0)
	s_barrier
	s_and_saveexec_b64 s[40:41], vcc
	s_cbranch_execz .LBB90_91
; %bb.60:
	v_lshlrev_b32_e32 v6, 1, v0
	v_lshrrev_b32_e32 v7, 4, v0
	v_add_lshl_u32 v8, v7, v6, 2
	ds_read2_b32 v[6:7], v8 offset1:1
	s_movk_i32 s7, 0x1f8
	s_waitcnt lgkmcnt(0)
	v_max_f32_e32 v11, v7, v7
	v_max_f32_e32 v9, v6, v6
	v_min_f32_e32 v10, v9, v11
	v_cmp_u_f32_e64 s[30:31], v6, v6
	v_max_f32_e32 v11, v9, v11
	v_cndmask_b32_e64 v10, v10, v6, s[30:31]
	v_cmp_u_f32_e64 s[34:35], v7, v7
	v_cndmask_b32_e64 v11, v11, v6, s[30:31]
	v_cndmask_b32_e64 v10, v10, v7, s[34:35]
	;; [unrolled: 1-line block ×3, first 2 shown]
	v_cmp_neq_f32_e64 s[34:35], v10, v7
	v_cmp_class_f32_e64 s[36:37], v10, s7
	s_or_b64 s[34:35], s[34:35], s[36:37]
	v_mov_b32_e32 v11, v6
	s_and_saveexec_b64 s[36:37], s[34:35]
	s_cbranch_execz .LBB90_62
; %bb.61:
	v_sub_f32_e32 v10, v10, v7
	s_mov_b32 s7, 0x3fb8aa3b
	v_mul_f32_e32 v11, 0x3fb8aa3b, v10
	v_fma_f32 v12, v10, s7, -v11
	v_rndne_f32_e32 v13, v11
	v_fmac_f32_e32 v12, 0x32a5705f, v10
	v_sub_f32_e32 v11, v11, v13
	v_add_f32_e32 v11, v11, v12
	v_exp_f32_e32 v11, v11
	v_cvt_i32_f32_e32 v12, v13
	s_mov_b32 s7, 0xc2ce8ed0
	v_cmp_ngt_f32_e64 s[34:35], s7, v10
	s_mov_b32 s7, 0x42b17218
	v_ldexp_f32 v11, v11, v12
	v_cndmask_b32_e64 v11, 0, v11, s[34:35]
	v_mov_b32_e32 v12, 0x7f800000
	v_cmp_nlt_f32_e64 s[34:35], s7, v10
	v_cndmask_b32_e64 v45, v12, v11, s[34:35]
	v_add_f32_e32 v12, 1.0, v45
	v_add_f32_e32 v10, -1.0, v12
	v_sub_f32_e32 v11, v10, v12
	v_add_f32_e32 v11, 1.0, v11
	v_sub_f32_e32 v10, v45, v10
	v_add_f32_e32 v13, v10, v11
	v_frexp_mant_f32_e32 v14, v12
	s_mov_b32 s7, 0x3f2aaaab
	v_cvt_f64_f32_e32 v[10:11], v12
	v_frexp_exp_i32_f64_e32 v10, v[10:11]
	v_cmp_gt_f32_e64 s[34:35], s7, v14
	v_subbrev_co_u32_e64 v46, s[34:35], 0, v10, s[34:35]
	v_sub_u32_e32 v10, 0, v46
	v_ldexp_f32 v11, v12, v10
	v_add_f32_e32 v12, -1.0, v11
	v_add_f32_e32 v14, 1.0, v11
	v_ldexp_f32 v10, v13, v10
	v_add_f32_e32 v13, 1.0, v12
	v_add_f32_e32 v15, -1.0, v14
	v_sub_f32_e32 v13, v11, v13
	v_sub_f32_e32 v11, v11, v15
	v_add_f32_e32 v13, v10, v13
	v_add_f32_e32 v10, v10, v11
	;; [unrolled: 1-line block ×3, first 2 shown]
	v_rcp_f32_e32 v49, v47
	v_sub_f32_e32 v11, v14, v47
	v_add_f32_e32 v48, v10, v11
	v_add_f32_e32 v11, v12, v13
	v_mul_f32_e32 v51, v11, v49
	v_sub_f32_e32 v10, v12, v11
	v_mul_f32_e32 v12, v47, v51
	v_fma_f32 v14, v51, v47, -v12
	v_fmac_f32_e32 v14, v51, v48
	v_add_f32_e32 v50, v13, v10
	v_add_f32_e32 v10, v12, v14
	v_sub_f32_e32 v13, v11, v10
	v_pk_add_f32 v[16:17], v[10:11], v[12:13] neg_lo:[0,1] neg_hi:[0,1]
	v_mov_b32_e32 v15, v10
	v_pk_add_f32 v[10:11], v[16:17], v[14:15] neg_lo:[0,1] neg_hi:[0,1]
	v_add_f32_e32 v11, v50, v11
	v_add_f32_e32 v10, v10, v11
	;; [unrolled: 1-line block ×3, first 2 shown]
	v_mul_f32_e32 v50, v49, v11
	v_mul_f32_e32 v12, v47, v50
	v_fma_f32 v14, v50, v47, -v12
	v_fmac_f32_e32 v14, v50, v48
	v_sub_f32_e32 v13, v13, v11
	v_add_f32_e32 v47, v10, v13
	v_add_f32_e32 v10, v12, v14
	v_sub_f32_e32 v13, v11, v10
	v_pk_add_f32 v[16:17], v[10:11], v[12:13] neg_lo:[0,1] neg_hi:[0,1]
	v_mov_b32_e32 v15, v10
	v_pk_add_f32 v[10:11], v[16:17], v[14:15] neg_lo:[0,1] neg_hi:[0,1]
	v_add_f32_e32 v11, v47, v11
	v_add_f32_e32 v10, v10, v11
	v_add_f32_e32 v10, v13, v10
	v_add_f32_e32 v13, v51, v50
	v_sub_f32_e32 v11, v13, v51
	v_mul_f32_e32 v10, v49, v10
	v_sub_f32_e32 v11, v50, v11
	v_add_f32_e32 v10, v11, v10
	v_add_f32_e32 v14, v13, v10
	v_mul_f32_e32 v16, v14, v14
	v_mov_b32_e32 v12, 0x3ecc95a3
	v_fmac_f32_e32 v12, 0x3e9b6dac, v16
	v_mov_b32_e32 v11, 0x3f2aaada
	v_fmac_f32_e32 v11, v16, v12
	v_cvt_f32_i32_e32 v12, v46
	v_sub_f32_e32 v13, v14, v13
	v_sub_f32_e32 v10, v10, v13
	v_ldexp_f32 v17, v10, 1
	v_mul_f32_e32 v13, v14, v16
	v_mov_b32_e32 v10, 0x3f317218
	s_mov_b32 s7, 0x3f317218
	v_pk_mul_f32 v[10:11], v[12:13], v[10:11]
	v_ldexp_f32 v15, v14, 1
	v_fma_f32 v14, v12, s7, -v10
	v_fmac_f32_e32 v14, 0xb102e308, v12
	v_pk_add_f32 v[12:13], v[10:11], v[14:15]
	v_sub_f32_e32 v15, v13, v15
	v_sub_f32_e32 v15, v11, v15
	v_add_f32_e32 v17, v17, v15
	v_mov_b32_e32 v16, v10
	v_pk_add_f32 v[10:11], v[12:13], v[10:11] neg_lo:[0,1] neg_hi:[0,1]
	v_pk_add_f32 v[46:47], v[12:13], v[16:17]
	v_mov_b32_e32 v11, v47
	v_mov_b32_e32 v15, v12
	v_pk_add_f32 v[48:49], v[14:15], v[10:11] neg_lo:[0,1] neg_hi:[0,1]
	v_pk_add_f32 v[10:11], v[14:15], v[10:11]
	v_mov_b32_e32 v14, v11
	v_pk_add_f32 v[50:51], v[14:15], v[12:13] neg_lo:[0,1] neg_hi:[0,1]
	v_mov_b32_e32 v15, v50
	v_pk_add_f32 v[52:53], v[46:47], v[14:15] neg_lo:[0,1] neg_hi:[0,1]
	v_mov_b32_e32 v10, v47
	v_mov_b32_e32 v46, v13
	;; [unrolled: 1-line block ×4, first 2 shown]
	v_pk_add_f32 v[10:11], v[10:11], v[46:47] neg_lo:[0,1] neg_hi:[0,1]
	v_mov_b32_e32 v16, v17
	v_mov_b32_e32 v17, v12
	v_pk_add_f32 v[10:11], v[16:17], v[10:11] neg_lo:[0,1] neg_hi:[0,1]
	v_mov_b32_e32 v52, v48
	v_pk_add_f32 v[12:13], v[52:53], v[10:11]
	v_mov_b32_e32 v16, v13
	v_pk_add_f32 v[16:17], v[12:13], v[16:17]
	v_pk_add_f32 v[14:15], v[14:15], v[16:17]
	v_mov_b32_e32 v13, v14
	v_pk_add_f32 v[46:47], v[12:13], v[48:49] neg_lo:[0,1] neg_hi:[0,1]
	v_mov_b32_e32 v11, v16
	v_sub_f32_e32 v12, v12, v46
	v_pk_add_f32 v[10:11], v[10:11], v[46:47] neg_lo:[0,1] neg_hi:[0,1]
	v_sub_f32_e32 v12, v48, v12
	s_mov_b32 s42, 0x7f800000
	v_add_f32_e32 v10, v10, v12
	s_mov_b32 s7, 0x33800000
	v_add_f32_e32 v10, v10, v11
	v_cmp_eq_f32_e64 s[34:35], s42, v45
	v_cmp_lt_f32_e64 s[42:43], |v45|, s7
	v_add_f32_e32 v10, v14, v10
	s_or_b64 s[34:35], s[34:35], s[42:43]
	v_cndmask_b32_e64 v10, v10, v45, s[34:35]
	v_add_f32_e32 v11, v7, v10
.LBB90_62:
	s_or_b64 exec, exec, s[36:37]
	v_mbcnt_lo_u32_b32 v7, -1, 0
	v_mbcnt_hi_u32_b32 v7, -1, v7
	v_and_b32_e32 v10, 15, v7
	v_mov_b32_dpp v12, v11 row_shr:1 row_mask:0xf bank_mask:0xf
	v_cmp_ne_u32_e64 s[34:35], 0, v10
	s_and_saveexec_b64 s[42:43], s[34:35]
	s_cbranch_execz .LBB90_66
; %bb.63:
	v_max_f32_e32 v14, v11, v11
	v_max_f32_e32 v15, v12, v12
	v_min_f32_e32 v13, v15, v14
	v_cmp_u_f32_e64 s[34:35], v12, v12
	v_max_f32_e32 v14, v15, v14
	v_cndmask_b32_e64 v13, v13, v12, s[34:35]
	v_cmp_u_f32_e64 s[36:37], v11, v11
	v_cndmask_b32_e64 v14, v14, v12, s[34:35]
	v_cndmask_b32_e64 v13, v13, v11, s[36:37]
	;; [unrolled: 1-line block ×3, first 2 shown]
	s_movk_i32 s7, 0x1f8
	v_cmp_neq_f32_e64 s[34:35], v13, v11
	v_cmp_class_f32_e64 s[36:37], v13, s7
	s_or_b64 s[34:35], s[34:35], s[36:37]
	s_and_saveexec_b64 s[36:37], s[34:35]
	s_cbranch_execz .LBB90_65
; %bb.64:
	v_sub_f32_e32 v12, v13, v11
	s_mov_b32 s7, 0x3fb8aa3b
	v_mul_f32_e32 v13, 0x3fb8aa3b, v12
	v_fma_f32 v14, v12, s7, -v13
	v_rndne_f32_e32 v15, v13
	v_fmac_f32_e32 v14, 0x32a5705f, v12
	v_sub_f32_e32 v13, v13, v15
	v_add_f32_e32 v13, v13, v14
	v_exp_f32_e32 v13, v13
	v_cvt_i32_f32_e32 v14, v15
	s_mov_b32 s7, 0xc2ce8ed0
	v_cmp_ngt_f32_e64 s[34:35], s7, v12
	s_mov_b32 s7, 0x42b17218
	v_ldexp_f32 v13, v13, v14
	v_cndmask_b32_e64 v13, 0, v13, s[34:35]
	v_mov_b32_e32 v14, 0x7f800000
	v_cmp_nlt_f32_e64 s[34:35], s7, v12
	v_cndmask_b32_e64 v45, v14, v13, s[34:35]
	v_add_f32_e32 v14, 1.0, v45
	v_add_f32_e32 v12, -1.0, v14
	v_sub_f32_e32 v13, v12, v14
	v_add_f32_e32 v13, 1.0, v13
	v_sub_f32_e32 v12, v45, v12
	v_add_f32_e32 v15, v12, v13
	v_frexp_mant_f32_e32 v16, v14
	s_mov_b32 s7, 0x3f2aaaab
	v_cvt_f64_f32_e32 v[12:13], v14
	v_frexp_exp_i32_f64_e32 v12, v[12:13]
	v_cmp_gt_f32_e64 s[34:35], s7, v16
	v_subbrev_co_u32_e64 v48, s[34:35], 0, v12, s[34:35]
	v_sub_u32_e32 v12, 0, v48
	v_ldexp_f32 v13, v14, v12
	v_add_f32_e32 v14, -1.0, v13
	v_add_f32_e32 v16, 1.0, v13
	v_ldexp_f32 v12, v15, v12
	v_add_f32_e32 v15, 1.0, v14
	v_add_f32_e32 v17, -1.0, v16
	v_sub_f32_e32 v15, v13, v15
	v_sub_f32_e32 v13, v13, v17
	v_add_f32_e32 v15, v12, v15
	v_add_f32_e32 v12, v12, v13
	;; [unrolled: 1-line block ×3, first 2 shown]
	v_rcp_f32_e32 v51, v49
	v_sub_f32_e32 v13, v16, v49
	v_add_f32_e32 v50, v12, v13
	v_add_f32_e32 v13, v14, v15
	v_mul_f32_e32 v53, v13, v51
	v_sub_f32_e32 v12, v14, v13
	v_mul_f32_e32 v14, v49, v53
	v_fma_f32 v16, v53, v49, -v14
	v_fmac_f32_e32 v16, v53, v50
	v_add_f32_e32 v52, v15, v12
	v_add_f32_e32 v12, v14, v16
	v_sub_f32_e32 v15, v13, v12
	v_pk_add_f32 v[46:47], v[12:13], v[14:15] neg_lo:[0,1] neg_hi:[0,1]
	v_mov_b32_e32 v17, v12
	v_pk_add_f32 v[12:13], v[46:47], v[16:17] neg_lo:[0,1] neg_hi:[0,1]
	v_add_f32_e32 v13, v52, v13
	v_add_f32_e32 v12, v12, v13
	;; [unrolled: 1-line block ×3, first 2 shown]
	v_mul_f32_e32 v52, v51, v13
	v_mul_f32_e32 v14, v49, v52
	v_fma_f32 v16, v52, v49, -v14
	v_fmac_f32_e32 v16, v52, v50
	v_sub_f32_e32 v15, v15, v13
	v_add_f32_e32 v49, v12, v15
	v_add_f32_e32 v12, v14, v16
	v_sub_f32_e32 v15, v13, v12
	v_pk_add_f32 v[46:47], v[12:13], v[14:15] neg_lo:[0,1] neg_hi:[0,1]
	v_mov_b32_e32 v17, v12
	v_pk_add_f32 v[12:13], v[46:47], v[16:17] neg_lo:[0,1] neg_hi:[0,1]
	v_add_f32_e32 v13, v49, v13
	v_add_f32_e32 v12, v12, v13
	;; [unrolled: 1-line block ×4, first 2 shown]
	v_sub_f32_e32 v13, v15, v53
	v_mul_f32_e32 v12, v51, v12
	v_sub_f32_e32 v13, v52, v13
	v_add_f32_e32 v12, v13, v12
	v_add_f32_e32 v16, v15, v12
	v_mul_f32_e32 v46, v16, v16
	v_mov_b32_e32 v14, 0x3ecc95a3
	v_fmac_f32_e32 v14, 0x3e9b6dac, v46
	v_mov_b32_e32 v13, 0x3f2aaada
	v_fmac_f32_e32 v13, v46, v14
	v_cvt_f32_i32_e32 v14, v48
	v_sub_f32_e32 v15, v16, v15
	v_sub_f32_e32 v12, v12, v15
	v_ldexp_f32 v47, v12, 1
	v_mul_f32_e32 v15, v16, v46
	v_mov_b32_e32 v12, 0x3f317218
	s_mov_b32 s7, 0x3f317218
	v_pk_mul_f32 v[12:13], v[14:15], v[12:13]
	v_ldexp_f32 v17, v16, 1
	v_fma_f32 v16, v14, s7, -v12
	v_fmac_f32_e32 v16, 0xb102e308, v14
	v_pk_add_f32 v[14:15], v[12:13], v[16:17]
	v_sub_f32_e32 v17, v15, v17
	v_sub_f32_e32 v17, v13, v17
	v_add_f32_e32 v47, v47, v17
	v_mov_b32_e32 v46, v12
	v_pk_add_f32 v[12:13], v[14:15], v[12:13] neg_lo:[0,1] neg_hi:[0,1]
	v_pk_add_f32 v[48:49], v[14:15], v[46:47]
	v_mov_b32_e32 v13, v49
	v_mov_b32_e32 v17, v14
	v_pk_add_f32 v[50:51], v[16:17], v[12:13] neg_lo:[0,1] neg_hi:[0,1]
	v_pk_add_f32 v[12:13], v[16:17], v[12:13]
	v_mov_b32_e32 v16, v13
	v_pk_add_f32 v[52:53], v[16:17], v[14:15] neg_lo:[0,1] neg_hi:[0,1]
	v_mov_b32_e32 v17, v52
	v_pk_add_f32 v[54:55], v[48:49], v[16:17] neg_lo:[0,1] neg_hi:[0,1]
	v_mov_b32_e32 v12, v49
	v_mov_b32_e32 v48, v15
	v_mov_b32_e32 v49, v52
	v_mov_b32_e32 v51, v13
	v_pk_add_f32 v[12:13], v[12:13], v[48:49] neg_lo:[0,1] neg_hi:[0,1]
	v_mov_b32_e32 v46, v47
	v_mov_b32_e32 v47, v14
	v_pk_add_f32 v[12:13], v[46:47], v[12:13] neg_lo:[0,1] neg_hi:[0,1]
	v_mov_b32_e32 v54, v50
	v_pk_add_f32 v[14:15], v[54:55], v[12:13]
	v_mov_b32_e32 v46, v15
	v_pk_add_f32 v[46:47], v[14:15], v[46:47]
	v_pk_add_f32 v[16:17], v[16:17], v[46:47]
	v_mov_b32_e32 v15, v16
	v_pk_add_f32 v[48:49], v[14:15], v[50:51] neg_lo:[0,1] neg_hi:[0,1]
	v_mov_b32_e32 v13, v46
	v_sub_f32_e32 v14, v14, v48
	v_pk_add_f32 v[12:13], v[12:13], v[48:49] neg_lo:[0,1] neg_hi:[0,1]
	v_sub_f32_e32 v14, v50, v14
	s_mov_b32 s54, 0x7f800000
	v_add_f32_e32 v12, v12, v14
	s_mov_b32 s7, 0x33800000
	v_add_f32_e32 v12, v12, v13
	v_cmp_eq_f32_e64 s[34:35], s54, v45
	v_cmp_lt_f32_e64 s[54:55], |v45|, s7
	v_add_f32_e32 v12, v16, v12
	s_or_b64 s[34:35], s[34:35], s[54:55]
	v_cndmask_b32_e64 v12, v12, v45, s[34:35]
	v_add_f32_e32 v12, v11, v12
.LBB90_65:
	s_or_b64 exec, exec, s[36:37]
	v_mov_b32_e32 v11, v12
.LBB90_66:
	s_or_b64 exec, exec, s[42:43]
	s_nop 0
	v_mov_b32_dpp v12, v11 row_shr:2 row_mask:0xf bank_mask:0xf
	v_cmp_lt_u32_e64 s[34:35], 1, v10
	s_and_saveexec_b64 s[42:43], s[34:35]
	s_cbranch_execz .LBB90_70
; %bb.67:
	v_max_f32_e32 v14, v11, v11
	v_max_f32_e32 v15, v12, v12
	v_min_f32_e32 v13, v15, v14
	v_cmp_u_f32_e64 s[34:35], v12, v12
	v_max_f32_e32 v14, v15, v14
	v_cndmask_b32_e64 v13, v13, v12, s[34:35]
	v_cmp_u_f32_e64 s[36:37], v11, v11
	v_cndmask_b32_e64 v14, v14, v12, s[34:35]
	v_cndmask_b32_e64 v13, v13, v11, s[36:37]
	;; [unrolled: 1-line block ×3, first 2 shown]
	s_movk_i32 s7, 0x1f8
	v_cmp_neq_f32_e64 s[34:35], v13, v11
	v_cmp_class_f32_e64 s[36:37], v13, s7
	s_or_b64 s[34:35], s[34:35], s[36:37]
	s_and_saveexec_b64 s[36:37], s[34:35]
	s_cbranch_execz .LBB90_69
; %bb.68:
	v_sub_f32_e32 v12, v13, v11
	s_mov_b32 s7, 0x3fb8aa3b
	v_mul_f32_e32 v13, 0x3fb8aa3b, v12
	v_fma_f32 v14, v12, s7, -v13
	v_rndne_f32_e32 v15, v13
	v_fmac_f32_e32 v14, 0x32a5705f, v12
	v_sub_f32_e32 v13, v13, v15
	v_add_f32_e32 v13, v13, v14
	v_exp_f32_e32 v13, v13
	v_cvt_i32_f32_e32 v14, v15
	s_mov_b32 s7, 0xc2ce8ed0
	v_cmp_ngt_f32_e64 s[34:35], s7, v12
	s_mov_b32 s7, 0x42b17218
	v_ldexp_f32 v13, v13, v14
	v_cndmask_b32_e64 v13, 0, v13, s[34:35]
	v_mov_b32_e32 v14, 0x7f800000
	v_cmp_nlt_f32_e64 s[34:35], s7, v12
	v_cndmask_b32_e64 v45, v14, v13, s[34:35]
	v_add_f32_e32 v14, 1.0, v45
	v_add_f32_e32 v12, -1.0, v14
	v_sub_f32_e32 v13, v12, v14
	v_add_f32_e32 v13, 1.0, v13
	v_sub_f32_e32 v12, v45, v12
	v_add_f32_e32 v15, v12, v13
	v_frexp_mant_f32_e32 v16, v14
	s_mov_b32 s7, 0x3f2aaaab
	v_cvt_f64_f32_e32 v[12:13], v14
	v_frexp_exp_i32_f64_e32 v12, v[12:13]
	v_cmp_gt_f32_e64 s[34:35], s7, v16
	v_subbrev_co_u32_e64 v48, s[34:35], 0, v12, s[34:35]
	v_sub_u32_e32 v12, 0, v48
	v_ldexp_f32 v13, v14, v12
	v_add_f32_e32 v14, -1.0, v13
	v_add_f32_e32 v16, 1.0, v13
	v_ldexp_f32 v12, v15, v12
	v_add_f32_e32 v15, 1.0, v14
	v_add_f32_e32 v17, -1.0, v16
	v_sub_f32_e32 v15, v13, v15
	v_sub_f32_e32 v13, v13, v17
	v_add_f32_e32 v15, v12, v15
	v_add_f32_e32 v12, v12, v13
	;; [unrolled: 1-line block ×3, first 2 shown]
	v_rcp_f32_e32 v51, v49
	v_sub_f32_e32 v13, v16, v49
	v_add_f32_e32 v50, v12, v13
	v_add_f32_e32 v13, v14, v15
	v_mul_f32_e32 v53, v13, v51
	v_sub_f32_e32 v12, v14, v13
	v_mul_f32_e32 v14, v49, v53
	v_fma_f32 v16, v53, v49, -v14
	v_fmac_f32_e32 v16, v53, v50
	v_add_f32_e32 v52, v15, v12
	v_add_f32_e32 v12, v14, v16
	v_sub_f32_e32 v15, v13, v12
	v_pk_add_f32 v[46:47], v[12:13], v[14:15] neg_lo:[0,1] neg_hi:[0,1]
	v_mov_b32_e32 v17, v12
	v_pk_add_f32 v[12:13], v[46:47], v[16:17] neg_lo:[0,1] neg_hi:[0,1]
	v_add_f32_e32 v13, v52, v13
	v_add_f32_e32 v12, v12, v13
	;; [unrolled: 1-line block ×3, first 2 shown]
	v_mul_f32_e32 v52, v51, v13
	v_mul_f32_e32 v14, v49, v52
	v_fma_f32 v16, v52, v49, -v14
	v_fmac_f32_e32 v16, v52, v50
	v_sub_f32_e32 v15, v15, v13
	v_add_f32_e32 v49, v12, v15
	v_add_f32_e32 v12, v14, v16
	v_sub_f32_e32 v15, v13, v12
	v_pk_add_f32 v[46:47], v[12:13], v[14:15] neg_lo:[0,1] neg_hi:[0,1]
	v_mov_b32_e32 v17, v12
	v_pk_add_f32 v[12:13], v[46:47], v[16:17] neg_lo:[0,1] neg_hi:[0,1]
	v_add_f32_e32 v13, v49, v13
	v_add_f32_e32 v12, v12, v13
	;; [unrolled: 1-line block ×4, first 2 shown]
	v_sub_f32_e32 v13, v15, v53
	v_mul_f32_e32 v12, v51, v12
	v_sub_f32_e32 v13, v52, v13
	v_add_f32_e32 v12, v13, v12
	v_add_f32_e32 v16, v15, v12
	v_mul_f32_e32 v46, v16, v16
	v_mov_b32_e32 v14, 0x3ecc95a3
	v_fmac_f32_e32 v14, 0x3e9b6dac, v46
	v_mov_b32_e32 v13, 0x3f2aaada
	v_fmac_f32_e32 v13, v46, v14
	v_cvt_f32_i32_e32 v14, v48
	v_sub_f32_e32 v15, v16, v15
	v_sub_f32_e32 v12, v12, v15
	v_ldexp_f32 v47, v12, 1
	v_mul_f32_e32 v15, v16, v46
	v_mov_b32_e32 v12, 0x3f317218
	s_mov_b32 s7, 0x3f317218
	v_pk_mul_f32 v[12:13], v[14:15], v[12:13]
	v_ldexp_f32 v17, v16, 1
	v_fma_f32 v16, v14, s7, -v12
	v_fmac_f32_e32 v16, 0xb102e308, v14
	v_pk_add_f32 v[14:15], v[12:13], v[16:17]
	v_sub_f32_e32 v17, v15, v17
	v_sub_f32_e32 v17, v13, v17
	v_add_f32_e32 v47, v47, v17
	v_mov_b32_e32 v46, v12
	v_pk_add_f32 v[12:13], v[14:15], v[12:13] neg_lo:[0,1] neg_hi:[0,1]
	v_pk_add_f32 v[48:49], v[14:15], v[46:47]
	v_mov_b32_e32 v13, v49
	v_mov_b32_e32 v17, v14
	v_pk_add_f32 v[50:51], v[16:17], v[12:13] neg_lo:[0,1] neg_hi:[0,1]
	v_pk_add_f32 v[12:13], v[16:17], v[12:13]
	v_mov_b32_e32 v16, v13
	v_pk_add_f32 v[52:53], v[16:17], v[14:15] neg_lo:[0,1] neg_hi:[0,1]
	v_mov_b32_e32 v17, v52
	v_pk_add_f32 v[54:55], v[48:49], v[16:17] neg_lo:[0,1] neg_hi:[0,1]
	v_mov_b32_e32 v12, v49
	v_mov_b32_e32 v48, v15
	;; [unrolled: 1-line block ×4, first 2 shown]
	v_pk_add_f32 v[12:13], v[12:13], v[48:49] neg_lo:[0,1] neg_hi:[0,1]
	v_mov_b32_e32 v46, v47
	v_mov_b32_e32 v47, v14
	v_pk_add_f32 v[12:13], v[46:47], v[12:13] neg_lo:[0,1] neg_hi:[0,1]
	v_mov_b32_e32 v54, v50
	v_pk_add_f32 v[14:15], v[54:55], v[12:13]
	v_mov_b32_e32 v46, v15
	v_pk_add_f32 v[46:47], v[14:15], v[46:47]
	v_pk_add_f32 v[16:17], v[16:17], v[46:47]
	v_mov_b32_e32 v15, v16
	v_pk_add_f32 v[48:49], v[14:15], v[50:51] neg_lo:[0,1] neg_hi:[0,1]
	v_mov_b32_e32 v13, v46
	v_sub_f32_e32 v14, v14, v48
	v_pk_add_f32 v[12:13], v[12:13], v[48:49] neg_lo:[0,1] neg_hi:[0,1]
	v_sub_f32_e32 v14, v50, v14
	s_mov_b32 s54, 0x7f800000
	v_add_f32_e32 v12, v12, v14
	s_mov_b32 s7, 0x33800000
	v_add_f32_e32 v12, v12, v13
	v_cmp_eq_f32_e64 s[34:35], s54, v45
	v_cmp_lt_f32_e64 s[54:55], |v45|, s7
	v_add_f32_e32 v12, v16, v12
	s_or_b64 s[34:35], s[34:35], s[54:55]
	v_cndmask_b32_e64 v12, v12, v45, s[34:35]
	v_add_f32_e32 v12, v11, v12
.LBB90_69:
	s_or_b64 exec, exec, s[36:37]
	v_mov_b32_e32 v11, v12
.LBB90_70:
	s_or_b64 exec, exec, s[42:43]
	s_nop 0
	v_mov_b32_dpp v12, v11 row_shr:4 row_mask:0xf bank_mask:0xf
	v_cmp_lt_u32_e64 s[34:35], 3, v10
	s_and_saveexec_b64 s[42:43], s[34:35]
	s_cbranch_execz .LBB90_74
; %bb.71:
	v_max_f32_e32 v14, v11, v11
	v_max_f32_e32 v15, v12, v12
	v_min_f32_e32 v13, v15, v14
	v_cmp_u_f32_e64 s[34:35], v12, v12
	v_max_f32_e32 v14, v15, v14
	v_cndmask_b32_e64 v13, v13, v12, s[34:35]
	v_cmp_u_f32_e64 s[36:37], v11, v11
	v_cndmask_b32_e64 v14, v14, v12, s[34:35]
	v_cndmask_b32_e64 v13, v13, v11, s[36:37]
	;; [unrolled: 1-line block ×3, first 2 shown]
	s_movk_i32 s7, 0x1f8
	v_cmp_neq_f32_e64 s[34:35], v13, v11
	v_cmp_class_f32_e64 s[36:37], v13, s7
	s_or_b64 s[34:35], s[34:35], s[36:37]
	s_and_saveexec_b64 s[36:37], s[34:35]
	s_cbranch_execz .LBB90_73
; %bb.72:
	v_sub_f32_e32 v12, v13, v11
	s_mov_b32 s7, 0x3fb8aa3b
	v_mul_f32_e32 v13, 0x3fb8aa3b, v12
	v_fma_f32 v14, v12, s7, -v13
	v_rndne_f32_e32 v15, v13
	v_fmac_f32_e32 v14, 0x32a5705f, v12
	v_sub_f32_e32 v13, v13, v15
	v_add_f32_e32 v13, v13, v14
	v_exp_f32_e32 v13, v13
	v_cvt_i32_f32_e32 v14, v15
	s_mov_b32 s7, 0xc2ce8ed0
	v_cmp_ngt_f32_e64 s[34:35], s7, v12
	s_mov_b32 s7, 0x42b17218
	v_ldexp_f32 v13, v13, v14
	v_cndmask_b32_e64 v13, 0, v13, s[34:35]
	v_mov_b32_e32 v14, 0x7f800000
	v_cmp_nlt_f32_e64 s[34:35], s7, v12
	v_cndmask_b32_e64 v45, v14, v13, s[34:35]
	v_add_f32_e32 v14, 1.0, v45
	v_add_f32_e32 v12, -1.0, v14
	v_sub_f32_e32 v13, v12, v14
	v_add_f32_e32 v13, 1.0, v13
	v_sub_f32_e32 v12, v45, v12
	v_add_f32_e32 v15, v12, v13
	v_frexp_mant_f32_e32 v16, v14
	s_mov_b32 s7, 0x3f2aaaab
	v_cvt_f64_f32_e32 v[12:13], v14
	v_frexp_exp_i32_f64_e32 v12, v[12:13]
	v_cmp_gt_f32_e64 s[34:35], s7, v16
	v_subbrev_co_u32_e64 v48, s[34:35], 0, v12, s[34:35]
	v_sub_u32_e32 v12, 0, v48
	v_ldexp_f32 v13, v14, v12
	v_add_f32_e32 v14, -1.0, v13
	v_add_f32_e32 v16, 1.0, v13
	v_ldexp_f32 v12, v15, v12
	v_add_f32_e32 v15, 1.0, v14
	v_add_f32_e32 v17, -1.0, v16
	v_sub_f32_e32 v15, v13, v15
	v_sub_f32_e32 v13, v13, v17
	v_add_f32_e32 v15, v12, v15
	v_add_f32_e32 v12, v12, v13
	;; [unrolled: 1-line block ×3, first 2 shown]
	v_rcp_f32_e32 v51, v49
	v_sub_f32_e32 v13, v16, v49
	v_add_f32_e32 v50, v12, v13
	v_add_f32_e32 v13, v14, v15
	v_mul_f32_e32 v53, v13, v51
	v_sub_f32_e32 v12, v14, v13
	v_mul_f32_e32 v14, v49, v53
	v_fma_f32 v16, v53, v49, -v14
	v_fmac_f32_e32 v16, v53, v50
	v_add_f32_e32 v52, v15, v12
	v_add_f32_e32 v12, v14, v16
	v_sub_f32_e32 v15, v13, v12
	v_pk_add_f32 v[46:47], v[12:13], v[14:15] neg_lo:[0,1] neg_hi:[0,1]
	v_mov_b32_e32 v17, v12
	v_pk_add_f32 v[12:13], v[46:47], v[16:17] neg_lo:[0,1] neg_hi:[0,1]
	v_add_f32_e32 v13, v52, v13
	v_add_f32_e32 v12, v12, v13
	;; [unrolled: 1-line block ×3, first 2 shown]
	v_mul_f32_e32 v52, v51, v13
	v_mul_f32_e32 v14, v49, v52
	v_fma_f32 v16, v52, v49, -v14
	v_fmac_f32_e32 v16, v52, v50
	v_sub_f32_e32 v15, v15, v13
	v_add_f32_e32 v49, v12, v15
	v_add_f32_e32 v12, v14, v16
	v_sub_f32_e32 v15, v13, v12
	v_pk_add_f32 v[46:47], v[12:13], v[14:15] neg_lo:[0,1] neg_hi:[0,1]
	v_mov_b32_e32 v17, v12
	v_pk_add_f32 v[12:13], v[46:47], v[16:17] neg_lo:[0,1] neg_hi:[0,1]
	v_add_f32_e32 v13, v49, v13
	v_add_f32_e32 v12, v12, v13
	;; [unrolled: 1-line block ×4, first 2 shown]
	v_sub_f32_e32 v13, v15, v53
	v_mul_f32_e32 v12, v51, v12
	v_sub_f32_e32 v13, v52, v13
	v_add_f32_e32 v12, v13, v12
	v_add_f32_e32 v16, v15, v12
	v_mul_f32_e32 v46, v16, v16
	v_mov_b32_e32 v14, 0x3ecc95a3
	v_fmac_f32_e32 v14, 0x3e9b6dac, v46
	v_mov_b32_e32 v13, 0x3f2aaada
	v_fmac_f32_e32 v13, v46, v14
	v_cvt_f32_i32_e32 v14, v48
	v_sub_f32_e32 v15, v16, v15
	v_sub_f32_e32 v12, v12, v15
	v_ldexp_f32 v47, v12, 1
	v_mul_f32_e32 v15, v16, v46
	v_mov_b32_e32 v12, 0x3f317218
	s_mov_b32 s7, 0x3f317218
	v_pk_mul_f32 v[12:13], v[14:15], v[12:13]
	v_ldexp_f32 v17, v16, 1
	v_fma_f32 v16, v14, s7, -v12
	v_fmac_f32_e32 v16, 0xb102e308, v14
	v_pk_add_f32 v[14:15], v[12:13], v[16:17]
	v_sub_f32_e32 v17, v15, v17
	v_sub_f32_e32 v17, v13, v17
	v_add_f32_e32 v47, v47, v17
	v_mov_b32_e32 v46, v12
	v_pk_add_f32 v[12:13], v[14:15], v[12:13] neg_lo:[0,1] neg_hi:[0,1]
	v_pk_add_f32 v[48:49], v[14:15], v[46:47]
	v_mov_b32_e32 v13, v49
	v_mov_b32_e32 v17, v14
	v_pk_add_f32 v[50:51], v[16:17], v[12:13] neg_lo:[0,1] neg_hi:[0,1]
	v_pk_add_f32 v[12:13], v[16:17], v[12:13]
	v_mov_b32_e32 v16, v13
	v_pk_add_f32 v[52:53], v[16:17], v[14:15] neg_lo:[0,1] neg_hi:[0,1]
	v_mov_b32_e32 v17, v52
	v_pk_add_f32 v[54:55], v[48:49], v[16:17] neg_lo:[0,1] neg_hi:[0,1]
	v_mov_b32_e32 v12, v49
	v_mov_b32_e32 v48, v15
	;; [unrolled: 1-line block ×4, first 2 shown]
	v_pk_add_f32 v[12:13], v[12:13], v[48:49] neg_lo:[0,1] neg_hi:[0,1]
	v_mov_b32_e32 v46, v47
	v_mov_b32_e32 v47, v14
	v_pk_add_f32 v[12:13], v[46:47], v[12:13] neg_lo:[0,1] neg_hi:[0,1]
	v_mov_b32_e32 v54, v50
	v_pk_add_f32 v[14:15], v[54:55], v[12:13]
	v_mov_b32_e32 v46, v15
	v_pk_add_f32 v[46:47], v[14:15], v[46:47]
	v_pk_add_f32 v[16:17], v[16:17], v[46:47]
	v_mov_b32_e32 v15, v16
	v_pk_add_f32 v[48:49], v[14:15], v[50:51] neg_lo:[0,1] neg_hi:[0,1]
	v_mov_b32_e32 v13, v46
	v_sub_f32_e32 v14, v14, v48
	v_pk_add_f32 v[12:13], v[12:13], v[48:49] neg_lo:[0,1] neg_hi:[0,1]
	v_sub_f32_e32 v14, v50, v14
	s_mov_b32 s54, 0x7f800000
	v_add_f32_e32 v12, v12, v14
	s_mov_b32 s7, 0x33800000
	v_add_f32_e32 v12, v12, v13
	v_cmp_eq_f32_e64 s[34:35], s54, v45
	v_cmp_lt_f32_e64 s[54:55], |v45|, s7
	v_add_f32_e32 v12, v16, v12
	s_or_b64 s[34:35], s[34:35], s[54:55]
	v_cndmask_b32_e64 v12, v12, v45, s[34:35]
	v_add_f32_e32 v12, v11, v12
.LBB90_73:
	s_or_b64 exec, exec, s[36:37]
	v_mov_b32_e32 v11, v12
.LBB90_74:
	s_or_b64 exec, exec, s[42:43]
	s_nop 0
	v_mov_b32_dpp v12, v11 row_shr:8 row_mask:0xf bank_mask:0xf
	v_cmp_lt_u32_e64 s[34:35], 7, v10
	s_and_saveexec_b64 s[42:43], s[34:35]
	s_cbranch_execz .LBB90_78
; %bb.75:
	v_max_f32_e32 v10, v11, v11
	v_max_f32_e32 v14, v12, v12
	v_min_f32_e32 v13, v14, v10
	v_cmp_u_f32_e64 s[34:35], v12, v12
	v_max_f32_e32 v10, v14, v10
	v_cndmask_b32_e64 v13, v13, v12, s[34:35]
	v_cmp_u_f32_e64 s[36:37], v11, v11
	v_cndmask_b32_e64 v10, v10, v12, s[34:35]
	v_cndmask_b32_e64 v13, v13, v11, s[36:37]
	;; [unrolled: 1-line block ×3, first 2 shown]
	s_movk_i32 s7, 0x1f8
	v_cmp_neq_f32_e64 s[34:35], v13, v10
	v_cmp_class_f32_e64 s[36:37], v13, s7
	s_or_b64 s[34:35], s[34:35], s[36:37]
	s_and_saveexec_b64 s[36:37], s[34:35]
	s_cbranch_execz .LBB90_77
; %bb.76:
	v_sub_f32_e32 v11, v13, v10
	s_mov_b32 s7, 0x3fb8aa3b
	v_mul_f32_e32 v12, 0x3fb8aa3b, v11
	v_fma_f32 v13, v11, s7, -v12
	v_rndne_f32_e32 v14, v12
	v_fmac_f32_e32 v13, 0x32a5705f, v11
	v_sub_f32_e32 v12, v12, v14
	v_add_f32_e32 v12, v12, v13
	v_exp_f32_e32 v12, v12
	v_cvt_i32_f32_e32 v13, v14
	s_mov_b32 s7, 0xc2ce8ed0
	v_cmp_ngt_f32_e64 s[34:35], s7, v11
	s_mov_b32 s7, 0x42b17218
	v_ldexp_f32 v12, v12, v13
	v_cndmask_b32_e64 v12, 0, v12, s[34:35]
	v_mov_b32_e32 v13, 0x7f800000
	v_cmp_nlt_f32_e64 s[34:35], s7, v11
	v_cndmask_b32_e64 v45, v13, v12, s[34:35]
	v_add_f32_e32 v11, 1.0, v45
	v_add_f32_e32 v12, -1.0, v11
	v_sub_f32_e32 v13, v12, v11
	v_add_f32_e32 v13, 1.0, v13
	v_sub_f32_e32 v12, v45, v12
	v_add_f32_e32 v14, v12, v13
	v_frexp_mant_f32_e32 v15, v11
	s_mov_b32 s7, 0x3f2aaaab
	v_cvt_f64_f32_e32 v[12:13], v11
	v_frexp_exp_i32_f64_e32 v12, v[12:13]
	v_cmp_gt_f32_e64 s[34:35], s7, v15
	v_subbrev_co_u32_e64 v48, s[34:35], 0, v12, s[34:35]
	v_sub_u32_e32 v12, 0, v48
	v_ldexp_f32 v11, v11, v12
	v_ldexp_f32 v12, v14, v12
	v_add_f32_e32 v14, -1.0, v11
	v_add_f32_e32 v13, 1.0, v14
	v_sub_f32_e32 v13, v11, v13
	v_add_f32_e32 v15, v12, v13
	v_add_f32_e32 v13, 1.0, v11
	v_add_f32_e32 v16, -1.0, v13
	v_sub_f32_e32 v11, v11, v16
	v_add_f32_e32 v11, v12, v11
	v_add_f32_e32 v49, v13, v11
	v_rcp_f32_e32 v50, v49
	v_sub_f32_e32 v12, v13, v49
	v_add_f32_e32 v13, v14, v15
	v_add_f32_e32 v11, v11, v12
	v_mul_f32_e32 v52, v13, v50
	v_sub_f32_e32 v12, v14, v13
	v_mul_f32_e32 v14, v49, v52
	v_fma_f32 v16, v52, v49, -v14
	v_fmac_f32_e32 v16, v52, v11
	v_add_f32_e32 v51, v15, v12
	v_add_f32_e32 v12, v14, v16
	v_sub_f32_e32 v15, v13, v12
	v_pk_add_f32 v[46:47], v[12:13], v[14:15] neg_lo:[0,1] neg_hi:[0,1]
	v_mov_b32_e32 v17, v12
	v_pk_add_f32 v[12:13], v[46:47], v[16:17] neg_lo:[0,1] neg_hi:[0,1]
	v_add_f32_e32 v13, v51, v13
	v_add_f32_e32 v12, v12, v13
	;; [unrolled: 1-line block ×3, first 2 shown]
	v_mul_f32_e32 v51, v50, v13
	v_mul_f32_e32 v14, v49, v51
	v_fma_f32 v16, v51, v49, -v14
	v_fmac_f32_e32 v16, v51, v11
	v_sub_f32_e32 v11, v15, v13
	v_add_f32_e32 v11, v12, v11
	v_add_f32_e32 v12, v14, v16
	v_sub_f32_e32 v15, v13, v12
	v_pk_add_f32 v[46:47], v[12:13], v[14:15] neg_lo:[0,1] neg_hi:[0,1]
	v_mov_b32_e32 v17, v12
	v_pk_add_f32 v[12:13], v[46:47], v[16:17] neg_lo:[0,1] neg_hi:[0,1]
	v_add_f32_e32 v11, v11, v13
	v_add_f32_e32 v11, v12, v11
	;; [unrolled: 1-line block ×4, first 2 shown]
	v_sub_f32_e32 v13, v12, v52
	v_mul_f32_e32 v11, v50, v11
	v_sub_f32_e32 v13, v51, v13
	v_add_f32_e32 v11, v13, v11
	v_add_f32_e32 v15, v12, v11
	v_mul_f32_e32 v16, v15, v15
	v_mov_b32_e32 v14, 0x3ecc95a3
	v_fmac_f32_e32 v14, 0x3e9b6dac, v16
	v_mov_b32_e32 v13, 0x3f2aaada
	v_fmac_f32_e32 v13, v16, v14
	v_cvt_f32_i32_e32 v14, v48
	v_sub_f32_e32 v12, v15, v12
	v_sub_f32_e32 v11, v11, v12
	v_ldexp_f32 v17, v15, 1
	v_mul_f32_e32 v15, v15, v16
	v_mov_b32_e32 v12, 0x3f317218
	s_mov_b32 s7, 0x3f317218
	v_pk_mul_f32 v[12:13], v[14:15], v[12:13]
	v_fma_f32 v16, v14, s7, -v12
	v_fmac_f32_e32 v16, 0xb102e308, v14
	v_pk_add_f32 v[14:15], v[12:13], v[16:17]
	v_sub_f32_e32 v17, v15, v17
	v_ldexp_f32 v11, v11, 1
	v_sub_f32_e32 v17, v13, v17
	v_add_f32_e32 v47, v11, v17
	v_mov_b32_e32 v46, v12
	v_pk_add_f32 v[12:13], v[14:15], v[12:13] neg_lo:[0,1] neg_hi:[0,1]
	v_pk_add_f32 v[48:49], v[14:15], v[46:47]
	v_mov_b32_e32 v13, v49
	v_mov_b32_e32 v17, v14
	v_pk_add_f32 v[50:51], v[16:17], v[12:13] neg_lo:[0,1] neg_hi:[0,1]
	v_pk_add_f32 v[12:13], v[16:17], v[12:13]
	v_mov_b32_e32 v16, v13
	v_pk_add_f32 v[52:53], v[16:17], v[14:15] neg_lo:[0,1] neg_hi:[0,1]
	v_mov_b32_e32 v11, v52
	v_pk_add_f32 v[54:55], v[48:49], v[10:11] neg_lo:[0,1] neg_hi:[0,1]
	v_mov_b32_e32 v12, v49
	v_mov_b32_e32 v48, v15
	;; [unrolled: 1-line block ×4, first 2 shown]
	v_pk_add_f32 v[12:13], v[12:13], v[48:49] neg_lo:[0,1] neg_hi:[0,1]
	v_mov_b32_e32 v46, v47
	v_mov_b32_e32 v47, v14
	v_pk_add_f32 v[12:13], v[46:47], v[12:13] neg_lo:[0,1] neg_hi:[0,1]
	v_mov_b32_e32 v54, v50
	v_pk_add_f32 v[14:15], v[54:55], v[12:13]
	v_mov_b32_e32 v46, v15
	v_pk_add_f32 v[46:47], v[14:15], v[46:47]
	v_pk_add_f32 v[16:17], v[16:17], v[46:47]
	v_mov_b32_e32 v15, v16
	v_pk_add_f32 v[48:49], v[14:15], v[50:51] neg_lo:[0,1] neg_hi:[0,1]
	v_mov_b32_e32 v13, v46
	v_sub_f32_e32 v11, v14, v48
	v_pk_add_f32 v[12:13], v[12:13], v[48:49] neg_lo:[0,1] neg_hi:[0,1]
	v_sub_f32_e32 v11, v50, v11
	s_mov_b32 s54, 0x7f800000
	v_add_f32_e32 v11, v12, v11
	s_mov_b32 s7, 0x33800000
	v_add_f32_e32 v11, v11, v13
	v_cmp_eq_f32_e64 s[34:35], s54, v45
	v_cmp_lt_f32_e64 s[54:55], |v45|, s7
	v_add_f32_e32 v11, v16, v11
	s_or_b64 s[34:35], s[34:35], s[54:55]
	v_cndmask_b32_e64 v11, v11, v45, s[34:35]
	v_add_f32_e32 v12, v10, v11
.LBB90_77:
	s_or_b64 exec, exec, s[36:37]
	v_mov_b32_e32 v11, v12
.LBB90_78:
	s_or_b64 exec, exec, s[42:43]
	v_and_b32_e32 v10, 16, v7
	v_mov_b32_dpp v12, v11 row_bcast:15 row_mask:0xf bank_mask:0xf
	v_cmp_ne_u32_e64 s[34:35], 0, v10
	s_and_saveexec_b64 s[42:43], s[34:35]
	s_cbranch_execz .LBB90_82
; %bb.79:
	v_max_f32_e32 v10, v11, v11
	v_max_f32_e32 v14, v12, v12
	v_min_f32_e32 v13, v14, v10
	v_cmp_u_f32_e64 s[34:35], v12, v12
	v_max_f32_e32 v10, v14, v10
	v_cndmask_b32_e64 v13, v13, v12, s[34:35]
	v_cmp_u_f32_e64 s[36:37], v11, v11
	v_cndmask_b32_e64 v10, v10, v12, s[34:35]
	v_cndmask_b32_e64 v13, v13, v11, s[36:37]
	;; [unrolled: 1-line block ×3, first 2 shown]
	s_movk_i32 s7, 0x1f8
	v_cmp_neq_f32_e64 s[34:35], v13, v10
	v_cmp_class_f32_e64 s[36:37], v13, s7
	s_or_b64 s[34:35], s[34:35], s[36:37]
	s_and_saveexec_b64 s[36:37], s[34:35]
	s_cbranch_execz .LBB90_81
; %bb.80:
	v_sub_f32_e32 v11, v13, v10
	s_mov_b32 s7, 0x3fb8aa3b
	v_mul_f32_e32 v12, 0x3fb8aa3b, v11
	v_fma_f32 v13, v11, s7, -v12
	v_rndne_f32_e32 v14, v12
	v_fmac_f32_e32 v13, 0x32a5705f, v11
	v_sub_f32_e32 v12, v12, v14
	v_add_f32_e32 v12, v12, v13
	v_exp_f32_e32 v12, v12
	v_cvt_i32_f32_e32 v13, v14
	s_mov_b32 s7, 0xc2ce8ed0
	v_cmp_ngt_f32_e64 s[34:35], s7, v11
	s_mov_b32 s7, 0x42b17218
	v_ldexp_f32 v12, v12, v13
	v_cndmask_b32_e64 v12, 0, v12, s[34:35]
	v_mov_b32_e32 v13, 0x7f800000
	v_cmp_nlt_f32_e64 s[34:35], s7, v11
	v_cndmask_b32_e64 v45, v13, v12, s[34:35]
	v_add_f32_e32 v11, 1.0, v45
	v_add_f32_e32 v12, -1.0, v11
	v_sub_f32_e32 v13, v12, v11
	v_add_f32_e32 v13, 1.0, v13
	v_sub_f32_e32 v12, v45, v12
	v_add_f32_e32 v14, v12, v13
	v_frexp_mant_f32_e32 v15, v11
	s_mov_b32 s7, 0x3f2aaaab
	v_cvt_f64_f32_e32 v[12:13], v11
	v_frexp_exp_i32_f64_e32 v12, v[12:13]
	v_cmp_gt_f32_e64 s[34:35], s7, v15
	v_subbrev_co_u32_e64 v48, s[34:35], 0, v12, s[34:35]
	v_sub_u32_e32 v12, 0, v48
	v_ldexp_f32 v11, v11, v12
	v_ldexp_f32 v12, v14, v12
	v_add_f32_e32 v14, -1.0, v11
	v_add_f32_e32 v13, 1.0, v14
	v_sub_f32_e32 v13, v11, v13
	v_add_f32_e32 v15, v12, v13
	v_add_f32_e32 v13, 1.0, v11
	v_add_f32_e32 v16, -1.0, v13
	v_sub_f32_e32 v11, v11, v16
	v_add_f32_e32 v11, v12, v11
	v_add_f32_e32 v49, v13, v11
	v_rcp_f32_e32 v50, v49
	v_sub_f32_e32 v12, v13, v49
	v_add_f32_e32 v13, v14, v15
	v_add_f32_e32 v11, v11, v12
	v_mul_f32_e32 v52, v13, v50
	v_sub_f32_e32 v12, v14, v13
	v_mul_f32_e32 v14, v49, v52
	v_fma_f32 v16, v52, v49, -v14
	v_fmac_f32_e32 v16, v52, v11
	v_add_f32_e32 v51, v15, v12
	v_add_f32_e32 v12, v14, v16
	v_sub_f32_e32 v15, v13, v12
	v_pk_add_f32 v[46:47], v[12:13], v[14:15] neg_lo:[0,1] neg_hi:[0,1]
	v_mov_b32_e32 v17, v12
	v_pk_add_f32 v[12:13], v[46:47], v[16:17] neg_lo:[0,1] neg_hi:[0,1]
	v_add_f32_e32 v13, v51, v13
	v_add_f32_e32 v12, v12, v13
	;; [unrolled: 1-line block ×3, first 2 shown]
	v_mul_f32_e32 v51, v50, v13
	v_mul_f32_e32 v14, v49, v51
	v_fma_f32 v16, v51, v49, -v14
	v_fmac_f32_e32 v16, v51, v11
	v_sub_f32_e32 v11, v15, v13
	v_add_f32_e32 v11, v12, v11
	v_add_f32_e32 v12, v14, v16
	v_sub_f32_e32 v15, v13, v12
	v_pk_add_f32 v[46:47], v[12:13], v[14:15] neg_lo:[0,1] neg_hi:[0,1]
	v_mov_b32_e32 v17, v12
	v_pk_add_f32 v[12:13], v[46:47], v[16:17] neg_lo:[0,1] neg_hi:[0,1]
	v_add_f32_e32 v11, v11, v13
	v_add_f32_e32 v11, v12, v11
	;; [unrolled: 1-line block ×4, first 2 shown]
	v_sub_f32_e32 v13, v12, v52
	v_mul_f32_e32 v11, v50, v11
	v_sub_f32_e32 v13, v51, v13
	v_add_f32_e32 v11, v13, v11
	v_add_f32_e32 v15, v12, v11
	v_mul_f32_e32 v16, v15, v15
	v_mov_b32_e32 v14, 0x3ecc95a3
	v_fmac_f32_e32 v14, 0x3e9b6dac, v16
	v_mov_b32_e32 v13, 0x3f2aaada
	v_fmac_f32_e32 v13, v16, v14
	v_cvt_f32_i32_e32 v14, v48
	v_sub_f32_e32 v12, v15, v12
	v_sub_f32_e32 v11, v11, v12
	v_ldexp_f32 v17, v15, 1
	v_mul_f32_e32 v15, v15, v16
	v_mov_b32_e32 v12, 0x3f317218
	s_mov_b32 s7, 0x3f317218
	v_pk_mul_f32 v[12:13], v[14:15], v[12:13]
	v_fma_f32 v16, v14, s7, -v12
	v_fmac_f32_e32 v16, 0xb102e308, v14
	v_pk_add_f32 v[14:15], v[12:13], v[16:17]
	v_sub_f32_e32 v17, v15, v17
	v_ldexp_f32 v11, v11, 1
	v_sub_f32_e32 v17, v13, v17
	v_add_f32_e32 v47, v11, v17
	v_mov_b32_e32 v46, v12
	v_pk_add_f32 v[12:13], v[14:15], v[12:13] neg_lo:[0,1] neg_hi:[0,1]
	v_pk_add_f32 v[48:49], v[14:15], v[46:47]
	v_mov_b32_e32 v13, v49
	v_mov_b32_e32 v17, v14
	v_pk_add_f32 v[50:51], v[16:17], v[12:13] neg_lo:[0,1] neg_hi:[0,1]
	v_pk_add_f32 v[12:13], v[16:17], v[12:13]
	v_mov_b32_e32 v16, v13
	v_pk_add_f32 v[52:53], v[16:17], v[14:15] neg_lo:[0,1] neg_hi:[0,1]
	v_mov_b32_e32 v11, v52
	v_pk_add_f32 v[54:55], v[48:49], v[10:11] neg_lo:[0,1] neg_hi:[0,1]
	v_mov_b32_e32 v12, v49
	v_mov_b32_e32 v48, v15
	;; [unrolled: 1-line block ×4, first 2 shown]
	v_pk_add_f32 v[12:13], v[12:13], v[48:49] neg_lo:[0,1] neg_hi:[0,1]
	v_mov_b32_e32 v46, v47
	v_mov_b32_e32 v47, v14
	v_pk_add_f32 v[12:13], v[46:47], v[12:13] neg_lo:[0,1] neg_hi:[0,1]
	v_mov_b32_e32 v54, v50
	v_pk_add_f32 v[14:15], v[54:55], v[12:13]
	v_mov_b32_e32 v46, v15
	v_pk_add_f32 v[46:47], v[14:15], v[46:47]
	v_pk_add_f32 v[16:17], v[16:17], v[46:47]
	v_mov_b32_e32 v15, v16
	v_pk_add_f32 v[48:49], v[14:15], v[50:51] neg_lo:[0,1] neg_hi:[0,1]
	v_mov_b32_e32 v13, v46
	v_sub_f32_e32 v11, v14, v48
	v_pk_add_f32 v[12:13], v[12:13], v[48:49] neg_lo:[0,1] neg_hi:[0,1]
	v_sub_f32_e32 v11, v50, v11
	s_mov_b32 s54, 0x7f800000
	v_add_f32_e32 v11, v12, v11
	s_mov_b32 s7, 0x33800000
	v_add_f32_e32 v11, v11, v13
	v_cmp_eq_f32_e64 s[34:35], s54, v45
	v_cmp_lt_f32_e64 s[54:55], |v45|, s7
	v_add_f32_e32 v11, v16, v11
	s_or_b64 s[34:35], s[34:35], s[54:55]
	v_cndmask_b32_e64 v11, v11, v45, s[34:35]
	v_add_f32_e32 v12, v10, v11
.LBB90_81:
	s_or_b64 exec, exec, s[36:37]
	v_mov_b32_e32 v11, v12
.LBB90_82:
	s_or_b64 exec, exec, s[42:43]
	s_nop 0
	v_mov_b32_dpp v12, v11 row_bcast:31 row_mask:0xf bank_mask:0xf
	v_cmp_lt_u32_e64 s[34:35], 31, v7
	s_and_saveexec_b64 s[42:43], s[34:35]
	s_cbranch_execz .LBB90_86
; %bb.83:
	v_max_f32_e32 v10, v11, v11
	v_max_f32_e32 v14, v12, v12
	v_min_f32_e32 v13, v14, v10
	v_cmp_u_f32_e64 s[34:35], v12, v12
	v_max_f32_e32 v10, v14, v10
	v_cndmask_b32_e64 v13, v13, v12, s[34:35]
	v_cmp_u_f32_e64 s[36:37], v11, v11
	v_cndmask_b32_e64 v10, v10, v12, s[34:35]
	v_cndmask_b32_e64 v13, v13, v11, s[36:37]
	;; [unrolled: 1-line block ×3, first 2 shown]
	s_movk_i32 s7, 0x1f8
	v_cmp_neq_f32_e64 s[34:35], v13, v10
	v_cmp_class_f32_e64 s[36:37], v13, s7
	s_or_b64 s[34:35], s[34:35], s[36:37]
	s_and_saveexec_b64 s[36:37], s[34:35]
	s_cbranch_execz .LBB90_85
; %bb.84:
	v_sub_f32_e32 v11, v13, v10
	s_mov_b32 s7, 0x3fb8aa3b
	v_mul_f32_e32 v12, 0x3fb8aa3b, v11
	v_fma_f32 v13, v11, s7, -v12
	v_rndne_f32_e32 v14, v12
	v_fmac_f32_e32 v13, 0x32a5705f, v11
	v_sub_f32_e32 v12, v12, v14
	v_add_f32_e32 v12, v12, v13
	v_exp_f32_e32 v12, v12
	v_cvt_i32_f32_e32 v13, v14
	s_mov_b32 s7, 0xc2ce8ed0
	v_cmp_ngt_f32_e64 s[34:35], s7, v11
	s_mov_b32 s7, 0x42b17218
	v_ldexp_f32 v12, v12, v13
	v_cndmask_b32_e64 v12, 0, v12, s[34:35]
	v_mov_b32_e32 v13, 0x7f800000
	v_cmp_nlt_f32_e64 s[34:35], s7, v11
	v_cndmask_b32_e64 v45, v13, v12, s[34:35]
	v_add_f32_e32 v11, 1.0, v45
	v_add_f32_e32 v12, -1.0, v11
	v_sub_f32_e32 v13, v12, v11
	v_add_f32_e32 v13, 1.0, v13
	v_sub_f32_e32 v12, v45, v12
	v_add_f32_e32 v14, v12, v13
	v_frexp_mant_f32_e32 v15, v11
	s_mov_b32 s7, 0x3f2aaaab
	v_cvt_f64_f32_e32 v[12:13], v11
	v_frexp_exp_i32_f64_e32 v12, v[12:13]
	v_cmp_gt_f32_e64 s[34:35], s7, v15
	v_subbrev_co_u32_e64 v48, s[34:35], 0, v12, s[34:35]
	v_sub_u32_e32 v12, 0, v48
	v_ldexp_f32 v11, v11, v12
	v_ldexp_f32 v12, v14, v12
	v_add_f32_e32 v14, -1.0, v11
	v_add_f32_e32 v13, 1.0, v14
	v_sub_f32_e32 v13, v11, v13
	v_add_f32_e32 v15, v12, v13
	v_add_f32_e32 v13, 1.0, v11
	v_add_f32_e32 v16, -1.0, v13
	v_sub_f32_e32 v11, v11, v16
	v_add_f32_e32 v11, v12, v11
	v_add_f32_e32 v49, v13, v11
	v_rcp_f32_e32 v50, v49
	v_sub_f32_e32 v12, v13, v49
	v_add_f32_e32 v13, v14, v15
	v_add_f32_e32 v11, v11, v12
	v_mul_f32_e32 v52, v13, v50
	v_sub_f32_e32 v12, v14, v13
	v_mul_f32_e32 v14, v49, v52
	v_fma_f32 v16, v52, v49, -v14
	v_fmac_f32_e32 v16, v52, v11
	v_add_f32_e32 v51, v15, v12
	v_add_f32_e32 v12, v14, v16
	v_sub_f32_e32 v15, v13, v12
	v_pk_add_f32 v[46:47], v[12:13], v[14:15] neg_lo:[0,1] neg_hi:[0,1]
	v_mov_b32_e32 v17, v12
	v_pk_add_f32 v[12:13], v[46:47], v[16:17] neg_lo:[0,1] neg_hi:[0,1]
	v_add_f32_e32 v13, v51, v13
	v_add_f32_e32 v12, v12, v13
	;; [unrolled: 1-line block ×3, first 2 shown]
	v_mul_f32_e32 v51, v50, v13
	v_mul_f32_e32 v14, v49, v51
	v_fma_f32 v16, v51, v49, -v14
	v_fmac_f32_e32 v16, v51, v11
	v_sub_f32_e32 v11, v15, v13
	v_add_f32_e32 v11, v12, v11
	v_add_f32_e32 v12, v14, v16
	v_sub_f32_e32 v15, v13, v12
	v_pk_add_f32 v[46:47], v[12:13], v[14:15] neg_lo:[0,1] neg_hi:[0,1]
	v_mov_b32_e32 v17, v12
	v_pk_add_f32 v[12:13], v[46:47], v[16:17] neg_lo:[0,1] neg_hi:[0,1]
	v_add_f32_e32 v11, v11, v13
	v_add_f32_e32 v11, v12, v11
	;; [unrolled: 1-line block ×4, first 2 shown]
	v_sub_f32_e32 v13, v12, v52
	v_mul_f32_e32 v11, v50, v11
	v_sub_f32_e32 v13, v51, v13
	v_add_f32_e32 v11, v13, v11
	v_add_f32_e32 v15, v12, v11
	v_mul_f32_e32 v16, v15, v15
	v_mov_b32_e32 v14, 0x3ecc95a3
	v_fmac_f32_e32 v14, 0x3e9b6dac, v16
	v_mov_b32_e32 v13, 0x3f2aaada
	v_fmac_f32_e32 v13, v16, v14
	v_cvt_f32_i32_e32 v14, v48
	v_sub_f32_e32 v12, v15, v12
	v_sub_f32_e32 v11, v11, v12
	v_ldexp_f32 v17, v15, 1
	v_mul_f32_e32 v15, v15, v16
	v_mov_b32_e32 v12, 0x3f317218
	s_mov_b32 s7, 0x3f317218
	v_pk_mul_f32 v[12:13], v[14:15], v[12:13]
	v_fma_f32 v16, v14, s7, -v12
	v_fmac_f32_e32 v16, 0xb102e308, v14
	v_pk_add_f32 v[14:15], v[12:13], v[16:17]
	v_sub_f32_e32 v17, v15, v17
	v_ldexp_f32 v11, v11, 1
	v_sub_f32_e32 v17, v13, v17
	v_add_f32_e32 v47, v11, v17
	v_mov_b32_e32 v46, v12
	v_pk_add_f32 v[12:13], v[14:15], v[12:13] neg_lo:[0,1] neg_hi:[0,1]
	v_pk_add_f32 v[48:49], v[14:15], v[46:47]
	v_mov_b32_e32 v13, v49
	v_mov_b32_e32 v17, v14
	v_pk_add_f32 v[50:51], v[16:17], v[12:13] neg_lo:[0,1] neg_hi:[0,1]
	v_pk_add_f32 v[12:13], v[16:17], v[12:13]
	v_mov_b32_e32 v16, v13
	v_pk_add_f32 v[52:53], v[16:17], v[14:15] neg_lo:[0,1] neg_hi:[0,1]
	v_mov_b32_e32 v11, v52
	v_pk_add_f32 v[54:55], v[48:49], v[10:11] neg_lo:[0,1] neg_hi:[0,1]
	v_mov_b32_e32 v12, v49
	v_mov_b32_e32 v48, v15
	;; [unrolled: 1-line block ×4, first 2 shown]
	v_pk_add_f32 v[12:13], v[12:13], v[48:49] neg_lo:[0,1] neg_hi:[0,1]
	v_mov_b32_e32 v46, v47
	v_mov_b32_e32 v47, v14
	v_pk_add_f32 v[12:13], v[46:47], v[12:13] neg_lo:[0,1] neg_hi:[0,1]
	v_mov_b32_e32 v54, v50
	v_pk_add_f32 v[14:15], v[54:55], v[12:13]
	v_mov_b32_e32 v46, v15
	v_pk_add_f32 v[46:47], v[14:15], v[46:47]
	v_pk_add_f32 v[16:17], v[16:17], v[46:47]
	v_mov_b32_e32 v15, v16
	v_pk_add_f32 v[48:49], v[14:15], v[50:51] neg_lo:[0,1] neg_hi:[0,1]
	v_mov_b32_e32 v13, v46
	v_sub_f32_e32 v11, v14, v48
	v_pk_add_f32 v[12:13], v[12:13], v[48:49] neg_lo:[0,1] neg_hi:[0,1]
	v_sub_f32_e32 v11, v50, v11
	s_mov_b32 s54, 0x7f800000
	v_add_f32_e32 v11, v12, v11
	s_mov_b32 s7, 0x33800000
	v_add_f32_e32 v11, v11, v13
	v_cmp_eq_f32_e64 s[34:35], s54, v45
	v_cmp_lt_f32_e64 s[54:55], |v45|, s7
	v_add_f32_e32 v11, v16, v11
	s_or_b64 s[34:35], s[34:35], s[54:55]
	v_cndmask_b32_e64 v11, v11, v45, s[34:35]
	v_add_f32_e32 v12, v10, v11
.LBB90_85:
	s_or_b64 exec, exec, s[36:37]
	v_mov_b32_e32 v11, v12
.LBB90_86:
	s_or_b64 exec, exec, s[42:43]
	v_add_u32_e32 v10, -1, v7
	v_and_b32_e32 v12, 64, v7
	v_cmp_lt_i32_e64 s[34:35], v10, v12
	v_cndmask_b32_e64 v7, v10, v7, s[34:35]
	v_lshlrev_b32_e32 v7, 2, v7
	ds_bpermute_b32 v7, v7, v11
	s_movk_i32 s7, 0x1f8
	s_waitcnt lgkmcnt(0)
	v_max_f32_e32 v10, v7, v7
	v_min_f32_e32 v11, v10, v9
	v_max_f32_e32 v10, v10, v9
	v_cmp_u_f32_e64 s[34:35], v7, v7
	v_cndmask_b32_e64 v9, v11, v7, s[34:35]
	v_cndmask_b32_e64 v10, v10, v7, s[34:35]
	;; [unrolled: 1-line block ×4, first 2 shown]
	v_cmp_neq_f32_e64 s[30:31], v9, v6
	v_cmp_class_f32_e64 s[34:35], v9, s7
	s_or_b64 s[30:31], s[30:31], s[34:35]
	s_and_saveexec_b64 s[34:35], s[30:31]
	s_cbranch_execz .LBB90_88
; %bb.87:
	v_sub_f32_e32 v7, v9, v6
	s_mov_b32 s30, 0x3fb8aa3b
	v_mul_f32_e32 v9, 0x3fb8aa3b, v7
	v_fma_f32 v10, v7, s30, -v9
	v_rndne_f32_e32 v11, v9
	v_fmac_f32_e32 v10, 0x32a5705f, v7
	v_sub_f32_e32 v9, v9, v11
	v_add_f32_e32 v9, v9, v10
	v_exp_f32_e32 v9, v9
	v_cvt_i32_f32_e32 v10, v11
	s_mov_b32 s30, 0xc2ce8ed0
	v_cmp_ngt_f32_e64 s[30:31], s30, v7
	s_mov_b32 s36, 0x7f800000
	v_ldexp_f32 v9, v9, v10
	v_cndmask_b32_e64 v9, 0, v9, s[30:31]
	s_mov_b32 s30, 0x42b17218
	v_mov_b32_e32 v10, 0x7f800000
	v_cmp_nlt_f32_e64 s[30:31], s30, v7
	v_cndmask_b32_e64 v9, v10, v9, s[30:31]
	v_add_f32_e32 v7, 1.0, v9
	v_add_f32_e32 v10, -1.0, v7
	v_sub_f32_e32 v11, v10, v7
	v_add_f32_e32 v11, 1.0, v11
	v_sub_f32_e32 v10, v9, v10
	v_add_f32_e32 v12, v10, v11
	v_frexp_mant_f32_e32 v13, v7
	s_mov_b32 s30, 0x3f2aaaab
	v_cvt_f64_f32_e32 v[10:11], v7
	v_frexp_exp_i32_f64_e32 v10, v[10:11]
	v_cmp_gt_f32_e64 s[30:31], s30, v13
	v_subbrev_co_u32_e64 v45, s[30:31], 0, v10, s[30:31]
	v_sub_u32_e32 v10, 0, v45
	v_ldexp_f32 v7, v7, v10
	v_ldexp_f32 v10, v12, v10
	v_add_f32_e32 v12, -1.0, v7
	v_add_f32_e32 v11, 1.0, v12
	v_sub_f32_e32 v11, v7, v11
	v_add_f32_e32 v13, v10, v11
	v_add_f32_e32 v11, 1.0, v7
	v_add_f32_e32 v14, -1.0, v11
	v_sub_f32_e32 v7, v7, v14
	v_add_f32_e32 v7, v10, v7
	v_add_f32_e32 v46, v11, v7
	v_rcp_f32_e32 v47, v46
	v_sub_f32_e32 v10, v11, v46
	v_add_f32_e32 v11, v12, v13
	v_add_f32_e32 v7, v7, v10
	v_mul_f32_e32 v49, v11, v47
	v_sub_f32_e32 v10, v12, v11
	v_mul_f32_e32 v12, v46, v49
	v_fma_f32 v14, v49, v46, -v12
	v_fmac_f32_e32 v14, v49, v7
	v_add_f32_e32 v48, v13, v10
	v_add_f32_e32 v10, v12, v14
	v_sub_f32_e32 v13, v11, v10
	v_pk_add_f32 v[16:17], v[10:11], v[12:13] neg_lo:[0,1] neg_hi:[0,1]
	v_mov_b32_e32 v15, v10
	v_pk_add_f32 v[10:11], v[16:17], v[14:15] neg_lo:[0,1] neg_hi:[0,1]
	v_add_f32_e32 v11, v48, v11
	v_add_f32_e32 v10, v10, v11
	;; [unrolled: 1-line block ×3, first 2 shown]
	v_mul_f32_e32 v48, v47, v11
	v_mul_f32_e32 v12, v46, v48
	v_fma_f32 v14, v48, v46, -v12
	v_fmac_f32_e32 v14, v48, v7
	v_sub_f32_e32 v7, v13, v11
	v_add_f32_e32 v7, v10, v7
	v_add_f32_e32 v10, v12, v14
	v_sub_f32_e32 v13, v11, v10
	v_pk_add_f32 v[16:17], v[10:11], v[12:13] neg_lo:[0,1] neg_hi:[0,1]
	v_mov_b32_e32 v15, v10
	v_pk_add_f32 v[10:11], v[16:17], v[14:15] neg_lo:[0,1] neg_hi:[0,1]
	v_add_f32_e32 v7, v7, v11
	v_add_f32_e32 v7, v10, v7
	;; [unrolled: 1-line block ×4, first 2 shown]
	v_sub_f32_e32 v11, v10, v49
	v_mul_f32_e32 v7, v47, v7
	v_sub_f32_e32 v11, v48, v11
	v_add_f32_e32 v7, v11, v7
	v_add_f32_e32 v13, v10, v7
	v_mul_f32_e32 v14, v13, v13
	v_mov_b32_e32 v12, 0x3ecc95a3
	v_fmac_f32_e32 v12, 0x3e9b6dac, v14
	v_mov_b32_e32 v11, 0x3f2aaada
	v_fmac_f32_e32 v11, v14, v12
	v_cvt_f32_i32_e32 v12, v45
	v_sub_f32_e32 v10, v13, v10
	v_sub_f32_e32 v7, v7, v10
	v_ldexp_f32 v15, v13, 1
	v_mul_f32_e32 v13, v13, v14
	v_mov_b32_e32 v10, 0x3f317218
	s_mov_b32 s30, 0x3f317218
	v_pk_mul_f32 v[10:11], v[12:13], v[10:11]
	v_fma_f32 v14, v12, s30, -v10
	v_fmac_f32_e32 v14, 0xb102e308, v12
	v_pk_add_f32 v[12:13], v[10:11], v[14:15]
	v_sub_f32_e32 v15, v13, v15
	v_ldexp_f32 v7, v7, 1
	v_sub_f32_e32 v15, v11, v15
	v_add_f32_e32 v17, v7, v15
	v_mov_b32_e32 v16, v10
	v_pk_add_f32 v[10:11], v[12:13], v[10:11] neg_lo:[0,1] neg_hi:[0,1]
	v_pk_add_f32 v[46:47], v[12:13], v[16:17]
	v_mov_b32_e32 v11, v47
	v_mov_b32_e32 v15, v12
	v_pk_add_f32 v[48:49], v[14:15], v[10:11] neg_lo:[0,1] neg_hi:[0,1]
	v_pk_add_f32 v[10:11], v[14:15], v[10:11]
	v_mov_b32_e32 v14, v11
	v_pk_add_f32 v[50:51], v[14:15], v[12:13] neg_lo:[0,1] neg_hi:[0,1]
	v_mov_b32_e32 v7, v50
	v_pk_add_f32 v[52:53], v[46:47], v[6:7] neg_lo:[0,1] neg_hi:[0,1]
	v_mov_b32_e32 v10, v47
	v_mov_b32_e32 v46, v13
	;; [unrolled: 1-line block ×4, first 2 shown]
	v_pk_add_f32 v[10:11], v[10:11], v[46:47] neg_lo:[0,1] neg_hi:[0,1]
	v_mov_b32_e32 v16, v17
	v_mov_b32_e32 v17, v12
	v_pk_add_f32 v[10:11], v[16:17], v[10:11] neg_lo:[0,1] neg_hi:[0,1]
	v_mov_b32_e32 v52, v48
	v_pk_add_f32 v[12:13], v[52:53], v[10:11]
	v_mov_b32_e32 v16, v13
	v_pk_add_f32 v[16:17], v[12:13], v[16:17]
	v_pk_add_f32 v[14:15], v[14:15], v[16:17]
	v_mov_b32_e32 v13, v14
	v_pk_add_f32 v[46:47], v[12:13], v[48:49] neg_lo:[0,1] neg_hi:[0,1]
	v_mov_b32_e32 v11, v16
	v_sub_f32_e32 v7, v12, v46
	v_pk_add_f32 v[10:11], v[10:11], v[46:47] neg_lo:[0,1] neg_hi:[0,1]
	v_sub_f32_e32 v7, v48, v7
	v_add_f32_e32 v7, v10, v7
	v_cmp_eq_f32_e64 s[30:31], s36, v9
	s_mov_b32 s36, 0x33800000
	v_add_f32_e32 v7, v7, v11
	v_cmp_lt_f32_e64 s[36:37], |v9|, s36
	v_add_f32_e32 v7, v14, v7
	s_or_b64 s[30:31], s[30:31], s[36:37]
	v_cndmask_b32_e64 v7, v7, v9, s[30:31]
	v_add_f32_e32 v7, v6, v7
.LBB90_88:
	s_or_b64 exec, exec, s[34:35]
	v_cmp_eq_u32_e64 s[30:31], 0, v0
	v_cndmask_b32_e64 v7, v7, v44, s[30:31]
	; wave barrier
	ds_write_b32 v8, v7
	; wave barrier
	ds_read_b32 v6, v8 offset:4
	v_max_f32_e32 v10, v7, v7
	v_cmp_u_f32_e64 s[30:31], v7, v7
	s_waitcnt lgkmcnt(0)
	v_max_f32_e32 v11, v6, v6
	v_min_f32_e32 v9, v10, v11
	v_max_f32_e32 v10, v10, v11
	v_cndmask_b32_e64 v9, v9, v7, s[30:31]
	v_cmp_u_f32_e64 s[34:35], v6, v6
	v_cndmask_b32_e64 v10, v10, v7, s[30:31]
	v_cndmask_b32_e64 v9, v9, v6, s[34:35]
	;; [unrolled: 1-line block ×3, first 2 shown]
	v_cmp_neq_f32_e64 s[30:31], v9, v6
	v_cmp_class_f32_e64 s[34:35], v9, s7
	s_or_b64 s[30:31], s[30:31], s[34:35]
	s_and_saveexec_b64 s[34:35], s[30:31]
	s_cbranch_execz .LBB90_90
; %bb.89:
	v_sub_f32_e32 v7, v9, v6
	s_mov_b32 s7, 0x3fb8aa3b
	v_mul_f32_e32 v9, 0x3fb8aa3b, v7
	v_fma_f32 v10, v7, s7, -v9
	v_rndne_f32_e32 v11, v9
	v_fmac_f32_e32 v10, 0x32a5705f, v7
	v_sub_f32_e32 v9, v9, v11
	v_add_f32_e32 v9, v9, v10
	v_exp_f32_e32 v9, v9
	v_cvt_i32_f32_e32 v10, v11
	s_mov_b32 s7, 0xc2ce8ed0
	v_cmp_ngt_f32_e64 s[30:31], s7, v7
	s_mov_b32 s7, 0x42b17218
	v_ldexp_f32 v9, v9, v10
	v_cndmask_b32_e64 v9, 0, v9, s[30:31]
	v_mov_b32_e32 v10, 0x7f800000
	v_cmp_nlt_f32_e64 s[30:31], s7, v7
	v_cndmask_b32_e64 v9, v10, v9, s[30:31]
	v_add_f32_e32 v7, 1.0, v9
	v_add_f32_e32 v10, -1.0, v7
	v_sub_f32_e32 v11, v10, v7
	v_add_f32_e32 v11, 1.0, v11
	v_sub_f32_e32 v10, v9, v10
	v_add_f32_e32 v12, v10, v11
	v_frexp_mant_f32_e32 v13, v7
	s_mov_b32 s7, 0x3f2aaaab
	v_cvt_f64_f32_e32 v[10:11], v7
	v_frexp_exp_i32_f64_e32 v10, v[10:11]
	v_cmp_gt_f32_e64 s[30:31], s7, v13
	v_subbrev_co_u32_e64 v45, s[30:31], 0, v10, s[30:31]
	v_sub_u32_e32 v10, 0, v45
	v_ldexp_f32 v7, v7, v10
	v_ldexp_f32 v10, v12, v10
	v_add_f32_e32 v12, -1.0, v7
	v_add_f32_e32 v11, 1.0, v12
	v_sub_f32_e32 v11, v7, v11
	v_add_f32_e32 v13, v10, v11
	v_add_f32_e32 v11, 1.0, v7
	v_add_f32_e32 v14, -1.0, v11
	v_sub_f32_e32 v7, v7, v14
	v_add_f32_e32 v7, v10, v7
	v_add_f32_e32 v46, v11, v7
	v_rcp_f32_e32 v47, v46
	v_sub_f32_e32 v10, v11, v46
	v_add_f32_e32 v11, v12, v13
	v_add_f32_e32 v7, v7, v10
	v_mul_f32_e32 v49, v11, v47
	v_sub_f32_e32 v10, v12, v11
	v_mul_f32_e32 v12, v46, v49
	v_fma_f32 v14, v49, v46, -v12
	v_fmac_f32_e32 v14, v49, v7
	v_add_f32_e32 v48, v13, v10
	v_add_f32_e32 v10, v12, v14
	v_sub_f32_e32 v13, v11, v10
	v_pk_add_f32 v[16:17], v[10:11], v[12:13] neg_lo:[0,1] neg_hi:[0,1]
	v_mov_b32_e32 v15, v10
	v_pk_add_f32 v[10:11], v[16:17], v[14:15] neg_lo:[0,1] neg_hi:[0,1]
	v_add_f32_e32 v11, v48, v11
	v_add_f32_e32 v10, v10, v11
	;; [unrolled: 1-line block ×3, first 2 shown]
	v_mul_f32_e32 v48, v47, v11
	v_mul_f32_e32 v12, v46, v48
	v_fma_f32 v14, v48, v46, -v12
	v_fmac_f32_e32 v14, v48, v7
	v_sub_f32_e32 v7, v13, v11
	v_add_f32_e32 v7, v10, v7
	v_add_f32_e32 v10, v12, v14
	v_sub_f32_e32 v13, v11, v10
	v_pk_add_f32 v[16:17], v[10:11], v[12:13] neg_lo:[0,1] neg_hi:[0,1]
	v_mov_b32_e32 v15, v10
	v_pk_add_f32 v[10:11], v[16:17], v[14:15] neg_lo:[0,1] neg_hi:[0,1]
	v_add_f32_e32 v7, v7, v11
	v_add_f32_e32 v7, v10, v7
	;; [unrolled: 1-line block ×4, first 2 shown]
	v_sub_f32_e32 v11, v10, v49
	v_mul_f32_e32 v7, v47, v7
	v_sub_f32_e32 v11, v48, v11
	v_add_f32_e32 v7, v11, v7
	v_add_f32_e32 v13, v10, v7
	v_mul_f32_e32 v14, v13, v13
	v_mov_b32_e32 v12, 0x3ecc95a3
	v_fmac_f32_e32 v12, 0x3e9b6dac, v14
	v_mov_b32_e32 v11, 0x3f2aaada
	v_fmac_f32_e32 v11, v14, v12
	v_cvt_f32_i32_e32 v12, v45
	v_sub_f32_e32 v10, v13, v10
	v_sub_f32_e32 v7, v7, v10
	v_ldexp_f32 v15, v13, 1
	v_mul_f32_e32 v13, v13, v14
	v_mov_b32_e32 v10, 0x3f317218
	s_mov_b32 s7, 0x3f317218
	v_pk_mul_f32 v[10:11], v[12:13], v[10:11]
	v_fma_f32 v14, v12, s7, -v10
	v_fmac_f32_e32 v14, 0xb102e308, v12
	v_pk_add_f32 v[12:13], v[10:11], v[14:15]
	v_sub_f32_e32 v15, v13, v15
	v_ldexp_f32 v7, v7, 1
	v_sub_f32_e32 v15, v11, v15
	v_add_f32_e32 v17, v7, v15
	v_mov_b32_e32 v16, v10
	v_pk_add_f32 v[10:11], v[12:13], v[10:11] neg_lo:[0,1] neg_hi:[0,1]
	v_pk_add_f32 v[46:47], v[12:13], v[16:17]
	v_mov_b32_e32 v11, v47
	v_mov_b32_e32 v15, v12
	v_pk_add_f32 v[48:49], v[14:15], v[10:11] neg_lo:[0,1] neg_hi:[0,1]
	v_pk_add_f32 v[10:11], v[14:15], v[10:11]
	v_mov_b32_e32 v14, v11
	v_pk_add_f32 v[50:51], v[14:15], v[12:13] neg_lo:[0,1] neg_hi:[0,1]
	v_mov_b32_e32 v7, v50
	v_pk_add_f32 v[52:53], v[46:47], v[6:7] neg_lo:[0,1] neg_hi:[0,1]
	v_mov_b32_e32 v10, v47
	v_mov_b32_e32 v46, v13
	;; [unrolled: 1-line block ×4, first 2 shown]
	v_pk_add_f32 v[10:11], v[10:11], v[46:47] neg_lo:[0,1] neg_hi:[0,1]
	v_mov_b32_e32 v16, v17
	v_mov_b32_e32 v17, v12
	v_pk_add_f32 v[10:11], v[16:17], v[10:11] neg_lo:[0,1] neg_hi:[0,1]
	v_mov_b32_e32 v52, v48
	v_pk_add_f32 v[12:13], v[52:53], v[10:11]
	v_mov_b32_e32 v16, v13
	v_pk_add_f32 v[16:17], v[12:13], v[16:17]
	v_pk_add_f32 v[14:15], v[14:15], v[16:17]
	v_mov_b32_e32 v13, v14
	v_pk_add_f32 v[46:47], v[12:13], v[48:49] neg_lo:[0,1] neg_hi:[0,1]
	v_mov_b32_e32 v11, v16
	v_sub_f32_e32 v7, v12, v46
	v_pk_add_f32 v[10:11], v[10:11], v[46:47] neg_lo:[0,1] neg_hi:[0,1]
	v_sub_f32_e32 v7, v48, v7
	s_mov_b32 s36, 0x7f800000
	v_add_f32_e32 v7, v10, v7
	s_mov_b32 s7, 0x33800000
	v_add_f32_e32 v7, v7, v11
	v_cmp_eq_f32_e64 s[30:31], s36, v9
	v_cmp_lt_f32_e64 s[36:37], |v9|, s7
	v_add_f32_e32 v7, v14, v7
	s_or_b64 s[30:31], s[30:31], s[36:37]
	v_cndmask_b32_e64 v7, v7, v9, s[30:31]
	v_add_f32_e32 v7, v6, v7
.LBB90_90:
	s_or_b64 exec, exec, s[34:35]
	ds_write_b32 v8, v7 offset:4
.LBB90_91:
	s_or_b64 exec, exec, s[40:41]
	v_cmp_eq_u32_e64 s[34:35], 0, v0
	v_cmp_ne_u32_e64 s[30:31], 0, v0
	s_waitcnt lgkmcnt(0)
	s_barrier
	s_and_saveexec_b64 s[36:37], s[30:31]
	s_cbranch_execz .LBB90_93
; %bb.92:
	v_add_u32_e32 v6, -1, v0
	v_lshrrev_b32_e32 v7, 5, v6
	v_add_lshl_u32 v6, v7, v6, 2
	ds_read_b32 v44, v6
.LBB90_93:
	s_or_b64 exec, exec, s[36:37]
	s_and_saveexec_b64 s[42:43], vcc
	s_cbranch_execz .LBB90_164
; %bb.94:
	v_mov_b32_e32 v13, 0
	ds_read_b32 v6, v13 offset:520
	v_mbcnt_lo_u32_b32 v7, -1, 0
	v_mbcnt_hi_u32_b32 v9, -1, v7
	s_mov_b32 s55, 0
	v_cmp_eq_u32_e64 s[36:37], 0, v9
	s_and_saveexec_b64 s[40:41], s[36:37]
	s_cbranch_execz .LBB90_96
; %bb.95:
	s_add_i32 s54, s6, 64
	s_lshl_b64 s[54:55], s[54:55], 3
	s_add_u32 s54, s52, s54
	v_mov_b32_e32 v7, 1
	s_addc_u32 s55, s53, s55
	s_waitcnt lgkmcnt(0)
	global_store_dwordx2 v13, v[6:7], s[54:55]
.LBB90_96:
	s_or_b64 exec, exec, s[40:41]
	v_xad_u32 v8, v9, -1, s6
	v_add_u32_e32 v12, 64, v8
	v_lshlrev_b64 v[10:11], 3, v[12:13]
	v_mov_b32_e32 v7, s53
	v_add_co_u32_e32 v14, vcc, s52, v10
	v_addc_co_u32_e32 v15, vcc, v7, v11, vcc
	global_load_dwordx2 v[10:11], v[14:15], off glc
	s_waitcnt vmcnt(0)
	v_cmp_eq_u16_sdwa s[54:55], v11, v13 src0_sel:BYTE_0 src1_sel:DWORD
	s_and_saveexec_b64 s[40:41], s[54:55]
	s_cbranch_execz .LBB90_100
; %bb.97:
	s_mov_b64 s[54:55], 0
	v_mov_b32_e32 v7, 0
.LBB90_98:                              ; =>This Inner Loop Header: Depth=1
	global_load_dwordx2 v[10:11], v[14:15], off glc
	s_waitcnt vmcnt(0)
	v_cmp_ne_u16_sdwa s[58:59], v11, v7 src0_sel:BYTE_0 src1_sel:DWORD
	s_or_b64 s[54:55], s[58:59], s[54:55]
	s_andn2_b64 exec, exec, s[54:55]
	s_cbranch_execnz .LBB90_98
; %bb.99:
	s_or_b64 exec, exec, s[54:55]
.LBB90_100:
	s_or_b64 exec, exec, s[40:41]
	v_mov_b32_e32 v7, 2
	v_cmp_eq_u16_sdwa s[40:41], v11, v7 src0_sel:BYTE_0 src1_sel:DWORD
	v_lshlrev_b64 v[12:13], v9, -1
	v_and_b32_e32 v7, s41, v13
	v_or_b32_e32 v7, 0x80000000, v7
	v_ffbl_b32_e32 v7, v7
	v_add_u32_e32 v15, 32, v7
	v_and_b32_e32 v7, 63, v9
	v_cmp_ne_u32_e32 vcc, 63, v7
	v_addc_co_u32_e32 v16, vcc, 0, v9, vcc
	v_lshlrev_b32_e32 v45, 2, v16
	ds_bpermute_b32 v16, v45, v10
	v_and_b32_e32 v14, s40, v12
	v_ffbl_b32_e32 v14, v14
	v_min_u32_e32 v14, v14, v15
	v_cmp_lt_u32_e32 vcc, v7, v14
	v_mov_b32_e32 v15, v10
	s_and_saveexec_b64 s[54:55], vcc
	s_cbranch_execz .LBB90_104
; %bb.101:
	v_max_f32_e32 v17, v10, v10
	s_waitcnt lgkmcnt(0)
	v_max_f32_e32 v46, v16, v16
	v_min_f32_e32 v15, v46, v17
	v_cmp_u_f32_e32 vcc, v16, v16
	v_max_f32_e32 v17, v46, v17
	v_cndmask_b32_e32 v15, v15, v16, vcc
	v_cmp_u_f32_e64 s[40:41], v10, v10
	v_cndmask_b32_e32 v17, v17, v16, vcc
	v_cndmask_b32_e64 v15, v15, v10, s[40:41]
	v_cndmask_b32_e64 v10, v17, v10, s[40:41]
	s_movk_i32 s7, 0x1f8
	v_cmp_neq_f32_e32 vcc, v15, v10
	v_cmp_class_f32_e64 s[40:41], v15, s7
	s_or_b64 s[58:59], vcc, s[40:41]
	s_and_saveexec_b64 s[40:41], s[58:59]
	s_cbranch_execz .LBB90_103
; %bb.102:
	v_sub_f32_e32 v15, v15, v10
	s_mov_b32 s7, 0x3fb8aa3b
	v_mul_f32_e32 v16, 0x3fb8aa3b, v15
	v_fma_f32 v17, v15, s7, -v16
	v_rndne_f32_e32 v46, v16
	v_fmac_f32_e32 v17, 0x32a5705f, v15
	v_sub_f32_e32 v16, v16, v46
	v_add_f32_e32 v16, v16, v17
	v_exp_f32_e32 v16, v16
	v_cvt_i32_f32_e32 v17, v46
	s_mov_b32 s7, 0xc2ce8ed0
	v_cmp_ngt_f32_e32 vcc, s7, v15
	s_mov_b32 s7, 0x42b17218
	v_ldexp_f32 v16, v16, v17
	v_cndmask_b32_e32 v16, 0, v16, vcc
	v_mov_b32_e32 v17, 0x7f800000
	v_cmp_nlt_f32_e32 vcc, s7, v15
	v_cndmask_b32_e32 v60, v17, v16, vcc
	v_add_f32_e32 v15, 1.0, v60
	v_add_f32_e32 v16, -1.0, v15
	v_sub_f32_e32 v17, v16, v15
	v_add_f32_e32 v17, 1.0, v17
	v_sub_f32_e32 v16, v60, v16
	v_add_f32_e32 v46, v16, v17
	v_frexp_mant_f32_e32 v47, v15
	s_mov_b32 s7, 0x3f2aaaab
	v_cvt_f64_f32_e32 v[16:17], v15
	v_frexp_exp_i32_f64_e32 v16, v[16:17]
	v_cmp_gt_f32_e32 vcc, s7, v47
	v_subbrev_co_u32_e32 v52, vcc, 0, v16, vcc
	v_sub_u32_e32 v16, 0, v52
	v_ldexp_f32 v15, v15, v16
	v_ldexp_f32 v16, v46, v16
	v_add_f32_e32 v46, -1.0, v15
	v_add_f32_e32 v17, 1.0, v46
	v_sub_f32_e32 v17, v15, v17
	v_add_f32_e32 v47, v16, v17
	v_add_f32_e32 v17, 1.0, v15
	v_add_f32_e32 v48, -1.0, v17
	v_sub_f32_e32 v15, v15, v48
	v_add_f32_e32 v15, v16, v15
	v_add_f32_e32 v53, v17, v15
	v_rcp_f32_e32 v54, v53
	v_sub_f32_e32 v16, v17, v53
	v_add_f32_e32 v17, v46, v47
	v_add_f32_e32 v15, v15, v16
	v_mul_f32_e32 v56, v17, v54
	v_sub_f32_e32 v16, v46, v17
	v_mul_f32_e32 v46, v53, v56
	v_fma_f32 v48, v56, v53, -v46
	v_fmac_f32_e32 v48, v56, v15
	v_add_f32_e32 v55, v47, v16
	v_add_f32_e32 v16, v46, v48
	v_sub_f32_e32 v47, v17, v16
	v_pk_add_f32 v[50:51], v[16:17], v[46:47] neg_lo:[0,1] neg_hi:[0,1]
	v_mov_b32_e32 v49, v16
	v_pk_add_f32 v[16:17], v[50:51], v[48:49] neg_lo:[0,1] neg_hi:[0,1]
	v_add_f32_e32 v17, v55, v17
	v_add_f32_e32 v16, v16, v17
	;; [unrolled: 1-line block ×3, first 2 shown]
	v_mul_f32_e32 v55, v54, v17
	v_mul_f32_e32 v46, v53, v55
	v_fma_f32 v48, v55, v53, -v46
	v_fmac_f32_e32 v48, v55, v15
	v_sub_f32_e32 v15, v47, v17
	v_add_f32_e32 v15, v16, v15
	v_add_f32_e32 v16, v46, v48
	v_sub_f32_e32 v47, v17, v16
	v_pk_add_f32 v[50:51], v[16:17], v[46:47] neg_lo:[0,1] neg_hi:[0,1]
	v_mov_b32_e32 v49, v16
	v_pk_add_f32 v[16:17], v[50:51], v[48:49] neg_lo:[0,1] neg_hi:[0,1]
	v_add_f32_e32 v15, v15, v17
	v_add_f32_e32 v15, v16, v15
	;; [unrolled: 1-line block ×4, first 2 shown]
	v_sub_f32_e32 v17, v16, v56
	v_mul_f32_e32 v15, v54, v15
	v_sub_f32_e32 v17, v55, v17
	v_add_f32_e32 v15, v17, v15
	v_add_f32_e32 v47, v16, v15
	v_mul_f32_e32 v48, v47, v47
	v_mov_b32_e32 v46, 0x3ecc95a3
	v_fmac_f32_e32 v46, 0x3e9b6dac, v48
	v_mov_b32_e32 v17, 0x3f2aaada
	v_fmac_f32_e32 v17, v48, v46
	v_cvt_f32_i32_e32 v46, v52
	v_sub_f32_e32 v16, v47, v16
	v_sub_f32_e32 v15, v15, v16
	v_ldexp_f32 v49, v47, 1
	v_mul_f32_e32 v47, v47, v48
	v_mov_b32_e32 v16, 0x3f317218
	s_mov_b32 s7, 0x3f317218
	v_pk_mul_f32 v[16:17], v[46:47], v[16:17]
	v_fma_f32 v48, v46, s7, -v16
	v_fmac_f32_e32 v48, 0xb102e308, v46
	v_pk_add_f32 v[46:47], v[16:17], v[48:49]
	v_sub_f32_e32 v49, v47, v49
	v_ldexp_f32 v15, v15, 1
	v_sub_f32_e32 v49, v17, v49
	v_add_f32_e32 v51, v15, v49
	v_mov_b32_e32 v50, v16
	v_pk_add_f32 v[16:17], v[46:47], v[16:17] neg_lo:[0,1] neg_hi:[0,1]
	v_pk_add_f32 v[52:53], v[46:47], v[50:51]
	v_mov_b32_e32 v17, v53
	v_mov_b32_e32 v49, v46
	v_pk_add_f32 v[54:55], v[48:49], v[16:17] neg_lo:[0,1] neg_hi:[0,1]
	v_pk_add_f32 v[16:17], v[48:49], v[16:17]
	v_mov_b32_e32 v48, v17
	v_pk_add_f32 v[56:57], v[48:49], v[46:47] neg_lo:[0,1] neg_hi:[0,1]
	v_mov_b32_e32 v15, v56
	v_pk_add_f32 v[58:59], v[52:53], v[14:15] neg_lo:[0,1] neg_hi:[0,1]
	v_mov_b32_e32 v16, v53
	v_mov_b32_e32 v52, v47
	;; [unrolled: 1-line block ×4, first 2 shown]
	v_pk_add_f32 v[16:17], v[16:17], v[52:53] neg_lo:[0,1] neg_hi:[0,1]
	v_mov_b32_e32 v50, v51
	v_mov_b32_e32 v51, v46
	v_pk_add_f32 v[16:17], v[50:51], v[16:17] neg_lo:[0,1] neg_hi:[0,1]
	v_mov_b32_e32 v58, v54
	v_pk_add_f32 v[46:47], v[58:59], v[16:17]
	v_mov_b32_e32 v50, v47
	v_pk_add_f32 v[50:51], v[46:47], v[50:51]
	v_pk_add_f32 v[48:49], v[48:49], v[50:51]
	v_mov_b32_e32 v47, v48
	v_pk_add_f32 v[52:53], v[46:47], v[54:55] neg_lo:[0,1] neg_hi:[0,1]
	v_mov_b32_e32 v17, v50
	v_sub_f32_e32 v15, v46, v52
	v_pk_add_f32 v[16:17], v[16:17], v[52:53] neg_lo:[0,1] neg_hi:[0,1]
	v_sub_f32_e32 v15, v54, v15
	s_mov_b32 s57, 0x7f800000
	v_add_f32_e32 v15, v16, v15
	s_mov_b32 s7, 0x33800000
	v_add_f32_e32 v15, v15, v17
	v_cmp_eq_f32_e32 vcc, s57, v60
	v_cmp_lt_f32_e64 s[58:59], |v60|, s7
	v_add_f32_e32 v15, v48, v15
	s_or_b64 vcc, vcc, s[58:59]
	v_cndmask_b32_e32 v15, v15, v60, vcc
	v_add_f32_e32 v16, v10, v15
.LBB90_103:
	s_or_b64 exec, exec, s[40:41]
	v_mov_b32_e32 v10, v16
	v_mov_b32_e32 v15, v16
.LBB90_104:
	s_or_b64 exec, exec, s[54:55]
	v_cmp_gt_u32_e32 vcc, 62, v7
	s_waitcnt lgkmcnt(0)
	v_cndmask_b32_e64 v16, 0, 1, vcc
	v_lshlrev_b32_e32 v16, 1, v16
	v_add_lshl_u32 v46, v16, v9, 2
	ds_bpermute_b32 v16, v46, v10
	v_add_u32_e32 v47, 2, v7
	v_cmp_le_u32_e32 vcc, v47, v14
	s_and_saveexec_b64 s[54:55], vcc
	s_cbranch_execz .LBB90_108
; %bb.105:
	v_max_f32_e32 v10, v15, v15
	s_waitcnt lgkmcnt(0)
	v_max_f32_e32 v48, v16, v16
	v_min_f32_e32 v17, v48, v10
	v_cmp_u_f32_e32 vcc, v16, v16
	v_max_f32_e32 v10, v48, v10
	v_cndmask_b32_e32 v17, v17, v16, vcc
	v_cmp_u_f32_e64 s[40:41], v15, v15
	v_cndmask_b32_e32 v10, v10, v16, vcc
	v_cndmask_b32_e64 v17, v17, v15, s[40:41]
	v_cndmask_b32_e64 v10, v10, v15, s[40:41]
	s_movk_i32 s7, 0x1f8
	v_cmp_neq_f32_e32 vcc, v17, v10
	v_cmp_class_f32_e64 s[40:41], v17, s7
	s_or_b64 s[58:59], vcc, s[40:41]
	s_and_saveexec_b64 s[40:41], s[58:59]
	s_cbranch_execz .LBB90_107
; %bb.106:
	v_sub_f32_e32 v15, v17, v10
	s_mov_b32 s7, 0x3fb8aa3b
	v_mul_f32_e32 v16, 0x3fb8aa3b, v15
	v_fma_f32 v17, v15, s7, -v16
	v_rndne_f32_e32 v48, v16
	v_fmac_f32_e32 v17, 0x32a5705f, v15
	v_sub_f32_e32 v16, v16, v48
	v_add_f32_e32 v16, v16, v17
	v_exp_f32_e32 v16, v16
	v_cvt_i32_f32_e32 v17, v48
	s_mov_b32 s7, 0xc2ce8ed0
	v_cmp_ngt_f32_e32 vcc, s7, v15
	s_mov_b32 s7, 0x42b17218
	v_ldexp_f32 v16, v16, v17
	v_cndmask_b32_e32 v16, 0, v16, vcc
	v_mov_b32_e32 v17, 0x7f800000
	v_cmp_nlt_f32_e32 vcc, s7, v15
	v_cndmask_b32_e32 v62, v17, v16, vcc
	v_add_f32_e32 v15, 1.0, v62
	v_add_f32_e32 v16, -1.0, v15
	v_sub_f32_e32 v17, v16, v15
	v_add_f32_e32 v17, 1.0, v17
	v_sub_f32_e32 v16, v62, v16
	v_add_f32_e32 v48, v16, v17
	v_frexp_mant_f32_e32 v49, v15
	s_mov_b32 s7, 0x3f2aaaab
	v_cvt_f64_f32_e32 v[16:17], v15
	v_frexp_exp_i32_f64_e32 v16, v[16:17]
	v_cmp_gt_f32_e32 vcc, s7, v49
	v_subbrev_co_u32_e32 v54, vcc, 0, v16, vcc
	v_sub_u32_e32 v16, 0, v54
	v_ldexp_f32 v15, v15, v16
	v_ldexp_f32 v16, v48, v16
	v_add_f32_e32 v48, -1.0, v15
	v_add_f32_e32 v17, 1.0, v48
	v_sub_f32_e32 v17, v15, v17
	v_add_f32_e32 v49, v16, v17
	v_add_f32_e32 v17, 1.0, v15
	v_add_f32_e32 v50, -1.0, v17
	v_sub_f32_e32 v15, v15, v50
	v_add_f32_e32 v15, v16, v15
	v_add_f32_e32 v55, v17, v15
	v_rcp_f32_e32 v56, v55
	v_sub_f32_e32 v16, v17, v55
	v_add_f32_e32 v17, v48, v49
	v_add_f32_e32 v15, v15, v16
	v_mul_f32_e32 v58, v17, v56
	v_sub_f32_e32 v16, v48, v17
	v_mul_f32_e32 v48, v55, v58
	v_fma_f32 v50, v58, v55, -v48
	v_fmac_f32_e32 v50, v58, v15
	v_add_f32_e32 v57, v49, v16
	v_add_f32_e32 v16, v48, v50
	v_sub_f32_e32 v49, v17, v16
	v_pk_add_f32 v[52:53], v[16:17], v[48:49] neg_lo:[0,1] neg_hi:[0,1]
	v_mov_b32_e32 v51, v16
	v_pk_add_f32 v[16:17], v[52:53], v[50:51] neg_lo:[0,1] neg_hi:[0,1]
	v_add_f32_e32 v17, v57, v17
	v_add_f32_e32 v16, v16, v17
	;; [unrolled: 1-line block ×3, first 2 shown]
	v_mul_f32_e32 v57, v56, v17
	v_mul_f32_e32 v48, v55, v57
	v_fma_f32 v50, v57, v55, -v48
	v_fmac_f32_e32 v50, v57, v15
	v_sub_f32_e32 v15, v49, v17
	v_add_f32_e32 v15, v16, v15
	v_add_f32_e32 v16, v48, v50
	v_sub_f32_e32 v49, v17, v16
	v_pk_add_f32 v[52:53], v[16:17], v[48:49] neg_lo:[0,1] neg_hi:[0,1]
	v_mov_b32_e32 v51, v16
	v_pk_add_f32 v[16:17], v[52:53], v[50:51] neg_lo:[0,1] neg_hi:[0,1]
	v_add_f32_e32 v15, v15, v17
	v_add_f32_e32 v15, v16, v15
	;; [unrolled: 1-line block ×4, first 2 shown]
	v_sub_f32_e32 v17, v16, v58
	v_mul_f32_e32 v15, v56, v15
	v_sub_f32_e32 v17, v57, v17
	v_add_f32_e32 v15, v17, v15
	v_add_f32_e32 v49, v16, v15
	v_mul_f32_e32 v50, v49, v49
	v_mov_b32_e32 v48, 0x3ecc95a3
	v_fmac_f32_e32 v48, 0x3e9b6dac, v50
	v_mov_b32_e32 v17, 0x3f2aaada
	v_fmac_f32_e32 v17, v50, v48
	v_cvt_f32_i32_e32 v48, v54
	v_sub_f32_e32 v16, v49, v16
	v_sub_f32_e32 v15, v15, v16
	v_ldexp_f32 v51, v49, 1
	v_mul_f32_e32 v49, v49, v50
	v_mov_b32_e32 v16, 0x3f317218
	s_mov_b32 s7, 0x3f317218
	v_pk_mul_f32 v[16:17], v[48:49], v[16:17]
	v_fma_f32 v50, v48, s7, -v16
	v_fmac_f32_e32 v50, 0xb102e308, v48
	v_pk_add_f32 v[48:49], v[16:17], v[50:51]
	v_sub_f32_e32 v51, v49, v51
	v_ldexp_f32 v15, v15, 1
	v_sub_f32_e32 v51, v17, v51
	v_add_f32_e32 v53, v15, v51
	v_mov_b32_e32 v52, v16
	v_pk_add_f32 v[16:17], v[48:49], v[16:17] neg_lo:[0,1] neg_hi:[0,1]
	v_pk_add_f32 v[54:55], v[48:49], v[52:53]
	v_mov_b32_e32 v17, v55
	v_mov_b32_e32 v51, v48
	v_pk_add_f32 v[56:57], v[50:51], v[16:17] neg_lo:[0,1] neg_hi:[0,1]
	v_pk_add_f32 v[16:17], v[50:51], v[16:17]
	v_mov_b32_e32 v50, v17
	v_pk_add_f32 v[58:59], v[50:51], v[48:49] neg_lo:[0,1] neg_hi:[0,1]
	v_mov_b32_e32 v15, v58
	v_pk_add_f32 v[60:61], v[54:55], v[14:15] neg_lo:[0,1] neg_hi:[0,1]
	v_mov_b32_e32 v16, v55
	v_mov_b32_e32 v54, v49
	;; [unrolled: 1-line block ×4, first 2 shown]
	v_pk_add_f32 v[16:17], v[16:17], v[54:55] neg_lo:[0,1] neg_hi:[0,1]
	v_mov_b32_e32 v52, v53
	v_mov_b32_e32 v53, v48
	v_pk_add_f32 v[16:17], v[52:53], v[16:17] neg_lo:[0,1] neg_hi:[0,1]
	v_mov_b32_e32 v60, v56
	v_pk_add_f32 v[48:49], v[60:61], v[16:17]
	v_mov_b32_e32 v52, v49
	v_pk_add_f32 v[52:53], v[48:49], v[52:53]
	v_pk_add_f32 v[50:51], v[50:51], v[52:53]
	v_mov_b32_e32 v49, v50
	v_pk_add_f32 v[54:55], v[48:49], v[56:57] neg_lo:[0,1] neg_hi:[0,1]
	v_mov_b32_e32 v17, v52
	v_sub_f32_e32 v15, v48, v54
	v_pk_add_f32 v[16:17], v[16:17], v[54:55] neg_lo:[0,1] neg_hi:[0,1]
	v_sub_f32_e32 v15, v56, v15
	s_mov_b32 s57, 0x7f800000
	v_add_f32_e32 v15, v16, v15
	s_mov_b32 s7, 0x33800000
	v_add_f32_e32 v15, v15, v17
	v_cmp_eq_f32_e32 vcc, s57, v62
	v_cmp_lt_f32_e64 s[58:59], |v62|, s7
	v_add_f32_e32 v15, v50, v15
	s_or_b64 vcc, vcc, s[58:59]
	v_cndmask_b32_e32 v15, v15, v62, vcc
	v_add_f32_e32 v16, v10, v15
.LBB90_107:
	s_or_b64 exec, exec, s[40:41]
	v_mov_b32_e32 v10, v16
	v_mov_b32_e32 v15, v16
.LBB90_108:
	s_or_b64 exec, exec, s[54:55]
	v_cmp_gt_u32_e32 vcc, 60, v7
	s_waitcnt lgkmcnt(0)
	v_cndmask_b32_e64 v16, 0, 1, vcc
	v_lshlrev_b32_e32 v16, 2, v16
	v_add_lshl_u32 v48, v16, v9, 2
	ds_bpermute_b32 v16, v48, v10
	v_add_u32_e32 v49, 4, v7
	v_cmp_le_u32_e32 vcc, v49, v14
	s_and_saveexec_b64 s[54:55], vcc
	s_cbranch_execz .LBB90_112
; %bb.109:
	v_max_f32_e32 v10, v15, v15
	s_waitcnt lgkmcnt(0)
	v_max_f32_e32 v50, v16, v16
	v_min_f32_e32 v17, v50, v10
	v_cmp_u_f32_e32 vcc, v16, v16
	v_max_f32_e32 v10, v50, v10
	v_cndmask_b32_e32 v17, v17, v16, vcc
	v_cmp_u_f32_e64 s[40:41], v15, v15
	v_cndmask_b32_e32 v10, v10, v16, vcc
	v_cndmask_b32_e64 v17, v17, v15, s[40:41]
	v_cndmask_b32_e64 v10, v10, v15, s[40:41]
	s_movk_i32 s7, 0x1f8
	v_cmp_neq_f32_e32 vcc, v17, v10
	v_cmp_class_f32_e64 s[40:41], v17, s7
	s_or_b64 s[58:59], vcc, s[40:41]
	s_and_saveexec_b64 s[40:41], s[58:59]
	s_cbranch_execz .LBB90_111
; %bb.110:
	v_sub_f32_e32 v15, v17, v10
	s_mov_b32 s7, 0x3fb8aa3b
	v_mul_f32_e32 v16, 0x3fb8aa3b, v15
	v_fma_f32 v17, v15, s7, -v16
	v_rndne_f32_e32 v50, v16
	v_fmac_f32_e32 v17, 0x32a5705f, v15
	v_sub_f32_e32 v16, v16, v50
	v_add_f32_e32 v16, v16, v17
	v_exp_f32_e32 v16, v16
	v_cvt_i32_f32_e32 v17, v50
	s_mov_b32 s7, 0xc2ce8ed0
	v_cmp_ngt_f32_e32 vcc, s7, v15
	s_mov_b32 s7, 0x42b17218
	v_ldexp_f32 v16, v16, v17
	v_cndmask_b32_e32 v16, 0, v16, vcc
	v_mov_b32_e32 v17, 0x7f800000
	v_cmp_nlt_f32_e32 vcc, s7, v15
	v_cndmask_b32_e32 v64, v17, v16, vcc
	v_add_f32_e32 v15, 1.0, v64
	v_add_f32_e32 v16, -1.0, v15
	v_sub_f32_e32 v17, v16, v15
	v_add_f32_e32 v17, 1.0, v17
	v_sub_f32_e32 v16, v64, v16
	v_add_f32_e32 v50, v16, v17
	v_frexp_mant_f32_e32 v51, v15
	s_mov_b32 s7, 0x3f2aaaab
	v_cvt_f64_f32_e32 v[16:17], v15
	v_frexp_exp_i32_f64_e32 v16, v[16:17]
	v_cmp_gt_f32_e32 vcc, s7, v51
	v_subbrev_co_u32_e32 v56, vcc, 0, v16, vcc
	v_sub_u32_e32 v16, 0, v56
	v_ldexp_f32 v15, v15, v16
	v_ldexp_f32 v16, v50, v16
	v_add_f32_e32 v50, -1.0, v15
	v_add_f32_e32 v17, 1.0, v50
	v_sub_f32_e32 v17, v15, v17
	v_add_f32_e32 v51, v16, v17
	v_add_f32_e32 v17, 1.0, v15
	v_add_f32_e32 v52, -1.0, v17
	v_sub_f32_e32 v15, v15, v52
	v_add_f32_e32 v15, v16, v15
	v_add_f32_e32 v57, v17, v15
	v_rcp_f32_e32 v58, v57
	v_sub_f32_e32 v16, v17, v57
	v_add_f32_e32 v17, v50, v51
	v_add_f32_e32 v15, v15, v16
	v_mul_f32_e32 v60, v17, v58
	v_sub_f32_e32 v16, v50, v17
	v_mul_f32_e32 v50, v57, v60
	v_fma_f32 v52, v60, v57, -v50
	v_fmac_f32_e32 v52, v60, v15
	v_add_f32_e32 v59, v51, v16
	v_add_f32_e32 v16, v50, v52
	v_sub_f32_e32 v51, v17, v16
	v_pk_add_f32 v[54:55], v[16:17], v[50:51] neg_lo:[0,1] neg_hi:[0,1]
	v_mov_b32_e32 v53, v16
	v_pk_add_f32 v[16:17], v[54:55], v[52:53] neg_lo:[0,1] neg_hi:[0,1]
	v_add_f32_e32 v17, v59, v17
	v_add_f32_e32 v16, v16, v17
	;; [unrolled: 1-line block ×3, first 2 shown]
	v_mul_f32_e32 v59, v58, v17
	v_mul_f32_e32 v50, v57, v59
	v_fma_f32 v52, v59, v57, -v50
	v_fmac_f32_e32 v52, v59, v15
	v_sub_f32_e32 v15, v51, v17
	v_add_f32_e32 v15, v16, v15
	v_add_f32_e32 v16, v50, v52
	v_sub_f32_e32 v51, v17, v16
	v_pk_add_f32 v[54:55], v[16:17], v[50:51] neg_lo:[0,1] neg_hi:[0,1]
	v_mov_b32_e32 v53, v16
	v_pk_add_f32 v[16:17], v[54:55], v[52:53] neg_lo:[0,1] neg_hi:[0,1]
	v_add_f32_e32 v15, v15, v17
	v_add_f32_e32 v15, v16, v15
	;; [unrolled: 1-line block ×4, first 2 shown]
	v_sub_f32_e32 v17, v16, v60
	v_mul_f32_e32 v15, v58, v15
	v_sub_f32_e32 v17, v59, v17
	v_add_f32_e32 v15, v17, v15
	v_add_f32_e32 v51, v16, v15
	v_mul_f32_e32 v52, v51, v51
	v_mov_b32_e32 v50, 0x3ecc95a3
	v_fmac_f32_e32 v50, 0x3e9b6dac, v52
	v_mov_b32_e32 v17, 0x3f2aaada
	v_fmac_f32_e32 v17, v52, v50
	v_cvt_f32_i32_e32 v50, v56
	v_sub_f32_e32 v16, v51, v16
	v_sub_f32_e32 v15, v15, v16
	v_ldexp_f32 v53, v51, 1
	v_mul_f32_e32 v51, v51, v52
	v_mov_b32_e32 v16, 0x3f317218
	s_mov_b32 s7, 0x3f317218
	v_pk_mul_f32 v[16:17], v[50:51], v[16:17]
	v_fma_f32 v52, v50, s7, -v16
	v_fmac_f32_e32 v52, 0xb102e308, v50
	v_pk_add_f32 v[50:51], v[16:17], v[52:53]
	v_sub_f32_e32 v53, v51, v53
	v_ldexp_f32 v15, v15, 1
	v_sub_f32_e32 v53, v17, v53
	v_add_f32_e32 v55, v15, v53
	v_mov_b32_e32 v54, v16
	v_pk_add_f32 v[16:17], v[50:51], v[16:17] neg_lo:[0,1] neg_hi:[0,1]
	v_pk_add_f32 v[56:57], v[50:51], v[54:55]
	v_mov_b32_e32 v17, v57
	v_mov_b32_e32 v53, v50
	v_pk_add_f32 v[58:59], v[52:53], v[16:17] neg_lo:[0,1] neg_hi:[0,1]
	v_pk_add_f32 v[16:17], v[52:53], v[16:17]
	v_mov_b32_e32 v52, v17
	v_pk_add_f32 v[60:61], v[52:53], v[50:51] neg_lo:[0,1] neg_hi:[0,1]
	v_mov_b32_e32 v15, v60
	v_pk_add_f32 v[62:63], v[56:57], v[14:15] neg_lo:[0,1] neg_hi:[0,1]
	v_mov_b32_e32 v16, v57
	v_mov_b32_e32 v56, v51
	;; [unrolled: 1-line block ×4, first 2 shown]
	v_pk_add_f32 v[16:17], v[16:17], v[56:57] neg_lo:[0,1] neg_hi:[0,1]
	v_mov_b32_e32 v54, v55
	v_mov_b32_e32 v55, v50
	v_pk_add_f32 v[16:17], v[54:55], v[16:17] neg_lo:[0,1] neg_hi:[0,1]
	v_mov_b32_e32 v62, v58
	v_pk_add_f32 v[50:51], v[62:63], v[16:17]
	v_mov_b32_e32 v54, v51
	v_pk_add_f32 v[54:55], v[50:51], v[54:55]
	v_pk_add_f32 v[52:53], v[52:53], v[54:55]
	v_mov_b32_e32 v51, v52
	v_pk_add_f32 v[56:57], v[50:51], v[58:59] neg_lo:[0,1] neg_hi:[0,1]
	v_mov_b32_e32 v17, v54
	v_sub_f32_e32 v15, v50, v56
	v_pk_add_f32 v[16:17], v[16:17], v[56:57] neg_lo:[0,1] neg_hi:[0,1]
	v_sub_f32_e32 v15, v58, v15
	s_mov_b32 s57, 0x7f800000
	v_add_f32_e32 v15, v16, v15
	s_mov_b32 s7, 0x33800000
	v_add_f32_e32 v15, v15, v17
	v_cmp_eq_f32_e32 vcc, s57, v64
	v_cmp_lt_f32_e64 s[58:59], |v64|, s7
	v_add_f32_e32 v15, v52, v15
	s_or_b64 vcc, vcc, s[58:59]
	v_cndmask_b32_e32 v15, v15, v64, vcc
	v_add_f32_e32 v16, v10, v15
.LBB90_111:
	s_or_b64 exec, exec, s[40:41]
	v_mov_b32_e32 v10, v16
	v_mov_b32_e32 v15, v16
.LBB90_112:
	s_or_b64 exec, exec, s[54:55]
	v_cmp_gt_u32_e32 vcc, 56, v7
	s_waitcnt lgkmcnt(0)
	v_cndmask_b32_e64 v16, 0, 1, vcc
	v_lshlrev_b32_e32 v16, 3, v16
	v_add_lshl_u32 v50, v16, v9, 2
	ds_bpermute_b32 v16, v50, v10
	v_add_u32_e32 v51, 8, v7
	v_cmp_le_u32_e32 vcc, v51, v14
	s_and_saveexec_b64 s[54:55], vcc
	s_cbranch_execz .LBB90_116
; %bb.113:
	v_max_f32_e32 v10, v15, v15
	s_waitcnt lgkmcnt(0)
	v_max_f32_e32 v52, v16, v16
	v_min_f32_e32 v17, v52, v10
	v_cmp_u_f32_e32 vcc, v16, v16
	v_max_f32_e32 v10, v52, v10
	v_cndmask_b32_e32 v17, v17, v16, vcc
	v_cmp_u_f32_e64 s[40:41], v15, v15
	v_cndmask_b32_e32 v10, v10, v16, vcc
	v_cndmask_b32_e64 v17, v17, v15, s[40:41]
	v_cndmask_b32_e64 v10, v10, v15, s[40:41]
	s_movk_i32 s7, 0x1f8
	v_cmp_neq_f32_e32 vcc, v17, v10
	v_cmp_class_f32_e64 s[40:41], v17, s7
	s_or_b64 s[58:59], vcc, s[40:41]
	s_and_saveexec_b64 s[40:41], s[58:59]
	s_cbranch_execz .LBB90_115
; %bb.114:
	v_sub_f32_e32 v15, v17, v10
	s_mov_b32 s7, 0x3fb8aa3b
	v_mul_f32_e32 v16, 0x3fb8aa3b, v15
	v_fma_f32 v17, v15, s7, -v16
	v_rndne_f32_e32 v52, v16
	v_fmac_f32_e32 v17, 0x32a5705f, v15
	v_sub_f32_e32 v16, v16, v52
	v_add_f32_e32 v16, v16, v17
	v_exp_f32_e32 v16, v16
	v_cvt_i32_f32_e32 v17, v52
	s_mov_b32 s7, 0xc2ce8ed0
	v_cmp_ngt_f32_e32 vcc, s7, v15
	s_mov_b32 s7, 0x42b17218
	v_ldexp_f32 v16, v16, v17
	v_cndmask_b32_e32 v16, 0, v16, vcc
	v_mov_b32_e32 v17, 0x7f800000
	v_cmp_nlt_f32_e32 vcc, s7, v15
	v_cndmask_b32_e32 v66, v17, v16, vcc
	v_add_f32_e32 v15, 1.0, v66
	v_add_f32_e32 v16, -1.0, v15
	v_sub_f32_e32 v17, v16, v15
	v_add_f32_e32 v17, 1.0, v17
	v_sub_f32_e32 v16, v66, v16
	v_add_f32_e32 v52, v16, v17
	v_frexp_mant_f32_e32 v53, v15
	s_mov_b32 s7, 0x3f2aaaab
	v_cvt_f64_f32_e32 v[16:17], v15
	v_frexp_exp_i32_f64_e32 v16, v[16:17]
	v_cmp_gt_f32_e32 vcc, s7, v53
	v_subbrev_co_u32_e32 v58, vcc, 0, v16, vcc
	v_sub_u32_e32 v16, 0, v58
	v_ldexp_f32 v15, v15, v16
	v_ldexp_f32 v16, v52, v16
	v_add_f32_e32 v52, -1.0, v15
	v_add_f32_e32 v17, 1.0, v52
	v_sub_f32_e32 v17, v15, v17
	v_add_f32_e32 v53, v16, v17
	v_add_f32_e32 v17, 1.0, v15
	v_add_f32_e32 v54, -1.0, v17
	v_sub_f32_e32 v15, v15, v54
	v_add_f32_e32 v15, v16, v15
	v_add_f32_e32 v59, v17, v15
	v_rcp_f32_e32 v60, v59
	v_sub_f32_e32 v16, v17, v59
	v_add_f32_e32 v17, v52, v53
	v_add_f32_e32 v15, v15, v16
	v_mul_f32_e32 v62, v17, v60
	v_sub_f32_e32 v16, v52, v17
	v_mul_f32_e32 v52, v59, v62
	v_fma_f32 v54, v62, v59, -v52
	v_fmac_f32_e32 v54, v62, v15
	v_add_f32_e32 v61, v53, v16
	v_add_f32_e32 v16, v52, v54
	v_sub_f32_e32 v53, v17, v16
	v_pk_add_f32 v[56:57], v[16:17], v[52:53] neg_lo:[0,1] neg_hi:[0,1]
	v_mov_b32_e32 v55, v16
	v_pk_add_f32 v[16:17], v[56:57], v[54:55] neg_lo:[0,1] neg_hi:[0,1]
	v_add_f32_e32 v17, v61, v17
	v_add_f32_e32 v16, v16, v17
	;; [unrolled: 1-line block ×3, first 2 shown]
	v_mul_f32_e32 v61, v60, v17
	v_mul_f32_e32 v52, v59, v61
	v_fma_f32 v54, v61, v59, -v52
	v_fmac_f32_e32 v54, v61, v15
	v_sub_f32_e32 v15, v53, v17
	v_add_f32_e32 v15, v16, v15
	v_add_f32_e32 v16, v52, v54
	v_sub_f32_e32 v53, v17, v16
	v_pk_add_f32 v[56:57], v[16:17], v[52:53] neg_lo:[0,1] neg_hi:[0,1]
	v_mov_b32_e32 v55, v16
	v_pk_add_f32 v[16:17], v[56:57], v[54:55] neg_lo:[0,1] neg_hi:[0,1]
	v_add_f32_e32 v15, v15, v17
	v_add_f32_e32 v15, v16, v15
	;; [unrolled: 1-line block ×4, first 2 shown]
	v_sub_f32_e32 v17, v16, v62
	v_mul_f32_e32 v15, v60, v15
	v_sub_f32_e32 v17, v61, v17
	v_add_f32_e32 v15, v17, v15
	v_add_f32_e32 v53, v16, v15
	v_mul_f32_e32 v54, v53, v53
	v_mov_b32_e32 v52, 0x3ecc95a3
	v_fmac_f32_e32 v52, 0x3e9b6dac, v54
	v_mov_b32_e32 v17, 0x3f2aaada
	v_fmac_f32_e32 v17, v54, v52
	v_cvt_f32_i32_e32 v52, v58
	v_sub_f32_e32 v16, v53, v16
	v_sub_f32_e32 v15, v15, v16
	v_ldexp_f32 v55, v53, 1
	v_mul_f32_e32 v53, v53, v54
	v_mov_b32_e32 v16, 0x3f317218
	s_mov_b32 s7, 0x3f317218
	v_pk_mul_f32 v[16:17], v[52:53], v[16:17]
	v_fma_f32 v54, v52, s7, -v16
	v_fmac_f32_e32 v54, 0xb102e308, v52
	v_pk_add_f32 v[52:53], v[16:17], v[54:55]
	v_sub_f32_e32 v55, v53, v55
	v_ldexp_f32 v15, v15, 1
	v_sub_f32_e32 v55, v17, v55
	v_add_f32_e32 v57, v15, v55
	v_mov_b32_e32 v56, v16
	v_pk_add_f32 v[16:17], v[52:53], v[16:17] neg_lo:[0,1] neg_hi:[0,1]
	v_pk_add_f32 v[58:59], v[52:53], v[56:57]
	v_mov_b32_e32 v17, v59
	v_mov_b32_e32 v55, v52
	v_pk_add_f32 v[60:61], v[54:55], v[16:17] neg_lo:[0,1] neg_hi:[0,1]
	v_pk_add_f32 v[16:17], v[54:55], v[16:17]
	v_mov_b32_e32 v54, v17
	v_pk_add_f32 v[62:63], v[54:55], v[52:53] neg_lo:[0,1] neg_hi:[0,1]
	v_mov_b32_e32 v15, v62
	v_pk_add_f32 v[64:65], v[58:59], v[14:15] neg_lo:[0,1] neg_hi:[0,1]
	v_mov_b32_e32 v16, v59
	v_mov_b32_e32 v58, v53
	;; [unrolled: 1-line block ×4, first 2 shown]
	v_pk_add_f32 v[16:17], v[16:17], v[58:59] neg_lo:[0,1] neg_hi:[0,1]
	v_mov_b32_e32 v56, v57
	v_mov_b32_e32 v57, v52
	v_pk_add_f32 v[16:17], v[56:57], v[16:17] neg_lo:[0,1] neg_hi:[0,1]
	v_mov_b32_e32 v64, v60
	v_pk_add_f32 v[52:53], v[64:65], v[16:17]
	v_mov_b32_e32 v56, v53
	v_pk_add_f32 v[56:57], v[52:53], v[56:57]
	v_pk_add_f32 v[54:55], v[54:55], v[56:57]
	v_mov_b32_e32 v53, v54
	v_pk_add_f32 v[58:59], v[52:53], v[60:61] neg_lo:[0,1] neg_hi:[0,1]
	v_mov_b32_e32 v17, v56
	v_sub_f32_e32 v15, v52, v58
	v_pk_add_f32 v[16:17], v[16:17], v[58:59] neg_lo:[0,1] neg_hi:[0,1]
	v_sub_f32_e32 v15, v60, v15
	s_mov_b32 s57, 0x7f800000
	v_add_f32_e32 v15, v16, v15
	s_mov_b32 s7, 0x33800000
	v_add_f32_e32 v15, v15, v17
	v_cmp_eq_f32_e32 vcc, s57, v66
	v_cmp_lt_f32_e64 s[58:59], |v66|, s7
	v_add_f32_e32 v15, v54, v15
	s_or_b64 vcc, vcc, s[58:59]
	v_cndmask_b32_e32 v15, v15, v66, vcc
	v_add_f32_e32 v16, v10, v15
.LBB90_115:
	s_or_b64 exec, exec, s[40:41]
	v_mov_b32_e32 v10, v16
	v_mov_b32_e32 v15, v16
.LBB90_116:
	s_or_b64 exec, exec, s[54:55]
	v_cmp_gt_u32_e32 vcc, 48, v7
	s_waitcnt lgkmcnt(0)
	v_cndmask_b32_e64 v16, 0, 1, vcc
	v_lshlrev_b32_e32 v16, 4, v16
	v_add_lshl_u32 v52, v16, v9, 2
	ds_bpermute_b32 v16, v52, v10
	v_add_u32_e32 v53, 16, v7
	v_cmp_le_u32_e32 vcc, v53, v14
	s_and_saveexec_b64 s[54:55], vcc
	s_cbranch_execz .LBB90_120
; %bb.117:
	v_max_f32_e32 v10, v15, v15
	s_waitcnt lgkmcnt(0)
	v_max_f32_e32 v54, v16, v16
	v_min_f32_e32 v17, v54, v10
	v_cmp_u_f32_e32 vcc, v16, v16
	v_max_f32_e32 v10, v54, v10
	v_cndmask_b32_e32 v17, v17, v16, vcc
	v_cmp_u_f32_e64 s[40:41], v15, v15
	v_cndmask_b32_e32 v10, v10, v16, vcc
	v_cndmask_b32_e64 v17, v17, v15, s[40:41]
	v_cndmask_b32_e64 v10, v10, v15, s[40:41]
	s_movk_i32 s7, 0x1f8
	v_cmp_neq_f32_e32 vcc, v17, v10
	v_cmp_class_f32_e64 s[40:41], v17, s7
	s_or_b64 s[58:59], vcc, s[40:41]
	s_and_saveexec_b64 s[40:41], s[58:59]
	s_cbranch_execz .LBB90_119
; %bb.118:
	v_sub_f32_e32 v15, v17, v10
	s_mov_b32 s7, 0x3fb8aa3b
	v_mul_f32_e32 v16, 0x3fb8aa3b, v15
	v_fma_f32 v17, v15, s7, -v16
	v_rndne_f32_e32 v54, v16
	v_fmac_f32_e32 v17, 0x32a5705f, v15
	v_sub_f32_e32 v16, v16, v54
	v_add_f32_e32 v16, v16, v17
	v_exp_f32_e32 v16, v16
	v_cvt_i32_f32_e32 v17, v54
	s_mov_b32 s7, 0xc2ce8ed0
	v_cmp_ngt_f32_e32 vcc, s7, v15
	s_mov_b32 s7, 0x42b17218
	v_ldexp_f32 v16, v16, v17
	v_cndmask_b32_e32 v16, 0, v16, vcc
	v_mov_b32_e32 v17, 0x7f800000
	v_cmp_nlt_f32_e32 vcc, s7, v15
	v_cndmask_b32_e32 v68, v17, v16, vcc
	v_add_f32_e32 v15, 1.0, v68
	v_add_f32_e32 v16, -1.0, v15
	v_sub_f32_e32 v17, v16, v15
	v_add_f32_e32 v17, 1.0, v17
	v_sub_f32_e32 v16, v68, v16
	v_add_f32_e32 v54, v16, v17
	v_frexp_mant_f32_e32 v55, v15
	s_mov_b32 s7, 0x3f2aaaab
	v_cvt_f64_f32_e32 v[16:17], v15
	v_frexp_exp_i32_f64_e32 v16, v[16:17]
	v_cmp_gt_f32_e32 vcc, s7, v55
	v_subbrev_co_u32_e32 v60, vcc, 0, v16, vcc
	v_sub_u32_e32 v16, 0, v60
	v_ldexp_f32 v15, v15, v16
	v_ldexp_f32 v16, v54, v16
	v_add_f32_e32 v54, -1.0, v15
	v_add_f32_e32 v17, 1.0, v54
	v_sub_f32_e32 v17, v15, v17
	v_add_f32_e32 v55, v16, v17
	v_add_f32_e32 v17, 1.0, v15
	v_add_f32_e32 v56, -1.0, v17
	v_sub_f32_e32 v15, v15, v56
	v_add_f32_e32 v15, v16, v15
	v_add_f32_e32 v61, v17, v15
	v_rcp_f32_e32 v62, v61
	v_sub_f32_e32 v16, v17, v61
	v_add_f32_e32 v17, v54, v55
	v_add_f32_e32 v15, v15, v16
	v_mul_f32_e32 v64, v17, v62
	v_sub_f32_e32 v16, v54, v17
	v_mul_f32_e32 v54, v61, v64
	v_fma_f32 v56, v64, v61, -v54
	v_fmac_f32_e32 v56, v64, v15
	v_add_f32_e32 v63, v55, v16
	v_add_f32_e32 v16, v54, v56
	v_sub_f32_e32 v55, v17, v16
	v_pk_add_f32 v[58:59], v[16:17], v[54:55] neg_lo:[0,1] neg_hi:[0,1]
	v_mov_b32_e32 v57, v16
	v_pk_add_f32 v[16:17], v[58:59], v[56:57] neg_lo:[0,1] neg_hi:[0,1]
	v_add_f32_e32 v17, v63, v17
	v_add_f32_e32 v16, v16, v17
	;; [unrolled: 1-line block ×3, first 2 shown]
	v_mul_f32_e32 v63, v62, v17
	v_mul_f32_e32 v54, v61, v63
	v_fma_f32 v56, v63, v61, -v54
	v_fmac_f32_e32 v56, v63, v15
	v_sub_f32_e32 v15, v55, v17
	v_add_f32_e32 v15, v16, v15
	v_add_f32_e32 v16, v54, v56
	v_sub_f32_e32 v55, v17, v16
	v_pk_add_f32 v[58:59], v[16:17], v[54:55] neg_lo:[0,1] neg_hi:[0,1]
	v_mov_b32_e32 v57, v16
	v_pk_add_f32 v[16:17], v[58:59], v[56:57] neg_lo:[0,1] neg_hi:[0,1]
	v_add_f32_e32 v15, v15, v17
	v_add_f32_e32 v15, v16, v15
	;; [unrolled: 1-line block ×4, first 2 shown]
	v_sub_f32_e32 v17, v16, v64
	v_mul_f32_e32 v15, v62, v15
	v_sub_f32_e32 v17, v63, v17
	v_add_f32_e32 v15, v17, v15
	v_add_f32_e32 v55, v16, v15
	v_mul_f32_e32 v56, v55, v55
	v_mov_b32_e32 v54, 0x3ecc95a3
	v_fmac_f32_e32 v54, 0x3e9b6dac, v56
	v_mov_b32_e32 v17, 0x3f2aaada
	v_fmac_f32_e32 v17, v56, v54
	v_cvt_f32_i32_e32 v54, v60
	v_sub_f32_e32 v16, v55, v16
	v_sub_f32_e32 v15, v15, v16
	v_ldexp_f32 v57, v55, 1
	v_mul_f32_e32 v55, v55, v56
	v_mov_b32_e32 v16, 0x3f317218
	s_mov_b32 s7, 0x3f317218
	v_pk_mul_f32 v[16:17], v[54:55], v[16:17]
	v_fma_f32 v56, v54, s7, -v16
	v_fmac_f32_e32 v56, 0xb102e308, v54
	v_pk_add_f32 v[54:55], v[16:17], v[56:57]
	v_sub_f32_e32 v57, v55, v57
	v_ldexp_f32 v15, v15, 1
	v_sub_f32_e32 v57, v17, v57
	v_add_f32_e32 v59, v15, v57
	v_mov_b32_e32 v58, v16
	v_pk_add_f32 v[16:17], v[54:55], v[16:17] neg_lo:[0,1] neg_hi:[0,1]
	v_pk_add_f32 v[60:61], v[54:55], v[58:59]
	v_mov_b32_e32 v17, v61
	v_mov_b32_e32 v57, v54
	v_pk_add_f32 v[62:63], v[56:57], v[16:17] neg_lo:[0,1] neg_hi:[0,1]
	v_pk_add_f32 v[16:17], v[56:57], v[16:17]
	v_mov_b32_e32 v56, v17
	v_pk_add_f32 v[64:65], v[56:57], v[54:55] neg_lo:[0,1] neg_hi:[0,1]
	v_mov_b32_e32 v15, v64
	v_pk_add_f32 v[66:67], v[60:61], v[14:15] neg_lo:[0,1] neg_hi:[0,1]
	v_mov_b32_e32 v16, v61
	v_mov_b32_e32 v60, v55
	;; [unrolled: 1-line block ×4, first 2 shown]
	v_pk_add_f32 v[16:17], v[16:17], v[60:61] neg_lo:[0,1] neg_hi:[0,1]
	v_mov_b32_e32 v58, v59
	v_mov_b32_e32 v59, v54
	v_pk_add_f32 v[16:17], v[58:59], v[16:17] neg_lo:[0,1] neg_hi:[0,1]
	v_mov_b32_e32 v66, v62
	v_pk_add_f32 v[54:55], v[66:67], v[16:17]
	v_mov_b32_e32 v58, v55
	v_pk_add_f32 v[58:59], v[54:55], v[58:59]
	v_pk_add_f32 v[56:57], v[56:57], v[58:59]
	v_mov_b32_e32 v55, v56
	v_pk_add_f32 v[60:61], v[54:55], v[62:63] neg_lo:[0,1] neg_hi:[0,1]
	v_mov_b32_e32 v17, v58
	v_sub_f32_e32 v15, v54, v60
	v_pk_add_f32 v[16:17], v[16:17], v[60:61] neg_lo:[0,1] neg_hi:[0,1]
	v_sub_f32_e32 v15, v62, v15
	s_mov_b32 s57, 0x7f800000
	v_add_f32_e32 v15, v16, v15
	s_mov_b32 s7, 0x33800000
	v_add_f32_e32 v15, v15, v17
	v_cmp_eq_f32_e32 vcc, s57, v68
	v_cmp_lt_f32_e64 s[58:59], |v68|, s7
	v_add_f32_e32 v15, v56, v15
	s_or_b64 vcc, vcc, s[58:59]
	v_cndmask_b32_e32 v15, v15, v68, vcc
	v_add_f32_e32 v16, v10, v15
.LBB90_119:
	s_or_b64 exec, exec, s[40:41]
	v_mov_b32_e32 v10, v16
	v_mov_b32_e32 v15, v16
.LBB90_120:
	s_or_b64 exec, exec, s[54:55]
	v_cmp_gt_u32_e32 vcc, 32, v7
	s_waitcnt lgkmcnt(0)
	v_cndmask_b32_e64 v16, 0, 1, vcc
	v_lshlrev_b32_e32 v16, 5, v16
	v_add_lshl_u32 v54, v16, v9, 2
	ds_bpermute_b32 v10, v54, v10
	v_add_u32_e32 v55, 32, v7
	v_cmp_le_u32_e32 vcc, v55, v14
	s_and_saveexec_b64 s[54:55], vcc
	s_cbranch_execz .LBB90_124
; %bb.121:
	v_max_f32_e32 v9, v15, v15
	s_waitcnt lgkmcnt(0)
	v_max_f32_e32 v16, v10, v10
	v_min_f32_e32 v14, v16, v9
	v_cmp_u_f32_e32 vcc, v10, v10
	v_max_f32_e32 v9, v16, v9
	v_cndmask_b32_e32 v14, v14, v10, vcc
	v_cmp_u_f32_e64 s[40:41], v15, v15
	v_cndmask_b32_e32 v9, v9, v10, vcc
	v_cndmask_b32_e64 v14, v14, v15, s[40:41]
	v_cndmask_b32_e64 v9, v9, v15, s[40:41]
	s_movk_i32 s7, 0x1f8
	v_cmp_neq_f32_e32 vcc, v14, v9
	v_cmp_class_f32_e64 s[40:41], v14, s7
	s_or_b64 s[58:59], vcc, s[40:41]
	s_and_saveexec_b64 s[40:41], s[58:59]
	s_cbranch_execz .LBB90_123
; %bb.122:
	v_sub_f32_e32 v10, v14, v9
	s_mov_b32 s7, 0x3fb8aa3b
	v_mul_f32_e32 v14, 0x3fb8aa3b, v10
	v_fma_f32 v15, v10, s7, -v14
	v_rndne_f32_e32 v16, v14
	v_fmac_f32_e32 v15, 0x32a5705f, v10
	v_sub_f32_e32 v14, v14, v16
	v_add_f32_e32 v14, v14, v15
	v_exp_f32_e32 v14, v14
	v_cvt_i32_f32_e32 v15, v16
	s_mov_b32 s7, 0xc2ce8ed0
	v_cmp_ngt_f32_e32 vcc, s7, v10
	s_mov_b32 s7, 0x42b17218
	v_ldexp_f32 v14, v14, v15
	v_cndmask_b32_e32 v14, 0, v14, vcc
	v_mov_b32_e32 v15, 0x7f800000
	v_cmp_nlt_f32_e32 vcc, s7, v10
	v_cndmask_b32_e32 v66, v15, v14, vcc
	v_add_f32_e32 v10, 1.0, v66
	v_add_f32_e32 v14, -1.0, v10
	v_sub_f32_e32 v15, v14, v10
	v_add_f32_e32 v15, 1.0, v15
	v_sub_f32_e32 v14, v66, v14
	v_add_f32_e32 v16, v14, v15
	v_frexp_mant_f32_e32 v17, v10
	s_mov_b32 s7, 0x3f2aaaab
	v_cvt_f64_f32_e32 v[14:15], v10
	v_frexp_exp_i32_f64_e32 v14, v[14:15]
	v_cmp_gt_f32_e32 vcc, s7, v17
	v_subbrev_co_u32_e32 v60, vcc, 0, v14, vcc
	v_sub_u32_e32 v14, 0, v60
	v_ldexp_f32 v10, v10, v14
	v_ldexp_f32 v14, v16, v14
	v_add_f32_e32 v16, -1.0, v10
	v_add_f32_e32 v15, 1.0, v16
	v_sub_f32_e32 v15, v10, v15
	v_add_f32_e32 v17, v14, v15
	v_add_f32_e32 v15, 1.0, v10
	v_add_f32_e32 v56, -1.0, v15
	v_sub_f32_e32 v10, v10, v56
	v_add_f32_e32 v10, v14, v10
	v_add_f32_e32 v61, v15, v10
	v_rcp_f32_e32 v62, v61
	v_sub_f32_e32 v14, v15, v61
	v_add_f32_e32 v15, v16, v17
	v_add_f32_e32 v10, v10, v14
	v_mul_f32_e32 v64, v15, v62
	v_sub_f32_e32 v14, v16, v15
	v_mul_f32_e32 v16, v61, v64
	v_fma_f32 v56, v64, v61, -v16
	v_fmac_f32_e32 v56, v64, v10
	v_add_f32_e32 v63, v17, v14
	v_add_f32_e32 v14, v16, v56
	v_sub_f32_e32 v17, v15, v14
	v_pk_add_f32 v[58:59], v[14:15], v[16:17] neg_lo:[0,1] neg_hi:[0,1]
	v_mov_b32_e32 v57, v14
	v_pk_add_f32 v[14:15], v[58:59], v[56:57] neg_lo:[0,1] neg_hi:[0,1]
	v_add_f32_e32 v15, v63, v15
	v_add_f32_e32 v14, v14, v15
	;; [unrolled: 1-line block ×3, first 2 shown]
	v_mul_f32_e32 v63, v62, v15
	v_mul_f32_e32 v16, v61, v63
	v_fma_f32 v56, v63, v61, -v16
	v_fmac_f32_e32 v56, v63, v10
	v_sub_f32_e32 v10, v17, v15
	v_add_f32_e32 v10, v14, v10
	v_add_f32_e32 v14, v16, v56
	v_sub_f32_e32 v17, v15, v14
	v_pk_add_f32 v[58:59], v[14:15], v[16:17] neg_lo:[0,1] neg_hi:[0,1]
	v_mov_b32_e32 v57, v14
	v_pk_add_f32 v[14:15], v[58:59], v[56:57] neg_lo:[0,1] neg_hi:[0,1]
	v_add_f32_e32 v10, v10, v15
	v_add_f32_e32 v10, v14, v10
	;; [unrolled: 1-line block ×4, first 2 shown]
	v_sub_f32_e32 v15, v14, v64
	v_mul_f32_e32 v10, v62, v10
	v_sub_f32_e32 v15, v63, v15
	v_add_f32_e32 v10, v15, v10
	v_add_f32_e32 v17, v14, v10
	v_mul_f32_e32 v56, v17, v17
	v_mov_b32_e32 v16, 0x3ecc95a3
	v_fmac_f32_e32 v16, 0x3e9b6dac, v56
	v_mov_b32_e32 v15, 0x3f2aaada
	v_fmac_f32_e32 v15, v56, v16
	v_cvt_f32_i32_e32 v16, v60
	v_sub_f32_e32 v14, v17, v14
	v_sub_f32_e32 v10, v10, v14
	v_ldexp_f32 v57, v17, 1
	v_mul_f32_e32 v17, v17, v56
	v_mov_b32_e32 v14, 0x3f317218
	s_mov_b32 s7, 0x3f317218
	v_pk_mul_f32 v[14:15], v[16:17], v[14:15]
	v_fma_f32 v56, v16, s7, -v14
	v_fmac_f32_e32 v56, 0xb102e308, v16
	v_pk_add_f32 v[16:17], v[14:15], v[56:57]
	v_sub_f32_e32 v57, v17, v57
	v_ldexp_f32 v10, v10, 1
	v_sub_f32_e32 v57, v15, v57
	v_add_f32_e32 v59, v10, v57
	v_mov_b32_e32 v58, v14
	v_pk_add_f32 v[14:15], v[16:17], v[14:15] neg_lo:[0,1] neg_hi:[0,1]
	v_pk_add_f32 v[60:61], v[16:17], v[58:59]
	v_mov_b32_e32 v15, v61
	v_mov_b32_e32 v57, v16
	v_pk_add_f32 v[62:63], v[56:57], v[14:15] neg_lo:[0,1] neg_hi:[0,1]
	v_pk_add_f32 v[14:15], v[56:57], v[14:15]
	v_mov_b32_e32 v10, v15
	v_pk_add_f32 v[56:57], v[10:11], v[16:17] neg_lo:[0,1] neg_hi:[0,1]
	v_mov_b32_e32 v57, v56
	v_pk_add_f32 v[64:65], v[60:61], v[56:57] neg_lo:[0,1] neg_hi:[0,1]
	v_mov_b32_e32 v14, v61
	v_mov_b32_e32 v60, v17
	;; [unrolled: 1-line block ×4, first 2 shown]
	v_pk_add_f32 v[14:15], v[14:15], v[60:61] neg_lo:[0,1] neg_hi:[0,1]
	v_mov_b32_e32 v56, v59
	v_mov_b32_e32 v57, v16
	v_pk_add_f32 v[14:15], v[56:57], v[14:15] neg_lo:[0,1] neg_hi:[0,1]
	v_mov_b32_e32 v64, v62
	v_pk_add_f32 v[16:17], v[64:65], v[14:15]
	v_mov_b32_e32 v56, v17
	v_pk_add_f32 v[56:57], v[16:17], v[56:57]
	v_pk_add_f32 v[58:59], v[10:11], v[56:57]
	v_mov_b32_e32 v17, v58
	v_pk_add_f32 v[60:61], v[16:17], v[62:63] neg_lo:[0,1] neg_hi:[0,1]
	v_mov_b32_e32 v15, v56
	v_sub_f32_e32 v10, v16, v60
	v_pk_add_f32 v[14:15], v[14:15], v[60:61] neg_lo:[0,1] neg_hi:[0,1]
	v_sub_f32_e32 v10, v62, v10
	s_mov_b32 s57, 0x7f800000
	v_add_f32_e32 v10, v14, v10
	s_mov_b32 s7, 0x33800000
	v_add_f32_e32 v10, v10, v15
	v_cmp_eq_f32_e32 vcc, s57, v66
	v_cmp_lt_f32_e64 s[58:59], |v66|, s7
	v_add_f32_e32 v10, v58, v10
	s_or_b64 vcc, vcc, s[58:59]
	v_cndmask_b32_e32 v10, v10, v66, vcc
	v_add_f32_e32 v10, v9, v10
.LBB90_123:
	s_or_b64 exec, exec, s[40:41]
	v_mov_b32_e32 v15, v10
.LBB90_124:
	s_or_b64 exec, exec, s[54:55]
	v_mov_b32_e32 v9, 0
	s_movk_i32 s7, 0x1f8
	s_mov_b32 s57, 0x3fb8aa3b
	s_mov_b32 s58, 0xc2ce8ed0
	;; [unrolled: 1-line block ×5, first 2 shown]
	v_mov_b32_e32 v57, 0x3f2aaada
	s_mov_b32 s62, 0x3f317218
	s_mov_b32 s63, 0x33800000
	v_mov_b32_e32 v58, 2
	v_mov_b32_e32 v59, 0x7f800000
	;; [unrolled: 1-line block ×3, first 2 shown]
	s_branch .LBB90_126
.LBB90_125:                             ;   in Loop: Header=BB90_126 Depth=1
	s_or_b64 exec, exec, s[40:41]
	v_subrev_u32_e32 v8, 64, v8
.LBB90_126:                             ; =>This Loop Header: Depth=1
                                        ;     Child Loop BB90_129 Depth 2
	v_cmp_ne_u16_sdwa s[40:41], v11, v58 src0_sel:BYTE_0 src1_sel:DWORD
	s_waitcnt lgkmcnt(0)
	v_cndmask_b32_e64 v10, 0, 1, s[40:41]
	;;#ASMSTART
	;;#ASMEND
	v_cmp_ne_u32_e32 vcc, 0, v10
	s_cmp_lg_u64 vcc, exec
	v_mov_b32_e32 v56, v15
	s_cbranch_scc1 .LBB90_157
; %bb.127:                              ;   in Loop: Header=BB90_126 Depth=1
	v_lshlrev_b64 v[10:11], 3, v[8:9]
	v_mov_b32_e32 v15, s53
	v_add_co_u32_e32 v16, vcc, s52, v10
	v_addc_co_u32_e32 v17, vcc, v15, v11, vcc
	global_load_dwordx2 v[10:11], v[16:17], off glc
	s_waitcnt vmcnt(0)
	v_cmp_eq_u16_sdwa s[54:55], v11, v9 src0_sel:BYTE_0 src1_sel:DWORD
	s_and_saveexec_b64 s[40:41], s[54:55]
	s_cbranch_execz .LBB90_131
; %bb.128:                              ;   in Loop: Header=BB90_126 Depth=1
	s_mov_b64 s[54:55], 0
.LBB90_129:                             ;   Parent Loop BB90_126 Depth=1
                                        ; =>  This Inner Loop Header: Depth=2
	global_load_dwordx2 v[10:11], v[16:17], off glc
	s_waitcnt vmcnt(0)
	v_cmp_ne_u16_sdwa s[64:65], v11, v9 src0_sel:BYTE_0 src1_sel:DWORD
	s_or_b64 s[54:55], s[64:65], s[54:55]
	s_andn2_b64 exec, exec, s[54:55]
	s_cbranch_execnz .LBB90_129
; %bb.130:                              ;   in Loop: Header=BB90_126 Depth=1
	s_or_b64 exec, exec, s[54:55]
.LBB90_131:                             ;   in Loop: Header=BB90_126 Depth=1
	s_or_b64 exec, exec, s[40:41]
	v_cmp_eq_u16_sdwa s[40:41], v11, v58 src0_sel:BYTE_0 src1_sel:DWORD
	v_and_b32_e32 v15, s41, v13
	v_or_b32_e32 v15, 0x80000000, v15
	ds_bpermute_b32 v17, v45, v10
	v_and_b32_e32 v16, s40, v12
	v_ffbl_b32_e32 v15, v15
	v_add_u32_e32 v15, 32, v15
	v_ffbl_b32_e32 v16, v16
	v_min_u32_e32 v16, v16, v15
	v_cmp_lt_u32_e32 vcc, v7, v16
	v_mov_b32_e32 v15, v10
	s_and_saveexec_b64 s[54:55], vcc
	s_cbranch_execz .LBB90_135
; %bb.132:                              ;   in Loop: Header=BB90_126 Depth=1
	v_max_f32_e32 v60, v10, v10
	s_waitcnt lgkmcnt(0)
	v_max_f32_e32 v61, v17, v17
	v_min_f32_e32 v15, v61, v60
	v_cmp_u_f32_e32 vcc, v17, v17
	v_max_f32_e32 v60, v61, v60
	v_cndmask_b32_e32 v15, v15, v17, vcc
	v_cmp_u_f32_e64 s[40:41], v10, v10
	v_cndmask_b32_e32 v60, v60, v17, vcc
	v_cndmask_b32_e64 v15, v15, v10, s[40:41]
	v_cndmask_b32_e64 v10, v60, v10, s[40:41]
	v_cmp_neq_f32_e32 vcc, v15, v10
	v_cmp_class_f32_e64 s[40:41], v15, s7
	s_or_b64 s[64:65], vcc, s[40:41]
	s_and_saveexec_b64 s[40:41], s[64:65]
	s_cbranch_execz .LBB90_134
; %bb.133:                              ;   in Loop: Header=BB90_126 Depth=1
	v_sub_f32_e32 v15, v15, v10
	v_mul_f32_e32 v17, 0x3fb8aa3b, v15
	v_fma_f32 v60, v15, s57, -v17
	v_rndne_f32_e32 v61, v17
	v_fmac_f32_e32 v60, 0x32a5705f, v15
	v_sub_f32_e32 v17, v17, v61
	v_add_f32_e32 v17, v17, v60
	v_cvt_i32_f32_e32 v60, v61
	v_exp_f32_e32 v17, v17
	v_cmp_ngt_f32_e32 vcc, s58, v15
	v_ldexp_f32 v17, v17, v60
	v_cndmask_b32_e32 v17, 0, v17, vcc
	v_cmp_nlt_f32_e32 vcc, s59, v15
	v_cndmask_b32_e32 v17, v59, v17, vcc
	v_add_f32_e32 v15, 1.0, v17
	v_add_f32_e32 v60, -1.0, v15
	v_sub_f32_e32 v61, v60, v15
	v_add_f32_e32 v61, 1.0, v61
	v_sub_f32_e32 v60, v17, v60
	v_add_f32_e32 v62, v60, v61
	v_frexp_mant_f32_e32 v63, v15
	v_cvt_f64_f32_e32 v[60:61], v15
	v_frexp_exp_i32_f64_e32 v60, v[60:61]
	v_cmp_gt_f32_e32 vcc, s61, v63
	v_subbrev_co_u32_e32 v68, vcc, 0, v60, vcc
	v_sub_u32_e32 v60, 0, v68
	v_ldexp_f32 v15, v15, v60
	v_ldexp_f32 v60, v62, v60
	v_add_f32_e32 v62, -1.0, v15
	v_add_f32_e32 v61, 1.0, v62
	v_sub_f32_e32 v61, v15, v61
	v_add_f32_e32 v63, v60, v61
	v_add_f32_e32 v61, 1.0, v15
	v_add_f32_e32 v64, -1.0, v61
	v_sub_f32_e32 v15, v15, v64
	v_add_f32_e32 v15, v60, v15
	v_add_f32_e32 v69, v61, v15
	v_rcp_f32_e32 v70, v69
	v_sub_f32_e32 v60, v61, v69
	v_add_f32_e32 v61, v62, v63
	v_add_f32_e32 v15, v15, v60
	v_mul_f32_e32 v72, v61, v70
	v_sub_f32_e32 v60, v62, v61
	v_mul_f32_e32 v62, v69, v72
	v_fma_f32 v64, v72, v69, -v62
	v_fmac_f32_e32 v64, v72, v15
	v_add_f32_e32 v71, v63, v60
	v_add_f32_e32 v60, v62, v64
	v_sub_f32_e32 v63, v61, v60
	v_pk_add_f32 v[66:67], v[60:61], v[62:63] neg_lo:[0,1] neg_hi:[0,1]
	v_mov_b32_e32 v65, v60
	v_pk_add_f32 v[60:61], v[66:67], v[64:65] neg_lo:[0,1] neg_hi:[0,1]
	v_add_f32_e32 v61, v71, v61
	v_add_f32_e32 v60, v60, v61
	;; [unrolled: 1-line block ×3, first 2 shown]
	v_mul_f32_e32 v71, v70, v61
	v_mul_f32_e32 v62, v69, v71
	v_fma_f32 v64, v71, v69, -v62
	v_fmac_f32_e32 v64, v71, v15
	v_sub_f32_e32 v15, v63, v61
	v_add_f32_e32 v15, v60, v15
	v_add_f32_e32 v60, v62, v64
	v_sub_f32_e32 v63, v61, v60
	v_pk_add_f32 v[66:67], v[60:61], v[62:63] neg_lo:[0,1] neg_hi:[0,1]
	v_mov_b32_e32 v65, v60
	v_pk_add_f32 v[60:61], v[66:67], v[64:65] neg_lo:[0,1] neg_hi:[0,1]
	v_add_f32_e32 v15, v15, v61
	v_add_f32_e32 v15, v60, v15
	;; [unrolled: 1-line block ×4, first 2 shown]
	v_sub_f32_e32 v60, v61, v72
	v_mul_f32_e32 v15, v70, v15
	v_sub_f32_e32 v60, v71, v60
	v_add_f32_e32 v62, v60, v15
	v_add_f32_e32 v64, v61, v62
	v_cvt_f32_i32_e32 v60, v68
	v_mul_f32_e32 v65, v64, v64
	v_mov_b32_e32 v15, 0x3ecc95a3
	v_sub_f32_e32 v61, v64, v61
	v_fmac_f32_e32 v15, 0x3e9b6dac, v65
	v_sub_f32_e32 v61, v62, v61
	v_fma_f32 v15, v65, v15, v57
	v_ldexp_f32 v66, v61, 1
	v_mul_f32_e32 v61, v64, v65
	v_ldexp_f32 v63, v64, 1
	v_pk_mul_f32 v[64:65], v[60:61], v[14:15]
	v_fma_f32 v62, v60, s62, -v64
	v_fmac_f32_e32 v62, 0xb102e308, v60
	v_pk_add_f32 v[60:61], v[64:65], v[62:63]
	v_sub_f32_e32 v15, v61, v63
	v_sub_f32_e32 v15, v65, v15
	v_add_f32_e32 v67, v66, v15
	v_mov_b32_e32 v66, v64
	v_pk_add_f32 v[64:65], v[60:61], v[64:65] neg_lo:[0,1] neg_hi:[0,1]
	v_pk_add_f32 v[68:69], v[60:61], v[66:67]
	v_mov_b32_e32 v65, v69
	v_mov_b32_e32 v63, v60
	v_pk_add_f32 v[70:71], v[62:63], v[64:65] neg_lo:[0,1] neg_hi:[0,1]
	v_pk_add_f32 v[62:63], v[62:63], v[64:65]
	v_mov_b32_e32 v64, v63
	v_pk_add_f32 v[72:73], v[64:65], v[60:61] neg_lo:[0,1] neg_hi:[0,1]
	v_mov_b32_e32 v15, v72
	v_pk_add_f32 v[74:75], v[68:69], v[14:15] neg_lo:[0,1] neg_hi:[0,1]
	v_mov_b32_e32 v62, v69
	v_mov_b32_e32 v68, v61
	;; [unrolled: 1-line block ×4, first 2 shown]
	v_pk_add_f32 v[62:63], v[62:63], v[68:69] neg_lo:[0,1] neg_hi:[0,1]
	v_mov_b32_e32 v66, v67
	v_mov_b32_e32 v67, v60
	v_pk_add_f32 v[60:61], v[66:67], v[62:63] neg_lo:[0,1] neg_hi:[0,1]
	v_mov_b32_e32 v74, v70
	v_pk_add_f32 v[62:63], v[74:75], v[60:61]
	v_mov_b32_e32 v66, v63
	v_pk_add_f32 v[66:67], v[62:63], v[66:67]
	v_pk_add_f32 v[64:65], v[64:65], v[66:67]
	v_mov_b32_e32 v63, v64
	v_pk_add_f32 v[68:69], v[62:63], v[70:71] neg_lo:[0,1] neg_hi:[0,1]
	v_mov_b32_e32 v61, v66
	v_sub_f32_e32 v15, v62, v68
	v_pk_add_f32 v[60:61], v[60:61], v[68:69] neg_lo:[0,1] neg_hi:[0,1]
	v_sub_f32_e32 v15, v70, v15
	v_add_f32_e32 v15, v60, v15
	v_add_f32_e32 v15, v15, v61
	v_cmp_eq_f32_e32 vcc, s60, v17
	v_cmp_lt_f32_e64 s[64:65], |v17|, s63
	v_add_f32_e32 v15, v64, v15
	s_or_b64 vcc, vcc, s[64:65]
	v_cndmask_b32_e32 v15, v15, v17, vcc
	v_add_f32_e32 v17, v10, v15
.LBB90_134:                             ;   in Loop: Header=BB90_126 Depth=1
	s_or_b64 exec, exec, s[40:41]
	v_mov_b32_e32 v10, v17
	v_mov_b32_e32 v15, v17
.LBB90_135:                             ;   in Loop: Header=BB90_126 Depth=1
	s_or_b64 exec, exec, s[54:55]
	s_waitcnt lgkmcnt(0)
	ds_bpermute_b32 v17, v46, v10
	v_cmp_le_u32_e32 vcc, v47, v16
	s_and_saveexec_b64 s[54:55], vcc
	s_cbranch_execz .LBB90_139
; %bb.136:                              ;   in Loop: Header=BB90_126 Depth=1
	v_max_f32_e32 v10, v15, v15
	s_waitcnt lgkmcnt(0)
	v_max_f32_e32 v61, v17, v17
	v_min_f32_e32 v60, v61, v10
	v_cmp_u_f32_e32 vcc, v17, v17
	v_max_f32_e32 v10, v61, v10
	v_cndmask_b32_e32 v60, v60, v17, vcc
	v_cmp_u_f32_e64 s[40:41], v15, v15
	v_cndmask_b32_e32 v10, v10, v17, vcc
	v_cndmask_b32_e64 v60, v60, v15, s[40:41]
	v_cndmask_b32_e64 v10, v10, v15, s[40:41]
	v_cmp_neq_f32_e32 vcc, v60, v10
	v_cmp_class_f32_e64 s[40:41], v60, s7
	s_or_b64 s[64:65], vcc, s[40:41]
	s_and_saveexec_b64 s[40:41], s[64:65]
	s_cbranch_execz .LBB90_138
; %bb.137:                              ;   in Loop: Header=BB90_126 Depth=1
	v_sub_f32_e32 v15, v60, v10
	v_mul_f32_e32 v17, 0x3fb8aa3b, v15
	v_fma_f32 v60, v15, s57, -v17
	v_rndne_f32_e32 v61, v17
	v_fmac_f32_e32 v60, 0x32a5705f, v15
	v_sub_f32_e32 v17, v17, v61
	v_add_f32_e32 v17, v17, v60
	v_cvt_i32_f32_e32 v60, v61
	v_exp_f32_e32 v17, v17
	v_cmp_ngt_f32_e32 vcc, s58, v15
	v_ldexp_f32 v17, v17, v60
	v_cndmask_b32_e32 v17, 0, v17, vcc
	v_cmp_nlt_f32_e32 vcc, s59, v15
	v_cndmask_b32_e32 v17, v59, v17, vcc
	v_add_f32_e32 v15, 1.0, v17
	v_add_f32_e32 v60, -1.0, v15
	v_sub_f32_e32 v61, v60, v15
	v_add_f32_e32 v61, 1.0, v61
	v_sub_f32_e32 v60, v17, v60
	v_add_f32_e32 v62, v60, v61
	v_frexp_mant_f32_e32 v63, v15
	v_cvt_f64_f32_e32 v[60:61], v15
	v_frexp_exp_i32_f64_e32 v60, v[60:61]
	v_cmp_gt_f32_e32 vcc, s61, v63
	v_subbrev_co_u32_e32 v68, vcc, 0, v60, vcc
	v_sub_u32_e32 v60, 0, v68
	v_ldexp_f32 v15, v15, v60
	v_ldexp_f32 v60, v62, v60
	v_add_f32_e32 v62, -1.0, v15
	v_add_f32_e32 v61, 1.0, v62
	v_sub_f32_e32 v61, v15, v61
	v_add_f32_e32 v63, v60, v61
	v_add_f32_e32 v61, 1.0, v15
	v_add_f32_e32 v64, -1.0, v61
	v_sub_f32_e32 v15, v15, v64
	v_add_f32_e32 v15, v60, v15
	v_add_f32_e32 v69, v61, v15
	v_rcp_f32_e32 v70, v69
	v_sub_f32_e32 v60, v61, v69
	v_add_f32_e32 v61, v62, v63
	v_add_f32_e32 v15, v15, v60
	v_mul_f32_e32 v72, v61, v70
	v_sub_f32_e32 v60, v62, v61
	v_mul_f32_e32 v62, v69, v72
	v_fma_f32 v64, v72, v69, -v62
	v_fmac_f32_e32 v64, v72, v15
	v_add_f32_e32 v71, v63, v60
	v_add_f32_e32 v60, v62, v64
	v_sub_f32_e32 v63, v61, v60
	v_pk_add_f32 v[66:67], v[60:61], v[62:63] neg_lo:[0,1] neg_hi:[0,1]
	v_mov_b32_e32 v65, v60
	v_pk_add_f32 v[60:61], v[66:67], v[64:65] neg_lo:[0,1] neg_hi:[0,1]
	v_add_f32_e32 v61, v71, v61
	v_add_f32_e32 v60, v60, v61
	;; [unrolled: 1-line block ×3, first 2 shown]
	v_mul_f32_e32 v71, v70, v61
	v_mul_f32_e32 v62, v69, v71
	v_fma_f32 v64, v71, v69, -v62
	v_fmac_f32_e32 v64, v71, v15
	v_sub_f32_e32 v15, v63, v61
	v_add_f32_e32 v15, v60, v15
	v_add_f32_e32 v60, v62, v64
	v_sub_f32_e32 v63, v61, v60
	v_pk_add_f32 v[66:67], v[60:61], v[62:63] neg_lo:[0,1] neg_hi:[0,1]
	v_mov_b32_e32 v65, v60
	v_pk_add_f32 v[60:61], v[66:67], v[64:65] neg_lo:[0,1] neg_hi:[0,1]
	v_add_f32_e32 v15, v15, v61
	v_add_f32_e32 v15, v60, v15
	;; [unrolled: 1-line block ×4, first 2 shown]
	v_sub_f32_e32 v60, v61, v72
	v_mul_f32_e32 v15, v70, v15
	v_sub_f32_e32 v60, v71, v60
	v_add_f32_e32 v62, v60, v15
	v_add_f32_e32 v64, v61, v62
	v_cvt_f32_i32_e32 v60, v68
	v_mul_f32_e32 v65, v64, v64
	v_mov_b32_e32 v15, 0x3ecc95a3
	v_sub_f32_e32 v61, v64, v61
	v_fmac_f32_e32 v15, 0x3e9b6dac, v65
	v_sub_f32_e32 v61, v62, v61
	v_fma_f32 v15, v65, v15, v57
	v_ldexp_f32 v66, v61, 1
	v_mul_f32_e32 v61, v64, v65
	v_ldexp_f32 v63, v64, 1
	v_pk_mul_f32 v[64:65], v[60:61], v[14:15]
	v_fma_f32 v62, v60, s62, -v64
	v_fmac_f32_e32 v62, 0xb102e308, v60
	v_pk_add_f32 v[60:61], v[64:65], v[62:63]
	v_sub_f32_e32 v15, v61, v63
	v_sub_f32_e32 v15, v65, v15
	v_add_f32_e32 v67, v66, v15
	v_mov_b32_e32 v66, v64
	v_pk_add_f32 v[64:65], v[60:61], v[64:65] neg_lo:[0,1] neg_hi:[0,1]
	v_pk_add_f32 v[68:69], v[60:61], v[66:67]
	v_mov_b32_e32 v65, v69
	v_mov_b32_e32 v63, v60
	v_pk_add_f32 v[70:71], v[62:63], v[64:65] neg_lo:[0,1] neg_hi:[0,1]
	v_pk_add_f32 v[62:63], v[62:63], v[64:65]
	v_mov_b32_e32 v64, v63
	v_pk_add_f32 v[72:73], v[64:65], v[60:61] neg_lo:[0,1] neg_hi:[0,1]
	v_mov_b32_e32 v15, v72
	v_pk_add_f32 v[74:75], v[68:69], v[14:15] neg_lo:[0,1] neg_hi:[0,1]
	v_mov_b32_e32 v62, v69
	v_mov_b32_e32 v68, v61
	;; [unrolled: 1-line block ×4, first 2 shown]
	v_pk_add_f32 v[62:63], v[62:63], v[68:69] neg_lo:[0,1] neg_hi:[0,1]
	v_mov_b32_e32 v66, v67
	v_mov_b32_e32 v67, v60
	v_pk_add_f32 v[60:61], v[66:67], v[62:63] neg_lo:[0,1] neg_hi:[0,1]
	v_mov_b32_e32 v74, v70
	v_pk_add_f32 v[62:63], v[74:75], v[60:61]
	v_mov_b32_e32 v66, v63
	v_pk_add_f32 v[66:67], v[62:63], v[66:67]
	v_pk_add_f32 v[64:65], v[64:65], v[66:67]
	v_mov_b32_e32 v63, v64
	v_pk_add_f32 v[68:69], v[62:63], v[70:71] neg_lo:[0,1] neg_hi:[0,1]
	v_mov_b32_e32 v61, v66
	v_sub_f32_e32 v15, v62, v68
	v_pk_add_f32 v[60:61], v[60:61], v[68:69] neg_lo:[0,1] neg_hi:[0,1]
	v_sub_f32_e32 v15, v70, v15
	v_add_f32_e32 v15, v60, v15
	v_add_f32_e32 v15, v15, v61
	v_cmp_eq_f32_e32 vcc, s60, v17
	v_cmp_lt_f32_e64 s[64:65], |v17|, s63
	v_add_f32_e32 v15, v64, v15
	s_or_b64 vcc, vcc, s[64:65]
	v_cndmask_b32_e32 v15, v15, v17, vcc
	v_add_f32_e32 v17, v10, v15
.LBB90_138:                             ;   in Loop: Header=BB90_126 Depth=1
	s_or_b64 exec, exec, s[40:41]
	v_mov_b32_e32 v10, v17
	v_mov_b32_e32 v15, v17
.LBB90_139:                             ;   in Loop: Header=BB90_126 Depth=1
	s_or_b64 exec, exec, s[54:55]
	s_waitcnt lgkmcnt(0)
	ds_bpermute_b32 v17, v48, v10
	v_cmp_le_u32_e32 vcc, v49, v16
	s_and_saveexec_b64 s[54:55], vcc
	s_cbranch_execz .LBB90_143
; %bb.140:                              ;   in Loop: Header=BB90_126 Depth=1
	v_max_f32_e32 v10, v15, v15
	s_waitcnt lgkmcnt(0)
	v_max_f32_e32 v61, v17, v17
	v_min_f32_e32 v60, v61, v10
	v_cmp_u_f32_e32 vcc, v17, v17
	v_max_f32_e32 v10, v61, v10
	v_cndmask_b32_e32 v60, v60, v17, vcc
	v_cmp_u_f32_e64 s[40:41], v15, v15
	v_cndmask_b32_e32 v10, v10, v17, vcc
	v_cndmask_b32_e64 v60, v60, v15, s[40:41]
	v_cndmask_b32_e64 v10, v10, v15, s[40:41]
	v_cmp_neq_f32_e32 vcc, v60, v10
	v_cmp_class_f32_e64 s[40:41], v60, s7
	s_or_b64 s[64:65], vcc, s[40:41]
	s_and_saveexec_b64 s[40:41], s[64:65]
	s_cbranch_execz .LBB90_142
; %bb.141:                              ;   in Loop: Header=BB90_126 Depth=1
	v_sub_f32_e32 v15, v60, v10
	v_mul_f32_e32 v17, 0x3fb8aa3b, v15
	v_fma_f32 v60, v15, s57, -v17
	v_rndne_f32_e32 v61, v17
	v_fmac_f32_e32 v60, 0x32a5705f, v15
	v_sub_f32_e32 v17, v17, v61
	v_add_f32_e32 v17, v17, v60
	v_cvt_i32_f32_e32 v60, v61
	v_exp_f32_e32 v17, v17
	v_cmp_ngt_f32_e32 vcc, s58, v15
	v_ldexp_f32 v17, v17, v60
	v_cndmask_b32_e32 v17, 0, v17, vcc
	v_cmp_nlt_f32_e32 vcc, s59, v15
	v_cndmask_b32_e32 v17, v59, v17, vcc
	v_add_f32_e32 v15, 1.0, v17
	v_add_f32_e32 v60, -1.0, v15
	v_sub_f32_e32 v61, v60, v15
	v_add_f32_e32 v61, 1.0, v61
	v_sub_f32_e32 v60, v17, v60
	v_add_f32_e32 v62, v60, v61
	v_frexp_mant_f32_e32 v63, v15
	v_cvt_f64_f32_e32 v[60:61], v15
	v_frexp_exp_i32_f64_e32 v60, v[60:61]
	v_cmp_gt_f32_e32 vcc, s61, v63
	v_subbrev_co_u32_e32 v68, vcc, 0, v60, vcc
	v_sub_u32_e32 v60, 0, v68
	v_ldexp_f32 v15, v15, v60
	v_ldexp_f32 v60, v62, v60
	v_add_f32_e32 v62, -1.0, v15
	v_add_f32_e32 v61, 1.0, v62
	v_sub_f32_e32 v61, v15, v61
	v_add_f32_e32 v63, v60, v61
	v_add_f32_e32 v61, 1.0, v15
	v_add_f32_e32 v64, -1.0, v61
	v_sub_f32_e32 v15, v15, v64
	v_add_f32_e32 v15, v60, v15
	v_add_f32_e32 v69, v61, v15
	v_rcp_f32_e32 v70, v69
	v_sub_f32_e32 v60, v61, v69
	v_add_f32_e32 v61, v62, v63
	v_add_f32_e32 v15, v15, v60
	v_mul_f32_e32 v72, v61, v70
	v_sub_f32_e32 v60, v62, v61
	v_mul_f32_e32 v62, v69, v72
	v_fma_f32 v64, v72, v69, -v62
	v_fmac_f32_e32 v64, v72, v15
	v_add_f32_e32 v71, v63, v60
	v_add_f32_e32 v60, v62, v64
	v_sub_f32_e32 v63, v61, v60
	v_pk_add_f32 v[66:67], v[60:61], v[62:63] neg_lo:[0,1] neg_hi:[0,1]
	v_mov_b32_e32 v65, v60
	v_pk_add_f32 v[60:61], v[66:67], v[64:65] neg_lo:[0,1] neg_hi:[0,1]
	v_add_f32_e32 v61, v71, v61
	v_add_f32_e32 v60, v60, v61
	;; [unrolled: 1-line block ×3, first 2 shown]
	v_mul_f32_e32 v71, v70, v61
	v_mul_f32_e32 v62, v69, v71
	v_fma_f32 v64, v71, v69, -v62
	v_fmac_f32_e32 v64, v71, v15
	v_sub_f32_e32 v15, v63, v61
	v_add_f32_e32 v15, v60, v15
	v_add_f32_e32 v60, v62, v64
	v_sub_f32_e32 v63, v61, v60
	v_pk_add_f32 v[66:67], v[60:61], v[62:63] neg_lo:[0,1] neg_hi:[0,1]
	v_mov_b32_e32 v65, v60
	v_pk_add_f32 v[60:61], v[66:67], v[64:65] neg_lo:[0,1] neg_hi:[0,1]
	v_add_f32_e32 v15, v15, v61
	v_add_f32_e32 v15, v60, v15
	;; [unrolled: 1-line block ×4, first 2 shown]
	v_sub_f32_e32 v60, v61, v72
	v_mul_f32_e32 v15, v70, v15
	v_sub_f32_e32 v60, v71, v60
	v_add_f32_e32 v62, v60, v15
	v_add_f32_e32 v64, v61, v62
	v_cvt_f32_i32_e32 v60, v68
	v_mul_f32_e32 v65, v64, v64
	v_mov_b32_e32 v15, 0x3ecc95a3
	v_sub_f32_e32 v61, v64, v61
	v_fmac_f32_e32 v15, 0x3e9b6dac, v65
	v_sub_f32_e32 v61, v62, v61
	v_fma_f32 v15, v65, v15, v57
	v_ldexp_f32 v66, v61, 1
	v_mul_f32_e32 v61, v64, v65
	v_ldexp_f32 v63, v64, 1
	v_pk_mul_f32 v[64:65], v[60:61], v[14:15]
	v_fma_f32 v62, v60, s62, -v64
	v_fmac_f32_e32 v62, 0xb102e308, v60
	v_pk_add_f32 v[60:61], v[64:65], v[62:63]
	v_sub_f32_e32 v15, v61, v63
	v_sub_f32_e32 v15, v65, v15
	v_add_f32_e32 v67, v66, v15
	v_mov_b32_e32 v66, v64
	v_pk_add_f32 v[64:65], v[60:61], v[64:65] neg_lo:[0,1] neg_hi:[0,1]
	v_pk_add_f32 v[68:69], v[60:61], v[66:67]
	v_mov_b32_e32 v65, v69
	v_mov_b32_e32 v63, v60
	v_pk_add_f32 v[70:71], v[62:63], v[64:65] neg_lo:[0,1] neg_hi:[0,1]
	v_pk_add_f32 v[62:63], v[62:63], v[64:65]
	v_mov_b32_e32 v64, v63
	v_pk_add_f32 v[72:73], v[64:65], v[60:61] neg_lo:[0,1] neg_hi:[0,1]
	v_mov_b32_e32 v15, v72
	v_pk_add_f32 v[74:75], v[68:69], v[14:15] neg_lo:[0,1] neg_hi:[0,1]
	v_mov_b32_e32 v62, v69
	v_mov_b32_e32 v68, v61
	;; [unrolled: 1-line block ×4, first 2 shown]
	v_pk_add_f32 v[62:63], v[62:63], v[68:69] neg_lo:[0,1] neg_hi:[0,1]
	v_mov_b32_e32 v66, v67
	v_mov_b32_e32 v67, v60
	v_pk_add_f32 v[60:61], v[66:67], v[62:63] neg_lo:[0,1] neg_hi:[0,1]
	v_mov_b32_e32 v74, v70
	v_pk_add_f32 v[62:63], v[74:75], v[60:61]
	v_mov_b32_e32 v66, v63
	v_pk_add_f32 v[66:67], v[62:63], v[66:67]
	v_pk_add_f32 v[64:65], v[64:65], v[66:67]
	v_mov_b32_e32 v63, v64
	v_pk_add_f32 v[68:69], v[62:63], v[70:71] neg_lo:[0,1] neg_hi:[0,1]
	v_mov_b32_e32 v61, v66
	v_sub_f32_e32 v15, v62, v68
	v_pk_add_f32 v[60:61], v[60:61], v[68:69] neg_lo:[0,1] neg_hi:[0,1]
	v_sub_f32_e32 v15, v70, v15
	v_add_f32_e32 v15, v60, v15
	v_add_f32_e32 v15, v15, v61
	v_cmp_eq_f32_e32 vcc, s60, v17
	v_cmp_lt_f32_e64 s[64:65], |v17|, s63
	v_add_f32_e32 v15, v64, v15
	s_or_b64 vcc, vcc, s[64:65]
	v_cndmask_b32_e32 v15, v15, v17, vcc
	v_add_f32_e32 v17, v10, v15
.LBB90_142:                             ;   in Loop: Header=BB90_126 Depth=1
	s_or_b64 exec, exec, s[40:41]
	v_mov_b32_e32 v10, v17
	v_mov_b32_e32 v15, v17
.LBB90_143:                             ;   in Loop: Header=BB90_126 Depth=1
	s_or_b64 exec, exec, s[54:55]
	s_waitcnt lgkmcnt(0)
	ds_bpermute_b32 v17, v50, v10
	v_cmp_le_u32_e32 vcc, v51, v16
	s_and_saveexec_b64 s[54:55], vcc
	s_cbranch_execz .LBB90_147
; %bb.144:                              ;   in Loop: Header=BB90_126 Depth=1
	v_max_f32_e32 v10, v15, v15
	s_waitcnt lgkmcnt(0)
	v_max_f32_e32 v61, v17, v17
	v_min_f32_e32 v60, v61, v10
	v_cmp_u_f32_e32 vcc, v17, v17
	v_max_f32_e32 v10, v61, v10
	v_cndmask_b32_e32 v60, v60, v17, vcc
	v_cmp_u_f32_e64 s[40:41], v15, v15
	v_cndmask_b32_e32 v10, v10, v17, vcc
	v_cndmask_b32_e64 v60, v60, v15, s[40:41]
	v_cndmask_b32_e64 v10, v10, v15, s[40:41]
	v_cmp_neq_f32_e32 vcc, v60, v10
	v_cmp_class_f32_e64 s[40:41], v60, s7
	s_or_b64 s[64:65], vcc, s[40:41]
	s_and_saveexec_b64 s[40:41], s[64:65]
	s_cbranch_execz .LBB90_146
; %bb.145:                              ;   in Loop: Header=BB90_126 Depth=1
	v_sub_f32_e32 v15, v60, v10
	v_mul_f32_e32 v17, 0x3fb8aa3b, v15
	v_fma_f32 v60, v15, s57, -v17
	v_rndne_f32_e32 v61, v17
	v_fmac_f32_e32 v60, 0x32a5705f, v15
	v_sub_f32_e32 v17, v17, v61
	v_add_f32_e32 v17, v17, v60
	v_cvt_i32_f32_e32 v60, v61
	v_exp_f32_e32 v17, v17
	v_cmp_ngt_f32_e32 vcc, s58, v15
	v_ldexp_f32 v17, v17, v60
	v_cndmask_b32_e32 v17, 0, v17, vcc
	v_cmp_nlt_f32_e32 vcc, s59, v15
	v_cndmask_b32_e32 v17, v59, v17, vcc
	v_add_f32_e32 v15, 1.0, v17
	v_add_f32_e32 v60, -1.0, v15
	v_sub_f32_e32 v61, v60, v15
	v_add_f32_e32 v61, 1.0, v61
	v_sub_f32_e32 v60, v17, v60
	v_add_f32_e32 v62, v60, v61
	v_frexp_mant_f32_e32 v63, v15
	v_cvt_f64_f32_e32 v[60:61], v15
	v_frexp_exp_i32_f64_e32 v60, v[60:61]
	v_cmp_gt_f32_e32 vcc, s61, v63
	v_subbrev_co_u32_e32 v68, vcc, 0, v60, vcc
	v_sub_u32_e32 v60, 0, v68
	v_ldexp_f32 v15, v15, v60
	v_ldexp_f32 v60, v62, v60
	v_add_f32_e32 v62, -1.0, v15
	v_add_f32_e32 v61, 1.0, v62
	v_sub_f32_e32 v61, v15, v61
	v_add_f32_e32 v63, v60, v61
	v_add_f32_e32 v61, 1.0, v15
	v_add_f32_e32 v64, -1.0, v61
	v_sub_f32_e32 v15, v15, v64
	v_add_f32_e32 v15, v60, v15
	v_add_f32_e32 v69, v61, v15
	v_rcp_f32_e32 v70, v69
	v_sub_f32_e32 v60, v61, v69
	v_add_f32_e32 v61, v62, v63
	v_add_f32_e32 v15, v15, v60
	v_mul_f32_e32 v72, v61, v70
	v_sub_f32_e32 v60, v62, v61
	v_mul_f32_e32 v62, v69, v72
	v_fma_f32 v64, v72, v69, -v62
	v_fmac_f32_e32 v64, v72, v15
	v_add_f32_e32 v71, v63, v60
	v_add_f32_e32 v60, v62, v64
	v_sub_f32_e32 v63, v61, v60
	v_pk_add_f32 v[66:67], v[60:61], v[62:63] neg_lo:[0,1] neg_hi:[0,1]
	v_mov_b32_e32 v65, v60
	v_pk_add_f32 v[60:61], v[66:67], v[64:65] neg_lo:[0,1] neg_hi:[0,1]
	v_add_f32_e32 v61, v71, v61
	v_add_f32_e32 v60, v60, v61
	;; [unrolled: 1-line block ×3, first 2 shown]
	v_mul_f32_e32 v71, v70, v61
	v_mul_f32_e32 v62, v69, v71
	v_fma_f32 v64, v71, v69, -v62
	v_fmac_f32_e32 v64, v71, v15
	v_sub_f32_e32 v15, v63, v61
	v_add_f32_e32 v15, v60, v15
	v_add_f32_e32 v60, v62, v64
	v_sub_f32_e32 v63, v61, v60
	v_pk_add_f32 v[66:67], v[60:61], v[62:63] neg_lo:[0,1] neg_hi:[0,1]
	v_mov_b32_e32 v65, v60
	v_pk_add_f32 v[60:61], v[66:67], v[64:65] neg_lo:[0,1] neg_hi:[0,1]
	v_add_f32_e32 v15, v15, v61
	v_add_f32_e32 v15, v60, v15
	;; [unrolled: 1-line block ×4, first 2 shown]
	v_sub_f32_e32 v60, v61, v72
	v_mul_f32_e32 v15, v70, v15
	v_sub_f32_e32 v60, v71, v60
	v_add_f32_e32 v62, v60, v15
	v_add_f32_e32 v64, v61, v62
	v_cvt_f32_i32_e32 v60, v68
	v_mul_f32_e32 v65, v64, v64
	v_mov_b32_e32 v15, 0x3ecc95a3
	v_sub_f32_e32 v61, v64, v61
	v_fmac_f32_e32 v15, 0x3e9b6dac, v65
	v_sub_f32_e32 v61, v62, v61
	v_fma_f32 v15, v65, v15, v57
	v_ldexp_f32 v66, v61, 1
	v_mul_f32_e32 v61, v64, v65
	v_ldexp_f32 v63, v64, 1
	v_pk_mul_f32 v[64:65], v[60:61], v[14:15]
	v_fma_f32 v62, v60, s62, -v64
	v_fmac_f32_e32 v62, 0xb102e308, v60
	v_pk_add_f32 v[60:61], v[64:65], v[62:63]
	v_sub_f32_e32 v15, v61, v63
	v_sub_f32_e32 v15, v65, v15
	v_add_f32_e32 v67, v66, v15
	v_mov_b32_e32 v66, v64
	v_pk_add_f32 v[64:65], v[60:61], v[64:65] neg_lo:[0,1] neg_hi:[0,1]
	v_pk_add_f32 v[68:69], v[60:61], v[66:67]
	v_mov_b32_e32 v65, v69
	v_mov_b32_e32 v63, v60
	v_pk_add_f32 v[70:71], v[62:63], v[64:65] neg_lo:[0,1] neg_hi:[0,1]
	v_pk_add_f32 v[62:63], v[62:63], v[64:65]
	v_mov_b32_e32 v64, v63
	v_pk_add_f32 v[72:73], v[64:65], v[60:61] neg_lo:[0,1] neg_hi:[0,1]
	v_mov_b32_e32 v15, v72
	v_pk_add_f32 v[74:75], v[68:69], v[14:15] neg_lo:[0,1] neg_hi:[0,1]
	v_mov_b32_e32 v62, v69
	v_mov_b32_e32 v68, v61
	;; [unrolled: 1-line block ×4, first 2 shown]
	v_pk_add_f32 v[62:63], v[62:63], v[68:69] neg_lo:[0,1] neg_hi:[0,1]
	v_mov_b32_e32 v66, v67
	v_mov_b32_e32 v67, v60
	v_pk_add_f32 v[60:61], v[66:67], v[62:63] neg_lo:[0,1] neg_hi:[0,1]
	v_mov_b32_e32 v74, v70
	v_pk_add_f32 v[62:63], v[74:75], v[60:61]
	v_mov_b32_e32 v66, v63
	v_pk_add_f32 v[66:67], v[62:63], v[66:67]
	v_pk_add_f32 v[64:65], v[64:65], v[66:67]
	v_mov_b32_e32 v63, v64
	v_pk_add_f32 v[68:69], v[62:63], v[70:71] neg_lo:[0,1] neg_hi:[0,1]
	v_mov_b32_e32 v61, v66
	v_sub_f32_e32 v15, v62, v68
	v_pk_add_f32 v[60:61], v[60:61], v[68:69] neg_lo:[0,1] neg_hi:[0,1]
	v_sub_f32_e32 v15, v70, v15
	v_add_f32_e32 v15, v60, v15
	v_add_f32_e32 v15, v15, v61
	v_cmp_eq_f32_e32 vcc, s60, v17
	v_cmp_lt_f32_e64 s[64:65], |v17|, s63
	v_add_f32_e32 v15, v64, v15
	s_or_b64 vcc, vcc, s[64:65]
	v_cndmask_b32_e32 v15, v15, v17, vcc
	v_add_f32_e32 v17, v10, v15
.LBB90_146:                             ;   in Loop: Header=BB90_126 Depth=1
	s_or_b64 exec, exec, s[40:41]
	v_mov_b32_e32 v10, v17
	v_mov_b32_e32 v15, v17
.LBB90_147:                             ;   in Loop: Header=BB90_126 Depth=1
	s_or_b64 exec, exec, s[54:55]
	s_waitcnt lgkmcnt(0)
	ds_bpermute_b32 v17, v52, v10
	v_cmp_le_u32_e32 vcc, v53, v16
	s_and_saveexec_b64 s[54:55], vcc
	s_cbranch_execz .LBB90_151
; %bb.148:                              ;   in Loop: Header=BB90_126 Depth=1
	v_max_f32_e32 v10, v15, v15
	s_waitcnt lgkmcnt(0)
	v_max_f32_e32 v61, v17, v17
	v_min_f32_e32 v60, v61, v10
	v_cmp_u_f32_e32 vcc, v17, v17
	v_max_f32_e32 v10, v61, v10
	v_cndmask_b32_e32 v60, v60, v17, vcc
	v_cmp_u_f32_e64 s[40:41], v15, v15
	v_cndmask_b32_e32 v10, v10, v17, vcc
	v_cndmask_b32_e64 v60, v60, v15, s[40:41]
	v_cndmask_b32_e64 v10, v10, v15, s[40:41]
	v_cmp_neq_f32_e32 vcc, v60, v10
	v_cmp_class_f32_e64 s[40:41], v60, s7
	s_or_b64 s[64:65], vcc, s[40:41]
	s_and_saveexec_b64 s[40:41], s[64:65]
	s_cbranch_execz .LBB90_150
; %bb.149:                              ;   in Loop: Header=BB90_126 Depth=1
	v_sub_f32_e32 v15, v60, v10
	v_mul_f32_e32 v17, 0x3fb8aa3b, v15
	v_fma_f32 v60, v15, s57, -v17
	v_rndne_f32_e32 v61, v17
	v_fmac_f32_e32 v60, 0x32a5705f, v15
	v_sub_f32_e32 v17, v17, v61
	v_add_f32_e32 v17, v17, v60
	v_cvt_i32_f32_e32 v60, v61
	v_exp_f32_e32 v17, v17
	v_cmp_ngt_f32_e32 vcc, s58, v15
	v_ldexp_f32 v17, v17, v60
	v_cndmask_b32_e32 v17, 0, v17, vcc
	v_cmp_nlt_f32_e32 vcc, s59, v15
	v_cndmask_b32_e32 v17, v59, v17, vcc
	v_add_f32_e32 v15, 1.0, v17
	v_add_f32_e32 v60, -1.0, v15
	v_sub_f32_e32 v61, v60, v15
	v_add_f32_e32 v61, 1.0, v61
	v_sub_f32_e32 v60, v17, v60
	v_add_f32_e32 v62, v60, v61
	v_frexp_mant_f32_e32 v63, v15
	v_cvt_f64_f32_e32 v[60:61], v15
	v_frexp_exp_i32_f64_e32 v60, v[60:61]
	v_cmp_gt_f32_e32 vcc, s61, v63
	v_subbrev_co_u32_e32 v68, vcc, 0, v60, vcc
	v_sub_u32_e32 v60, 0, v68
	v_ldexp_f32 v15, v15, v60
	v_ldexp_f32 v60, v62, v60
	v_add_f32_e32 v62, -1.0, v15
	v_add_f32_e32 v61, 1.0, v62
	v_sub_f32_e32 v61, v15, v61
	v_add_f32_e32 v63, v60, v61
	v_add_f32_e32 v61, 1.0, v15
	v_add_f32_e32 v64, -1.0, v61
	v_sub_f32_e32 v15, v15, v64
	v_add_f32_e32 v15, v60, v15
	v_add_f32_e32 v69, v61, v15
	v_rcp_f32_e32 v70, v69
	v_sub_f32_e32 v60, v61, v69
	v_add_f32_e32 v61, v62, v63
	v_add_f32_e32 v15, v15, v60
	v_mul_f32_e32 v72, v61, v70
	v_sub_f32_e32 v60, v62, v61
	v_mul_f32_e32 v62, v69, v72
	v_fma_f32 v64, v72, v69, -v62
	v_fmac_f32_e32 v64, v72, v15
	v_add_f32_e32 v71, v63, v60
	v_add_f32_e32 v60, v62, v64
	v_sub_f32_e32 v63, v61, v60
	v_pk_add_f32 v[66:67], v[60:61], v[62:63] neg_lo:[0,1] neg_hi:[0,1]
	v_mov_b32_e32 v65, v60
	v_pk_add_f32 v[60:61], v[66:67], v[64:65] neg_lo:[0,1] neg_hi:[0,1]
	v_add_f32_e32 v61, v71, v61
	v_add_f32_e32 v60, v60, v61
	;; [unrolled: 1-line block ×3, first 2 shown]
	v_mul_f32_e32 v71, v70, v61
	v_mul_f32_e32 v62, v69, v71
	v_fma_f32 v64, v71, v69, -v62
	v_fmac_f32_e32 v64, v71, v15
	v_sub_f32_e32 v15, v63, v61
	v_add_f32_e32 v15, v60, v15
	v_add_f32_e32 v60, v62, v64
	v_sub_f32_e32 v63, v61, v60
	v_pk_add_f32 v[66:67], v[60:61], v[62:63] neg_lo:[0,1] neg_hi:[0,1]
	v_mov_b32_e32 v65, v60
	v_pk_add_f32 v[60:61], v[66:67], v[64:65] neg_lo:[0,1] neg_hi:[0,1]
	v_add_f32_e32 v15, v15, v61
	v_add_f32_e32 v15, v60, v15
	;; [unrolled: 1-line block ×4, first 2 shown]
	v_sub_f32_e32 v60, v61, v72
	v_mul_f32_e32 v15, v70, v15
	v_sub_f32_e32 v60, v71, v60
	v_add_f32_e32 v62, v60, v15
	v_add_f32_e32 v64, v61, v62
	v_cvt_f32_i32_e32 v60, v68
	v_mul_f32_e32 v65, v64, v64
	v_mov_b32_e32 v15, 0x3ecc95a3
	v_sub_f32_e32 v61, v64, v61
	v_fmac_f32_e32 v15, 0x3e9b6dac, v65
	v_sub_f32_e32 v61, v62, v61
	v_fma_f32 v15, v65, v15, v57
	v_ldexp_f32 v66, v61, 1
	v_mul_f32_e32 v61, v64, v65
	v_ldexp_f32 v63, v64, 1
	v_pk_mul_f32 v[64:65], v[60:61], v[14:15]
	v_fma_f32 v62, v60, s62, -v64
	v_fmac_f32_e32 v62, 0xb102e308, v60
	v_pk_add_f32 v[60:61], v[64:65], v[62:63]
	v_sub_f32_e32 v15, v61, v63
	v_sub_f32_e32 v15, v65, v15
	v_add_f32_e32 v67, v66, v15
	v_mov_b32_e32 v66, v64
	v_pk_add_f32 v[64:65], v[60:61], v[64:65] neg_lo:[0,1] neg_hi:[0,1]
	v_pk_add_f32 v[68:69], v[60:61], v[66:67]
	v_mov_b32_e32 v65, v69
	v_mov_b32_e32 v63, v60
	v_pk_add_f32 v[70:71], v[62:63], v[64:65] neg_lo:[0,1] neg_hi:[0,1]
	v_pk_add_f32 v[62:63], v[62:63], v[64:65]
	v_mov_b32_e32 v64, v63
	v_pk_add_f32 v[72:73], v[64:65], v[60:61] neg_lo:[0,1] neg_hi:[0,1]
	v_mov_b32_e32 v15, v72
	v_pk_add_f32 v[74:75], v[68:69], v[14:15] neg_lo:[0,1] neg_hi:[0,1]
	v_mov_b32_e32 v62, v69
	v_mov_b32_e32 v68, v61
	;; [unrolled: 1-line block ×4, first 2 shown]
	v_pk_add_f32 v[62:63], v[62:63], v[68:69] neg_lo:[0,1] neg_hi:[0,1]
	v_mov_b32_e32 v66, v67
	v_mov_b32_e32 v67, v60
	v_pk_add_f32 v[60:61], v[66:67], v[62:63] neg_lo:[0,1] neg_hi:[0,1]
	v_mov_b32_e32 v74, v70
	v_pk_add_f32 v[62:63], v[74:75], v[60:61]
	v_mov_b32_e32 v66, v63
	v_pk_add_f32 v[66:67], v[62:63], v[66:67]
	v_pk_add_f32 v[64:65], v[64:65], v[66:67]
	v_mov_b32_e32 v63, v64
	v_pk_add_f32 v[68:69], v[62:63], v[70:71] neg_lo:[0,1] neg_hi:[0,1]
	v_mov_b32_e32 v61, v66
	v_sub_f32_e32 v15, v62, v68
	v_pk_add_f32 v[60:61], v[60:61], v[68:69] neg_lo:[0,1] neg_hi:[0,1]
	v_sub_f32_e32 v15, v70, v15
	v_add_f32_e32 v15, v60, v15
	v_add_f32_e32 v15, v15, v61
	v_cmp_eq_f32_e32 vcc, s60, v17
	v_cmp_lt_f32_e64 s[64:65], |v17|, s63
	v_add_f32_e32 v15, v64, v15
	s_or_b64 vcc, vcc, s[64:65]
	v_cndmask_b32_e32 v15, v15, v17, vcc
	v_add_f32_e32 v17, v10, v15
.LBB90_150:                             ;   in Loop: Header=BB90_126 Depth=1
	s_or_b64 exec, exec, s[40:41]
	v_mov_b32_e32 v10, v17
	v_mov_b32_e32 v15, v17
.LBB90_151:                             ;   in Loop: Header=BB90_126 Depth=1
	s_or_b64 exec, exec, s[54:55]
	s_waitcnt lgkmcnt(0)
	ds_bpermute_b32 v17, v54, v10
	v_cmp_le_u32_e32 vcc, v55, v16
	s_and_saveexec_b64 s[54:55], vcc
	s_cbranch_execz .LBB90_155
; %bb.152:                              ;   in Loop: Header=BB90_126 Depth=1
	v_max_f32_e32 v10, v15, v15
	s_waitcnt lgkmcnt(0)
	v_max_f32_e32 v60, v17, v17
	v_min_f32_e32 v16, v60, v10
	v_cmp_u_f32_e32 vcc, v17, v17
	v_max_f32_e32 v10, v60, v10
	v_cndmask_b32_e32 v16, v16, v17, vcc
	v_cmp_u_f32_e64 s[40:41], v15, v15
	v_cndmask_b32_e32 v10, v10, v17, vcc
	v_cndmask_b32_e64 v16, v16, v15, s[40:41]
	v_cndmask_b32_e64 v10, v10, v15, s[40:41]
	v_cmp_neq_f32_e32 vcc, v16, v10
	v_cmp_class_f32_e64 s[40:41], v16, s7
	s_or_b64 s[64:65], vcc, s[40:41]
	s_and_saveexec_b64 s[40:41], s[64:65]
	s_cbranch_execz .LBB90_154
; %bb.153:                              ;   in Loop: Header=BB90_126 Depth=1
	v_sub_f32_e32 v15, v16, v10
	v_mul_f32_e32 v16, 0x3fb8aa3b, v15
	v_fma_f32 v17, v15, s57, -v16
	v_rndne_f32_e32 v60, v16
	v_fmac_f32_e32 v17, 0x32a5705f, v15
	v_sub_f32_e32 v16, v16, v60
	v_add_f32_e32 v16, v16, v17
	v_cvt_i32_f32_e32 v17, v60
	v_exp_f32_e32 v16, v16
	v_cmp_ngt_f32_e32 vcc, s58, v15
	v_ldexp_f32 v16, v16, v17
	v_cndmask_b32_e32 v16, 0, v16, vcc
	v_cmp_nlt_f32_e32 vcc, s59, v15
	v_cndmask_b32_e32 v74, v59, v16, vcc
	v_add_f32_e32 v15, 1.0, v74
	v_add_f32_e32 v16, -1.0, v15
	v_sub_f32_e32 v17, v16, v15
	v_add_f32_e32 v17, 1.0, v17
	v_sub_f32_e32 v16, v74, v16
	v_add_f32_e32 v60, v16, v17
	v_frexp_mant_f32_e32 v61, v15
	v_cvt_f64_f32_e32 v[16:17], v15
	v_frexp_exp_i32_f64_e32 v16, v[16:17]
	v_cmp_gt_f32_e32 vcc, s61, v61
	v_subbrev_co_u32_e32 v66, vcc, 0, v16, vcc
	v_sub_u32_e32 v16, 0, v66
	v_ldexp_f32 v15, v15, v16
	v_ldexp_f32 v16, v60, v16
	v_add_f32_e32 v60, -1.0, v15
	v_add_f32_e32 v17, 1.0, v60
	v_sub_f32_e32 v17, v15, v17
	v_add_f32_e32 v61, v16, v17
	v_add_f32_e32 v17, 1.0, v15
	v_add_f32_e32 v62, -1.0, v17
	v_sub_f32_e32 v15, v15, v62
	v_add_f32_e32 v15, v16, v15
	v_add_f32_e32 v67, v17, v15
	v_rcp_f32_e32 v68, v67
	v_sub_f32_e32 v16, v17, v67
	v_add_f32_e32 v17, v60, v61
	v_add_f32_e32 v15, v15, v16
	v_mul_f32_e32 v70, v17, v68
	v_sub_f32_e32 v16, v60, v17
	v_mul_f32_e32 v60, v67, v70
	v_fma_f32 v62, v70, v67, -v60
	v_fmac_f32_e32 v62, v70, v15
	v_add_f32_e32 v69, v61, v16
	v_add_f32_e32 v16, v60, v62
	v_sub_f32_e32 v61, v17, v16
	v_pk_add_f32 v[64:65], v[16:17], v[60:61] neg_lo:[0,1] neg_hi:[0,1]
	v_mov_b32_e32 v63, v16
	v_pk_add_f32 v[16:17], v[64:65], v[62:63] neg_lo:[0,1] neg_hi:[0,1]
	v_add_f32_e32 v17, v69, v17
	v_add_f32_e32 v16, v16, v17
	;; [unrolled: 1-line block ×3, first 2 shown]
	v_mul_f32_e32 v69, v68, v17
	v_mul_f32_e32 v60, v67, v69
	v_fma_f32 v62, v69, v67, -v60
	v_fmac_f32_e32 v62, v69, v15
	v_sub_f32_e32 v15, v61, v17
	v_add_f32_e32 v15, v16, v15
	v_add_f32_e32 v16, v60, v62
	v_sub_f32_e32 v61, v17, v16
	v_pk_add_f32 v[64:65], v[16:17], v[60:61] neg_lo:[0,1] neg_hi:[0,1]
	v_mov_b32_e32 v63, v16
	v_pk_add_f32 v[16:17], v[64:65], v[62:63] neg_lo:[0,1] neg_hi:[0,1]
	v_add_f32_e32 v15, v15, v17
	v_add_f32_e32 v15, v16, v15
	;; [unrolled: 1-line block ×4, first 2 shown]
	v_sub_f32_e32 v16, v17, v70
	v_mul_f32_e32 v15, v68, v15
	v_sub_f32_e32 v16, v69, v16
	v_add_f32_e32 v60, v16, v15
	v_add_f32_e32 v62, v17, v60
	v_cvt_f32_i32_e32 v16, v66
	v_mul_f32_e32 v63, v62, v62
	v_mov_b32_e32 v15, 0x3ecc95a3
	v_sub_f32_e32 v17, v62, v17
	v_fmac_f32_e32 v15, 0x3e9b6dac, v63
	v_sub_f32_e32 v17, v60, v17
	v_fma_f32 v15, v63, v15, v57
	v_ldexp_f32 v64, v17, 1
	v_mul_f32_e32 v17, v62, v63
	v_ldexp_f32 v61, v62, 1
	v_pk_mul_f32 v[62:63], v[16:17], v[14:15]
	v_fma_f32 v60, v16, s62, -v62
	v_fmac_f32_e32 v60, 0xb102e308, v16
	v_pk_add_f32 v[16:17], v[62:63], v[60:61]
	v_sub_f32_e32 v15, v17, v61
	v_sub_f32_e32 v15, v63, v15
	v_add_f32_e32 v65, v64, v15
	v_mov_b32_e32 v64, v62
	v_pk_add_f32 v[62:63], v[16:17], v[62:63] neg_lo:[0,1] neg_hi:[0,1]
	v_pk_add_f32 v[66:67], v[16:17], v[64:65]
	v_mov_b32_e32 v63, v67
	v_mov_b32_e32 v61, v16
	v_pk_add_f32 v[68:69], v[60:61], v[62:63] neg_lo:[0,1] neg_hi:[0,1]
	v_pk_add_f32 v[60:61], v[60:61], v[62:63]
	v_mov_b32_e32 v62, v61
	v_pk_add_f32 v[70:71], v[62:63], v[16:17] neg_lo:[0,1] neg_hi:[0,1]
	v_mov_b32_e32 v15, v70
	v_pk_add_f32 v[72:73], v[66:67], v[14:15] neg_lo:[0,1] neg_hi:[0,1]
	v_mov_b32_e32 v60, v67
	v_mov_b32_e32 v66, v17
	v_mov_b32_e32 v67, v70
	v_mov_b32_e32 v69, v61
	v_pk_add_f32 v[60:61], v[60:61], v[66:67] neg_lo:[0,1] neg_hi:[0,1]
	v_mov_b32_e32 v64, v65
	v_mov_b32_e32 v65, v16
	v_pk_add_f32 v[16:17], v[64:65], v[60:61] neg_lo:[0,1] neg_hi:[0,1]
	v_mov_b32_e32 v72, v68
	v_pk_add_f32 v[60:61], v[72:73], v[16:17]
	v_mov_b32_e32 v64, v61
	v_pk_add_f32 v[64:65], v[60:61], v[64:65]
	v_pk_add_f32 v[62:63], v[62:63], v[64:65]
	v_mov_b32_e32 v61, v62
	v_pk_add_f32 v[66:67], v[60:61], v[68:69] neg_lo:[0,1] neg_hi:[0,1]
	v_mov_b32_e32 v17, v64
	v_sub_f32_e32 v15, v60, v66
	v_pk_add_f32 v[16:17], v[16:17], v[66:67] neg_lo:[0,1] neg_hi:[0,1]
	v_sub_f32_e32 v15, v68, v15
	v_add_f32_e32 v15, v16, v15
	v_add_f32_e32 v15, v15, v17
	v_cmp_eq_f32_e32 vcc, s60, v74
	v_cmp_lt_f32_e64 s[64:65], |v74|, s63
	v_add_f32_e32 v15, v62, v15
	s_or_b64 vcc, vcc, s[64:65]
	v_cndmask_b32_e32 v15, v15, v74, vcc
	v_add_f32_e32 v17, v10, v15
.LBB90_154:                             ;   in Loop: Header=BB90_126 Depth=1
	s_or_b64 exec, exec, s[40:41]
	v_mov_b32_e32 v15, v17
.LBB90_155:                             ;   in Loop: Header=BB90_126 Depth=1
	s_or_b64 exec, exec, s[54:55]
	v_max_f32_e32 v10, v56, v56
	s_waitcnt lgkmcnt(0)
	v_max_f32_e32 v17, v15, v15
	v_min_f32_e32 v16, v17, v10
	v_cmp_u_f32_e32 vcc, v15, v15
	v_max_f32_e32 v10, v17, v10
	v_cndmask_b32_e32 v16, v16, v15, vcc
	v_cmp_u_f32_e64 s[40:41], v56, v56
	v_cndmask_b32_e32 v10, v10, v15, vcc
	v_cndmask_b32_e64 v16, v16, v56, s[40:41]
	v_cndmask_b32_e64 v10, v10, v56, s[40:41]
	v_cmp_neq_f32_e32 vcc, v16, v10
	v_cmp_class_f32_e64 s[40:41], v16, s7
	s_or_b64 s[40:41], vcc, s[40:41]
	s_and_saveexec_b64 s[54:55], s[40:41]
	s_xor_b64 s[40:41], exec, s[54:55]
	s_cbranch_execz .LBB90_125
; %bb.156:                              ;   in Loop: Header=BB90_126 Depth=1
	v_sub_f32_e32 v15, v16, v10
	v_mul_f32_e32 v16, 0x3fb8aa3b, v15
	v_fma_f32 v17, v15, s57, -v16
	v_rndne_f32_e32 v60, v16
	v_fmac_f32_e32 v17, 0x32a5705f, v15
	v_sub_f32_e32 v16, v16, v60
	v_add_f32_e32 v16, v16, v17
	v_cvt_i32_f32_e32 v17, v60
	v_exp_f32_e32 v16, v16
	v_cmp_ngt_f32_e32 vcc, s58, v15
	v_ldexp_f32 v16, v16, v17
	v_cndmask_b32_e32 v16, 0, v16, vcc
	v_cmp_nlt_f32_e32 vcc, s59, v15
	v_cndmask_b32_e32 v74, v59, v16, vcc
	v_add_f32_e32 v15, 1.0, v74
	v_add_f32_e32 v16, -1.0, v15
	v_sub_f32_e32 v17, v16, v15
	v_add_f32_e32 v17, 1.0, v17
	v_sub_f32_e32 v16, v74, v16
	v_add_f32_e32 v60, v16, v17
	v_frexp_mant_f32_e32 v61, v15
	v_cvt_f64_f32_e32 v[16:17], v15
	v_frexp_exp_i32_f64_e32 v16, v[16:17]
	v_cmp_gt_f32_e32 vcc, s61, v61
	v_subbrev_co_u32_e32 v16, vcc, 0, v16, vcc
	v_sub_u32_e32 v17, 0, v16
	v_ldexp_f32 v15, v15, v17
	v_ldexp_f32 v17, v60, v17
	v_add_f32_e32 v60, -1.0, v15
	v_add_f32_e32 v63, 1.0, v15
	v_add_f32_e32 v61, 1.0, v60
	v_add_f32_e32 v64, -1.0, v63
	v_sub_f32_e32 v61, v15, v61
	v_sub_f32_e32 v15, v15, v64
	v_add_f32_e32 v15, v17, v15
	v_add_f32_e32 v61, v17, v61
	;; [unrolled: 1-line block ×3, first 2 shown]
	v_rcp_f32_e32 v64, v17
	v_add_f32_e32 v62, v60, v61
	v_sub_f32_e32 v60, v60, v62
	v_add_f32_e32 v60, v61, v60
	v_sub_f32_e32 v61, v63, v17
	v_add_f32_e32 v15, v15, v61
	v_mul_f32_e32 v61, v62, v64
	v_mul_f32_e32 v63, v17, v61
	v_fma_f32 v65, v61, v17, -v63
	v_fmac_f32_e32 v65, v61, v15
	v_add_f32_e32 v66, v63, v65
	v_sub_f32_e32 v67, v62, v66
	v_sub_f32_e32 v62, v62, v67
	;; [unrolled: 1-line block ×4, first 2 shown]
	v_add_f32_e32 v60, v60, v62
	v_sub_f32_e32 v62, v63, v65
	v_add_f32_e32 v60, v62, v60
	v_add_f32_e32 v62, v67, v60
	v_mul_f32_e32 v63, v64, v62
	v_mul_f32_e32 v65, v17, v63
	v_fma_f32 v17, v63, v17, -v65
	v_fmac_f32_e32 v17, v63, v15
	v_sub_f32_e32 v15, v67, v62
	v_add_f32_e32 v15, v60, v15
	v_add_f32_e32 v60, v65, v17
	v_sub_f32_e32 v66, v62, v60
	v_sub_f32_e32 v62, v62, v66
	;; [unrolled: 1-line block ×4, first 2 shown]
	v_add_f32_e32 v15, v15, v60
	v_sub_f32_e32 v17, v65, v17
	v_add_f32_e32 v15, v17, v15
	v_add_f32_e32 v17, v61, v63
	;; [unrolled: 1-line block ×3, first 2 shown]
	v_sub_f32_e32 v60, v17, v61
	v_mul_f32_e32 v15, v64, v15
	v_sub_f32_e32 v60, v63, v60
	v_add_f32_e32 v60, v60, v15
	v_add_f32_e32 v62, v17, v60
	v_cvt_f32_i32_e32 v16, v16
	v_mul_f32_e32 v63, v62, v62
	v_mov_b32_e32 v15, 0x3ecc95a3
	v_sub_f32_e32 v17, v62, v17
	v_fmac_f32_e32 v15, 0x3e9b6dac, v63
	v_sub_f32_e32 v17, v60, v17
	v_fma_f32 v15, v63, v15, v57
	v_ldexp_f32 v64, v17, 1
	v_mul_f32_e32 v17, v62, v63
	v_ldexp_f32 v61, v62, 1
	v_pk_mul_f32 v[62:63], v[16:17], v[14:15]
	v_fma_f32 v60, v16, s62, -v62
	v_fmac_f32_e32 v60, 0xb102e308, v16
	v_pk_add_f32 v[16:17], v[62:63], v[60:61]
	v_sub_f32_e32 v15, v17, v61
	v_sub_f32_e32 v15, v63, v15
	v_add_f32_e32 v65, v64, v15
	v_mov_b32_e32 v64, v62
	v_pk_add_f32 v[62:63], v[16:17], v[62:63] neg_lo:[0,1] neg_hi:[0,1]
	v_pk_add_f32 v[66:67], v[16:17], v[64:65]
	v_mov_b32_e32 v63, v67
	v_mov_b32_e32 v61, v16
	v_pk_add_f32 v[68:69], v[60:61], v[62:63] neg_lo:[0,1] neg_hi:[0,1]
	v_pk_add_f32 v[60:61], v[60:61], v[62:63]
	v_mov_b32_e32 v62, v61
	v_pk_add_f32 v[70:71], v[62:63], v[16:17] neg_lo:[0,1] neg_hi:[0,1]
	v_mov_b32_e32 v15, v70
	v_pk_add_f32 v[72:73], v[66:67], v[14:15] neg_lo:[0,1] neg_hi:[0,1]
	v_mov_b32_e32 v60, v67
	v_mov_b32_e32 v66, v17
	;; [unrolled: 1-line block ×4, first 2 shown]
	v_pk_add_f32 v[60:61], v[60:61], v[66:67] neg_lo:[0,1] neg_hi:[0,1]
	v_mov_b32_e32 v64, v65
	v_mov_b32_e32 v65, v16
	v_pk_add_f32 v[16:17], v[64:65], v[60:61] neg_lo:[0,1] neg_hi:[0,1]
	v_mov_b32_e32 v72, v68
	v_pk_add_f32 v[60:61], v[72:73], v[16:17]
	v_mov_b32_e32 v64, v61
	v_pk_add_f32 v[64:65], v[60:61], v[64:65]
	v_pk_add_f32 v[62:63], v[62:63], v[64:65]
	v_mov_b32_e32 v61, v62
	v_pk_add_f32 v[66:67], v[60:61], v[68:69] neg_lo:[0,1] neg_hi:[0,1]
	v_mov_b32_e32 v17, v64
	v_sub_f32_e32 v15, v60, v66
	v_pk_add_f32 v[16:17], v[16:17], v[66:67] neg_lo:[0,1] neg_hi:[0,1]
	v_sub_f32_e32 v15, v68, v15
	v_add_f32_e32 v15, v16, v15
	v_add_f32_e32 v15, v15, v17
	v_cmp_eq_f32_e32 vcc, s60, v74
	v_cmp_lt_f32_e64 s[54:55], |v74|, s63
	v_add_f32_e32 v15, v62, v15
	s_or_b64 vcc, vcc, s[54:55]
	v_cndmask_b32_e32 v15, v15, v74, vcc
	v_add_f32_e32 v15, v10, v15
	s_branch .LBB90_125
.LBB90_157:                             ;   in Loop: Header=BB90_126 Depth=1
                                        ; implicit-def: $vgpr15
                                        ; implicit-def: $vgpr11
	s_cbranch_execz .LBB90_126
; %bb.158:
	s_and_saveexec_b64 s[40:41], s[36:37]
	s_cbranch_execz .LBB90_162
; %bb.159:
	v_max_f32_e32 v7, v6, v6
	v_max_f32_e32 v9, v56, v56
	v_min_f32_e32 v8, v9, v7
	v_cmp_u_f32_e32 vcc, v56, v56
	v_max_f32_e32 v7, v9, v7
	v_cndmask_b32_e32 v8, v8, v56, vcc
	v_cmp_u_f32_e64 s[36:37], v6, v6
	v_cndmask_b32_e32 v7, v7, v56, vcc
	v_cndmask_b32_e64 v8, v8, v6, s[36:37]
	v_cndmask_b32_e64 v7, v7, v6, s[36:37]
	s_movk_i32 s7, 0x1f8
	v_cmp_neq_f32_e32 vcc, v8, v7
	v_cmp_class_f32_e64 s[36:37], v8, s7
	s_or_b64 s[54:55], vcc, s[36:37]
	v_mov_b32_e32 v6, v56
	s_and_saveexec_b64 s[36:37], s[54:55]
	s_cbranch_execz .LBB90_161
; %bb.160:
	v_sub_f32_e32 v6, v8, v7
	s_mov_b32 s7, 0x3fb8aa3b
	v_mul_f32_e32 v8, 0x3fb8aa3b, v6
	v_fma_f32 v9, v6, s7, -v8
	v_rndne_f32_e32 v10, v8
	v_fmac_f32_e32 v9, 0x32a5705f, v6
	v_sub_f32_e32 v8, v8, v10
	v_add_f32_e32 v8, v8, v9
	v_exp_f32_e32 v8, v8
	v_cvt_i32_f32_e32 v9, v10
	s_mov_b32 s7, 0xc2ce8ed0
	v_cmp_ngt_f32_e32 vcc, s7, v6
	s_mov_b32 s7, 0x42b17218
	v_ldexp_f32 v8, v8, v9
	v_cndmask_b32_e32 v8, 0, v8, vcc
	v_mov_b32_e32 v9, 0x7f800000
	v_cmp_nlt_f32_e32 vcc, s7, v6
	v_cndmask_b32_e32 v45, v9, v8, vcc
	v_add_f32_e32 v6, 1.0, v45
	v_add_f32_e32 v8, -1.0, v6
	v_sub_f32_e32 v9, v8, v6
	v_add_f32_e32 v9, 1.0, v9
	v_sub_f32_e32 v8, v45, v8
	v_add_f32_e32 v10, v8, v9
	v_frexp_mant_f32_e32 v11, v6
	s_mov_b32 s7, 0x3f2aaaab
	v_cvt_f64_f32_e32 v[8:9], v6
	v_frexp_exp_i32_f64_e32 v8, v[8:9]
	v_cmp_gt_f32_e32 vcc, s7, v11
	v_subbrev_co_u32_e32 v16, vcc, 0, v8, vcc
	v_sub_u32_e32 v8, 0, v16
	v_ldexp_f32 v6, v6, v8
	v_ldexp_f32 v8, v10, v8
	v_add_f32_e32 v10, -1.0, v6
	v_add_f32_e32 v9, 1.0, v10
	v_sub_f32_e32 v9, v6, v9
	v_add_f32_e32 v11, v8, v9
	v_add_f32_e32 v9, 1.0, v6
	v_add_f32_e32 v12, -1.0, v9
	v_sub_f32_e32 v6, v6, v12
	v_add_f32_e32 v6, v8, v6
	v_add_f32_e32 v17, v9, v6
	v_rcp_f32_e32 v46, v17
	v_sub_f32_e32 v8, v9, v17
	v_add_f32_e32 v9, v10, v11
	v_add_f32_e32 v6, v6, v8
	v_mul_f32_e32 v48, v9, v46
	v_sub_f32_e32 v8, v10, v9
	v_mul_f32_e32 v10, v17, v48
	v_fma_f32 v12, v48, v17, -v10
	v_fmac_f32_e32 v12, v48, v6
	v_add_f32_e32 v47, v11, v8
	v_add_f32_e32 v8, v10, v12
	v_sub_f32_e32 v11, v9, v8
	v_pk_add_f32 v[14:15], v[8:9], v[10:11] neg_lo:[0,1] neg_hi:[0,1]
	v_mov_b32_e32 v13, v8
	v_pk_add_f32 v[8:9], v[14:15], v[12:13] neg_lo:[0,1] neg_hi:[0,1]
	v_add_f32_e32 v9, v47, v9
	v_add_f32_e32 v8, v8, v9
	;; [unrolled: 1-line block ×3, first 2 shown]
	v_mul_f32_e32 v47, v46, v9
	v_mul_f32_e32 v10, v17, v47
	v_fma_f32 v12, v47, v17, -v10
	v_fmac_f32_e32 v12, v47, v6
	v_sub_f32_e32 v6, v11, v9
	v_add_f32_e32 v6, v8, v6
	v_add_f32_e32 v8, v10, v12
	v_sub_f32_e32 v11, v9, v8
	v_pk_add_f32 v[14:15], v[8:9], v[10:11] neg_lo:[0,1] neg_hi:[0,1]
	v_mov_b32_e32 v13, v8
	v_pk_add_f32 v[8:9], v[14:15], v[12:13] neg_lo:[0,1] neg_hi:[0,1]
	v_add_f32_e32 v6, v6, v9
	v_add_f32_e32 v6, v8, v6
	;; [unrolled: 1-line block ×4, first 2 shown]
	v_sub_f32_e32 v9, v8, v48
	v_mul_f32_e32 v6, v46, v6
	v_sub_f32_e32 v9, v47, v9
	v_add_f32_e32 v6, v9, v6
	v_add_f32_e32 v11, v8, v6
	v_mul_f32_e32 v12, v11, v11
	v_mov_b32_e32 v10, 0x3ecc95a3
	v_fmac_f32_e32 v10, 0x3e9b6dac, v12
	v_mov_b32_e32 v9, 0x3f2aaada
	v_fmac_f32_e32 v9, v12, v10
	v_cvt_f32_i32_e32 v10, v16
	v_sub_f32_e32 v8, v11, v8
	v_sub_f32_e32 v6, v6, v8
	v_ldexp_f32 v13, v11, 1
	v_mul_f32_e32 v11, v11, v12
	v_mov_b32_e32 v8, 0x3f317218
	s_mov_b32 s7, 0x3f317218
	v_pk_mul_f32 v[8:9], v[10:11], v[8:9]
	v_fma_f32 v12, v10, s7, -v8
	v_fmac_f32_e32 v12, 0xb102e308, v10
	v_pk_add_f32 v[10:11], v[8:9], v[12:13]
	v_sub_f32_e32 v13, v11, v13
	v_ldexp_f32 v6, v6, 1
	v_sub_f32_e32 v13, v9, v13
	v_add_f32_e32 v15, v6, v13
	v_mov_b32_e32 v14, v8
	v_pk_add_f32 v[8:9], v[10:11], v[8:9] neg_lo:[0,1] neg_hi:[0,1]
	v_pk_add_f32 v[16:17], v[10:11], v[14:15]
	v_mov_b32_e32 v9, v17
	v_mov_b32_e32 v13, v10
	v_pk_add_f32 v[46:47], v[12:13], v[8:9] neg_lo:[0,1] neg_hi:[0,1]
	v_pk_add_f32 v[8:9], v[12:13], v[8:9]
	v_mov_b32_e32 v6, v9
	v_pk_add_f32 v[12:13], v[6:7], v[10:11] neg_lo:[0,1] neg_hi:[0,1]
	v_mov_b32_e32 v13, v12
	v_pk_add_f32 v[48:49], v[16:17], v[12:13] neg_lo:[0,1] neg_hi:[0,1]
	v_mov_b32_e32 v8, v17
	v_mov_b32_e32 v16, v11
	;; [unrolled: 1-line block ×4, first 2 shown]
	v_pk_add_f32 v[8:9], v[8:9], v[16:17] neg_lo:[0,1] neg_hi:[0,1]
	v_mov_b32_e32 v12, v15
	v_mov_b32_e32 v13, v10
	v_pk_add_f32 v[8:9], v[12:13], v[8:9] neg_lo:[0,1] neg_hi:[0,1]
	v_mov_b32_e32 v48, v46
	v_pk_add_f32 v[10:11], v[48:49], v[8:9]
	v_mov_b32_e32 v12, v11
	v_pk_add_f32 v[12:13], v[10:11], v[12:13]
	v_pk_add_f32 v[14:15], v[6:7], v[12:13]
	v_mov_b32_e32 v11, v14
	v_pk_add_f32 v[16:17], v[10:11], v[46:47] neg_lo:[0,1] neg_hi:[0,1]
	v_mov_b32_e32 v9, v12
	v_sub_f32_e32 v6, v10, v16
	v_pk_add_f32 v[8:9], v[8:9], v[16:17] neg_lo:[0,1] neg_hi:[0,1]
	v_sub_f32_e32 v6, v46, v6
	s_mov_b32 s54, 0x7f800000
	v_add_f32_e32 v6, v8, v6
	s_mov_b32 s7, 0x33800000
	v_add_f32_e32 v6, v6, v9
	v_cmp_eq_f32_e32 vcc, s54, v45
	v_cmp_lt_f32_e64 s[54:55], |v45|, s7
	v_add_f32_e32 v6, v14, v6
	s_or_b64 vcc, vcc, s[54:55]
	v_cndmask_b32_e32 v6, v6, v45, vcc
	v_add_f32_e32 v6, v7, v6
.LBB90_161:
	s_or_b64 exec, exec, s[36:37]
	s_add_i32 s6, s6, 64
	s_mov_b32 s7, 0
	s_lshl_b64 s[6:7], s[6:7], 3
	s_add_u32 s6, s52, s6
	s_addc_u32 s7, s53, s7
	v_mov_b32_e32 v8, 0
	v_mov_b32_e32 v7, 2
	global_store_dwordx2 v8, v[6:7], s[6:7]
.LBB90_162:
	s_or_b64 exec, exec, s[40:41]
	s_and_b64 exec, exec, s[34:35]
	s_cbranch_execz .LBB90_164
; %bb.163:
	v_mov_b32_e32 v6, 0
	ds_write_b32 v6, v56
.LBB90_164:
	s_or_b64 exec, exec, s[42:43]
	v_mov_b32_e32 v6, 0
	s_waitcnt lgkmcnt(0)
	s_barrier
	ds_read_b32 v6, v6
	v_mov_b32_e32 v7, v2
	s_and_saveexec_b64 s[6:7], s[30:31]
	s_cbranch_execz .LBB90_168
; %bb.165:
	v_max_f32_e32 v7, v44, v44
	v_min_f32_e32 v8, v7, v43
	v_cmp_u_f32_e32 vcc, v44, v44
	v_max_f32_e32 v7, v7, v43
	v_cndmask_b32_e32 v8, v8, v44, vcc
	v_cndmask_b32_e32 v7, v7, v44, vcc
	v_cndmask_b32_e64 v8, v8, v2, s[28:29]
	v_cndmask_b32_e64 v7, v7, v2, s[28:29]
	s_movk_i32 s28, 0x1f8
	v_cmp_neq_f32_e32 vcc, v8, v7
	v_cmp_class_f32_e64 s[28:29], v8, s28
	s_or_b64 s[30:31], vcc, s[28:29]
	s_and_saveexec_b64 s[28:29], s[30:31]
	s_cbranch_execz .LBB90_167
; %bb.166:
	v_sub_f32_e32 v8, v8, v7
	s_mov_b32 s30, 0x3fb8aa3b
	v_mul_f32_e32 v9, 0x3fb8aa3b, v8
	v_fma_f32 v10, v8, s30, -v9
	v_rndne_f32_e32 v11, v9
	v_fmac_f32_e32 v10, 0x32a5705f, v8
	v_sub_f32_e32 v9, v9, v11
	v_add_f32_e32 v9, v9, v10
	v_exp_f32_e32 v9, v9
	v_cvt_i32_f32_e32 v10, v11
	s_mov_b32 s30, 0xc2ce8ed0
	v_cmp_ngt_f32_e32 vcc, s30, v8
	s_mov_b32 s30, 0x42b17218
	v_ldexp_f32 v9, v9, v10
	v_cndmask_b32_e32 v9, 0, v9, vcc
	v_mov_b32_e32 v10, 0x7f800000
	v_cmp_nlt_f32_e32 vcc, s30, v8
	v_cndmask_b32_e32 v43, v10, v9, vcc
	v_add_f32_e32 v10, 1.0, v43
	v_add_f32_e32 v8, -1.0, v10
	v_sub_f32_e32 v9, v8, v10
	v_add_f32_e32 v9, 1.0, v9
	v_sub_f32_e32 v8, v43, v8
	v_add_f32_e32 v11, v8, v9
	v_frexp_mant_f32_e32 v12, v10
	s_mov_b32 s30, 0x3f2aaaab
	v_cvt_f64_f32_e32 v[8:9], v10
	v_frexp_exp_i32_f64_e32 v8, v[8:9]
	v_cmp_gt_f32_e32 vcc, s30, v12
	v_subbrev_co_u32_e32 v16, vcc, 0, v8, vcc
	v_sub_u32_e32 v8, 0, v16
	v_ldexp_f32 v9, v10, v8
	v_add_f32_e32 v10, -1.0, v9
	v_add_f32_e32 v12, 1.0, v9
	v_ldexp_f32 v8, v11, v8
	v_add_f32_e32 v11, 1.0, v10
	v_add_f32_e32 v13, -1.0, v12
	v_sub_f32_e32 v11, v9, v11
	v_sub_f32_e32 v9, v9, v13
	v_add_f32_e32 v11, v8, v11
	v_add_f32_e32 v8, v8, v9
	;; [unrolled: 1-line block ×3, first 2 shown]
	v_rcp_f32_e32 v45, v17
	v_sub_f32_e32 v9, v12, v17
	v_add_f32_e32 v44, v8, v9
	v_add_f32_e32 v9, v10, v11
	v_mul_f32_e32 v47, v9, v45
	v_sub_f32_e32 v8, v10, v9
	v_mul_f32_e32 v10, v17, v47
	v_fma_f32 v12, v47, v17, -v10
	v_fmac_f32_e32 v12, v47, v44
	v_add_f32_e32 v46, v11, v8
	v_add_f32_e32 v8, v10, v12
	v_sub_f32_e32 v11, v9, v8
	v_pk_add_f32 v[14:15], v[8:9], v[10:11] neg_lo:[0,1] neg_hi:[0,1]
	v_mov_b32_e32 v13, v8
	v_pk_add_f32 v[8:9], v[14:15], v[12:13] neg_lo:[0,1] neg_hi:[0,1]
	v_add_f32_e32 v9, v46, v9
	v_add_f32_e32 v8, v8, v9
	;; [unrolled: 1-line block ×3, first 2 shown]
	v_mul_f32_e32 v46, v45, v9
	v_mul_f32_e32 v10, v17, v46
	v_fma_f32 v12, v46, v17, -v10
	v_fmac_f32_e32 v12, v46, v44
	v_sub_f32_e32 v11, v11, v9
	v_add_f32_e32 v17, v8, v11
	v_add_f32_e32 v8, v10, v12
	v_sub_f32_e32 v11, v9, v8
	v_pk_add_f32 v[14:15], v[8:9], v[10:11] neg_lo:[0,1] neg_hi:[0,1]
	v_mov_b32_e32 v13, v8
	v_pk_add_f32 v[8:9], v[14:15], v[12:13] neg_lo:[0,1] neg_hi:[0,1]
	v_add_f32_e32 v9, v17, v9
	v_add_f32_e32 v8, v8, v9
	;; [unrolled: 1-line block ×4, first 2 shown]
	v_sub_f32_e32 v9, v11, v47
	v_mul_f32_e32 v8, v45, v8
	v_sub_f32_e32 v9, v46, v9
	v_add_f32_e32 v8, v9, v8
	v_add_f32_e32 v12, v11, v8
	v_mul_f32_e32 v14, v12, v12
	v_mov_b32_e32 v10, 0x3ecc95a3
	v_fmac_f32_e32 v10, 0x3e9b6dac, v14
	v_mov_b32_e32 v9, 0x3f2aaada
	v_fmac_f32_e32 v9, v14, v10
	v_cvt_f32_i32_e32 v10, v16
	v_sub_f32_e32 v11, v12, v11
	v_sub_f32_e32 v8, v8, v11
	v_ldexp_f32 v15, v8, 1
	v_mul_f32_e32 v11, v12, v14
	v_mov_b32_e32 v8, 0x3f317218
	s_mov_b32 s30, 0x3f317218
	v_pk_mul_f32 v[8:9], v[10:11], v[8:9]
	v_ldexp_f32 v13, v12, 1
	v_fma_f32 v12, v10, s30, -v8
	v_fmac_f32_e32 v12, 0xb102e308, v10
	v_pk_add_f32 v[10:11], v[8:9], v[12:13]
	v_sub_f32_e32 v13, v11, v13
	v_sub_f32_e32 v13, v9, v13
	v_add_f32_e32 v15, v15, v13
	v_mov_b32_e32 v14, v8
	v_pk_add_f32 v[8:9], v[10:11], v[8:9] neg_lo:[0,1] neg_hi:[0,1]
	v_pk_add_f32 v[16:17], v[10:11], v[14:15]
	v_mov_b32_e32 v9, v17
	v_mov_b32_e32 v13, v10
	v_pk_add_f32 v[44:45], v[12:13], v[8:9] neg_lo:[0,1] neg_hi:[0,1]
	v_pk_add_f32 v[8:9], v[12:13], v[8:9]
	v_mov_b32_e32 v12, v9
	v_pk_add_f32 v[46:47], v[12:13], v[10:11] neg_lo:[0,1] neg_hi:[0,1]
	v_mov_b32_e32 v13, v46
	v_pk_add_f32 v[48:49], v[16:17], v[12:13] neg_lo:[0,1] neg_hi:[0,1]
	v_mov_b32_e32 v8, v17
	v_mov_b32_e32 v16, v11
	;; [unrolled: 1-line block ×4, first 2 shown]
	v_pk_add_f32 v[8:9], v[8:9], v[16:17] neg_lo:[0,1] neg_hi:[0,1]
	v_mov_b32_e32 v14, v15
	v_mov_b32_e32 v15, v10
	v_pk_add_f32 v[8:9], v[14:15], v[8:9] neg_lo:[0,1] neg_hi:[0,1]
	v_mov_b32_e32 v48, v44
	v_pk_add_f32 v[10:11], v[48:49], v[8:9]
	v_mov_b32_e32 v14, v11
	v_pk_add_f32 v[14:15], v[10:11], v[14:15]
	v_pk_add_f32 v[12:13], v[12:13], v[14:15]
	v_mov_b32_e32 v11, v12
	v_pk_add_f32 v[16:17], v[10:11], v[44:45] neg_lo:[0,1] neg_hi:[0,1]
	v_mov_b32_e32 v9, v14
	v_sub_f32_e32 v10, v10, v16
	v_pk_add_f32 v[8:9], v[8:9], v[16:17] neg_lo:[0,1] neg_hi:[0,1]
	v_sub_f32_e32 v10, v44, v10
	s_mov_b32 s31, 0x7f800000
	v_add_f32_e32 v8, v8, v10
	s_mov_b32 s30, 0x33800000
	v_add_f32_e32 v8, v8, v9
	v_cmp_eq_f32_e32 vcc, s31, v43
	v_cmp_lt_f32_e64 s[30:31], |v43|, s30
	v_add_f32_e32 v8, v12, v8
	s_or_b64 vcc, vcc, s[30:31]
	v_cndmask_b32_e32 v8, v8, v43, vcc
	v_add_f32_e32 v44, v7, v8
.LBB90_167:
	s_or_b64 exec, exec, s[28:29]
	v_mov_b32_e32 v7, v44
.LBB90_168:
	s_or_b64 exec, exec, s[6:7]
	v_max_f32_e32 v9, v7, v7
	s_waitcnt lgkmcnt(0)
	v_max_f32_e32 v10, v6, v6
	v_min_f32_e32 v8, v10, v9
	v_cmp_u_f32_e32 vcc, v6, v6
	v_max_f32_e32 v9, v10, v9
	v_cndmask_b32_e32 v8, v8, v6, vcc
	v_cmp_u_f32_e64 s[6:7], v7, v7
	v_cndmask_b32_e32 v9, v9, v6, vcc
	v_cndmask_b32_e64 v8, v8, v7, s[6:7]
	v_cndmask_b32_e64 v7, v9, v7, s[6:7]
	s_movk_i32 s28, 0x1f8
	v_cmp_neq_f32_e32 vcc, v8, v7
	v_cmp_class_f32_e64 s[6:7], v8, s28
	s_or_b64 s[30:31], vcc, s[6:7]
	s_and_saveexec_b64 s[6:7], s[30:31]
	s_cbranch_execz .LBB90_170
; %bb.169:
	v_sub_f32_e32 v6, v8, v7
	s_mov_b32 s29, 0x3fb8aa3b
	v_mul_f32_e32 v8, 0x3fb8aa3b, v6
	v_fma_f32 v9, v6, s29, -v8
	v_rndne_f32_e32 v10, v8
	v_fmac_f32_e32 v9, 0x32a5705f, v6
	v_sub_f32_e32 v8, v8, v10
	v_add_f32_e32 v8, v8, v9
	v_exp_f32_e32 v8, v8
	v_cvt_i32_f32_e32 v9, v10
	s_mov_b32 s29, 0xc2ce8ed0
	v_cmp_ngt_f32_e32 vcc, s29, v6
	s_mov_b32 s29, 0x42b17218
	v_ldexp_f32 v8, v8, v9
	v_cndmask_b32_e32 v8, 0, v8, vcc
	v_mov_b32_e32 v9, 0x7f800000
	v_cmp_nlt_f32_e32 vcc, s29, v6
	v_cndmask_b32_e32 v43, v9, v8, vcc
	v_add_f32_e32 v6, 1.0, v43
	v_add_f32_e32 v8, -1.0, v6
	v_sub_f32_e32 v9, v8, v6
	v_add_f32_e32 v9, 1.0, v9
	v_sub_f32_e32 v8, v43, v8
	v_add_f32_e32 v10, v8, v9
	v_frexp_mant_f32_e32 v11, v6
	s_mov_b32 s29, 0x3f2aaaab
	v_cvt_f64_f32_e32 v[8:9], v6
	v_frexp_exp_i32_f64_e32 v8, v[8:9]
	v_cmp_gt_f32_e32 vcc, s29, v11
	v_subbrev_co_u32_e32 v16, vcc, 0, v8, vcc
	v_sub_u32_e32 v8, 0, v16
	v_ldexp_f32 v6, v6, v8
	v_ldexp_f32 v8, v10, v8
	v_add_f32_e32 v10, -1.0, v6
	v_add_f32_e32 v9, 1.0, v10
	v_sub_f32_e32 v9, v6, v9
	v_add_f32_e32 v11, v8, v9
	v_add_f32_e32 v9, 1.0, v6
	v_add_f32_e32 v12, -1.0, v9
	v_sub_f32_e32 v6, v6, v12
	v_add_f32_e32 v6, v8, v6
	v_add_f32_e32 v17, v9, v6
	v_rcp_f32_e32 v44, v17
	v_sub_f32_e32 v8, v9, v17
	v_add_f32_e32 v9, v10, v11
	v_add_f32_e32 v6, v6, v8
	v_mul_f32_e32 v46, v9, v44
	v_sub_f32_e32 v8, v10, v9
	v_mul_f32_e32 v10, v17, v46
	v_fma_f32 v12, v46, v17, -v10
	v_fmac_f32_e32 v12, v46, v6
	v_add_f32_e32 v45, v11, v8
	v_add_f32_e32 v8, v10, v12
	v_sub_f32_e32 v11, v9, v8
	v_pk_add_f32 v[14:15], v[8:9], v[10:11] neg_lo:[0,1] neg_hi:[0,1]
	v_mov_b32_e32 v13, v8
	v_pk_add_f32 v[8:9], v[14:15], v[12:13] neg_lo:[0,1] neg_hi:[0,1]
	v_add_f32_e32 v9, v45, v9
	v_add_f32_e32 v8, v8, v9
	;; [unrolled: 1-line block ×3, first 2 shown]
	v_mul_f32_e32 v45, v44, v9
	v_mul_f32_e32 v10, v17, v45
	v_fma_f32 v12, v45, v17, -v10
	v_fmac_f32_e32 v12, v45, v6
	v_sub_f32_e32 v6, v11, v9
	v_add_f32_e32 v6, v8, v6
	v_add_f32_e32 v8, v10, v12
	v_sub_f32_e32 v11, v9, v8
	v_pk_add_f32 v[14:15], v[8:9], v[10:11] neg_lo:[0,1] neg_hi:[0,1]
	v_mov_b32_e32 v13, v8
	v_pk_add_f32 v[8:9], v[14:15], v[12:13] neg_lo:[0,1] neg_hi:[0,1]
	v_add_f32_e32 v6, v6, v9
	v_add_f32_e32 v6, v8, v6
	v_add_f32_e32 v8, v46, v45
	v_add_f32_e32 v6, v11, v6
	v_sub_f32_e32 v9, v8, v46
	v_mul_f32_e32 v6, v44, v6
	v_sub_f32_e32 v9, v45, v9
	v_add_f32_e32 v6, v9, v6
	v_add_f32_e32 v11, v8, v6
	v_mul_f32_e32 v12, v11, v11
	v_mov_b32_e32 v10, 0x3ecc95a3
	v_fmac_f32_e32 v10, 0x3e9b6dac, v12
	v_mov_b32_e32 v9, 0x3f2aaada
	v_fmac_f32_e32 v9, v12, v10
	v_cvt_f32_i32_e32 v10, v16
	v_sub_f32_e32 v8, v11, v8
	v_sub_f32_e32 v6, v6, v8
	v_ldexp_f32 v13, v11, 1
	v_mul_f32_e32 v11, v11, v12
	v_mov_b32_e32 v8, 0x3f317218
	s_mov_b32 s29, 0x3f317218
	v_pk_mul_f32 v[8:9], v[10:11], v[8:9]
	v_fma_f32 v12, v10, s29, -v8
	v_fmac_f32_e32 v12, 0xb102e308, v10
	v_pk_add_f32 v[10:11], v[8:9], v[12:13]
	v_sub_f32_e32 v13, v11, v13
	v_ldexp_f32 v6, v6, 1
	v_sub_f32_e32 v13, v9, v13
	v_add_f32_e32 v15, v6, v13
	v_mov_b32_e32 v14, v8
	v_pk_add_f32 v[8:9], v[10:11], v[8:9] neg_lo:[0,1] neg_hi:[0,1]
	v_pk_add_f32 v[16:17], v[10:11], v[14:15]
	v_mov_b32_e32 v9, v17
	v_mov_b32_e32 v13, v10
	v_pk_add_f32 v[44:45], v[12:13], v[8:9] neg_lo:[0,1] neg_hi:[0,1]
	v_pk_add_f32 v[8:9], v[12:13], v[8:9]
	v_mov_b32_e32 v6, v9
	v_pk_add_f32 v[12:13], v[6:7], v[10:11] neg_lo:[0,1] neg_hi:[0,1]
	v_mov_b32_e32 v13, v12
	v_pk_add_f32 v[46:47], v[16:17], v[12:13] neg_lo:[0,1] neg_hi:[0,1]
	v_mov_b32_e32 v8, v17
	v_mov_b32_e32 v16, v11
	;; [unrolled: 1-line block ×4, first 2 shown]
	v_pk_add_f32 v[8:9], v[8:9], v[16:17] neg_lo:[0,1] neg_hi:[0,1]
	v_mov_b32_e32 v12, v15
	v_mov_b32_e32 v13, v10
	v_pk_add_f32 v[8:9], v[12:13], v[8:9] neg_lo:[0,1] neg_hi:[0,1]
	v_mov_b32_e32 v46, v44
	v_pk_add_f32 v[10:11], v[46:47], v[8:9]
	v_mov_b32_e32 v12, v11
	v_pk_add_f32 v[12:13], v[10:11], v[12:13]
	v_pk_add_f32 v[14:15], v[6:7], v[12:13]
	v_mov_b32_e32 v11, v14
	v_pk_add_f32 v[16:17], v[10:11], v[44:45] neg_lo:[0,1] neg_hi:[0,1]
	v_mov_b32_e32 v9, v12
	v_sub_f32_e32 v6, v10, v16
	v_pk_add_f32 v[8:9], v[8:9], v[16:17] neg_lo:[0,1] neg_hi:[0,1]
	v_sub_f32_e32 v6, v44, v6
	s_mov_b32 s30, 0x7f800000
	v_add_f32_e32 v6, v8, v6
	s_mov_b32 s29, 0x33800000
	v_add_f32_e32 v6, v6, v9
	v_cmp_eq_f32_e32 vcc, s30, v43
	v_cmp_lt_f32_e64 s[30:31], |v43|, s29
	v_add_f32_e32 v6, v14, v6
	s_or_b64 vcc, vcc, s[30:31]
	v_cndmask_b32_e32 v6, v6, v43, vcc
	v_add_f32_e32 v6, v7, v6
.LBB90_170:
	s_or_b64 exec, exec, s[6:7]
	v_max_f32_e32 v7, v6, v6
	v_min_f32_e32 v8, v7, v18
	v_cmp_u_f32_e32 vcc, v6, v6
	v_max_f32_e32 v7, v7, v18
	v_cndmask_b32_e32 v8, v8, v6, vcc
	v_cndmask_b32_e32 v7, v7, v6, vcc
	v_cndmask_b32_e64 v9, v8, v3, s[0:1]
	v_cndmask_b32_e64 v8, v7, v3, s[0:1]
	v_cmp_neq_f32_e32 vcc, v9, v8
	v_cmp_class_f32_e64 s[0:1], v9, s28
	s_or_b64 s[6:7], vcc, s[0:1]
	v_mov_b32_e32 v7, v6
	s_and_saveexec_b64 s[0:1], s[6:7]
	s_cbranch_execz .LBB90_172
; %bb.171:
	v_sub_f32_e32 v7, v9, v8
	s_mov_b32 s6, 0x3fb8aa3b
	v_mul_f32_e32 v9, 0x3fb8aa3b, v7
	v_fma_f32 v10, v7, s6, -v9
	v_rndne_f32_e32 v11, v9
	v_fmac_f32_e32 v10, 0x32a5705f, v7
	v_sub_f32_e32 v9, v9, v11
	v_add_f32_e32 v9, v9, v10
	v_exp_f32_e32 v9, v9
	v_cvt_i32_f32_e32 v10, v11
	s_mov_b32 s6, 0xc2ce8ed0
	v_cmp_ngt_f32_e32 vcc, s6, v7
	s_mov_b32 s6, 0x42b17218
	v_ldexp_f32 v9, v9, v10
	v_cndmask_b32_e32 v9, 0, v9, vcc
	v_mov_b32_e32 v10, 0x7f800000
	v_cmp_nlt_f32_e32 vcc, s6, v7
	v_cndmask_b32_e32 v9, v10, v9, vcc
	v_add_f32_e32 v7, 1.0, v9
	v_add_f32_e32 v10, -1.0, v7
	v_sub_f32_e32 v11, v10, v7
	v_add_f32_e32 v11, 1.0, v11
	v_sub_f32_e32 v10, v9, v10
	v_add_f32_e32 v12, v10, v11
	v_frexp_mant_f32_e32 v13, v7
	s_mov_b32 s6, 0x3f2aaaab
	v_cvt_f64_f32_e32 v[10:11], v7
	v_frexp_exp_i32_f64_e32 v10, v[10:11]
	v_cmp_gt_f32_e32 vcc, s6, v13
	v_subbrev_co_u32_e32 v18, vcc, 0, v10, vcc
	v_sub_u32_e32 v10, 0, v18
	v_ldexp_f32 v7, v7, v10
	v_ldexp_f32 v10, v12, v10
	v_add_f32_e32 v12, -1.0, v7
	v_add_f32_e32 v11, 1.0, v12
	v_sub_f32_e32 v11, v7, v11
	v_add_f32_e32 v13, v10, v11
	v_add_f32_e32 v11, 1.0, v7
	v_add_f32_e32 v14, -1.0, v11
	v_sub_f32_e32 v7, v7, v14
	v_add_f32_e32 v7, v10, v7
	v_add_f32_e32 v43, v11, v7
	v_rcp_f32_e32 v44, v43
	v_sub_f32_e32 v10, v11, v43
	v_add_f32_e32 v11, v12, v13
	v_add_f32_e32 v7, v7, v10
	v_mul_f32_e32 v46, v11, v44
	v_sub_f32_e32 v10, v12, v11
	v_mul_f32_e32 v12, v43, v46
	v_fma_f32 v14, v46, v43, -v12
	v_fmac_f32_e32 v14, v46, v7
	v_add_f32_e32 v45, v13, v10
	v_add_f32_e32 v10, v12, v14
	v_sub_f32_e32 v13, v11, v10
	v_pk_add_f32 v[16:17], v[10:11], v[12:13] neg_lo:[0,1] neg_hi:[0,1]
	v_mov_b32_e32 v15, v10
	v_pk_add_f32 v[10:11], v[16:17], v[14:15] neg_lo:[0,1] neg_hi:[0,1]
	v_add_f32_e32 v11, v45, v11
	v_add_f32_e32 v10, v10, v11
	;; [unrolled: 1-line block ×3, first 2 shown]
	v_mul_f32_e32 v45, v44, v11
	v_mul_f32_e32 v12, v43, v45
	v_fma_f32 v14, v45, v43, -v12
	v_fmac_f32_e32 v14, v45, v7
	v_sub_f32_e32 v7, v13, v11
	v_add_f32_e32 v7, v10, v7
	v_add_f32_e32 v10, v12, v14
	v_sub_f32_e32 v13, v11, v10
	v_pk_add_f32 v[16:17], v[10:11], v[12:13] neg_lo:[0,1] neg_hi:[0,1]
	v_mov_b32_e32 v15, v10
	v_pk_add_f32 v[10:11], v[16:17], v[14:15] neg_lo:[0,1] neg_hi:[0,1]
	v_add_f32_e32 v7, v7, v11
	v_add_f32_e32 v7, v10, v7
	;; [unrolled: 1-line block ×4, first 2 shown]
	v_sub_f32_e32 v11, v10, v46
	v_mul_f32_e32 v7, v44, v7
	v_sub_f32_e32 v11, v45, v11
	v_add_f32_e32 v7, v11, v7
	v_add_f32_e32 v13, v10, v7
	v_mul_f32_e32 v14, v13, v13
	v_mov_b32_e32 v12, 0x3ecc95a3
	v_fmac_f32_e32 v12, 0x3e9b6dac, v14
	v_mov_b32_e32 v11, 0x3f2aaada
	v_fmac_f32_e32 v11, v14, v12
	v_cvt_f32_i32_e32 v12, v18
	v_sub_f32_e32 v10, v13, v10
	v_sub_f32_e32 v7, v7, v10
	v_ldexp_f32 v15, v13, 1
	v_mul_f32_e32 v13, v13, v14
	v_mov_b32_e32 v10, 0x3f317218
	s_mov_b32 s6, 0x3f317218
	v_pk_mul_f32 v[10:11], v[12:13], v[10:11]
	v_fma_f32 v14, v12, s6, -v10
	v_fmac_f32_e32 v14, 0xb102e308, v12
	v_pk_add_f32 v[12:13], v[10:11], v[14:15]
	v_sub_f32_e32 v15, v13, v15
	v_ldexp_f32 v7, v7, 1
	v_sub_f32_e32 v15, v11, v15
	v_add_f32_e32 v17, v7, v15
	v_mov_b32_e32 v16, v10
	v_pk_add_f32 v[10:11], v[12:13], v[10:11] neg_lo:[0,1] neg_hi:[0,1]
	v_pk_add_f32 v[44:45], v[12:13], v[16:17]
	v_mov_b32_e32 v11, v45
	v_mov_b32_e32 v15, v12
	v_pk_add_f32 v[46:47], v[14:15], v[10:11] neg_lo:[0,1] neg_hi:[0,1]
	v_pk_add_f32 v[10:11], v[14:15], v[10:11]
	v_mov_b32_e32 v14, v11
	v_pk_add_f32 v[48:49], v[14:15], v[12:13] neg_lo:[0,1] neg_hi:[0,1]
	v_mov_b32_e32 v7, v48
	v_pk_add_f32 v[50:51], v[44:45], v[6:7] neg_lo:[0,1] neg_hi:[0,1]
	v_mov_b32_e32 v10, v45
	v_mov_b32_e32 v44, v13
	;; [unrolled: 1-line block ×4, first 2 shown]
	v_pk_add_f32 v[10:11], v[10:11], v[44:45] neg_lo:[0,1] neg_hi:[0,1]
	v_mov_b32_e32 v16, v17
	v_mov_b32_e32 v17, v12
	v_pk_add_f32 v[10:11], v[16:17], v[10:11] neg_lo:[0,1] neg_hi:[0,1]
	v_mov_b32_e32 v50, v46
	v_pk_add_f32 v[12:13], v[50:51], v[10:11]
	v_mov_b32_e32 v16, v13
	v_pk_add_f32 v[16:17], v[12:13], v[16:17]
	v_pk_add_f32 v[14:15], v[14:15], v[16:17]
	v_mov_b32_e32 v13, v14
	v_pk_add_f32 v[44:45], v[12:13], v[46:47] neg_lo:[0,1] neg_hi:[0,1]
	v_mov_b32_e32 v11, v16
	v_sub_f32_e32 v7, v12, v44
	v_pk_add_f32 v[10:11], v[10:11], v[44:45] neg_lo:[0,1] neg_hi:[0,1]
	v_sub_f32_e32 v7, v46, v7
	s_mov_b32 s7, 0x7f800000
	v_add_f32_e32 v7, v10, v7
	s_mov_b32 s6, 0x33800000
	v_add_f32_e32 v7, v7, v11
	v_cmp_eq_f32_e32 vcc, s7, v9
	v_cmp_lt_f32_e64 s[6:7], |v9|, s6
	v_add_f32_e32 v7, v14, v7
	s_or_b64 vcc, vcc, s[6:7]
	v_cndmask_b32_e32 v7, v7, v9, vcc
	v_add_f32_e32 v7, v8, v7
.LBB90_172:
	s_or_b64 exec, exec, s[0:1]
	v_max_f32_e32 v8, v7, v7
	v_min_f32_e32 v9, v8, v19
	v_cmp_u_f32_e32 vcc, v7, v7
	v_max_f32_e32 v8, v8, v19
	v_cndmask_b32_e32 v9, v9, v7, vcc
	v_cndmask_b32_e32 v8, v8, v7, vcc
	v_cndmask_b32_e64 v10, v9, v4, s[2:3]
	v_cndmask_b32_e64 v9, v8, v4, s[2:3]
	s_movk_i32 s2, 0x1f8
	v_cmp_neq_f32_e32 vcc, v10, v9
	v_cmp_class_f32_e64 s[0:1], v10, s2
	s_or_b64 s[6:7], vcc, s[0:1]
	v_mov_b32_e32 v8, v7
	s_and_saveexec_b64 s[0:1], s[6:7]
	s_cbranch_execz .LBB90_174
; %bb.173:
	v_sub_f32_e32 v8, v10, v9
	s_mov_b32 s3, 0x3fb8aa3b
	v_mul_f32_e32 v10, 0x3fb8aa3b, v8
	v_fma_f32 v11, v8, s3, -v10
	v_rndne_f32_e32 v12, v10
	v_fmac_f32_e32 v11, 0x32a5705f, v8
	v_sub_f32_e32 v10, v10, v12
	v_add_f32_e32 v10, v10, v11
	v_exp_f32_e32 v10, v10
	v_cvt_i32_f32_e32 v11, v12
	s_mov_b32 s3, 0xc2ce8ed0
	v_cmp_ngt_f32_e32 vcc, s3, v8
	s_mov_b32 s3, 0x42b17218
	v_ldexp_f32 v10, v10, v11
	v_cndmask_b32_e32 v10, 0, v10, vcc
	v_mov_b32_e32 v11, 0x7f800000
	v_cmp_nlt_f32_e32 vcc, s3, v8
	v_cndmask_b32_e32 v43, v11, v10, vcc
	v_add_f32_e32 v8, 1.0, v43
	v_add_f32_e32 v10, -1.0, v8
	v_sub_f32_e32 v11, v10, v8
	v_add_f32_e32 v11, 1.0, v11
	v_sub_f32_e32 v10, v43, v10
	v_add_f32_e32 v12, v10, v11
	v_frexp_mant_f32_e32 v13, v8
	s_mov_b32 s3, 0x3f2aaaab
	v_cvt_f64_f32_e32 v[10:11], v8
	v_frexp_exp_i32_f64_e32 v10, v[10:11]
	v_cmp_gt_f32_e32 vcc, s3, v13
	v_subbrev_co_u32_e32 v18, vcc, 0, v10, vcc
	v_sub_u32_e32 v10, 0, v18
	v_ldexp_f32 v8, v8, v10
	v_ldexp_f32 v10, v12, v10
	v_add_f32_e32 v12, -1.0, v8
	v_add_f32_e32 v11, 1.0, v12
	v_sub_f32_e32 v11, v8, v11
	v_add_f32_e32 v13, v10, v11
	v_add_f32_e32 v11, 1.0, v8
	v_add_f32_e32 v14, -1.0, v11
	v_sub_f32_e32 v8, v8, v14
	v_add_f32_e32 v8, v10, v8
	v_add_f32_e32 v19, v11, v8
	v_rcp_f32_e32 v44, v19
	v_sub_f32_e32 v10, v11, v19
	v_add_f32_e32 v11, v12, v13
	v_add_f32_e32 v8, v8, v10
	v_mul_f32_e32 v46, v11, v44
	v_sub_f32_e32 v10, v12, v11
	v_mul_f32_e32 v12, v19, v46
	v_fma_f32 v14, v46, v19, -v12
	v_fmac_f32_e32 v14, v46, v8
	v_add_f32_e32 v45, v13, v10
	v_add_f32_e32 v10, v12, v14
	v_sub_f32_e32 v13, v11, v10
	v_pk_add_f32 v[16:17], v[10:11], v[12:13] neg_lo:[0,1] neg_hi:[0,1]
	v_mov_b32_e32 v15, v10
	v_pk_add_f32 v[10:11], v[16:17], v[14:15] neg_lo:[0,1] neg_hi:[0,1]
	v_add_f32_e32 v11, v45, v11
	v_add_f32_e32 v10, v10, v11
	;; [unrolled: 1-line block ×3, first 2 shown]
	v_mul_f32_e32 v45, v44, v11
	v_mul_f32_e32 v12, v19, v45
	v_fma_f32 v14, v45, v19, -v12
	v_fmac_f32_e32 v14, v45, v8
	v_sub_f32_e32 v8, v13, v11
	v_add_f32_e32 v8, v10, v8
	v_add_f32_e32 v10, v12, v14
	v_sub_f32_e32 v13, v11, v10
	v_pk_add_f32 v[16:17], v[10:11], v[12:13] neg_lo:[0,1] neg_hi:[0,1]
	v_mov_b32_e32 v15, v10
	v_pk_add_f32 v[10:11], v[16:17], v[14:15] neg_lo:[0,1] neg_hi:[0,1]
	v_add_f32_e32 v8, v8, v11
	v_add_f32_e32 v8, v10, v8
	v_add_f32_e32 v10, v46, v45
	v_add_f32_e32 v8, v13, v8
	v_sub_f32_e32 v11, v10, v46
	v_mul_f32_e32 v8, v44, v8
	v_sub_f32_e32 v11, v45, v11
	v_add_f32_e32 v8, v11, v8
	v_add_f32_e32 v13, v10, v8
	v_mul_f32_e32 v14, v13, v13
	v_mov_b32_e32 v12, 0x3ecc95a3
	v_fmac_f32_e32 v12, 0x3e9b6dac, v14
	v_mov_b32_e32 v11, 0x3f2aaada
	v_fmac_f32_e32 v11, v14, v12
	v_cvt_f32_i32_e32 v12, v18
	v_sub_f32_e32 v10, v13, v10
	v_sub_f32_e32 v8, v8, v10
	v_ldexp_f32 v15, v13, 1
	v_mul_f32_e32 v13, v13, v14
	v_mov_b32_e32 v10, 0x3f317218
	s_mov_b32 s3, 0x3f317218
	v_pk_mul_f32 v[10:11], v[12:13], v[10:11]
	v_fma_f32 v14, v12, s3, -v10
	v_fmac_f32_e32 v14, 0xb102e308, v12
	v_pk_add_f32 v[12:13], v[10:11], v[14:15]
	v_sub_f32_e32 v15, v13, v15
	v_ldexp_f32 v8, v8, 1
	v_sub_f32_e32 v15, v11, v15
	v_add_f32_e32 v17, v8, v15
	v_mov_b32_e32 v16, v10
	v_pk_add_f32 v[10:11], v[12:13], v[10:11] neg_lo:[0,1] neg_hi:[0,1]
	v_pk_add_f32 v[18:19], v[12:13], v[16:17]
	v_mov_b32_e32 v11, v19
	v_mov_b32_e32 v15, v12
	v_pk_add_f32 v[44:45], v[14:15], v[10:11] neg_lo:[0,1] neg_hi:[0,1]
	v_pk_add_f32 v[10:11], v[14:15], v[10:11]
	v_mov_b32_e32 v8, v11
	v_pk_add_f32 v[14:15], v[8:9], v[12:13] neg_lo:[0,1] neg_hi:[0,1]
	v_mov_b32_e32 v15, v14
	v_pk_add_f32 v[46:47], v[18:19], v[14:15] neg_lo:[0,1] neg_hi:[0,1]
	v_mov_b32_e32 v10, v19
	v_mov_b32_e32 v18, v13
	;; [unrolled: 1-line block ×4, first 2 shown]
	v_pk_add_f32 v[10:11], v[10:11], v[18:19] neg_lo:[0,1] neg_hi:[0,1]
	v_mov_b32_e32 v14, v17
	v_mov_b32_e32 v15, v12
	v_pk_add_f32 v[10:11], v[14:15], v[10:11] neg_lo:[0,1] neg_hi:[0,1]
	v_mov_b32_e32 v46, v44
	v_pk_add_f32 v[12:13], v[46:47], v[10:11]
	v_mov_b32_e32 v14, v13
	v_pk_add_f32 v[14:15], v[12:13], v[14:15]
	v_pk_add_f32 v[16:17], v[8:9], v[14:15]
	v_mov_b32_e32 v13, v16
	v_pk_add_f32 v[18:19], v[12:13], v[44:45] neg_lo:[0,1] neg_hi:[0,1]
	v_mov_b32_e32 v11, v14
	v_sub_f32_e32 v8, v12, v18
	v_pk_add_f32 v[10:11], v[10:11], v[18:19] neg_lo:[0,1] neg_hi:[0,1]
	v_sub_f32_e32 v8, v44, v8
	s_mov_b32 s6, 0x7f800000
	v_add_f32_e32 v8, v10, v8
	s_mov_b32 s3, 0x33800000
	v_add_f32_e32 v8, v8, v11
	v_cmp_eq_f32_e32 vcc, s6, v43
	v_cmp_lt_f32_e64 s[6:7], |v43|, s3
	v_add_f32_e32 v8, v16, v8
	s_or_b64 vcc, vcc, s[6:7]
	v_cndmask_b32_e32 v8, v8, v43, vcc
	v_add_f32_e32 v8, v9, v8
.LBB90_174:
	s_or_b64 exec, exec, s[0:1]
	v_max_f32_e32 v9, v8, v8
	v_min_f32_e32 v10, v9, v20
	v_cmp_u_f32_e32 vcc, v8, v8
	v_max_f32_e32 v9, v9, v20
	v_cndmask_b32_e32 v10, v10, v8, vcc
	v_cndmask_b32_e32 v9, v9, v8, vcc
	v_cndmask_b32_e64 v11, v10, v5, s[38:39]
	v_cndmask_b32_e64 v10, v9, v5, s[38:39]
	v_cmp_neq_f32_e32 vcc, v11, v10
	v_cmp_class_f32_e64 s[0:1], v11, s2
	s_or_b64 s[2:3], vcc, s[0:1]
	v_mov_b32_e32 v9, v8
	s_and_saveexec_b64 s[0:1], s[2:3]
	s_cbranch_execz .LBB90_176
; %bb.175:
	v_sub_f32_e32 v9, v11, v10
	s_mov_b32 s2, 0x3fb8aa3b
	v_mul_f32_e32 v11, 0x3fb8aa3b, v9
	v_fma_f32 v12, v9, s2, -v11
	v_rndne_f32_e32 v13, v11
	v_fmac_f32_e32 v12, 0x32a5705f, v9
	v_sub_f32_e32 v11, v11, v13
	v_add_f32_e32 v11, v11, v12
	v_exp_f32_e32 v11, v11
	v_cvt_i32_f32_e32 v12, v13
	s_mov_b32 s2, 0xc2ce8ed0
	v_cmp_ngt_f32_e32 vcc, s2, v9
	s_mov_b32 s2, 0x42b17218
	v_ldexp_f32 v11, v11, v12
	v_cndmask_b32_e32 v11, 0, v11, vcc
	v_mov_b32_e32 v12, 0x7f800000
	v_cmp_nlt_f32_e32 vcc, s2, v9
	v_cndmask_b32_e32 v11, v12, v11, vcc
	v_add_f32_e32 v9, 1.0, v11
	v_add_f32_e32 v12, -1.0, v9
	v_sub_f32_e32 v13, v12, v9
	v_add_f32_e32 v13, 1.0, v13
	v_sub_f32_e32 v12, v11, v12
	v_add_f32_e32 v14, v12, v13
	v_frexp_mant_f32_e32 v15, v9
	s_mov_b32 s2, 0x3f2aaaab
	v_cvt_f64_f32_e32 v[12:13], v9
	v_frexp_exp_i32_f64_e32 v12, v[12:13]
	v_cmp_gt_f32_e32 vcc, s2, v15
	v_subbrev_co_u32_e32 v20, vcc, 0, v12, vcc
	v_sub_u32_e32 v12, 0, v20
	v_ldexp_f32 v9, v9, v12
	v_ldexp_f32 v12, v14, v12
	v_add_f32_e32 v14, -1.0, v9
	v_add_f32_e32 v13, 1.0, v14
	v_sub_f32_e32 v13, v9, v13
	v_add_f32_e32 v15, v12, v13
	v_add_f32_e32 v13, 1.0, v9
	v_add_f32_e32 v16, -1.0, v13
	v_sub_f32_e32 v9, v9, v16
	v_add_f32_e32 v9, v12, v9
	v_add_f32_e32 v43, v13, v9
	v_rcp_f32_e32 v44, v43
	v_sub_f32_e32 v12, v13, v43
	v_add_f32_e32 v13, v14, v15
	v_add_f32_e32 v9, v9, v12
	v_mul_f32_e32 v46, v13, v44
	v_sub_f32_e32 v12, v14, v13
	v_mul_f32_e32 v14, v43, v46
	v_fma_f32 v16, v46, v43, -v14
	v_fmac_f32_e32 v16, v46, v9
	v_add_f32_e32 v45, v15, v12
	v_add_f32_e32 v12, v14, v16
	v_sub_f32_e32 v15, v13, v12
	v_pk_add_f32 v[18:19], v[12:13], v[14:15] neg_lo:[0,1] neg_hi:[0,1]
	v_mov_b32_e32 v17, v12
	v_pk_add_f32 v[12:13], v[18:19], v[16:17] neg_lo:[0,1] neg_hi:[0,1]
	v_add_f32_e32 v13, v45, v13
	v_add_f32_e32 v12, v12, v13
	;; [unrolled: 1-line block ×3, first 2 shown]
	v_mul_f32_e32 v45, v44, v13
	v_mul_f32_e32 v14, v43, v45
	v_fma_f32 v16, v45, v43, -v14
	v_fmac_f32_e32 v16, v45, v9
	v_sub_f32_e32 v9, v15, v13
	v_add_f32_e32 v9, v12, v9
	v_add_f32_e32 v12, v14, v16
	v_sub_f32_e32 v15, v13, v12
	v_pk_add_f32 v[18:19], v[12:13], v[14:15] neg_lo:[0,1] neg_hi:[0,1]
	v_mov_b32_e32 v17, v12
	v_pk_add_f32 v[12:13], v[18:19], v[16:17] neg_lo:[0,1] neg_hi:[0,1]
	v_add_f32_e32 v9, v9, v13
	v_add_f32_e32 v9, v12, v9
	;; [unrolled: 1-line block ×4, first 2 shown]
	v_sub_f32_e32 v13, v12, v46
	v_mul_f32_e32 v9, v44, v9
	v_sub_f32_e32 v13, v45, v13
	v_add_f32_e32 v9, v13, v9
	v_add_f32_e32 v15, v12, v9
	v_mul_f32_e32 v16, v15, v15
	v_mov_b32_e32 v14, 0x3ecc95a3
	v_fmac_f32_e32 v14, 0x3e9b6dac, v16
	v_mov_b32_e32 v13, 0x3f2aaada
	v_fmac_f32_e32 v13, v16, v14
	v_cvt_f32_i32_e32 v14, v20
	v_sub_f32_e32 v12, v15, v12
	v_sub_f32_e32 v9, v9, v12
	v_ldexp_f32 v17, v15, 1
	v_mul_f32_e32 v15, v15, v16
	v_mov_b32_e32 v12, 0x3f317218
	s_mov_b32 s2, 0x3f317218
	v_pk_mul_f32 v[12:13], v[14:15], v[12:13]
	v_fma_f32 v16, v14, s2, -v12
	v_fmac_f32_e32 v16, 0xb102e308, v14
	v_pk_add_f32 v[14:15], v[12:13], v[16:17]
	v_sub_f32_e32 v17, v15, v17
	v_ldexp_f32 v9, v9, 1
	v_sub_f32_e32 v17, v13, v17
	v_add_f32_e32 v19, v9, v17
	v_mov_b32_e32 v18, v12
	v_pk_add_f32 v[12:13], v[14:15], v[12:13] neg_lo:[0,1] neg_hi:[0,1]
	v_pk_add_f32 v[44:45], v[14:15], v[18:19]
	v_mov_b32_e32 v13, v45
	v_mov_b32_e32 v17, v14
	v_pk_add_f32 v[46:47], v[16:17], v[12:13] neg_lo:[0,1] neg_hi:[0,1]
	v_pk_add_f32 v[12:13], v[16:17], v[12:13]
	v_mov_b32_e32 v16, v13
	v_pk_add_f32 v[48:49], v[16:17], v[14:15] neg_lo:[0,1] neg_hi:[0,1]
	v_mov_b32_e32 v9, v48
	v_pk_add_f32 v[50:51], v[44:45], v[8:9] neg_lo:[0,1] neg_hi:[0,1]
	v_mov_b32_e32 v12, v45
	v_mov_b32_e32 v44, v15
	;; [unrolled: 1-line block ×4, first 2 shown]
	v_pk_add_f32 v[12:13], v[12:13], v[44:45] neg_lo:[0,1] neg_hi:[0,1]
	v_mov_b32_e32 v18, v19
	v_mov_b32_e32 v19, v14
	v_pk_add_f32 v[12:13], v[18:19], v[12:13] neg_lo:[0,1] neg_hi:[0,1]
	v_mov_b32_e32 v50, v46
	v_pk_add_f32 v[14:15], v[50:51], v[12:13]
	v_mov_b32_e32 v18, v15
	v_pk_add_f32 v[18:19], v[14:15], v[18:19]
	v_pk_add_f32 v[16:17], v[16:17], v[18:19]
	v_mov_b32_e32 v15, v16
	v_pk_add_f32 v[44:45], v[14:15], v[46:47] neg_lo:[0,1] neg_hi:[0,1]
	v_mov_b32_e32 v13, v18
	v_sub_f32_e32 v9, v14, v44
	v_pk_add_f32 v[12:13], v[12:13], v[44:45] neg_lo:[0,1] neg_hi:[0,1]
	v_sub_f32_e32 v9, v46, v9
	s_mov_b32 s3, 0x7f800000
	v_add_f32_e32 v9, v12, v9
	s_mov_b32 s2, 0x33800000
	v_add_f32_e32 v9, v9, v13
	v_cmp_eq_f32_e32 vcc, s3, v11
	v_cmp_lt_f32_e64 s[2:3], |v11|, s2
	v_add_f32_e32 v9, v16, v9
	s_or_b64 vcc, vcc, s[2:3]
	v_cndmask_b32_e32 v9, v9, v11, vcc
	v_add_f32_e32 v9, v10, v9
.LBB90_176:
	s_or_b64 exec, exec, s[0:1]
	v_max_f32_e32 v10, v9, v9
	v_min_f32_e32 v11, v10, v21
	v_cmp_u_f32_e32 vcc, v9, v9
	v_max_f32_e32 v10, v10, v21
	v_cndmask_b32_e32 v11, v11, v9, vcc
	v_cndmask_b32_e32 v10, v10, v9, vcc
	v_cndmask_b32_e64 v12, v11, v26, s[8:9]
	v_cndmask_b32_e64 v11, v10, v26, s[8:9]
	s_movk_i32 s2, 0x1f8
	v_cmp_neq_f32_e32 vcc, v12, v11
	v_cmp_class_f32_e64 s[0:1], v12, s2
	s_or_b64 s[6:7], vcc, s[0:1]
	v_mov_b32_e32 v10, v9
	s_and_saveexec_b64 s[0:1], s[6:7]
	s_cbranch_execz .LBB90_178
; %bb.177:
	v_sub_f32_e32 v10, v12, v11
	s_mov_b32 s3, 0x3fb8aa3b
	v_mul_f32_e32 v12, 0x3fb8aa3b, v10
	v_fma_f32 v13, v10, s3, -v12
	v_rndne_f32_e32 v14, v12
	v_fmac_f32_e32 v13, 0x32a5705f, v10
	v_sub_f32_e32 v12, v12, v14
	v_add_f32_e32 v12, v12, v13
	v_exp_f32_e32 v12, v12
	v_cvt_i32_f32_e32 v13, v14
	s_mov_b32 s3, 0xc2ce8ed0
	v_cmp_ngt_f32_e32 vcc, s3, v10
	s_mov_b32 s3, 0x42b17218
	v_ldexp_f32 v12, v12, v13
	v_cndmask_b32_e32 v12, 0, v12, vcc
	v_mov_b32_e32 v13, 0x7f800000
	v_cmp_nlt_f32_e32 vcc, s3, v10
	v_cndmask_b32_e32 v43, v13, v12, vcc
	v_add_f32_e32 v10, 1.0, v43
	v_add_f32_e32 v12, -1.0, v10
	v_sub_f32_e32 v13, v12, v10
	v_add_f32_e32 v13, 1.0, v13
	v_sub_f32_e32 v12, v43, v12
	v_add_f32_e32 v14, v12, v13
	v_frexp_mant_f32_e32 v15, v10
	s_mov_b32 s3, 0x3f2aaaab
	v_cvt_f64_f32_e32 v[12:13], v10
	v_frexp_exp_i32_f64_e32 v12, v[12:13]
	v_cmp_gt_f32_e32 vcc, s3, v15
	v_subbrev_co_u32_e32 v20, vcc, 0, v12, vcc
	v_sub_u32_e32 v12, 0, v20
	v_ldexp_f32 v10, v10, v12
	v_ldexp_f32 v12, v14, v12
	v_add_f32_e32 v14, -1.0, v10
	v_add_f32_e32 v13, 1.0, v14
	v_sub_f32_e32 v13, v10, v13
	v_add_f32_e32 v15, v12, v13
	v_add_f32_e32 v13, 1.0, v10
	v_add_f32_e32 v16, -1.0, v13
	v_sub_f32_e32 v10, v10, v16
	v_add_f32_e32 v10, v12, v10
	v_add_f32_e32 v21, v13, v10
	v_rcp_f32_e32 v44, v21
	v_sub_f32_e32 v12, v13, v21
	v_add_f32_e32 v13, v14, v15
	v_add_f32_e32 v10, v10, v12
	v_mul_f32_e32 v46, v13, v44
	v_sub_f32_e32 v12, v14, v13
	v_mul_f32_e32 v14, v21, v46
	v_fma_f32 v16, v46, v21, -v14
	v_fmac_f32_e32 v16, v46, v10
	v_add_f32_e32 v45, v15, v12
	v_add_f32_e32 v12, v14, v16
	v_sub_f32_e32 v15, v13, v12
	v_pk_add_f32 v[18:19], v[12:13], v[14:15] neg_lo:[0,1] neg_hi:[0,1]
	v_mov_b32_e32 v17, v12
	v_pk_add_f32 v[12:13], v[18:19], v[16:17] neg_lo:[0,1] neg_hi:[0,1]
	v_add_f32_e32 v13, v45, v13
	v_add_f32_e32 v12, v12, v13
	;; [unrolled: 1-line block ×3, first 2 shown]
	v_mul_f32_e32 v45, v44, v13
	v_mul_f32_e32 v14, v21, v45
	v_fma_f32 v16, v45, v21, -v14
	v_fmac_f32_e32 v16, v45, v10
	v_sub_f32_e32 v10, v15, v13
	v_add_f32_e32 v10, v12, v10
	v_add_f32_e32 v12, v14, v16
	v_sub_f32_e32 v15, v13, v12
	v_pk_add_f32 v[18:19], v[12:13], v[14:15] neg_lo:[0,1] neg_hi:[0,1]
	v_mov_b32_e32 v17, v12
	v_pk_add_f32 v[12:13], v[18:19], v[16:17] neg_lo:[0,1] neg_hi:[0,1]
	v_add_f32_e32 v10, v10, v13
	v_add_f32_e32 v10, v12, v10
	;; [unrolled: 1-line block ×4, first 2 shown]
	v_sub_f32_e32 v13, v12, v46
	v_mul_f32_e32 v10, v44, v10
	v_sub_f32_e32 v13, v45, v13
	v_add_f32_e32 v10, v13, v10
	v_add_f32_e32 v15, v12, v10
	v_mul_f32_e32 v16, v15, v15
	v_mov_b32_e32 v14, 0x3ecc95a3
	v_fmac_f32_e32 v14, 0x3e9b6dac, v16
	v_mov_b32_e32 v13, 0x3f2aaada
	v_fmac_f32_e32 v13, v16, v14
	v_cvt_f32_i32_e32 v14, v20
	v_sub_f32_e32 v12, v15, v12
	v_sub_f32_e32 v10, v10, v12
	v_ldexp_f32 v17, v15, 1
	v_mul_f32_e32 v15, v15, v16
	v_mov_b32_e32 v12, 0x3f317218
	s_mov_b32 s3, 0x3f317218
	v_pk_mul_f32 v[12:13], v[14:15], v[12:13]
	v_fma_f32 v16, v14, s3, -v12
	v_fmac_f32_e32 v16, 0xb102e308, v14
	v_pk_add_f32 v[14:15], v[12:13], v[16:17]
	v_sub_f32_e32 v17, v15, v17
	v_ldexp_f32 v10, v10, 1
	v_sub_f32_e32 v17, v13, v17
	v_add_f32_e32 v19, v10, v17
	v_mov_b32_e32 v18, v12
	v_pk_add_f32 v[12:13], v[14:15], v[12:13] neg_lo:[0,1] neg_hi:[0,1]
	v_pk_add_f32 v[20:21], v[14:15], v[18:19]
	v_mov_b32_e32 v13, v21
	v_mov_b32_e32 v17, v14
	v_pk_add_f32 v[44:45], v[16:17], v[12:13] neg_lo:[0,1] neg_hi:[0,1]
	v_pk_add_f32 v[12:13], v[16:17], v[12:13]
	v_mov_b32_e32 v10, v13
	v_pk_add_f32 v[16:17], v[10:11], v[14:15] neg_lo:[0,1] neg_hi:[0,1]
	v_mov_b32_e32 v17, v16
	v_pk_add_f32 v[46:47], v[20:21], v[16:17] neg_lo:[0,1] neg_hi:[0,1]
	v_mov_b32_e32 v12, v21
	v_mov_b32_e32 v20, v15
	;; [unrolled: 1-line block ×4, first 2 shown]
	v_pk_add_f32 v[12:13], v[12:13], v[20:21] neg_lo:[0,1] neg_hi:[0,1]
	v_mov_b32_e32 v16, v19
	v_mov_b32_e32 v17, v14
	v_pk_add_f32 v[12:13], v[16:17], v[12:13] neg_lo:[0,1] neg_hi:[0,1]
	v_mov_b32_e32 v46, v44
	v_pk_add_f32 v[14:15], v[46:47], v[12:13]
	v_mov_b32_e32 v16, v15
	v_pk_add_f32 v[16:17], v[14:15], v[16:17]
	v_pk_add_f32 v[18:19], v[10:11], v[16:17]
	v_mov_b32_e32 v15, v18
	v_pk_add_f32 v[20:21], v[14:15], v[44:45] neg_lo:[0,1] neg_hi:[0,1]
	v_mov_b32_e32 v13, v16
	v_sub_f32_e32 v10, v14, v20
	v_pk_add_f32 v[12:13], v[12:13], v[20:21] neg_lo:[0,1] neg_hi:[0,1]
	v_sub_f32_e32 v10, v44, v10
	s_mov_b32 s6, 0x7f800000
	v_add_f32_e32 v10, v12, v10
	s_mov_b32 s3, 0x33800000
	v_add_f32_e32 v10, v10, v13
	v_cmp_eq_f32_e32 vcc, s6, v43
	v_cmp_lt_f32_e64 s[6:7], |v43|, s3
	v_add_f32_e32 v10, v18, v10
	s_or_b64 vcc, vcc, s[6:7]
	v_cndmask_b32_e32 v10, v10, v43, vcc
	v_add_f32_e32 v10, v11, v10
.LBB90_178:
	s_or_b64 exec, exec, s[0:1]
	v_max_f32_e32 v11, v10, v10
	v_min_f32_e32 v12, v11, v34
	v_cmp_u_f32_e32 vcc, v10, v10
	v_max_f32_e32 v11, v11, v34
	v_cndmask_b32_e32 v12, v12, v10, vcc
	v_cndmask_b32_e32 v11, v11, v10, vcc
	v_cndmask_b32_e64 v13, v12, v27, s[10:11]
	v_cndmask_b32_e64 v12, v11, v27, s[10:11]
	v_cmp_neq_f32_e32 vcc, v13, v12
	v_cmp_class_f32_e64 s[0:1], v13, s2
	s_or_b64 s[2:3], vcc, s[0:1]
	v_mov_b32_e32 v11, v10
	s_and_saveexec_b64 s[0:1], s[2:3]
	s_cbranch_execz .LBB90_180
; %bb.179:
	v_sub_f32_e32 v11, v13, v12
	s_mov_b32 s2, 0x3fb8aa3b
	v_mul_f32_e32 v13, 0x3fb8aa3b, v11
	v_fma_f32 v14, v11, s2, -v13
	v_rndne_f32_e32 v15, v13
	v_fmac_f32_e32 v14, 0x32a5705f, v11
	v_sub_f32_e32 v13, v13, v15
	v_add_f32_e32 v13, v13, v14
	v_exp_f32_e32 v13, v13
	v_cvt_i32_f32_e32 v14, v15
	s_mov_b32 s2, 0xc2ce8ed0
	v_cmp_ngt_f32_e32 vcc, s2, v11
	s_mov_b32 s2, 0x42b17218
	v_ldexp_f32 v13, v13, v14
	v_cndmask_b32_e32 v13, 0, v13, vcc
	v_mov_b32_e32 v14, 0x7f800000
	v_cmp_nlt_f32_e32 vcc, s2, v11
	v_cndmask_b32_e32 v13, v14, v13, vcc
	v_add_f32_e32 v11, 1.0, v13
	v_add_f32_e32 v14, -1.0, v11
	v_sub_f32_e32 v15, v14, v11
	v_add_f32_e32 v15, 1.0, v15
	v_sub_f32_e32 v14, v13, v14
	v_add_f32_e32 v16, v14, v15
	v_frexp_mant_f32_e32 v17, v11
	s_mov_b32 s2, 0x3f2aaaab
	v_cvt_f64_f32_e32 v[14:15], v11
	v_frexp_exp_i32_f64_e32 v14, v[14:15]
	v_cmp_gt_f32_e32 vcc, s2, v17
	v_subbrev_co_u32_e32 v34, vcc, 0, v14, vcc
	v_sub_u32_e32 v14, 0, v34
	v_ldexp_f32 v11, v11, v14
	v_ldexp_f32 v14, v16, v14
	v_add_f32_e32 v16, -1.0, v11
	v_add_f32_e32 v15, 1.0, v16
	v_sub_f32_e32 v15, v11, v15
	v_add_f32_e32 v17, v14, v15
	v_add_f32_e32 v15, 1.0, v11
	v_add_f32_e32 v18, -1.0, v15
	v_sub_f32_e32 v11, v11, v18
	v_add_f32_e32 v11, v14, v11
	v_add_f32_e32 v43, v15, v11
	v_rcp_f32_e32 v44, v43
	v_sub_f32_e32 v14, v15, v43
	v_add_f32_e32 v15, v16, v17
	v_add_f32_e32 v11, v11, v14
	v_mul_f32_e32 v46, v15, v44
	v_sub_f32_e32 v14, v16, v15
	v_mul_f32_e32 v16, v43, v46
	v_fma_f32 v18, v46, v43, -v16
	v_fmac_f32_e32 v18, v46, v11
	v_add_f32_e32 v45, v17, v14
	v_add_f32_e32 v14, v16, v18
	v_sub_f32_e32 v17, v15, v14
	v_pk_add_f32 v[20:21], v[14:15], v[16:17] neg_lo:[0,1] neg_hi:[0,1]
	v_mov_b32_e32 v19, v14
	v_pk_add_f32 v[14:15], v[20:21], v[18:19] neg_lo:[0,1] neg_hi:[0,1]
	v_add_f32_e32 v15, v45, v15
	v_add_f32_e32 v14, v14, v15
	;; [unrolled: 1-line block ×3, first 2 shown]
	v_mul_f32_e32 v45, v44, v15
	v_mul_f32_e32 v16, v43, v45
	v_fma_f32 v18, v45, v43, -v16
	v_fmac_f32_e32 v18, v45, v11
	v_sub_f32_e32 v11, v17, v15
	v_add_f32_e32 v11, v14, v11
	v_add_f32_e32 v14, v16, v18
	v_sub_f32_e32 v17, v15, v14
	v_pk_add_f32 v[20:21], v[14:15], v[16:17] neg_lo:[0,1] neg_hi:[0,1]
	v_mov_b32_e32 v19, v14
	v_pk_add_f32 v[14:15], v[20:21], v[18:19] neg_lo:[0,1] neg_hi:[0,1]
	v_add_f32_e32 v11, v11, v15
	v_add_f32_e32 v11, v14, v11
	;; [unrolled: 1-line block ×4, first 2 shown]
	v_sub_f32_e32 v15, v14, v46
	v_mul_f32_e32 v11, v44, v11
	v_sub_f32_e32 v15, v45, v15
	v_add_f32_e32 v11, v15, v11
	v_add_f32_e32 v17, v14, v11
	v_mul_f32_e32 v18, v17, v17
	v_mov_b32_e32 v16, 0x3ecc95a3
	v_fmac_f32_e32 v16, 0x3e9b6dac, v18
	v_mov_b32_e32 v15, 0x3f2aaada
	v_fmac_f32_e32 v15, v18, v16
	v_cvt_f32_i32_e32 v16, v34
	v_sub_f32_e32 v14, v17, v14
	v_sub_f32_e32 v11, v11, v14
	v_ldexp_f32 v19, v17, 1
	v_mul_f32_e32 v17, v17, v18
	v_mov_b32_e32 v14, 0x3f317218
	s_mov_b32 s2, 0x3f317218
	v_pk_mul_f32 v[14:15], v[16:17], v[14:15]
	v_fma_f32 v18, v16, s2, -v14
	v_fmac_f32_e32 v18, 0xb102e308, v16
	v_pk_add_f32 v[16:17], v[14:15], v[18:19]
	v_sub_f32_e32 v19, v17, v19
	v_ldexp_f32 v11, v11, 1
	v_sub_f32_e32 v19, v15, v19
	v_add_f32_e32 v21, v11, v19
	v_mov_b32_e32 v20, v14
	v_pk_add_f32 v[14:15], v[16:17], v[14:15] neg_lo:[0,1] neg_hi:[0,1]
	v_pk_add_f32 v[44:45], v[16:17], v[20:21]
	v_mov_b32_e32 v15, v45
	v_mov_b32_e32 v19, v16
	v_pk_add_f32 v[46:47], v[18:19], v[14:15] neg_lo:[0,1] neg_hi:[0,1]
	v_pk_add_f32 v[14:15], v[18:19], v[14:15]
	v_mov_b32_e32 v18, v15
	v_pk_add_f32 v[48:49], v[18:19], v[16:17] neg_lo:[0,1] neg_hi:[0,1]
	v_mov_b32_e32 v11, v48
	v_pk_add_f32 v[50:51], v[44:45], v[10:11] neg_lo:[0,1] neg_hi:[0,1]
	v_mov_b32_e32 v14, v45
	v_mov_b32_e32 v44, v17
	;; [unrolled: 1-line block ×4, first 2 shown]
	v_pk_add_f32 v[14:15], v[14:15], v[44:45] neg_lo:[0,1] neg_hi:[0,1]
	v_mov_b32_e32 v20, v21
	v_mov_b32_e32 v21, v16
	v_pk_add_f32 v[14:15], v[20:21], v[14:15] neg_lo:[0,1] neg_hi:[0,1]
	v_mov_b32_e32 v50, v46
	v_pk_add_f32 v[16:17], v[50:51], v[14:15]
	v_mov_b32_e32 v20, v17
	v_pk_add_f32 v[20:21], v[16:17], v[20:21]
	v_pk_add_f32 v[18:19], v[18:19], v[20:21]
	v_mov_b32_e32 v17, v18
	v_pk_add_f32 v[44:45], v[16:17], v[46:47] neg_lo:[0,1] neg_hi:[0,1]
	v_mov_b32_e32 v15, v20
	v_sub_f32_e32 v11, v16, v44
	v_pk_add_f32 v[14:15], v[14:15], v[44:45] neg_lo:[0,1] neg_hi:[0,1]
	v_sub_f32_e32 v11, v46, v11
	s_mov_b32 s3, 0x7f800000
	v_add_f32_e32 v11, v14, v11
	s_mov_b32 s2, 0x33800000
	v_add_f32_e32 v11, v11, v15
	v_cmp_eq_f32_e32 vcc, s3, v13
	v_cmp_lt_f32_e64 s[2:3], |v13|, s2
	v_add_f32_e32 v11, v18, v11
	s_or_b64 vcc, vcc, s[2:3]
	v_cndmask_b32_e32 v11, v11, v13, vcc
	v_add_f32_e32 v11, v12, v11
.LBB90_180:
	s_or_b64 exec, exec, s[0:1]
	v_max_f32_e32 v12, v11, v11
	v_min_f32_e32 v13, v12, v35
	v_cmp_u_f32_e32 vcc, v11, v11
	v_max_f32_e32 v12, v12, v35
	v_cndmask_b32_e32 v13, v13, v11, vcc
	v_cndmask_b32_e32 v12, v12, v11, vcc
	v_cndmask_b32_e64 v14, v13, v28, s[12:13]
	v_cndmask_b32_e64 v13, v12, v28, s[12:13]
	s_movk_i32 s2, 0x1f8
	v_cmp_neq_f32_e32 vcc, v14, v13
	v_cmp_class_f32_e64 s[0:1], v14, s2
	s_or_b64 s[6:7], vcc, s[0:1]
	v_mov_b32_e32 v12, v11
	s_and_saveexec_b64 s[0:1], s[6:7]
	s_cbranch_execz .LBB90_182
; %bb.181:
	v_sub_f32_e32 v12, v14, v13
	s_mov_b32 s3, 0x3fb8aa3b
	v_mul_f32_e32 v14, 0x3fb8aa3b, v12
	v_fma_f32 v15, v12, s3, -v14
	v_rndne_f32_e32 v16, v14
	v_fmac_f32_e32 v15, 0x32a5705f, v12
	v_sub_f32_e32 v14, v14, v16
	v_add_f32_e32 v14, v14, v15
	v_exp_f32_e32 v14, v14
	v_cvt_i32_f32_e32 v15, v16
	s_mov_b32 s3, 0xc2ce8ed0
	v_cmp_ngt_f32_e32 vcc, s3, v12
	s_mov_b32 s3, 0x42b17218
	v_ldexp_f32 v14, v14, v15
	v_cndmask_b32_e32 v14, 0, v14, vcc
	v_mov_b32_e32 v15, 0x7f800000
	v_cmp_nlt_f32_e32 vcc, s3, v12
	v_cndmask_b32_e32 v43, v15, v14, vcc
	v_add_f32_e32 v12, 1.0, v43
	v_add_f32_e32 v14, -1.0, v12
	v_sub_f32_e32 v15, v14, v12
	v_add_f32_e32 v15, 1.0, v15
	v_sub_f32_e32 v14, v43, v14
	v_add_f32_e32 v16, v14, v15
	v_frexp_mant_f32_e32 v17, v12
	s_mov_b32 s3, 0x3f2aaaab
	v_cvt_f64_f32_e32 v[14:15], v12
	v_frexp_exp_i32_f64_e32 v14, v[14:15]
	v_cmp_gt_f32_e32 vcc, s3, v17
	v_subbrev_co_u32_e32 v34, vcc, 0, v14, vcc
	v_sub_u32_e32 v14, 0, v34
	v_ldexp_f32 v12, v12, v14
	v_ldexp_f32 v14, v16, v14
	v_add_f32_e32 v16, -1.0, v12
	v_add_f32_e32 v15, 1.0, v16
	v_sub_f32_e32 v15, v12, v15
	v_add_f32_e32 v17, v14, v15
	v_add_f32_e32 v15, 1.0, v12
	v_add_f32_e32 v18, -1.0, v15
	v_sub_f32_e32 v12, v12, v18
	v_add_f32_e32 v12, v14, v12
	v_add_f32_e32 v35, v15, v12
	v_rcp_f32_e32 v44, v35
	v_sub_f32_e32 v14, v15, v35
	v_add_f32_e32 v15, v16, v17
	v_add_f32_e32 v12, v12, v14
	v_mul_f32_e32 v46, v15, v44
	v_sub_f32_e32 v14, v16, v15
	v_mul_f32_e32 v16, v35, v46
	v_fma_f32 v18, v46, v35, -v16
	v_fmac_f32_e32 v18, v46, v12
	v_add_f32_e32 v45, v17, v14
	v_add_f32_e32 v14, v16, v18
	v_sub_f32_e32 v17, v15, v14
	v_pk_add_f32 v[20:21], v[14:15], v[16:17] neg_lo:[0,1] neg_hi:[0,1]
	v_mov_b32_e32 v19, v14
	v_pk_add_f32 v[14:15], v[20:21], v[18:19] neg_lo:[0,1] neg_hi:[0,1]
	v_add_f32_e32 v15, v45, v15
	v_add_f32_e32 v14, v14, v15
	;; [unrolled: 1-line block ×3, first 2 shown]
	v_mul_f32_e32 v45, v44, v15
	v_mul_f32_e32 v16, v35, v45
	v_fma_f32 v18, v45, v35, -v16
	v_fmac_f32_e32 v18, v45, v12
	v_sub_f32_e32 v12, v17, v15
	v_add_f32_e32 v12, v14, v12
	v_add_f32_e32 v14, v16, v18
	v_sub_f32_e32 v17, v15, v14
	v_pk_add_f32 v[20:21], v[14:15], v[16:17] neg_lo:[0,1] neg_hi:[0,1]
	v_mov_b32_e32 v19, v14
	v_pk_add_f32 v[14:15], v[20:21], v[18:19] neg_lo:[0,1] neg_hi:[0,1]
	v_add_f32_e32 v12, v12, v15
	v_add_f32_e32 v12, v14, v12
	;; [unrolled: 1-line block ×4, first 2 shown]
	v_sub_f32_e32 v15, v14, v46
	v_mul_f32_e32 v12, v44, v12
	v_sub_f32_e32 v15, v45, v15
	v_add_f32_e32 v12, v15, v12
	v_add_f32_e32 v17, v14, v12
	v_mul_f32_e32 v18, v17, v17
	v_mov_b32_e32 v16, 0x3ecc95a3
	v_fmac_f32_e32 v16, 0x3e9b6dac, v18
	v_mov_b32_e32 v15, 0x3f2aaada
	v_fmac_f32_e32 v15, v18, v16
	v_cvt_f32_i32_e32 v16, v34
	v_sub_f32_e32 v14, v17, v14
	v_sub_f32_e32 v12, v12, v14
	v_ldexp_f32 v19, v17, 1
	v_mul_f32_e32 v17, v17, v18
	v_mov_b32_e32 v14, 0x3f317218
	s_mov_b32 s3, 0x3f317218
	v_pk_mul_f32 v[14:15], v[16:17], v[14:15]
	v_fma_f32 v18, v16, s3, -v14
	v_fmac_f32_e32 v18, 0xb102e308, v16
	v_pk_add_f32 v[16:17], v[14:15], v[18:19]
	v_sub_f32_e32 v19, v17, v19
	v_ldexp_f32 v12, v12, 1
	v_sub_f32_e32 v19, v15, v19
	v_add_f32_e32 v21, v12, v19
	v_mov_b32_e32 v20, v14
	v_pk_add_f32 v[14:15], v[16:17], v[14:15] neg_lo:[0,1] neg_hi:[0,1]
	v_pk_add_f32 v[34:35], v[16:17], v[20:21]
	v_mov_b32_e32 v15, v35
	v_mov_b32_e32 v19, v16
	v_pk_add_f32 v[44:45], v[18:19], v[14:15] neg_lo:[0,1] neg_hi:[0,1]
	v_pk_add_f32 v[14:15], v[18:19], v[14:15]
	v_mov_b32_e32 v12, v15
	v_pk_add_f32 v[18:19], v[12:13], v[16:17] neg_lo:[0,1] neg_hi:[0,1]
	v_mov_b32_e32 v19, v18
	v_pk_add_f32 v[46:47], v[34:35], v[18:19] neg_lo:[0,1] neg_hi:[0,1]
	v_mov_b32_e32 v14, v35
	v_mov_b32_e32 v34, v17
	;; [unrolled: 1-line block ×4, first 2 shown]
	v_pk_add_f32 v[14:15], v[14:15], v[34:35] neg_lo:[0,1] neg_hi:[0,1]
	v_mov_b32_e32 v18, v21
	v_mov_b32_e32 v19, v16
	v_pk_add_f32 v[14:15], v[18:19], v[14:15] neg_lo:[0,1] neg_hi:[0,1]
	v_mov_b32_e32 v46, v44
	v_pk_add_f32 v[16:17], v[46:47], v[14:15]
	v_mov_b32_e32 v18, v17
	v_pk_add_f32 v[18:19], v[16:17], v[18:19]
	v_pk_add_f32 v[20:21], v[12:13], v[18:19]
	v_mov_b32_e32 v17, v20
	v_pk_add_f32 v[34:35], v[16:17], v[44:45] neg_lo:[0,1] neg_hi:[0,1]
	v_mov_b32_e32 v15, v18
	v_sub_f32_e32 v12, v16, v34
	v_pk_add_f32 v[14:15], v[14:15], v[34:35] neg_lo:[0,1] neg_hi:[0,1]
	v_sub_f32_e32 v12, v44, v12
	s_mov_b32 s6, 0x7f800000
	v_add_f32_e32 v12, v14, v12
	s_mov_b32 s3, 0x33800000
	v_add_f32_e32 v12, v12, v15
	v_cmp_eq_f32_e32 vcc, s6, v43
	v_cmp_lt_f32_e64 s[6:7], |v43|, s3
	v_add_f32_e32 v12, v20, v12
	s_or_b64 vcc, vcc, s[6:7]
	v_cndmask_b32_e32 v12, v12, v43, vcc
	v_add_f32_e32 v12, v13, v12
.LBB90_182:
	s_or_b64 exec, exec, s[0:1]
	v_max_f32_e32 v13, v12, v12
	v_min_f32_e32 v14, v13, v36
	v_cmp_u_f32_e32 vcc, v12, v12
	v_max_f32_e32 v13, v13, v36
	v_cndmask_b32_e32 v14, v14, v12, vcc
	v_cndmask_b32_e32 v13, v13, v12, vcc
	v_cndmask_b32_e64 v15, v14, v29, s[14:15]
	v_cndmask_b32_e64 v14, v13, v29, s[14:15]
	v_cmp_neq_f32_e32 vcc, v15, v14
	v_cmp_class_f32_e64 s[0:1], v15, s2
	s_or_b64 s[2:3], vcc, s[0:1]
	v_mov_b32_e32 v13, v12
	s_and_saveexec_b64 s[0:1], s[2:3]
	s_cbranch_execz .LBB90_184
; %bb.183:
	v_sub_f32_e32 v13, v15, v14
	s_mov_b32 s2, 0x3fb8aa3b
	v_mul_f32_e32 v15, 0x3fb8aa3b, v13
	v_fma_f32 v16, v13, s2, -v15
	v_rndne_f32_e32 v17, v15
	v_fmac_f32_e32 v16, 0x32a5705f, v13
	v_sub_f32_e32 v15, v15, v17
	v_add_f32_e32 v15, v15, v16
	v_exp_f32_e32 v15, v15
	v_cvt_i32_f32_e32 v16, v17
	s_mov_b32 s2, 0xc2ce8ed0
	v_cmp_ngt_f32_e32 vcc, s2, v13
	s_mov_b32 s2, 0x42b17218
	v_ldexp_f32 v15, v15, v16
	v_cndmask_b32_e32 v15, 0, v15, vcc
	v_mov_b32_e32 v16, 0x7f800000
	v_cmp_nlt_f32_e32 vcc, s2, v13
	v_cndmask_b32_e32 v15, v16, v15, vcc
	v_add_f32_e32 v13, 1.0, v15
	v_add_f32_e32 v16, -1.0, v13
	v_sub_f32_e32 v17, v16, v13
	v_add_f32_e32 v17, 1.0, v17
	v_sub_f32_e32 v16, v15, v16
	v_add_f32_e32 v18, v16, v17
	v_frexp_mant_f32_e32 v19, v13
	s_mov_b32 s2, 0x3f2aaaab
	v_cvt_f64_f32_e32 v[16:17], v13
	v_frexp_exp_i32_f64_e32 v16, v[16:17]
	v_cmp_gt_f32_e32 vcc, s2, v19
	v_subbrev_co_u32_e32 v36, vcc, 0, v16, vcc
	v_sub_u32_e32 v16, 0, v36
	v_ldexp_f32 v13, v13, v16
	v_ldexp_f32 v16, v18, v16
	v_add_f32_e32 v18, -1.0, v13
	v_add_f32_e32 v17, 1.0, v18
	v_sub_f32_e32 v17, v13, v17
	v_add_f32_e32 v19, v16, v17
	v_add_f32_e32 v17, 1.0, v13
	v_add_f32_e32 v20, -1.0, v17
	v_sub_f32_e32 v13, v13, v20
	v_add_f32_e32 v13, v16, v13
	v_add_f32_e32 v43, v17, v13
	v_rcp_f32_e32 v44, v43
	v_sub_f32_e32 v16, v17, v43
	v_add_f32_e32 v17, v18, v19
	v_add_f32_e32 v13, v13, v16
	v_mul_f32_e32 v46, v17, v44
	v_sub_f32_e32 v16, v18, v17
	v_mul_f32_e32 v18, v43, v46
	v_fma_f32 v20, v46, v43, -v18
	v_fmac_f32_e32 v20, v46, v13
	v_add_f32_e32 v45, v19, v16
	v_add_f32_e32 v16, v18, v20
	v_sub_f32_e32 v19, v17, v16
	v_pk_add_f32 v[34:35], v[16:17], v[18:19] neg_lo:[0,1] neg_hi:[0,1]
	v_mov_b32_e32 v21, v16
	v_pk_add_f32 v[16:17], v[34:35], v[20:21] neg_lo:[0,1] neg_hi:[0,1]
	v_add_f32_e32 v17, v45, v17
	v_add_f32_e32 v16, v16, v17
	v_add_f32_e32 v17, v19, v16
	v_mul_f32_e32 v45, v44, v17
	v_mul_f32_e32 v18, v43, v45
	v_fma_f32 v20, v45, v43, -v18
	v_fmac_f32_e32 v20, v45, v13
	v_sub_f32_e32 v13, v19, v17
	v_add_f32_e32 v13, v16, v13
	v_add_f32_e32 v16, v18, v20
	v_sub_f32_e32 v19, v17, v16
	v_pk_add_f32 v[34:35], v[16:17], v[18:19] neg_lo:[0,1] neg_hi:[0,1]
	v_mov_b32_e32 v21, v16
	v_pk_add_f32 v[16:17], v[34:35], v[20:21] neg_lo:[0,1] neg_hi:[0,1]
	v_add_f32_e32 v13, v13, v17
	v_add_f32_e32 v13, v16, v13
	;; [unrolled: 1-line block ×4, first 2 shown]
	v_sub_f32_e32 v17, v16, v46
	v_mul_f32_e32 v13, v44, v13
	v_sub_f32_e32 v17, v45, v17
	v_add_f32_e32 v13, v17, v13
	v_add_f32_e32 v19, v16, v13
	v_mul_f32_e32 v20, v19, v19
	v_mov_b32_e32 v18, 0x3ecc95a3
	v_fmac_f32_e32 v18, 0x3e9b6dac, v20
	v_mov_b32_e32 v17, 0x3f2aaada
	v_fmac_f32_e32 v17, v20, v18
	v_cvt_f32_i32_e32 v18, v36
	v_sub_f32_e32 v16, v19, v16
	v_sub_f32_e32 v13, v13, v16
	v_ldexp_f32 v21, v19, 1
	v_mul_f32_e32 v19, v19, v20
	v_mov_b32_e32 v16, 0x3f317218
	s_mov_b32 s2, 0x3f317218
	v_pk_mul_f32 v[16:17], v[18:19], v[16:17]
	v_fma_f32 v20, v18, s2, -v16
	v_fmac_f32_e32 v20, 0xb102e308, v18
	v_pk_add_f32 v[18:19], v[16:17], v[20:21]
	v_sub_f32_e32 v21, v19, v21
	v_ldexp_f32 v13, v13, 1
	v_sub_f32_e32 v21, v17, v21
	v_add_f32_e32 v35, v13, v21
	v_mov_b32_e32 v34, v16
	v_pk_add_f32 v[16:17], v[18:19], v[16:17] neg_lo:[0,1] neg_hi:[0,1]
	v_pk_add_f32 v[44:45], v[18:19], v[34:35]
	v_mov_b32_e32 v17, v45
	v_mov_b32_e32 v21, v18
	v_pk_add_f32 v[46:47], v[20:21], v[16:17] neg_lo:[0,1] neg_hi:[0,1]
	v_pk_add_f32 v[16:17], v[20:21], v[16:17]
	v_mov_b32_e32 v20, v17
	v_pk_add_f32 v[48:49], v[20:21], v[18:19] neg_lo:[0,1] neg_hi:[0,1]
	v_mov_b32_e32 v13, v48
	v_pk_add_f32 v[50:51], v[44:45], v[12:13] neg_lo:[0,1] neg_hi:[0,1]
	v_mov_b32_e32 v16, v45
	v_mov_b32_e32 v44, v19
	;; [unrolled: 1-line block ×4, first 2 shown]
	v_pk_add_f32 v[16:17], v[16:17], v[44:45] neg_lo:[0,1] neg_hi:[0,1]
	v_mov_b32_e32 v34, v35
	v_mov_b32_e32 v35, v18
	v_pk_add_f32 v[16:17], v[34:35], v[16:17] neg_lo:[0,1] neg_hi:[0,1]
	v_mov_b32_e32 v50, v46
	v_pk_add_f32 v[18:19], v[50:51], v[16:17]
	v_mov_b32_e32 v34, v19
	v_pk_add_f32 v[34:35], v[18:19], v[34:35]
	v_pk_add_f32 v[20:21], v[20:21], v[34:35]
	v_mov_b32_e32 v19, v20
	v_pk_add_f32 v[44:45], v[18:19], v[46:47] neg_lo:[0,1] neg_hi:[0,1]
	v_mov_b32_e32 v17, v34
	v_sub_f32_e32 v13, v18, v44
	v_pk_add_f32 v[16:17], v[16:17], v[44:45] neg_lo:[0,1] neg_hi:[0,1]
	v_sub_f32_e32 v13, v46, v13
	s_mov_b32 s3, 0x7f800000
	v_add_f32_e32 v13, v16, v13
	s_mov_b32 s2, 0x33800000
	v_add_f32_e32 v13, v13, v17
	v_cmp_eq_f32_e32 vcc, s3, v15
	v_cmp_lt_f32_e64 s[2:3], |v15|, s2
	v_add_f32_e32 v13, v20, v13
	s_or_b64 vcc, vcc, s[2:3]
	v_cndmask_b32_e32 v13, v13, v15, vcc
	v_add_f32_e32 v13, v14, v13
.LBB90_184:
	s_or_b64 exec, exec, s[0:1]
	v_max_f32_e32 v14, v13, v13
	v_min_f32_e32 v15, v14, v37
	v_cmp_u_f32_e32 vcc, v13, v13
	v_max_f32_e32 v14, v14, v37
	v_cndmask_b32_e32 v15, v15, v13, vcc
	v_cndmask_b32_e32 v14, v14, v13, vcc
	v_cndmask_b32_e64 v16, v15, v22, s[16:17]
	v_cndmask_b32_e64 v15, v14, v22, s[16:17]
	s_movk_i32 s2, 0x1f8
	v_cmp_neq_f32_e32 vcc, v16, v15
	v_cmp_class_f32_e64 s[0:1], v16, s2
	s_or_b64 s[6:7], vcc, s[0:1]
	v_mov_b32_e32 v14, v13
	s_and_saveexec_b64 s[0:1], s[6:7]
	s_cbranch_execz .LBB90_186
; %bb.185:
	v_sub_f32_e32 v14, v16, v15
	s_mov_b32 s3, 0x3fb8aa3b
	v_mul_f32_e32 v16, 0x3fb8aa3b, v14
	v_fma_f32 v17, v14, s3, -v16
	v_rndne_f32_e32 v18, v16
	v_fmac_f32_e32 v17, 0x32a5705f, v14
	v_sub_f32_e32 v16, v16, v18
	v_add_f32_e32 v16, v16, v17
	v_exp_f32_e32 v16, v16
	v_cvt_i32_f32_e32 v17, v18
	s_mov_b32 s3, 0xc2ce8ed0
	v_cmp_ngt_f32_e32 vcc, s3, v14
	s_mov_b32 s3, 0x42b17218
	v_ldexp_f32 v16, v16, v17
	v_cndmask_b32_e32 v16, 0, v16, vcc
	v_mov_b32_e32 v17, 0x7f800000
	v_cmp_nlt_f32_e32 vcc, s3, v14
	v_cndmask_b32_e32 v43, v17, v16, vcc
	v_add_f32_e32 v14, 1.0, v43
	v_add_f32_e32 v16, -1.0, v14
	v_sub_f32_e32 v17, v16, v14
	v_add_f32_e32 v17, 1.0, v17
	v_sub_f32_e32 v16, v43, v16
	v_add_f32_e32 v18, v16, v17
	v_frexp_mant_f32_e32 v19, v14
	s_mov_b32 s3, 0x3f2aaaab
	v_cvt_f64_f32_e32 v[16:17], v14
	v_frexp_exp_i32_f64_e32 v16, v[16:17]
	v_cmp_gt_f32_e32 vcc, s3, v19
	v_subbrev_co_u32_e32 v36, vcc, 0, v16, vcc
	v_sub_u32_e32 v16, 0, v36
	v_ldexp_f32 v14, v14, v16
	v_ldexp_f32 v16, v18, v16
	v_add_f32_e32 v18, -1.0, v14
	v_add_f32_e32 v17, 1.0, v18
	v_sub_f32_e32 v17, v14, v17
	v_add_f32_e32 v19, v16, v17
	v_add_f32_e32 v17, 1.0, v14
	v_add_f32_e32 v20, -1.0, v17
	v_sub_f32_e32 v14, v14, v20
	v_add_f32_e32 v14, v16, v14
	v_add_f32_e32 v37, v17, v14
	v_rcp_f32_e32 v44, v37
	v_sub_f32_e32 v16, v17, v37
	v_add_f32_e32 v17, v18, v19
	v_add_f32_e32 v14, v14, v16
	v_mul_f32_e32 v46, v17, v44
	v_sub_f32_e32 v16, v18, v17
	v_mul_f32_e32 v18, v37, v46
	v_fma_f32 v20, v46, v37, -v18
	v_fmac_f32_e32 v20, v46, v14
	v_add_f32_e32 v45, v19, v16
	v_add_f32_e32 v16, v18, v20
	v_sub_f32_e32 v19, v17, v16
	v_pk_add_f32 v[34:35], v[16:17], v[18:19] neg_lo:[0,1] neg_hi:[0,1]
	v_mov_b32_e32 v21, v16
	v_pk_add_f32 v[16:17], v[34:35], v[20:21] neg_lo:[0,1] neg_hi:[0,1]
	v_add_f32_e32 v17, v45, v17
	v_add_f32_e32 v16, v16, v17
	;; [unrolled: 1-line block ×3, first 2 shown]
	v_mul_f32_e32 v45, v44, v17
	v_mul_f32_e32 v18, v37, v45
	v_fma_f32 v20, v45, v37, -v18
	v_fmac_f32_e32 v20, v45, v14
	v_sub_f32_e32 v14, v19, v17
	v_add_f32_e32 v14, v16, v14
	v_add_f32_e32 v16, v18, v20
	v_sub_f32_e32 v19, v17, v16
	v_pk_add_f32 v[34:35], v[16:17], v[18:19] neg_lo:[0,1] neg_hi:[0,1]
	v_mov_b32_e32 v21, v16
	v_pk_add_f32 v[16:17], v[34:35], v[20:21] neg_lo:[0,1] neg_hi:[0,1]
	v_add_f32_e32 v14, v14, v17
	v_add_f32_e32 v14, v16, v14
	;; [unrolled: 1-line block ×4, first 2 shown]
	v_sub_f32_e32 v17, v16, v46
	v_mul_f32_e32 v14, v44, v14
	v_sub_f32_e32 v17, v45, v17
	v_add_f32_e32 v14, v17, v14
	v_add_f32_e32 v19, v16, v14
	v_mul_f32_e32 v20, v19, v19
	v_mov_b32_e32 v18, 0x3ecc95a3
	v_fmac_f32_e32 v18, 0x3e9b6dac, v20
	v_mov_b32_e32 v17, 0x3f2aaada
	v_fmac_f32_e32 v17, v20, v18
	v_cvt_f32_i32_e32 v18, v36
	v_sub_f32_e32 v16, v19, v16
	v_sub_f32_e32 v14, v14, v16
	v_ldexp_f32 v21, v19, 1
	v_mul_f32_e32 v19, v19, v20
	v_mov_b32_e32 v16, 0x3f317218
	s_mov_b32 s3, 0x3f317218
	v_pk_mul_f32 v[16:17], v[18:19], v[16:17]
	v_fma_f32 v20, v18, s3, -v16
	v_fmac_f32_e32 v20, 0xb102e308, v18
	v_pk_add_f32 v[18:19], v[16:17], v[20:21]
	v_sub_f32_e32 v21, v19, v21
	v_ldexp_f32 v14, v14, 1
	v_sub_f32_e32 v21, v17, v21
	v_add_f32_e32 v35, v14, v21
	v_mov_b32_e32 v34, v16
	v_pk_add_f32 v[16:17], v[18:19], v[16:17] neg_lo:[0,1] neg_hi:[0,1]
	v_pk_add_f32 v[36:37], v[18:19], v[34:35]
	v_mov_b32_e32 v17, v37
	v_mov_b32_e32 v21, v18
	v_pk_add_f32 v[44:45], v[20:21], v[16:17] neg_lo:[0,1] neg_hi:[0,1]
	v_pk_add_f32 v[16:17], v[20:21], v[16:17]
	v_mov_b32_e32 v14, v17
	v_pk_add_f32 v[20:21], v[14:15], v[18:19] neg_lo:[0,1] neg_hi:[0,1]
	v_mov_b32_e32 v21, v20
	v_pk_add_f32 v[46:47], v[36:37], v[20:21] neg_lo:[0,1] neg_hi:[0,1]
	v_mov_b32_e32 v16, v37
	v_mov_b32_e32 v36, v19
	v_mov_b32_e32 v37, v20
	v_mov_b32_e32 v45, v17
	v_pk_add_f32 v[16:17], v[16:17], v[36:37] neg_lo:[0,1] neg_hi:[0,1]
	v_mov_b32_e32 v20, v35
	v_mov_b32_e32 v21, v18
	v_pk_add_f32 v[16:17], v[20:21], v[16:17] neg_lo:[0,1] neg_hi:[0,1]
	v_mov_b32_e32 v46, v44
	v_pk_add_f32 v[18:19], v[46:47], v[16:17]
	v_mov_b32_e32 v20, v19
	v_pk_add_f32 v[20:21], v[18:19], v[20:21]
	v_pk_add_f32 v[34:35], v[14:15], v[20:21]
	v_mov_b32_e32 v19, v34
	v_pk_add_f32 v[36:37], v[18:19], v[44:45] neg_lo:[0,1] neg_hi:[0,1]
	v_mov_b32_e32 v17, v20
	v_sub_f32_e32 v14, v18, v36
	v_pk_add_f32 v[16:17], v[16:17], v[36:37] neg_lo:[0,1] neg_hi:[0,1]
	v_sub_f32_e32 v14, v44, v14
	s_mov_b32 s6, 0x7f800000
	v_add_f32_e32 v14, v16, v14
	s_mov_b32 s3, 0x33800000
	v_add_f32_e32 v14, v14, v17
	v_cmp_eq_f32_e32 vcc, s6, v43
	v_cmp_lt_f32_e64 s[6:7], |v43|, s3
	v_add_f32_e32 v14, v34, v14
	s_or_b64 vcc, vcc, s[6:7]
	v_cndmask_b32_e32 v14, v14, v43, vcc
	v_add_f32_e32 v14, v15, v14
.LBB90_186:
	s_or_b64 exec, exec, s[0:1]
	v_max_f32_e32 v15, v14, v14
	v_min_f32_e32 v16, v15, v38
	v_cmp_u_f32_e32 vcc, v14, v14
	v_max_f32_e32 v15, v15, v38
	v_cndmask_b32_e32 v16, v16, v14, vcc
	v_cndmask_b32_e32 v15, v15, v14, vcc
	v_cndmask_b32_e64 v17, v16, v23, s[18:19]
	v_cndmask_b32_e64 v16, v15, v23, s[18:19]
	v_cmp_neq_f32_e32 vcc, v17, v16
	v_cmp_class_f32_e64 s[0:1], v17, s2
	s_or_b64 s[2:3], vcc, s[0:1]
	v_mov_b32_e32 v15, v14
	s_and_saveexec_b64 s[0:1], s[2:3]
	s_cbranch_execz .LBB90_188
; %bb.187:
	v_sub_f32_e32 v15, v17, v16
	s_mov_b32 s2, 0x3fb8aa3b
	v_mul_f32_e32 v17, 0x3fb8aa3b, v15
	v_fma_f32 v18, v15, s2, -v17
	v_rndne_f32_e32 v19, v17
	v_fmac_f32_e32 v18, 0x32a5705f, v15
	v_sub_f32_e32 v17, v17, v19
	v_add_f32_e32 v17, v17, v18
	v_exp_f32_e32 v17, v17
	v_cvt_i32_f32_e32 v18, v19
	s_mov_b32 s2, 0xc2ce8ed0
	v_cmp_ngt_f32_e32 vcc, s2, v15
	s_mov_b32 s2, 0x42b17218
	v_ldexp_f32 v17, v17, v18
	v_cndmask_b32_e32 v17, 0, v17, vcc
	v_mov_b32_e32 v18, 0x7f800000
	v_cmp_nlt_f32_e32 vcc, s2, v15
	v_cndmask_b32_e32 v17, v18, v17, vcc
	v_add_f32_e32 v15, 1.0, v17
	v_add_f32_e32 v18, -1.0, v15
	v_sub_f32_e32 v19, v18, v15
	v_add_f32_e32 v19, 1.0, v19
	v_sub_f32_e32 v18, v17, v18
	v_add_f32_e32 v20, v18, v19
	v_frexp_mant_f32_e32 v21, v15
	s_mov_b32 s2, 0x3f2aaaab
	v_cvt_f64_f32_e32 v[18:19], v15
	v_frexp_exp_i32_f64_e32 v18, v[18:19]
	v_cmp_gt_f32_e32 vcc, s2, v21
	v_subbrev_co_u32_e32 v38, vcc, 0, v18, vcc
	v_sub_u32_e32 v18, 0, v38
	v_ldexp_f32 v15, v15, v18
	v_ldexp_f32 v18, v20, v18
	v_add_f32_e32 v20, -1.0, v15
	v_add_f32_e32 v19, 1.0, v20
	v_sub_f32_e32 v19, v15, v19
	v_add_f32_e32 v21, v18, v19
	v_add_f32_e32 v19, 1.0, v15
	v_add_f32_e32 v34, -1.0, v19
	v_sub_f32_e32 v15, v15, v34
	v_add_f32_e32 v15, v18, v15
	v_add_f32_e32 v43, v19, v15
	v_rcp_f32_e32 v44, v43
	v_sub_f32_e32 v18, v19, v43
	v_add_f32_e32 v19, v20, v21
	v_add_f32_e32 v15, v15, v18
	v_mul_f32_e32 v46, v19, v44
	v_sub_f32_e32 v18, v20, v19
	v_mul_f32_e32 v20, v43, v46
	v_fma_f32 v34, v46, v43, -v20
	v_fmac_f32_e32 v34, v46, v15
	v_add_f32_e32 v45, v21, v18
	v_add_f32_e32 v18, v20, v34
	v_sub_f32_e32 v21, v19, v18
	v_pk_add_f32 v[36:37], v[18:19], v[20:21] neg_lo:[0,1] neg_hi:[0,1]
	v_mov_b32_e32 v35, v18
	v_pk_add_f32 v[18:19], v[36:37], v[34:35] neg_lo:[0,1] neg_hi:[0,1]
	v_add_f32_e32 v19, v45, v19
	v_add_f32_e32 v18, v18, v19
	;; [unrolled: 1-line block ×3, first 2 shown]
	v_mul_f32_e32 v45, v44, v19
	v_mul_f32_e32 v20, v43, v45
	v_fma_f32 v34, v45, v43, -v20
	v_fmac_f32_e32 v34, v45, v15
	v_sub_f32_e32 v15, v21, v19
	v_add_f32_e32 v15, v18, v15
	v_add_f32_e32 v18, v20, v34
	v_sub_f32_e32 v21, v19, v18
	v_pk_add_f32 v[36:37], v[18:19], v[20:21] neg_lo:[0,1] neg_hi:[0,1]
	v_mov_b32_e32 v35, v18
	v_pk_add_f32 v[18:19], v[36:37], v[34:35] neg_lo:[0,1] neg_hi:[0,1]
	v_add_f32_e32 v15, v15, v19
	v_add_f32_e32 v15, v18, v15
	v_add_f32_e32 v18, v46, v45
	v_add_f32_e32 v15, v21, v15
	v_sub_f32_e32 v19, v18, v46
	v_mul_f32_e32 v15, v44, v15
	v_sub_f32_e32 v19, v45, v19
	v_add_f32_e32 v15, v19, v15
	v_add_f32_e32 v21, v18, v15
	v_mul_f32_e32 v34, v21, v21
	v_mov_b32_e32 v20, 0x3ecc95a3
	v_fmac_f32_e32 v20, 0x3e9b6dac, v34
	v_mov_b32_e32 v19, 0x3f2aaada
	v_fmac_f32_e32 v19, v34, v20
	v_cvt_f32_i32_e32 v20, v38
	v_sub_f32_e32 v18, v21, v18
	v_sub_f32_e32 v15, v15, v18
	v_ldexp_f32 v35, v21, 1
	v_mul_f32_e32 v21, v21, v34
	v_mov_b32_e32 v18, 0x3f317218
	s_mov_b32 s2, 0x3f317218
	v_pk_mul_f32 v[18:19], v[20:21], v[18:19]
	v_fma_f32 v34, v20, s2, -v18
	v_fmac_f32_e32 v34, 0xb102e308, v20
	v_pk_add_f32 v[20:21], v[18:19], v[34:35]
	v_sub_f32_e32 v35, v21, v35
	v_ldexp_f32 v15, v15, 1
	v_sub_f32_e32 v35, v19, v35
	v_add_f32_e32 v37, v15, v35
	v_mov_b32_e32 v36, v18
	v_pk_add_f32 v[18:19], v[20:21], v[18:19] neg_lo:[0,1] neg_hi:[0,1]
	v_pk_add_f32 v[44:45], v[20:21], v[36:37]
	v_mov_b32_e32 v19, v45
	v_mov_b32_e32 v35, v20
	v_pk_add_f32 v[46:47], v[34:35], v[18:19] neg_lo:[0,1] neg_hi:[0,1]
	v_pk_add_f32 v[18:19], v[34:35], v[18:19]
	v_mov_b32_e32 v34, v19
	v_pk_add_f32 v[48:49], v[34:35], v[20:21] neg_lo:[0,1] neg_hi:[0,1]
	v_mov_b32_e32 v15, v48
	v_pk_add_f32 v[50:51], v[44:45], v[14:15] neg_lo:[0,1] neg_hi:[0,1]
	v_mov_b32_e32 v18, v45
	v_mov_b32_e32 v44, v21
	;; [unrolled: 1-line block ×4, first 2 shown]
	v_pk_add_f32 v[18:19], v[18:19], v[44:45] neg_lo:[0,1] neg_hi:[0,1]
	v_mov_b32_e32 v36, v37
	v_mov_b32_e32 v37, v20
	v_pk_add_f32 v[18:19], v[36:37], v[18:19] neg_lo:[0,1] neg_hi:[0,1]
	v_mov_b32_e32 v50, v46
	v_pk_add_f32 v[20:21], v[50:51], v[18:19]
	v_mov_b32_e32 v36, v21
	v_pk_add_f32 v[36:37], v[20:21], v[36:37]
	v_pk_add_f32 v[34:35], v[34:35], v[36:37]
	v_mov_b32_e32 v21, v34
	v_pk_add_f32 v[44:45], v[20:21], v[46:47] neg_lo:[0,1] neg_hi:[0,1]
	v_mov_b32_e32 v19, v36
	v_sub_f32_e32 v15, v20, v44
	v_pk_add_f32 v[18:19], v[18:19], v[44:45] neg_lo:[0,1] neg_hi:[0,1]
	v_sub_f32_e32 v15, v46, v15
	s_mov_b32 s3, 0x7f800000
	v_add_f32_e32 v15, v18, v15
	s_mov_b32 s2, 0x33800000
	v_add_f32_e32 v15, v15, v19
	v_cmp_eq_f32_e32 vcc, s3, v17
	v_cmp_lt_f32_e64 s[2:3], |v17|, s2
	v_add_f32_e32 v15, v34, v15
	s_or_b64 vcc, vcc, s[2:3]
	v_cndmask_b32_e32 v15, v15, v17, vcc
	v_add_f32_e32 v15, v16, v15
.LBB90_188:
	s_or_b64 exec, exec, s[0:1]
	v_max_f32_e32 v16, v15, v15
	v_min_f32_e32 v17, v16, v39
	v_cmp_u_f32_e32 vcc, v15, v15
	v_max_f32_e32 v16, v16, v39
	v_cndmask_b32_e32 v17, v17, v15, vcc
	v_cndmask_b32_e32 v16, v16, v15, vcc
	v_cndmask_b32_e64 v18, v17, v24, s[20:21]
	v_cndmask_b32_e64 v17, v16, v24, s[20:21]
	s_movk_i32 s2, 0x1f8
	v_cmp_neq_f32_e32 vcc, v18, v17
	v_cmp_class_f32_e64 s[0:1], v18, s2
	s_or_b64 s[6:7], vcc, s[0:1]
	v_mov_b32_e32 v16, v15
	s_and_saveexec_b64 s[0:1], s[6:7]
	s_cbranch_execz .LBB90_190
; %bb.189:
	v_sub_f32_e32 v16, v18, v17
	s_mov_b32 s3, 0x3fb8aa3b
	v_mul_f32_e32 v18, 0x3fb8aa3b, v16
	v_fma_f32 v19, v16, s3, -v18
	v_rndne_f32_e32 v20, v18
	v_fmac_f32_e32 v19, 0x32a5705f, v16
	v_sub_f32_e32 v18, v18, v20
	v_add_f32_e32 v18, v18, v19
	v_exp_f32_e32 v18, v18
	v_cvt_i32_f32_e32 v19, v20
	s_mov_b32 s3, 0xc2ce8ed0
	v_cmp_ngt_f32_e32 vcc, s3, v16
	s_mov_b32 s3, 0x42b17218
	v_ldexp_f32 v18, v18, v19
	v_cndmask_b32_e32 v18, 0, v18, vcc
	v_mov_b32_e32 v19, 0x7f800000
	v_cmp_nlt_f32_e32 vcc, s3, v16
	v_cndmask_b32_e32 v43, v19, v18, vcc
	v_add_f32_e32 v16, 1.0, v43
	v_add_f32_e32 v18, -1.0, v16
	v_sub_f32_e32 v19, v18, v16
	v_add_f32_e32 v19, 1.0, v19
	v_sub_f32_e32 v18, v43, v18
	v_add_f32_e32 v20, v18, v19
	v_frexp_mant_f32_e32 v21, v16
	s_mov_b32 s3, 0x3f2aaaab
	v_cvt_f64_f32_e32 v[18:19], v16
	v_frexp_exp_i32_f64_e32 v18, v[18:19]
	v_cmp_gt_f32_e32 vcc, s3, v21
	v_subbrev_co_u32_e32 v38, vcc, 0, v18, vcc
	v_sub_u32_e32 v18, 0, v38
	v_ldexp_f32 v16, v16, v18
	v_ldexp_f32 v18, v20, v18
	v_add_f32_e32 v20, -1.0, v16
	v_add_f32_e32 v19, 1.0, v20
	v_sub_f32_e32 v19, v16, v19
	v_add_f32_e32 v21, v18, v19
	v_add_f32_e32 v19, 1.0, v16
	v_add_f32_e32 v34, -1.0, v19
	v_sub_f32_e32 v16, v16, v34
	v_add_f32_e32 v16, v18, v16
	v_add_f32_e32 v39, v19, v16
	v_rcp_f32_e32 v44, v39
	v_sub_f32_e32 v18, v19, v39
	v_add_f32_e32 v19, v20, v21
	v_add_f32_e32 v16, v16, v18
	v_mul_f32_e32 v46, v19, v44
	v_sub_f32_e32 v18, v20, v19
	v_mul_f32_e32 v20, v39, v46
	v_fma_f32 v34, v46, v39, -v20
	v_fmac_f32_e32 v34, v46, v16
	v_add_f32_e32 v45, v21, v18
	v_add_f32_e32 v18, v20, v34
	v_sub_f32_e32 v21, v19, v18
	v_pk_add_f32 v[36:37], v[18:19], v[20:21] neg_lo:[0,1] neg_hi:[0,1]
	v_mov_b32_e32 v35, v18
	v_pk_add_f32 v[18:19], v[36:37], v[34:35] neg_lo:[0,1] neg_hi:[0,1]
	v_add_f32_e32 v19, v45, v19
	v_add_f32_e32 v18, v18, v19
	v_add_f32_e32 v19, v21, v18
	v_mul_f32_e32 v45, v44, v19
	v_mul_f32_e32 v20, v39, v45
	v_fma_f32 v34, v45, v39, -v20
	v_fmac_f32_e32 v34, v45, v16
	v_sub_f32_e32 v16, v21, v19
	v_add_f32_e32 v16, v18, v16
	v_add_f32_e32 v18, v20, v34
	v_sub_f32_e32 v21, v19, v18
	v_pk_add_f32 v[36:37], v[18:19], v[20:21] neg_lo:[0,1] neg_hi:[0,1]
	v_mov_b32_e32 v35, v18
	v_pk_add_f32 v[18:19], v[36:37], v[34:35] neg_lo:[0,1] neg_hi:[0,1]
	v_add_f32_e32 v16, v16, v19
	v_add_f32_e32 v16, v18, v16
	;; [unrolled: 1-line block ×4, first 2 shown]
	v_sub_f32_e32 v19, v18, v46
	v_mul_f32_e32 v16, v44, v16
	v_sub_f32_e32 v19, v45, v19
	v_add_f32_e32 v16, v19, v16
	v_add_f32_e32 v21, v18, v16
	v_mul_f32_e32 v34, v21, v21
	v_mov_b32_e32 v20, 0x3ecc95a3
	v_fmac_f32_e32 v20, 0x3e9b6dac, v34
	v_mov_b32_e32 v19, 0x3f2aaada
	v_fmac_f32_e32 v19, v34, v20
	v_cvt_f32_i32_e32 v20, v38
	v_sub_f32_e32 v18, v21, v18
	v_sub_f32_e32 v16, v16, v18
	v_ldexp_f32 v35, v21, 1
	v_mul_f32_e32 v21, v21, v34
	v_mov_b32_e32 v18, 0x3f317218
	s_mov_b32 s3, 0x3f317218
	v_pk_mul_f32 v[18:19], v[20:21], v[18:19]
	v_fma_f32 v34, v20, s3, -v18
	v_fmac_f32_e32 v34, 0xb102e308, v20
	v_pk_add_f32 v[20:21], v[18:19], v[34:35]
	v_sub_f32_e32 v35, v21, v35
	v_ldexp_f32 v16, v16, 1
	v_sub_f32_e32 v35, v19, v35
	v_add_f32_e32 v37, v16, v35
	v_mov_b32_e32 v36, v18
	v_pk_add_f32 v[18:19], v[20:21], v[18:19] neg_lo:[0,1] neg_hi:[0,1]
	v_pk_add_f32 v[38:39], v[20:21], v[36:37]
	v_mov_b32_e32 v19, v39
	v_mov_b32_e32 v35, v20
	v_pk_add_f32 v[44:45], v[34:35], v[18:19] neg_lo:[0,1] neg_hi:[0,1]
	v_pk_add_f32 v[18:19], v[34:35], v[18:19]
	v_mov_b32_e32 v16, v19
	v_pk_add_f32 v[34:35], v[16:17], v[20:21] neg_lo:[0,1] neg_hi:[0,1]
	v_mov_b32_e32 v35, v34
	v_pk_add_f32 v[46:47], v[38:39], v[34:35] neg_lo:[0,1] neg_hi:[0,1]
	v_mov_b32_e32 v18, v39
	v_mov_b32_e32 v38, v21
	;; [unrolled: 1-line block ×4, first 2 shown]
	v_pk_add_f32 v[18:19], v[18:19], v[38:39] neg_lo:[0,1] neg_hi:[0,1]
	v_mov_b32_e32 v34, v37
	v_mov_b32_e32 v35, v20
	v_pk_add_f32 v[18:19], v[34:35], v[18:19] neg_lo:[0,1] neg_hi:[0,1]
	v_mov_b32_e32 v46, v44
	v_pk_add_f32 v[20:21], v[46:47], v[18:19]
	v_mov_b32_e32 v34, v21
	v_pk_add_f32 v[34:35], v[20:21], v[34:35]
	v_pk_add_f32 v[36:37], v[16:17], v[34:35]
	v_mov_b32_e32 v21, v36
	v_pk_add_f32 v[38:39], v[20:21], v[44:45] neg_lo:[0,1] neg_hi:[0,1]
	v_mov_b32_e32 v19, v34
	v_sub_f32_e32 v16, v20, v38
	v_pk_add_f32 v[18:19], v[18:19], v[38:39] neg_lo:[0,1] neg_hi:[0,1]
	v_sub_f32_e32 v16, v44, v16
	s_mov_b32 s6, 0x7f800000
	v_add_f32_e32 v16, v18, v16
	s_mov_b32 s3, 0x33800000
	v_add_f32_e32 v16, v16, v19
	v_cmp_eq_f32_e32 vcc, s6, v43
	v_cmp_lt_f32_e64 s[6:7], |v43|, s3
	v_add_f32_e32 v16, v36, v16
	s_or_b64 vcc, vcc, s[6:7]
	v_cndmask_b32_e32 v16, v16, v43, vcc
	v_add_f32_e32 v16, v17, v16
.LBB90_190:
	s_or_b64 exec, exec, s[0:1]
	v_max_f32_e32 v17, v16, v16
	v_min_f32_e32 v18, v17, v40
	v_cmp_u_f32_e32 vcc, v16, v16
	v_max_f32_e32 v17, v17, v40
	v_cndmask_b32_e32 v18, v18, v16, vcc
	v_cndmask_b32_e32 v17, v17, v16, vcc
	v_cndmask_b32_e64 v19, v18, v25, s[22:23]
	v_cndmask_b32_e64 v18, v17, v25, s[22:23]
	v_cmp_neq_f32_e32 vcc, v19, v18
	v_cmp_class_f32_e64 s[0:1], v19, s2
	s_or_b64 s[2:3], vcc, s[0:1]
	v_mov_b32_e32 v17, v16
	s_and_saveexec_b64 s[0:1], s[2:3]
	s_cbranch_execz .LBB90_192
; %bb.191:
	v_sub_f32_e32 v17, v19, v18
	s_mov_b32 s2, 0x3fb8aa3b
	v_mul_f32_e32 v19, 0x3fb8aa3b, v17
	v_fma_f32 v20, v17, s2, -v19
	v_rndne_f32_e32 v21, v19
	v_fmac_f32_e32 v20, 0x32a5705f, v17
	v_sub_f32_e32 v19, v19, v21
	v_add_f32_e32 v19, v19, v20
	v_exp_f32_e32 v19, v19
	v_cvt_i32_f32_e32 v20, v21
	s_mov_b32 s2, 0xc2ce8ed0
	v_cmp_ngt_f32_e32 vcc, s2, v17
	s_mov_b32 s2, 0x42b17218
	v_ldexp_f32 v19, v19, v20
	v_cndmask_b32_e32 v19, 0, v19, vcc
	v_mov_b32_e32 v20, 0x7f800000
	v_cmp_nlt_f32_e32 vcc, s2, v17
	v_cndmask_b32_e32 v19, v20, v19, vcc
	v_add_f32_e32 v17, 1.0, v19
	v_add_f32_e32 v20, -1.0, v17
	v_sub_f32_e32 v21, v20, v17
	v_add_f32_e32 v21, 1.0, v21
	v_sub_f32_e32 v20, v19, v20
	v_add_f32_e32 v34, v20, v21
	v_frexp_mant_f32_e32 v35, v17
	s_mov_b32 s2, 0x3f2aaaab
	v_cvt_f64_f32_e32 v[20:21], v17
	v_frexp_exp_i32_f64_e32 v20, v[20:21]
	v_cmp_gt_f32_e32 vcc, s2, v35
	v_subbrev_co_u32_e32 v40, vcc, 0, v20, vcc
	v_sub_u32_e32 v20, 0, v40
	v_ldexp_f32 v17, v17, v20
	v_ldexp_f32 v20, v34, v20
	v_add_f32_e32 v34, -1.0, v17
	v_add_f32_e32 v21, 1.0, v34
	v_sub_f32_e32 v21, v17, v21
	v_add_f32_e32 v35, v20, v21
	v_add_f32_e32 v21, 1.0, v17
	v_add_f32_e32 v36, -1.0, v21
	v_sub_f32_e32 v17, v17, v36
	v_add_f32_e32 v17, v20, v17
	v_add_f32_e32 v43, v21, v17
	v_rcp_f32_e32 v44, v43
	v_sub_f32_e32 v20, v21, v43
	v_add_f32_e32 v21, v34, v35
	v_add_f32_e32 v17, v17, v20
	v_mul_f32_e32 v46, v21, v44
	v_sub_f32_e32 v20, v34, v21
	v_mul_f32_e32 v34, v43, v46
	v_fma_f32 v36, v46, v43, -v34
	v_fmac_f32_e32 v36, v46, v17
	v_add_f32_e32 v45, v35, v20
	v_add_f32_e32 v20, v34, v36
	v_sub_f32_e32 v35, v21, v20
	v_pk_add_f32 v[38:39], v[20:21], v[34:35] neg_lo:[0,1] neg_hi:[0,1]
	v_mov_b32_e32 v37, v20
	v_pk_add_f32 v[20:21], v[38:39], v[36:37] neg_lo:[0,1] neg_hi:[0,1]
	v_add_f32_e32 v21, v45, v21
	v_add_f32_e32 v20, v20, v21
	;; [unrolled: 1-line block ×3, first 2 shown]
	v_mul_f32_e32 v45, v44, v21
	v_mul_f32_e32 v34, v43, v45
	v_fma_f32 v36, v45, v43, -v34
	v_fmac_f32_e32 v36, v45, v17
	v_sub_f32_e32 v17, v35, v21
	v_add_f32_e32 v17, v20, v17
	v_add_f32_e32 v20, v34, v36
	v_sub_f32_e32 v35, v21, v20
	v_pk_add_f32 v[38:39], v[20:21], v[34:35] neg_lo:[0,1] neg_hi:[0,1]
	v_mov_b32_e32 v37, v20
	v_pk_add_f32 v[20:21], v[38:39], v[36:37] neg_lo:[0,1] neg_hi:[0,1]
	v_add_f32_e32 v17, v17, v21
	v_add_f32_e32 v17, v20, v17
	;; [unrolled: 1-line block ×4, first 2 shown]
	v_sub_f32_e32 v21, v20, v46
	v_mul_f32_e32 v17, v44, v17
	v_sub_f32_e32 v21, v45, v21
	v_add_f32_e32 v17, v21, v17
	v_add_f32_e32 v35, v20, v17
	v_mul_f32_e32 v36, v35, v35
	v_mov_b32_e32 v34, 0x3ecc95a3
	v_fmac_f32_e32 v34, 0x3e9b6dac, v36
	v_mov_b32_e32 v21, 0x3f2aaada
	v_fmac_f32_e32 v21, v36, v34
	v_cvt_f32_i32_e32 v34, v40
	v_sub_f32_e32 v20, v35, v20
	v_sub_f32_e32 v17, v17, v20
	v_ldexp_f32 v37, v35, 1
	v_mul_f32_e32 v35, v35, v36
	v_mov_b32_e32 v20, 0x3f317218
	s_mov_b32 s2, 0x3f317218
	v_pk_mul_f32 v[20:21], v[34:35], v[20:21]
	v_fma_f32 v36, v34, s2, -v20
	v_fmac_f32_e32 v36, 0xb102e308, v34
	v_pk_add_f32 v[34:35], v[20:21], v[36:37]
	v_sub_f32_e32 v37, v35, v37
	v_ldexp_f32 v17, v17, 1
	v_sub_f32_e32 v37, v21, v37
	v_add_f32_e32 v39, v17, v37
	v_mov_b32_e32 v38, v20
	v_pk_add_f32 v[20:21], v[34:35], v[20:21] neg_lo:[0,1] neg_hi:[0,1]
	v_pk_add_f32 v[44:45], v[34:35], v[38:39]
	v_mov_b32_e32 v21, v45
	v_mov_b32_e32 v37, v34
	v_pk_add_f32 v[46:47], v[36:37], v[20:21] neg_lo:[0,1] neg_hi:[0,1]
	v_pk_add_f32 v[20:21], v[36:37], v[20:21]
	v_mov_b32_e32 v36, v21
	v_pk_add_f32 v[48:49], v[36:37], v[34:35] neg_lo:[0,1] neg_hi:[0,1]
	v_mov_b32_e32 v17, v48
	v_pk_add_f32 v[50:51], v[44:45], v[16:17] neg_lo:[0,1] neg_hi:[0,1]
	v_mov_b32_e32 v20, v45
	v_mov_b32_e32 v44, v35
	;; [unrolled: 1-line block ×4, first 2 shown]
	v_pk_add_f32 v[20:21], v[20:21], v[44:45] neg_lo:[0,1] neg_hi:[0,1]
	v_mov_b32_e32 v38, v39
	v_mov_b32_e32 v39, v34
	v_pk_add_f32 v[20:21], v[38:39], v[20:21] neg_lo:[0,1] neg_hi:[0,1]
	v_mov_b32_e32 v50, v46
	v_pk_add_f32 v[34:35], v[50:51], v[20:21]
	v_mov_b32_e32 v38, v35
	v_pk_add_f32 v[38:39], v[34:35], v[38:39]
	v_pk_add_f32 v[36:37], v[36:37], v[38:39]
	v_mov_b32_e32 v35, v36
	v_pk_add_f32 v[44:45], v[34:35], v[46:47] neg_lo:[0,1] neg_hi:[0,1]
	v_mov_b32_e32 v21, v38
	v_sub_f32_e32 v17, v34, v44
	v_pk_add_f32 v[20:21], v[20:21], v[44:45] neg_lo:[0,1] neg_hi:[0,1]
	v_sub_f32_e32 v17, v46, v17
	s_mov_b32 s3, 0x7f800000
	v_add_f32_e32 v17, v20, v17
	s_mov_b32 s2, 0x33800000
	v_add_f32_e32 v17, v17, v21
	v_cmp_eq_f32_e32 vcc, s3, v19
	v_cmp_lt_f32_e64 s[2:3], |v19|, s2
	v_add_f32_e32 v17, v36, v17
	s_or_b64 vcc, vcc, s[2:3]
	v_cndmask_b32_e32 v17, v17, v19, vcc
	v_add_f32_e32 v17, v18, v17
.LBB90_192:
	s_or_b64 exec, exec, s[0:1]
	v_max_f32_e32 v18, v17, v17
	v_min_f32_e32 v19, v18, v41
	v_cmp_u_f32_e32 vcc, v17, v17
	v_max_f32_e32 v18, v18, v41
	v_cndmask_b32_e32 v19, v19, v17, vcc
	v_cndmask_b32_e32 v18, v18, v17, vcc
	v_cndmask_b32_e64 v20, v19, v30, s[24:25]
	v_cndmask_b32_e64 v19, v18, v30, s[24:25]
	s_movk_i32 s2, 0x1f8
	v_cmp_neq_f32_e32 vcc, v20, v19
	v_cmp_class_f32_e64 s[0:1], v20, s2
	s_or_b64 s[6:7], vcc, s[0:1]
	v_mov_b32_e32 v18, v17
	s_and_saveexec_b64 s[0:1], s[6:7]
	s_cbranch_execz .LBB90_194
; %bb.193:
	v_sub_f32_e32 v18, v20, v19
	s_mov_b32 s3, 0x3fb8aa3b
	v_mul_f32_e32 v20, 0x3fb8aa3b, v18
	v_fma_f32 v21, v18, s3, -v20
	v_rndne_f32_e32 v34, v20
	v_fmac_f32_e32 v21, 0x32a5705f, v18
	v_sub_f32_e32 v20, v20, v34
	v_add_f32_e32 v20, v20, v21
	v_exp_f32_e32 v20, v20
	v_cvt_i32_f32_e32 v21, v34
	s_mov_b32 s3, 0xc2ce8ed0
	v_cmp_ngt_f32_e32 vcc, s3, v18
	s_mov_b32 s3, 0x42b17218
	v_ldexp_f32 v20, v20, v21
	v_cndmask_b32_e32 v20, 0, v20, vcc
	v_mov_b32_e32 v21, 0x7f800000
	v_cmp_nlt_f32_e32 vcc, s3, v18
	v_cndmask_b32_e32 v43, v21, v20, vcc
	v_add_f32_e32 v18, 1.0, v43
	v_add_f32_e32 v20, -1.0, v18
	v_sub_f32_e32 v21, v20, v18
	v_add_f32_e32 v21, 1.0, v21
	v_sub_f32_e32 v20, v43, v20
	v_add_f32_e32 v34, v20, v21
	v_frexp_mant_f32_e32 v35, v18
	s_mov_b32 s3, 0x3f2aaaab
	v_cvt_f64_f32_e32 v[20:21], v18
	v_frexp_exp_i32_f64_e32 v20, v[20:21]
	v_cmp_gt_f32_e32 vcc, s3, v35
	v_subbrev_co_u32_e32 v40, vcc, 0, v20, vcc
	v_sub_u32_e32 v20, 0, v40
	v_ldexp_f32 v18, v18, v20
	v_ldexp_f32 v20, v34, v20
	v_add_f32_e32 v34, -1.0, v18
	v_add_f32_e32 v21, 1.0, v34
	v_sub_f32_e32 v21, v18, v21
	v_add_f32_e32 v35, v20, v21
	v_add_f32_e32 v21, 1.0, v18
	v_add_f32_e32 v36, -1.0, v21
	v_sub_f32_e32 v18, v18, v36
	v_add_f32_e32 v18, v20, v18
	v_add_f32_e32 v41, v21, v18
	v_rcp_f32_e32 v44, v41
	v_sub_f32_e32 v20, v21, v41
	v_add_f32_e32 v21, v34, v35
	v_add_f32_e32 v18, v18, v20
	v_mul_f32_e32 v46, v21, v44
	v_sub_f32_e32 v20, v34, v21
	v_mul_f32_e32 v34, v41, v46
	v_fma_f32 v36, v46, v41, -v34
	v_fmac_f32_e32 v36, v46, v18
	v_add_f32_e32 v45, v35, v20
	v_add_f32_e32 v20, v34, v36
	v_sub_f32_e32 v35, v21, v20
	v_pk_add_f32 v[38:39], v[20:21], v[34:35] neg_lo:[0,1] neg_hi:[0,1]
	v_mov_b32_e32 v37, v20
	v_pk_add_f32 v[20:21], v[38:39], v[36:37] neg_lo:[0,1] neg_hi:[0,1]
	v_add_f32_e32 v21, v45, v21
	v_add_f32_e32 v20, v20, v21
	v_add_f32_e32 v21, v35, v20
	v_mul_f32_e32 v45, v44, v21
	v_mul_f32_e32 v34, v41, v45
	v_fma_f32 v36, v45, v41, -v34
	v_fmac_f32_e32 v36, v45, v18
	v_sub_f32_e32 v18, v35, v21
	v_add_f32_e32 v18, v20, v18
	v_add_f32_e32 v20, v34, v36
	v_sub_f32_e32 v35, v21, v20
	v_pk_add_f32 v[38:39], v[20:21], v[34:35] neg_lo:[0,1] neg_hi:[0,1]
	v_mov_b32_e32 v37, v20
	v_pk_add_f32 v[20:21], v[38:39], v[36:37] neg_lo:[0,1] neg_hi:[0,1]
	v_add_f32_e32 v18, v18, v21
	v_add_f32_e32 v18, v20, v18
	;; [unrolled: 1-line block ×4, first 2 shown]
	v_sub_f32_e32 v21, v20, v46
	v_mul_f32_e32 v18, v44, v18
	v_sub_f32_e32 v21, v45, v21
	v_add_f32_e32 v18, v21, v18
	v_add_f32_e32 v35, v20, v18
	v_mul_f32_e32 v36, v35, v35
	v_mov_b32_e32 v34, 0x3ecc95a3
	v_fmac_f32_e32 v34, 0x3e9b6dac, v36
	v_mov_b32_e32 v21, 0x3f2aaada
	v_fmac_f32_e32 v21, v36, v34
	v_cvt_f32_i32_e32 v34, v40
	v_sub_f32_e32 v20, v35, v20
	v_sub_f32_e32 v18, v18, v20
	v_ldexp_f32 v37, v35, 1
	v_mul_f32_e32 v35, v35, v36
	v_mov_b32_e32 v20, 0x3f317218
	s_mov_b32 s3, 0x3f317218
	v_pk_mul_f32 v[20:21], v[34:35], v[20:21]
	v_fma_f32 v36, v34, s3, -v20
	v_fmac_f32_e32 v36, 0xb102e308, v34
	v_pk_add_f32 v[34:35], v[20:21], v[36:37]
	v_sub_f32_e32 v37, v35, v37
	v_ldexp_f32 v18, v18, 1
	v_sub_f32_e32 v37, v21, v37
	v_add_f32_e32 v39, v18, v37
	v_mov_b32_e32 v38, v20
	v_pk_add_f32 v[20:21], v[34:35], v[20:21] neg_lo:[0,1] neg_hi:[0,1]
	v_pk_add_f32 v[40:41], v[34:35], v[38:39]
	v_mov_b32_e32 v21, v41
	v_mov_b32_e32 v37, v34
	v_pk_add_f32 v[44:45], v[36:37], v[20:21] neg_lo:[0,1] neg_hi:[0,1]
	v_pk_add_f32 v[20:21], v[36:37], v[20:21]
	v_mov_b32_e32 v18, v21
	v_pk_add_f32 v[36:37], v[18:19], v[34:35] neg_lo:[0,1] neg_hi:[0,1]
	v_mov_b32_e32 v37, v36
	v_pk_add_f32 v[46:47], v[40:41], v[36:37] neg_lo:[0,1] neg_hi:[0,1]
	v_mov_b32_e32 v20, v41
	v_mov_b32_e32 v40, v35
	;; [unrolled: 1-line block ×4, first 2 shown]
	v_pk_add_f32 v[20:21], v[20:21], v[40:41] neg_lo:[0,1] neg_hi:[0,1]
	v_mov_b32_e32 v36, v39
	v_mov_b32_e32 v37, v34
	v_pk_add_f32 v[20:21], v[36:37], v[20:21] neg_lo:[0,1] neg_hi:[0,1]
	v_mov_b32_e32 v46, v44
	v_pk_add_f32 v[34:35], v[46:47], v[20:21]
	v_mov_b32_e32 v36, v35
	v_pk_add_f32 v[36:37], v[34:35], v[36:37]
	v_pk_add_f32 v[38:39], v[18:19], v[36:37]
	v_mov_b32_e32 v35, v38
	v_pk_add_f32 v[40:41], v[34:35], v[44:45] neg_lo:[0,1] neg_hi:[0,1]
	v_mov_b32_e32 v21, v36
	v_sub_f32_e32 v18, v34, v40
	v_pk_add_f32 v[20:21], v[20:21], v[40:41] neg_lo:[0,1] neg_hi:[0,1]
	v_sub_f32_e32 v18, v44, v18
	s_mov_b32 s6, 0x7f800000
	v_add_f32_e32 v18, v20, v18
	s_mov_b32 s3, 0x33800000
	v_add_f32_e32 v18, v18, v21
	v_cmp_eq_f32_e32 vcc, s6, v43
	v_cmp_lt_f32_e64 s[6:7], |v43|, s3
	v_add_f32_e32 v18, v38, v18
	s_or_b64 vcc, vcc, s[6:7]
	v_cndmask_b32_e32 v18, v18, v43, vcc
	v_add_f32_e32 v18, v19, v18
.LBB90_194:
	s_or_b64 exec, exec, s[0:1]
	v_max_f32_e32 v19, v18, v18
	v_min_f32_e32 v20, v19, v42
	v_cmp_u_f32_e32 vcc, v18, v18
	v_max_f32_e32 v19, v19, v42
	v_cndmask_b32_e32 v20, v20, v18, vcc
	v_cndmask_b32_e32 v19, v19, v18, vcc
	v_cndmask_b32_e64 v21, v20, v31, s[26:27]
	v_cndmask_b32_e64 v20, v19, v31, s[26:27]
	v_cmp_neq_f32_e32 vcc, v21, v20
	v_cmp_class_f32_e64 s[0:1], v21, s2
	s_or_b64 s[2:3], vcc, s[0:1]
	v_mov_b32_e32 v19, v18
	s_and_saveexec_b64 s[0:1], s[2:3]
	s_cbranch_execz .LBB90_196
; %bb.195:
	v_sub_f32_e32 v19, v21, v20
	s_mov_b32 s2, 0x3fb8aa3b
	v_mul_f32_e32 v21, 0x3fb8aa3b, v19
	v_fma_f32 v34, v19, s2, -v21
	v_rndne_f32_e32 v35, v21
	v_fmac_f32_e32 v34, 0x32a5705f, v19
	v_sub_f32_e32 v21, v21, v35
	v_add_f32_e32 v21, v21, v34
	v_exp_f32_e32 v21, v21
	v_cvt_i32_f32_e32 v34, v35
	s_mov_b32 s2, 0xc2ce8ed0
	v_cmp_ngt_f32_e32 vcc, s2, v19
	s_mov_b32 s2, 0x42b17218
	v_ldexp_f32 v21, v21, v34
	v_cndmask_b32_e32 v21, 0, v21, vcc
	v_mov_b32_e32 v34, 0x7f800000
	v_cmp_nlt_f32_e32 vcc, s2, v19
	v_cndmask_b32_e32 v21, v34, v21, vcc
	v_add_f32_e32 v19, 1.0, v21
	v_add_f32_e32 v34, -1.0, v19
	v_sub_f32_e32 v35, v34, v19
	v_add_f32_e32 v35, 1.0, v35
	v_sub_f32_e32 v34, v21, v34
	v_add_f32_e32 v36, v34, v35
	v_frexp_mant_f32_e32 v37, v19
	s_mov_b32 s2, 0x3f2aaaab
	v_cvt_f64_f32_e32 v[34:35], v19
	v_frexp_exp_i32_f64_e32 v34, v[34:35]
	v_cmp_gt_f32_e32 vcc, s2, v37
	v_subbrev_co_u32_e32 v42, vcc, 0, v34, vcc
	v_sub_u32_e32 v34, 0, v42
	v_ldexp_f32 v19, v19, v34
	v_ldexp_f32 v34, v36, v34
	v_add_f32_e32 v36, -1.0, v19
	v_add_f32_e32 v35, 1.0, v36
	v_sub_f32_e32 v35, v19, v35
	v_add_f32_e32 v37, v34, v35
	v_add_f32_e32 v35, 1.0, v19
	v_add_f32_e32 v38, -1.0, v35
	v_sub_f32_e32 v19, v19, v38
	v_add_f32_e32 v19, v34, v19
	v_add_f32_e32 v43, v35, v19
	v_rcp_f32_e32 v44, v43
	v_sub_f32_e32 v34, v35, v43
	v_add_f32_e32 v35, v36, v37
	v_add_f32_e32 v19, v19, v34
	v_mul_f32_e32 v46, v35, v44
	v_sub_f32_e32 v34, v36, v35
	v_mul_f32_e32 v36, v43, v46
	v_fma_f32 v38, v46, v43, -v36
	v_fmac_f32_e32 v38, v46, v19
	v_add_f32_e32 v45, v37, v34
	v_add_f32_e32 v34, v36, v38
	v_sub_f32_e32 v37, v35, v34
	v_pk_add_f32 v[40:41], v[34:35], v[36:37] neg_lo:[0,1] neg_hi:[0,1]
	v_mov_b32_e32 v39, v34
	v_pk_add_f32 v[34:35], v[40:41], v[38:39] neg_lo:[0,1] neg_hi:[0,1]
	v_add_f32_e32 v35, v45, v35
	v_add_f32_e32 v34, v34, v35
	;; [unrolled: 1-line block ×3, first 2 shown]
	v_mul_f32_e32 v45, v44, v35
	v_mul_f32_e32 v36, v43, v45
	v_fma_f32 v38, v45, v43, -v36
	v_fmac_f32_e32 v38, v45, v19
	v_sub_f32_e32 v19, v37, v35
	v_add_f32_e32 v19, v34, v19
	v_add_f32_e32 v34, v36, v38
	v_sub_f32_e32 v37, v35, v34
	v_pk_add_f32 v[40:41], v[34:35], v[36:37] neg_lo:[0,1] neg_hi:[0,1]
	v_mov_b32_e32 v39, v34
	v_pk_add_f32 v[34:35], v[40:41], v[38:39] neg_lo:[0,1] neg_hi:[0,1]
	v_add_f32_e32 v19, v19, v35
	v_add_f32_e32 v19, v34, v19
	;; [unrolled: 1-line block ×4, first 2 shown]
	v_sub_f32_e32 v35, v34, v46
	v_mul_f32_e32 v19, v44, v19
	v_sub_f32_e32 v35, v45, v35
	v_add_f32_e32 v19, v35, v19
	v_add_f32_e32 v37, v34, v19
	v_mul_f32_e32 v38, v37, v37
	v_mov_b32_e32 v36, 0x3ecc95a3
	v_fmac_f32_e32 v36, 0x3e9b6dac, v38
	v_mov_b32_e32 v35, 0x3f2aaada
	v_fmac_f32_e32 v35, v38, v36
	v_cvt_f32_i32_e32 v36, v42
	v_sub_f32_e32 v34, v37, v34
	v_sub_f32_e32 v19, v19, v34
	v_ldexp_f32 v39, v37, 1
	v_mul_f32_e32 v37, v37, v38
	v_mov_b32_e32 v34, 0x3f317218
	s_mov_b32 s2, 0x3f317218
	v_pk_mul_f32 v[34:35], v[36:37], v[34:35]
	v_fma_f32 v38, v36, s2, -v34
	v_fmac_f32_e32 v38, 0xb102e308, v36
	v_pk_add_f32 v[36:37], v[34:35], v[38:39]
	v_sub_f32_e32 v39, v37, v39
	v_ldexp_f32 v19, v19, 1
	v_sub_f32_e32 v39, v35, v39
	v_add_f32_e32 v41, v19, v39
	v_mov_b32_e32 v40, v34
	v_pk_add_f32 v[34:35], v[36:37], v[34:35] neg_lo:[0,1] neg_hi:[0,1]
	v_pk_add_f32 v[42:43], v[36:37], v[40:41]
	v_mov_b32_e32 v35, v43
	v_mov_b32_e32 v39, v36
	v_pk_add_f32 v[44:45], v[38:39], v[34:35] neg_lo:[0,1] neg_hi:[0,1]
	v_pk_add_f32 v[34:35], v[38:39], v[34:35]
	v_mov_b32_e32 v38, v35
	v_pk_add_f32 v[46:47], v[38:39], v[36:37] neg_lo:[0,1] neg_hi:[0,1]
	v_mov_b32_e32 v19, v46
	v_pk_add_f32 v[48:49], v[42:43], v[18:19] neg_lo:[0,1] neg_hi:[0,1]
	v_mov_b32_e32 v34, v43
	v_mov_b32_e32 v42, v37
	;; [unrolled: 1-line block ×4, first 2 shown]
	v_pk_add_f32 v[34:35], v[34:35], v[42:43] neg_lo:[0,1] neg_hi:[0,1]
	v_mov_b32_e32 v40, v41
	v_mov_b32_e32 v41, v36
	v_pk_add_f32 v[34:35], v[40:41], v[34:35] neg_lo:[0,1] neg_hi:[0,1]
	v_mov_b32_e32 v48, v44
	v_pk_add_f32 v[36:37], v[48:49], v[34:35]
	v_mov_b32_e32 v40, v37
	v_pk_add_f32 v[40:41], v[36:37], v[40:41]
	v_pk_add_f32 v[38:39], v[38:39], v[40:41]
	v_mov_b32_e32 v37, v38
	v_pk_add_f32 v[42:43], v[36:37], v[44:45] neg_lo:[0,1] neg_hi:[0,1]
	v_mov_b32_e32 v35, v40
	v_sub_f32_e32 v19, v36, v42
	v_pk_add_f32 v[34:35], v[34:35], v[42:43] neg_lo:[0,1] neg_hi:[0,1]
	v_sub_f32_e32 v19, v44, v19
	s_mov_b32 s3, 0x7f800000
	v_add_f32_e32 v19, v34, v19
	s_mov_b32 s2, 0x33800000
	v_add_f32_e32 v19, v19, v35
	v_cmp_eq_f32_e32 vcc, s3, v21
	v_cmp_lt_f32_e64 s[2:3], |v21|, s2
	v_add_f32_e32 v19, v38, v19
	s_or_b64 vcc, vcc, s[2:3]
	v_cndmask_b32_e32 v19, v19, v21, vcc
	v_add_f32_e32 v19, v20, v19
.LBB90_196:
	s_or_b64 exec, exec, s[0:1]
	s_load_dwordx8 s[36:43], s[4:5], 0x38
	s_branch .LBB90_295
.LBB90_197:
                                        ; implicit-def: $vgpr6_vgpr7_vgpr8_vgpr9_vgpr10_vgpr11_vgpr12_vgpr13_vgpr14_vgpr15_vgpr16_vgpr17_vgpr18_vgpr19_vgpr20_vgpr21
	s_load_dwordx8 s[36:43], s[4:5], 0x38
	s_cbranch_execz .LBB90_295
; %bb.198:
	s_waitcnt lgkmcnt(0)
	s_cmp_lg_u64 s[40:41], 0
	s_cselect_b64 s[0:1], -1, 0
	v_cmp_eq_u32_e64 s[26:27], 0, v0
	v_cmp_ne_u32_e32 vcc, 0, v0
	s_and_b64 s[0:1], s[26:27], s[0:1]
	s_and_saveexec_b64 s[2:3], s[0:1]
	s_cbranch_execz .LBB90_202
; %bb.199:
	v_mov_b32_e32 v6, 0
	global_load_dword v6, v6, s[36:37]
	v_max_f32_e32 v7, v2, v2
	s_movk_i32 s4, 0x1f8
	s_waitcnt vmcnt(0)
	v_max_f32_e32 v8, v6, v6
	v_min_f32_e32 v9, v8, v7
	v_max_f32_e32 v7, v8, v7
	v_cmp_u_f32_e64 s[0:1], v6, v6
	v_cndmask_b32_e64 v8, v9, v6, s[0:1]
	v_cndmask_b32_e64 v9, v7, v6, s[0:1]
	v_cmp_u_f32_e64 s[0:1], v2, v2
	v_cndmask_b32_e64 v7, v8, v2, s[0:1]
	v_cndmask_b32_e64 v2, v9, v2, s[0:1]
	v_cmp_neq_f32_e64 s[0:1], v7, v2
	v_cmp_class_f32_e64 s[4:5], v7, s4
	s_or_b64 s[0:1], s[0:1], s[4:5]
	s_and_saveexec_b64 s[4:5], s[0:1]
	s_cbranch_execz .LBB90_201
; %bb.200:
	v_sub_f32_e32 v6, v7, v2
	s_mov_b32 s0, 0x3fb8aa3b
	v_mul_f32_e32 v7, 0x3fb8aa3b, v6
	v_fma_f32 v8, v6, s0, -v7
	v_rndne_f32_e32 v9, v7
	v_fmac_f32_e32 v8, 0x32a5705f, v6
	v_sub_f32_e32 v7, v7, v9
	v_add_f32_e32 v7, v7, v8
	v_exp_f32_e32 v7, v7
	v_cvt_i32_f32_e32 v8, v9
	s_mov_b32 s0, 0xc2ce8ed0
	v_cmp_ngt_f32_e64 s[0:1], s0, v6
	s_mov_b32 s6, 0x7f800000
	v_ldexp_f32 v7, v7, v8
	v_cndmask_b32_e64 v7, 0, v7, s[0:1]
	s_mov_b32 s0, 0x42b17218
	v_mov_b32_e32 v8, 0x7f800000
	v_cmp_nlt_f32_e64 s[0:1], s0, v6
	v_cndmask_b32_e64 v34, v8, v7, s[0:1]
	v_add_f32_e32 v8, 1.0, v34
	v_add_f32_e32 v6, -1.0, v8
	v_sub_f32_e32 v7, v6, v8
	v_add_f32_e32 v7, 1.0, v7
	v_sub_f32_e32 v6, v34, v6
	v_add_f32_e32 v9, v6, v7
	v_frexp_mant_f32_e32 v10, v8
	s_mov_b32 s0, 0x3f2aaaab
	v_cvt_f64_f32_e32 v[6:7], v8
	v_frexp_exp_i32_f64_e32 v6, v[6:7]
	v_cmp_gt_f32_e64 s[0:1], s0, v10
	v_subbrev_co_u32_e64 v14, s[0:1], 0, v6, s[0:1]
	v_sub_u32_e32 v6, 0, v14
	v_ldexp_f32 v7, v8, v6
	v_add_f32_e32 v8, -1.0, v7
	v_add_f32_e32 v10, 1.0, v7
	v_ldexp_f32 v6, v9, v6
	v_add_f32_e32 v9, 1.0, v8
	v_add_f32_e32 v11, -1.0, v10
	v_sub_f32_e32 v9, v7, v9
	v_sub_f32_e32 v7, v7, v11
	v_add_f32_e32 v9, v6, v9
	v_add_f32_e32 v6, v6, v7
	;; [unrolled: 1-line block ×3, first 2 shown]
	v_rcp_f32_e32 v17, v15
	v_sub_f32_e32 v7, v10, v15
	v_add_f32_e32 v16, v6, v7
	v_add_f32_e32 v7, v8, v9
	v_mul_f32_e32 v19, v7, v17
	v_sub_f32_e32 v6, v8, v7
	v_mul_f32_e32 v8, v15, v19
	v_fma_f32 v10, v19, v15, -v8
	v_fmac_f32_e32 v10, v19, v16
	v_add_f32_e32 v18, v9, v6
	v_add_f32_e32 v6, v8, v10
	v_sub_f32_e32 v9, v7, v6
	v_pk_add_f32 v[12:13], v[6:7], v[8:9] neg_lo:[0,1] neg_hi:[0,1]
	v_mov_b32_e32 v11, v6
	v_pk_add_f32 v[6:7], v[12:13], v[10:11] neg_lo:[0,1] neg_hi:[0,1]
	v_add_f32_e32 v7, v18, v7
	v_add_f32_e32 v6, v6, v7
	;; [unrolled: 1-line block ×3, first 2 shown]
	v_mul_f32_e32 v18, v17, v7
	v_mul_f32_e32 v8, v15, v18
	v_fma_f32 v10, v18, v15, -v8
	v_fmac_f32_e32 v10, v18, v16
	v_sub_f32_e32 v9, v9, v7
	v_add_f32_e32 v15, v6, v9
	v_add_f32_e32 v6, v8, v10
	v_sub_f32_e32 v9, v7, v6
	v_pk_add_f32 v[12:13], v[6:7], v[8:9] neg_lo:[0,1] neg_hi:[0,1]
	v_mov_b32_e32 v11, v6
	v_pk_add_f32 v[6:7], v[12:13], v[10:11] neg_lo:[0,1] neg_hi:[0,1]
	v_add_f32_e32 v7, v15, v7
	v_add_f32_e32 v6, v6, v7
	;; [unrolled: 1-line block ×4, first 2 shown]
	v_sub_f32_e32 v7, v9, v19
	v_mul_f32_e32 v6, v17, v6
	v_sub_f32_e32 v7, v18, v7
	v_add_f32_e32 v6, v7, v6
	v_add_f32_e32 v10, v9, v6
	v_mul_f32_e32 v12, v10, v10
	v_mov_b32_e32 v8, 0x3ecc95a3
	v_fmac_f32_e32 v8, 0x3e9b6dac, v12
	v_mov_b32_e32 v7, 0x3f2aaada
	v_fmac_f32_e32 v7, v12, v8
	v_cvt_f32_i32_e32 v8, v14
	v_sub_f32_e32 v9, v10, v9
	v_sub_f32_e32 v6, v6, v9
	v_ldexp_f32 v13, v6, 1
	v_mul_f32_e32 v9, v10, v12
	v_mov_b32_e32 v6, 0x3f317218
	s_mov_b32 s0, 0x3f317218
	v_pk_mul_f32 v[6:7], v[8:9], v[6:7]
	v_ldexp_f32 v11, v10, 1
	v_fma_f32 v10, v8, s0, -v6
	v_fmac_f32_e32 v10, 0xb102e308, v8
	v_pk_add_f32 v[8:9], v[6:7], v[10:11]
	v_sub_f32_e32 v11, v9, v11
	v_sub_f32_e32 v11, v7, v11
	v_add_f32_e32 v13, v13, v11
	v_mov_b32_e32 v12, v6
	v_pk_add_f32 v[6:7], v[8:9], v[6:7] neg_lo:[0,1] neg_hi:[0,1]
	v_pk_add_f32 v[14:15], v[8:9], v[12:13]
	v_mov_b32_e32 v7, v15
	v_mov_b32_e32 v11, v8
	v_pk_add_f32 v[16:17], v[10:11], v[6:7] neg_lo:[0,1] neg_hi:[0,1]
	v_pk_add_f32 v[6:7], v[10:11], v[6:7]
	v_mov_b32_e32 v10, v7
	v_pk_add_f32 v[18:19], v[10:11], v[8:9] neg_lo:[0,1] neg_hi:[0,1]
	v_mov_b32_e32 v11, v18
	v_pk_add_f32 v[20:21], v[14:15], v[10:11] neg_lo:[0,1] neg_hi:[0,1]
	v_mov_b32_e32 v6, v15
	v_mov_b32_e32 v14, v9
	;; [unrolled: 1-line block ×4, first 2 shown]
	v_pk_add_f32 v[6:7], v[6:7], v[14:15] neg_lo:[0,1] neg_hi:[0,1]
	v_mov_b32_e32 v12, v13
	v_mov_b32_e32 v13, v8
	v_pk_add_f32 v[6:7], v[12:13], v[6:7] neg_lo:[0,1] neg_hi:[0,1]
	v_mov_b32_e32 v20, v16
	v_pk_add_f32 v[8:9], v[20:21], v[6:7]
	v_mov_b32_e32 v12, v9
	v_pk_add_f32 v[12:13], v[8:9], v[12:13]
	v_pk_add_f32 v[10:11], v[10:11], v[12:13]
	v_mov_b32_e32 v9, v10
	v_pk_add_f32 v[14:15], v[8:9], v[16:17] neg_lo:[0,1] neg_hi:[0,1]
	v_mov_b32_e32 v7, v12
	v_sub_f32_e32 v8, v8, v14
	v_pk_add_f32 v[6:7], v[6:7], v[14:15] neg_lo:[0,1] neg_hi:[0,1]
	v_sub_f32_e32 v8, v16, v8
	v_add_f32_e32 v6, v6, v8
	v_cmp_eq_f32_e64 s[0:1], s6, v34
	s_mov_b32 s6, 0x33800000
	v_add_f32_e32 v6, v6, v7
	v_cmp_lt_f32_e64 s[6:7], |v34|, s6
	v_add_f32_e32 v6, v10, v6
	s_or_b64 s[0:1], s[0:1], s[6:7]
	v_cndmask_b32_e64 v6, v6, v34, s[0:1]
	v_add_f32_e32 v6, v2, v6
.LBB90_201:
	s_or_b64 exec, exec, s[4:5]
	v_mov_b32_e32 v2, v6
.LBB90_202:
	s_or_b64 exec, exec, s[2:3]
	v_max_f32_e32 v14, v3, v3
	v_max_f32_e32 v35, v2, v2
	v_min_f32_e32 v21, v35, v14
	v_cmp_u_f32_e64 s[28:29], v2, v2
	v_cndmask_b32_e64 v6, v21, v2, s[28:29]
	v_cmp_u_f32_e64 s[0:1], v3, v3
	v_max_f32_e32 v34, v35, v14
	v_cndmask_b32_e64 v7, v6, v3, s[0:1]
	v_cndmask_b32_e64 v6, v34, v2, s[28:29]
	;; [unrolled: 1-line block ×3, first 2 shown]
	s_movk_i32 s6, 0x1f8
	v_cmp_neq_f32_e64 s[2:3], v7, v6
	v_cmp_class_f32_e64 s[4:5], v7, s6
	s_or_b64 s[2:3], s[2:3], s[4:5]
	v_mov_b32_e32 v36, v2
	s_and_saveexec_b64 s[4:5], s[2:3]
	s_cbranch_execz .LBB90_204
; %bb.203:
	v_sub_f32_e32 v7, v7, v6
	s_mov_b32 s2, 0x3fb8aa3b
	v_mul_f32_e32 v8, 0x3fb8aa3b, v7
	v_fma_f32 v9, v7, s2, -v8
	v_rndne_f32_e32 v10, v8
	v_fmac_f32_e32 v9, 0x32a5705f, v7
	v_sub_f32_e32 v8, v8, v10
	v_add_f32_e32 v8, v8, v9
	v_exp_f32_e32 v8, v8
	v_cvt_i32_f32_e32 v9, v10
	s_mov_b32 s2, 0xc2ce8ed0
	v_cmp_ngt_f32_e64 s[2:3], s2, v7
	s_mov_b32 s7, 0x7f800000
	v_ldexp_f32 v8, v8, v9
	v_cndmask_b32_e64 v8, 0, v8, s[2:3]
	s_mov_b32 s2, 0x42b17218
	v_mov_b32_e32 v9, 0x7f800000
	v_cmp_nlt_f32_e64 s[2:3], s2, v7
	v_cndmask_b32_e64 v15, v9, v8, s[2:3]
	v_add_f32_e32 v7, 1.0, v15
	v_add_f32_e32 v8, -1.0, v7
	v_sub_f32_e32 v9, v8, v7
	v_add_f32_e32 v9, 1.0, v9
	v_sub_f32_e32 v8, v15, v8
	v_add_f32_e32 v10, v8, v9
	v_frexp_mant_f32_e32 v11, v7
	s_mov_b32 s2, 0x3f2aaaab
	v_cvt_f64_f32_e32 v[8:9], v7
	v_frexp_exp_i32_f64_e32 v8, v[8:9]
	v_cmp_gt_f32_e64 s[2:3], s2, v11
	v_subbrev_co_u32_e64 v18, s[2:3], 0, v8, s[2:3]
	v_sub_u32_e32 v8, 0, v18
	v_ldexp_f32 v7, v7, v8
	v_ldexp_f32 v8, v10, v8
	v_add_f32_e32 v10, -1.0, v7
	v_add_f32_e32 v9, 1.0, v10
	v_sub_f32_e32 v9, v7, v9
	v_add_f32_e32 v11, v8, v9
	v_add_f32_e32 v9, 1.0, v7
	v_add_f32_e32 v12, -1.0, v9
	v_sub_f32_e32 v7, v7, v12
	v_add_f32_e32 v7, v8, v7
	v_add_f32_e32 v19, v9, v7
	v_rcp_f32_e32 v20, v19
	v_sub_f32_e32 v8, v9, v19
	v_add_f32_e32 v9, v10, v11
	v_add_f32_e32 v7, v7, v8
	v_mul_f32_e32 v37, v9, v20
	v_sub_f32_e32 v8, v10, v9
	v_mul_f32_e32 v10, v19, v37
	v_fma_f32 v12, v37, v19, -v10
	v_fmac_f32_e32 v12, v37, v7
	v_add_f32_e32 v36, v11, v8
	v_add_f32_e32 v8, v10, v12
	v_sub_f32_e32 v11, v9, v8
	v_pk_add_f32 v[16:17], v[8:9], v[10:11] neg_lo:[0,1] neg_hi:[0,1]
	v_mov_b32_e32 v13, v8
	v_pk_add_f32 v[8:9], v[16:17], v[12:13] neg_lo:[0,1] neg_hi:[0,1]
	v_add_f32_e32 v9, v36, v9
	v_add_f32_e32 v8, v8, v9
	v_add_f32_e32 v9, v11, v8
	v_mul_f32_e32 v36, v20, v9
	v_mul_f32_e32 v10, v19, v36
	v_fma_f32 v12, v36, v19, -v10
	v_fmac_f32_e32 v12, v36, v7
	v_sub_f32_e32 v7, v11, v9
	v_add_f32_e32 v7, v8, v7
	v_add_f32_e32 v8, v10, v12
	v_sub_f32_e32 v11, v9, v8
	v_pk_add_f32 v[16:17], v[8:9], v[10:11] neg_lo:[0,1] neg_hi:[0,1]
	v_mov_b32_e32 v13, v8
	v_pk_add_f32 v[8:9], v[16:17], v[12:13] neg_lo:[0,1] neg_hi:[0,1]
	v_add_f32_e32 v7, v7, v9
	v_add_f32_e32 v7, v8, v7
	;; [unrolled: 1-line block ×4, first 2 shown]
	v_sub_f32_e32 v9, v8, v37
	v_mul_f32_e32 v7, v20, v7
	v_sub_f32_e32 v9, v36, v9
	v_add_f32_e32 v7, v9, v7
	v_add_f32_e32 v11, v8, v7
	v_mul_f32_e32 v12, v11, v11
	v_mov_b32_e32 v10, 0x3ecc95a3
	v_fmac_f32_e32 v10, 0x3e9b6dac, v12
	v_mov_b32_e32 v9, 0x3f2aaada
	v_fmac_f32_e32 v9, v12, v10
	v_cvt_f32_i32_e32 v10, v18
	v_sub_f32_e32 v8, v11, v8
	v_sub_f32_e32 v7, v7, v8
	v_ldexp_f32 v13, v11, 1
	v_mul_f32_e32 v11, v11, v12
	v_mov_b32_e32 v8, 0x3f317218
	s_mov_b32 s2, 0x3f317218
	v_pk_mul_f32 v[8:9], v[10:11], v[8:9]
	v_fma_f32 v12, v10, s2, -v8
	v_fmac_f32_e32 v12, 0xb102e308, v10
	v_pk_add_f32 v[10:11], v[8:9], v[12:13]
	v_sub_f32_e32 v13, v11, v13
	v_ldexp_f32 v7, v7, 1
	v_sub_f32_e32 v13, v9, v13
	v_add_f32_e32 v17, v7, v13
	v_mov_b32_e32 v16, v8
	v_pk_add_f32 v[8:9], v[10:11], v[8:9] neg_lo:[0,1] neg_hi:[0,1]
	v_pk_add_f32 v[18:19], v[10:11], v[16:17]
	v_mov_b32_e32 v9, v19
	v_mov_b32_e32 v13, v10
	v_pk_add_f32 v[36:37], v[12:13], v[8:9] neg_lo:[0,1] neg_hi:[0,1]
	v_pk_add_f32 v[8:9], v[12:13], v[8:9]
	v_mov_b32_e32 v12, v9
	v_pk_add_f32 v[38:39], v[12:13], v[10:11] neg_lo:[0,1] neg_hi:[0,1]
	v_mov_b32_e32 v7, v38
	v_pk_add_f32 v[40:41], v[18:19], v[6:7] neg_lo:[0,1] neg_hi:[0,1]
	v_mov_b32_e32 v8, v19
	v_mov_b32_e32 v18, v11
	;; [unrolled: 1-line block ×4, first 2 shown]
	v_pk_add_f32 v[8:9], v[8:9], v[18:19] neg_lo:[0,1] neg_hi:[0,1]
	v_mov_b32_e32 v16, v17
	v_mov_b32_e32 v17, v10
	v_pk_add_f32 v[8:9], v[16:17], v[8:9] neg_lo:[0,1] neg_hi:[0,1]
	v_mov_b32_e32 v40, v36
	v_pk_add_f32 v[10:11], v[40:41], v[8:9]
	v_mov_b32_e32 v16, v11
	v_pk_add_f32 v[16:17], v[10:11], v[16:17]
	v_pk_add_f32 v[12:13], v[12:13], v[16:17]
	v_mov_b32_e32 v11, v12
	v_pk_add_f32 v[18:19], v[10:11], v[36:37] neg_lo:[0,1] neg_hi:[0,1]
	v_mov_b32_e32 v9, v16
	v_sub_f32_e32 v7, v10, v18
	v_pk_add_f32 v[8:9], v[8:9], v[18:19] neg_lo:[0,1] neg_hi:[0,1]
	v_sub_f32_e32 v7, v36, v7
	v_add_f32_e32 v7, v8, v7
	v_cmp_eq_f32_e64 s[2:3], s7, v15
	s_mov_b32 s7, 0x33800000
	v_add_f32_e32 v7, v7, v9
	v_cmp_lt_f32_e64 s[8:9], |v15|, s7
	v_add_f32_e32 v7, v12, v7
	s_or_b64 s[2:3], s[2:3], s[8:9]
	v_cndmask_b32_e64 v7, v7, v15, s[2:3]
	v_add_f32_e32 v36, v6, v7
.LBB90_204:
	s_or_b64 exec, exec, s[4:5]
	v_max_f32_e32 v8, v4, v4
	v_max_f32_e32 v6, v36, v36
	v_min_f32_e32 v7, v6, v8
	v_cmp_u_f32_e64 s[4:5], v36, v36
	v_max_f32_e32 v6, v6, v8
	v_cndmask_b32_e64 v7, v7, v36, s[4:5]
	v_cmp_u_f32_e64 s[2:3], v4, v4
	v_cndmask_b32_e64 v6, v6, v36, s[4:5]
	v_cndmask_b32_e64 v7, v7, v4, s[2:3]
	;; [unrolled: 1-line block ×3, first 2 shown]
	v_cmp_neq_f32_e64 s[4:5], v7, v6
	v_cmp_class_f32_e64 s[6:7], v7, s6
	s_or_b64 s[4:5], s[4:5], s[6:7]
	s_and_saveexec_b64 s[6:7], s[4:5]
	s_cbranch_execz .LBB90_206
; %bb.205:
	v_sub_f32_e32 v7, v7, v6
	s_mov_b32 s4, 0x3fb8aa3b
	v_mul_f32_e32 v9, 0x3fb8aa3b, v7
	v_fma_f32 v10, v7, s4, -v9
	v_rndne_f32_e32 v11, v9
	v_fmac_f32_e32 v10, 0x32a5705f, v7
	v_sub_f32_e32 v9, v9, v11
	v_add_f32_e32 v9, v9, v10
	v_exp_f32_e32 v9, v9
	v_cvt_i32_f32_e32 v10, v11
	s_mov_b32 s4, 0xc2ce8ed0
	v_cmp_ngt_f32_e64 s[4:5], s4, v7
	s_mov_b32 s8, 0x7f800000
	v_ldexp_f32 v9, v9, v10
	v_cndmask_b32_e64 v9, 0, v9, s[4:5]
	s_mov_b32 s4, 0x42b17218
	v_mov_b32_e32 v10, 0x7f800000
	v_cmp_nlt_f32_e64 s[4:5], s4, v7
	v_cndmask_b32_e64 v9, v10, v9, s[4:5]
	v_add_f32_e32 v7, 1.0, v9
	v_add_f32_e32 v10, -1.0, v7
	v_sub_f32_e32 v11, v10, v7
	v_add_f32_e32 v11, 1.0, v11
	v_sub_f32_e32 v10, v9, v10
	v_add_f32_e32 v12, v10, v11
	v_frexp_mant_f32_e32 v13, v7
	s_mov_b32 s4, 0x3f2aaaab
	v_cvt_f64_f32_e32 v[10:11], v7
	v_frexp_exp_i32_f64_e32 v10, v[10:11]
	v_cmp_gt_f32_e64 s[4:5], s4, v13
	v_subbrev_co_u32_e64 v15, s[4:5], 0, v10, s[4:5]
	v_sub_u32_e32 v10, 0, v15
	v_ldexp_f32 v7, v7, v10
	v_ldexp_f32 v10, v12, v10
	v_add_f32_e32 v12, -1.0, v7
	v_add_f32_e32 v11, 1.0, v12
	v_sub_f32_e32 v11, v7, v11
	v_add_f32_e32 v13, v10, v11
	v_add_f32_e32 v11, 1.0, v7
	v_add_f32_e32 v16, -1.0, v11
	v_sub_f32_e32 v7, v7, v16
	v_add_f32_e32 v7, v10, v7
	v_add_f32_e32 v20, v11, v7
	v_rcp_f32_e32 v36, v20
	v_sub_f32_e32 v10, v11, v20
	v_add_f32_e32 v11, v12, v13
	v_add_f32_e32 v7, v7, v10
	v_mul_f32_e32 v38, v11, v36
	v_sub_f32_e32 v10, v12, v11
	v_mul_f32_e32 v12, v20, v38
	v_fma_f32 v16, v38, v20, -v12
	v_fmac_f32_e32 v16, v38, v7
	v_add_f32_e32 v37, v13, v10
	v_add_f32_e32 v10, v12, v16
	v_sub_f32_e32 v13, v11, v10
	v_pk_add_f32 v[18:19], v[10:11], v[12:13] neg_lo:[0,1] neg_hi:[0,1]
	v_mov_b32_e32 v17, v10
	v_pk_add_f32 v[10:11], v[18:19], v[16:17] neg_lo:[0,1] neg_hi:[0,1]
	v_add_f32_e32 v11, v37, v11
	v_add_f32_e32 v10, v10, v11
	;; [unrolled: 1-line block ×3, first 2 shown]
	v_mul_f32_e32 v37, v36, v11
	v_mul_f32_e32 v12, v20, v37
	v_fma_f32 v16, v37, v20, -v12
	v_fmac_f32_e32 v16, v37, v7
	v_sub_f32_e32 v7, v13, v11
	v_add_f32_e32 v7, v10, v7
	v_add_f32_e32 v10, v12, v16
	v_sub_f32_e32 v13, v11, v10
	v_pk_add_f32 v[18:19], v[10:11], v[12:13] neg_lo:[0,1] neg_hi:[0,1]
	v_mov_b32_e32 v17, v10
	v_pk_add_f32 v[10:11], v[18:19], v[16:17] neg_lo:[0,1] neg_hi:[0,1]
	v_add_f32_e32 v7, v7, v11
	v_add_f32_e32 v7, v10, v7
	;; [unrolled: 1-line block ×4, first 2 shown]
	v_sub_f32_e32 v11, v10, v38
	v_mul_f32_e32 v7, v36, v7
	v_sub_f32_e32 v11, v37, v11
	v_add_f32_e32 v7, v11, v7
	v_add_f32_e32 v13, v10, v7
	v_mul_f32_e32 v16, v13, v13
	v_mov_b32_e32 v12, 0x3ecc95a3
	v_fmac_f32_e32 v12, 0x3e9b6dac, v16
	v_mov_b32_e32 v11, 0x3f2aaada
	v_fmac_f32_e32 v11, v16, v12
	v_cvt_f32_i32_e32 v12, v15
	v_sub_f32_e32 v10, v13, v10
	v_sub_f32_e32 v7, v7, v10
	v_ldexp_f32 v17, v13, 1
	v_mul_f32_e32 v13, v13, v16
	v_mov_b32_e32 v10, 0x3f317218
	s_mov_b32 s4, 0x3f317218
	v_pk_mul_f32 v[10:11], v[12:13], v[10:11]
	v_fma_f32 v16, v12, s4, -v10
	v_fmac_f32_e32 v16, 0xb102e308, v12
	v_pk_add_f32 v[12:13], v[10:11], v[16:17]
	v_sub_f32_e32 v15, v13, v17
	v_ldexp_f32 v7, v7, 1
	v_sub_f32_e32 v15, v11, v15
	v_add_f32_e32 v19, v7, v15
	v_mov_b32_e32 v18, v10
	v_pk_add_f32 v[10:11], v[12:13], v[10:11] neg_lo:[0,1] neg_hi:[0,1]
	v_pk_add_f32 v[36:37], v[12:13], v[18:19]
	v_mov_b32_e32 v11, v37
	v_mov_b32_e32 v17, v12
	v_pk_add_f32 v[38:39], v[16:17], v[10:11] neg_lo:[0,1] neg_hi:[0,1]
	v_pk_add_f32 v[10:11], v[16:17], v[10:11]
	v_mov_b32_e32 v16, v11
	v_pk_add_f32 v[40:41], v[16:17], v[12:13] neg_lo:[0,1] neg_hi:[0,1]
	v_mov_b32_e32 v7, v40
	v_pk_add_f32 v[42:43], v[36:37], v[6:7] neg_lo:[0,1] neg_hi:[0,1]
	v_mov_b32_e32 v10, v37
	v_mov_b32_e32 v36, v13
	;; [unrolled: 1-line block ×4, first 2 shown]
	v_pk_add_f32 v[10:11], v[10:11], v[36:37] neg_lo:[0,1] neg_hi:[0,1]
	v_mov_b32_e32 v18, v19
	v_mov_b32_e32 v19, v12
	v_pk_add_f32 v[10:11], v[18:19], v[10:11] neg_lo:[0,1] neg_hi:[0,1]
	v_mov_b32_e32 v42, v38
	v_pk_add_f32 v[12:13], v[42:43], v[10:11]
	v_mov_b32_e32 v18, v13
	v_pk_add_f32 v[18:19], v[12:13], v[18:19]
	v_pk_add_f32 v[16:17], v[16:17], v[18:19]
	v_mov_b32_e32 v13, v16
	v_pk_add_f32 v[36:37], v[12:13], v[38:39] neg_lo:[0,1] neg_hi:[0,1]
	v_mov_b32_e32 v11, v18
	v_sub_f32_e32 v7, v12, v36
	v_pk_add_f32 v[10:11], v[10:11], v[36:37] neg_lo:[0,1] neg_hi:[0,1]
	v_sub_f32_e32 v7, v38, v7
	v_add_f32_e32 v7, v10, v7
	v_cmp_eq_f32_e64 s[4:5], s8, v9
	s_mov_b32 s8, 0x33800000
	v_add_f32_e32 v7, v7, v11
	v_cmp_lt_f32_e64 s[8:9], |v9|, s8
	v_add_f32_e32 v7, v16, v7
	s_or_b64 s[4:5], s[4:5], s[8:9]
	v_cndmask_b32_e64 v7, v7, v9, s[4:5]
	v_add_f32_e32 v36, v6, v7
.LBB90_206:
	s_or_b64 exec, exec, s[6:7]
	v_max_f32_e32 v9, v5, v5
	v_max_f32_e32 v6, v36, v36
	v_min_f32_e32 v7, v6, v9
	v_cmp_u_f32_e64 s[6:7], v36, v36
	v_max_f32_e32 v6, v6, v9
	v_cndmask_b32_e64 v7, v7, v36, s[6:7]
	v_cmp_u_f32_e64 s[4:5], v5, v5
	v_cndmask_b32_e64 v6, v6, v36, s[6:7]
	v_cndmask_b32_e64 v7, v7, v5, s[4:5]
	;; [unrolled: 1-line block ×3, first 2 shown]
	s_movk_i32 s10, 0x1f8
	v_cmp_neq_f32_e64 s[6:7], v7, v6
	v_cmp_class_f32_e64 s[8:9], v7, s10
	s_or_b64 s[6:7], s[6:7], s[8:9]
	s_and_saveexec_b64 s[8:9], s[6:7]
	s_cbranch_execz .LBB90_208
; %bb.207:
	v_sub_f32_e32 v7, v7, v6
	s_mov_b32 s6, 0x3fb8aa3b
	v_mul_f32_e32 v10, 0x3fb8aa3b, v7
	v_fma_f32 v11, v7, s6, -v10
	v_rndne_f32_e32 v12, v10
	v_fmac_f32_e32 v11, 0x32a5705f, v7
	v_sub_f32_e32 v10, v10, v12
	v_add_f32_e32 v10, v10, v11
	v_exp_f32_e32 v10, v10
	v_cvt_i32_f32_e32 v11, v12
	s_mov_b32 s6, 0xc2ce8ed0
	v_cmp_ngt_f32_e64 s[6:7], s6, v7
	s_mov_b32 s11, 0x7f800000
	v_ldexp_f32 v10, v10, v11
	v_cndmask_b32_e64 v10, 0, v10, s[6:7]
	s_mov_b32 s6, 0x42b17218
	v_mov_b32_e32 v11, 0x7f800000
	v_cmp_nlt_f32_e64 s[6:7], s6, v7
	v_cndmask_b32_e64 v15, v11, v10, s[6:7]
	v_add_f32_e32 v7, 1.0, v15
	v_add_f32_e32 v10, -1.0, v7
	v_sub_f32_e32 v11, v10, v7
	v_add_f32_e32 v11, 1.0, v11
	v_sub_f32_e32 v10, v15, v10
	v_add_f32_e32 v12, v10, v11
	v_frexp_mant_f32_e32 v13, v7
	s_mov_b32 s6, 0x3f2aaaab
	v_cvt_f64_f32_e32 v[10:11], v7
	v_frexp_exp_i32_f64_e32 v10, v[10:11]
	v_cmp_gt_f32_e64 s[6:7], s6, v13
	v_subbrev_co_u32_e64 v20, s[6:7], 0, v10, s[6:7]
	v_sub_u32_e32 v10, 0, v20
	v_ldexp_f32 v7, v7, v10
	v_ldexp_f32 v10, v12, v10
	v_add_f32_e32 v12, -1.0, v7
	v_add_f32_e32 v11, 1.0, v12
	v_sub_f32_e32 v11, v7, v11
	v_add_f32_e32 v13, v10, v11
	v_add_f32_e32 v11, 1.0, v7
	v_add_f32_e32 v16, -1.0, v11
	v_sub_f32_e32 v7, v7, v16
	v_add_f32_e32 v7, v10, v7
	v_add_f32_e32 v36, v11, v7
	v_rcp_f32_e32 v37, v36
	v_sub_f32_e32 v10, v11, v36
	v_add_f32_e32 v11, v12, v13
	v_add_f32_e32 v7, v7, v10
	v_mul_f32_e32 v39, v11, v37
	v_sub_f32_e32 v10, v12, v11
	v_mul_f32_e32 v12, v36, v39
	v_fma_f32 v16, v39, v36, -v12
	v_fmac_f32_e32 v16, v39, v7
	v_add_f32_e32 v38, v13, v10
	v_add_f32_e32 v10, v12, v16
	v_sub_f32_e32 v13, v11, v10
	v_pk_add_f32 v[18:19], v[10:11], v[12:13] neg_lo:[0,1] neg_hi:[0,1]
	v_mov_b32_e32 v17, v10
	v_pk_add_f32 v[10:11], v[18:19], v[16:17] neg_lo:[0,1] neg_hi:[0,1]
	v_add_f32_e32 v11, v38, v11
	v_add_f32_e32 v10, v10, v11
	;; [unrolled: 1-line block ×3, first 2 shown]
	v_mul_f32_e32 v38, v37, v11
	v_mul_f32_e32 v12, v36, v38
	v_fma_f32 v16, v38, v36, -v12
	v_fmac_f32_e32 v16, v38, v7
	v_sub_f32_e32 v7, v13, v11
	v_add_f32_e32 v7, v10, v7
	v_add_f32_e32 v10, v12, v16
	v_sub_f32_e32 v13, v11, v10
	v_pk_add_f32 v[18:19], v[10:11], v[12:13] neg_lo:[0,1] neg_hi:[0,1]
	v_mov_b32_e32 v17, v10
	v_pk_add_f32 v[10:11], v[18:19], v[16:17] neg_lo:[0,1] neg_hi:[0,1]
	v_add_f32_e32 v7, v7, v11
	v_add_f32_e32 v7, v10, v7
	;; [unrolled: 1-line block ×4, first 2 shown]
	v_sub_f32_e32 v11, v10, v39
	v_mul_f32_e32 v7, v37, v7
	v_sub_f32_e32 v11, v38, v11
	v_add_f32_e32 v7, v11, v7
	v_add_f32_e32 v13, v10, v7
	v_mul_f32_e32 v16, v13, v13
	v_mov_b32_e32 v12, 0x3ecc95a3
	v_fmac_f32_e32 v12, 0x3e9b6dac, v16
	v_mov_b32_e32 v11, 0x3f2aaada
	v_fmac_f32_e32 v11, v16, v12
	v_cvt_f32_i32_e32 v12, v20
	v_sub_f32_e32 v10, v13, v10
	v_sub_f32_e32 v7, v7, v10
	v_ldexp_f32 v17, v13, 1
	v_mul_f32_e32 v13, v13, v16
	v_mov_b32_e32 v10, 0x3f317218
	s_mov_b32 s6, 0x3f317218
	v_pk_mul_f32 v[10:11], v[12:13], v[10:11]
	v_fma_f32 v16, v12, s6, -v10
	v_fmac_f32_e32 v16, 0xb102e308, v12
	v_pk_add_f32 v[12:13], v[10:11], v[16:17]
	v_sub_f32_e32 v17, v13, v17
	v_ldexp_f32 v7, v7, 1
	v_sub_f32_e32 v17, v11, v17
	v_add_f32_e32 v19, v7, v17
	v_mov_b32_e32 v18, v10
	v_pk_add_f32 v[10:11], v[12:13], v[10:11] neg_lo:[0,1] neg_hi:[0,1]
	v_pk_add_f32 v[36:37], v[12:13], v[18:19]
	v_mov_b32_e32 v11, v37
	v_mov_b32_e32 v17, v12
	v_pk_add_f32 v[38:39], v[16:17], v[10:11] neg_lo:[0,1] neg_hi:[0,1]
	v_pk_add_f32 v[10:11], v[16:17], v[10:11]
	v_mov_b32_e32 v16, v11
	v_pk_add_f32 v[40:41], v[16:17], v[12:13] neg_lo:[0,1] neg_hi:[0,1]
	v_mov_b32_e32 v7, v40
	v_pk_add_f32 v[42:43], v[36:37], v[6:7] neg_lo:[0,1] neg_hi:[0,1]
	v_mov_b32_e32 v10, v37
	v_mov_b32_e32 v36, v13
	v_mov_b32_e32 v37, v40
	v_mov_b32_e32 v39, v11
	v_pk_add_f32 v[10:11], v[10:11], v[36:37] neg_lo:[0,1] neg_hi:[0,1]
	v_mov_b32_e32 v18, v19
	v_mov_b32_e32 v19, v12
	v_pk_add_f32 v[10:11], v[18:19], v[10:11] neg_lo:[0,1] neg_hi:[0,1]
	v_mov_b32_e32 v42, v38
	v_pk_add_f32 v[12:13], v[42:43], v[10:11]
	v_mov_b32_e32 v18, v13
	v_pk_add_f32 v[18:19], v[12:13], v[18:19]
	v_pk_add_f32 v[16:17], v[16:17], v[18:19]
	v_mov_b32_e32 v13, v16
	v_pk_add_f32 v[36:37], v[12:13], v[38:39] neg_lo:[0,1] neg_hi:[0,1]
	v_mov_b32_e32 v11, v18
	v_sub_f32_e32 v7, v12, v36
	v_pk_add_f32 v[10:11], v[10:11], v[36:37] neg_lo:[0,1] neg_hi:[0,1]
	v_sub_f32_e32 v7, v38, v7
	v_add_f32_e32 v7, v10, v7
	v_cmp_eq_f32_e64 s[6:7], s11, v15
	s_mov_b32 s11, 0x33800000
	v_add_f32_e32 v7, v7, v11
	v_cmp_lt_f32_e64 s[12:13], |v15|, s11
	v_add_f32_e32 v7, v16, v7
	s_or_b64 s[6:7], s[6:7], s[12:13]
	v_cndmask_b32_e64 v7, v7, v15, s[6:7]
	v_add_f32_e32 v36, v6, v7
.LBB90_208:
	s_or_b64 exec, exec, s[8:9]
	v_max_f32_e32 v10, v26, v26
	v_max_f32_e32 v6, v36, v36
	v_min_f32_e32 v7, v6, v10
	v_cmp_u_f32_e64 s[8:9], v36, v36
	v_max_f32_e32 v6, v6, v10
	v_cndmask_b32_e64 v7, v7, v36, s[8:9]
	v_cmp_u_f32_e64 s[6:7], v26, v26
	v_cndmask_b32_e64 v6, v6, v36, s[8:9]
	v_cndmask_b32_e64 v7, v7, v26, s[6:7]
	;; [unrolled: 1-line block ×3, first 2 shown]
	v_cmp_neq_f32_e64 s[8:9], v7, v6
	v_cmp_class_f32_e64 s[10:11], v7, s10
	s_or_b64 s[8:9], s[8:9], s[10:11]
	s_and_saveexec_b64 s[10:11], s[8:9]
	s_cbranch_execz .LBB90_210
; %bb.209:
	v_sub_f32_e32 v7, v7, v6
	s_mov_b32 s8, 0x3fb8aa3b
	v_mul_f32_e32 v11, 0x3fb8aa3b, v7
	v_fma_f32 v12, v7, s8, -v11
	v_rndne_f32_e32 v13, v11
	v_fmac_f32_e32 v12, 0x32a5705f, v7
	v_sub_f32_e32 v11, v11, v13
	v_add_f32_e32 v11, v11, v12
	v_exp_f32_e32 v11, v11
	v_cvt_i32_f32_e32 v12, v13
	s_mov_b32 s8, 0xc2ce8ed0
	v_cmp_ngt_f32_e64 s[8:9], s8, v7
	s_mov_b32 s12, 0x7f800000
	v_ldexp_f32 v11, v11, v12
	v_cndmask_b32_e64 v11, 0, v11, s[8:9]
	s_mov_b32 s8, 0x42b17218
	v_mov_b32_e32 v12, 0x7f800000
	v_cmp_nlt_f32_e64 s[8:9], s8, v7
	v_cndmask_b32_e64 v11, v12, v11, s[8:9]
	v_add_f32_e32 v7, 1.0, v11
	v_add_f32_e32 v12, -1.0, v7
	v_sub_f32_e32 v13, v12, v7
	v_add_f32_e32 v13, 1.0, v13
	v_sub_f32_e32 v12, v11, v12
	v_add_f32_e32 v15, v12, v13
	v_frexp_mant_f32_e32 v16, v7
	s_mov_b32 s8, 0x3f2aaaab
	v_cvt_f64_f32_e32 v[12:13], v7
	v_frexp_exp_i32_f64_e32 v12, v[12:13]
	v_cmp_gt_f32_e64 s[8:9], s8, v16
	v_subbrev_co_u32_e64 v20, s[8:9], 0, v12, s[8:9]
	v_sub_u32_e32 v12, 0, v20
	v_ldexp_f32 v7, v7, v12
	v_ldexp_f32 v12, v15, v12
	v_add_f32_e32 v15, -1.0, v7
	v_add_f32_e32 v13, 1.0, v15
	v_sub_f32_e32 v13, v7, v13
	v_add_f32_e32 v16, v12, v13
	v_add_f32_e32 v13, 1.0, v7
	v_add_f32_e32 v17, -1.0, v13
	v_sub_f32_e32 v7, v7, v17
	v_add_f32_e32 v7, v12, v7
	v_add_f32_e32 v38, v13, v7
	v_rcp_f32_e32 v39, v38
	v_sub_f32_e32 v12, v13, v38
	v_add_f32_e32 v13, v15, v16
	v_add_f32_e32 v7, v7, v12
	v_sub_f32_e32 v12, v15, v13
	v_mul_f32_e32 v40, v13, v39
	v_add_f32_e32 v15, v16, v12
	v_mul_f32_e32 v16, v38, v40
	v_fma_f32 v18, v40, v38, -v16
	v_fmac_f32_e32 v18, v40, v7
	v_add_f32_e32 v12, v16, v18
	v_sub_f32_e32 v17, v13, v12
	v_pk_add_f32 v[36:37], v[12:13], v[16:17] neg_lo:[0,1] neg_hi:[0,1]
	v_mov_b32_e32 v19, v12
	v_pk_add_f32 v[12:13], v[36:37], v[18:19] neg_lo:[0,1] neg_hi:[0,1]
	v_add_f32_e32 v13, v15, v13
	v_add_f32_e32 v12, v12, v13
	;; [unrolled: 1-line block ×3, first 2 shown]
	v_mul_f32_e32 v15, v39, v13
	v_mul_f32_e32 v16, v38, v15
	v_fma_f32 v18, v15, v38, -v16
	v_fmac_f32_e32 v18, v15, v7
	v_sub_f32_e32 v7, v17, v13
	v_add_f32_e32 v7, v12, v7
	v_add_f32_e32 v12, v16, v18
	v_sub_f32_e32 v17, v13, v12
	v_pk_add_f32 v[36:37], v[12:13], v[16:17] neg_lo:[0,1] neg_hi:[0,1]
	v_mov_b32_e32 v19, v12
	v_pk_add_f32 v[12:13], v[36:37], v[18:19] neg_lo:[0,1] neg_hi:[0,1]
	v_add_f32_e32 v7, v7, v13
	v_add_f32_e32 v7, v12, v7
	v_add_f32_e32 v12, v40, v15
	v_add_f32_e32 v7, v17, v7
	v_sub_f32_e32 v13, v12, v40
	v_mul_f32_e32 v7, v39, v7
	v_sub_f32_e32 v13, v15, v13
	v_add_f32_e32 v7, v13, v7
	v_add_f32_e32 v15, v12, v7
	v_mul_f32_e32 v17, v15, v15
	v_mov_b32_e32 v16, 0x3ecc95a3
	v_fmac_f32_e32 v16, 0x3e9b6dac, v17
	v_mov_b32_e32 v13, 0x3f2aaada
	v_fmac_f32_e32 v13, v17, v16
	v_cvt_f32_i32_e32 v16, v20
	v_sub_f32_e32 v12, v15, v12
	v_sub_f32_e32 v7, v7, v12
	v_mul_f32_e32 v17, v15, v17
	v_mov_b32_e32 v12, 0x3f317218
	s_mov_b32 s8, 0x3f317218
	v_pk_mul_f32 v[12:13], v[16:17], v[12:13]
	v_fma_f32 v18, v16, s8, -v12
	v_ldexp_f32 v19, v15, 1
	v_fmac_f32_e32 v18, 0xb102e308, v16
	v_pk_add_f32 v[16:17], v[12:13], v[18:19]
	v_sub_f32_e32 v15, v17, v19
	v_ldexp_f32 v7, v7, 1
	v_sub_f32_e32 v15, v13, v15
	v_add_f32_e32 v37, v7, v15
	v_mov_b32_e32 v36, v12
	v_pk_add_f32 v[12:13], v[16:17], v[12:13] neg_lo:[0,1] neg_hi:[0,1]
	v_pk_add_f32 v[38:39], v[16:17], v[36:37]
	v_mov_b32_e32 v13, v39
	v_mov_b32_e32 v19, v16
	v_pk_add_f32 v[40:41], v[18:19], v[12:13] neg_lo:[0,1] neg_hi:[0,1]
	v_pk_add_f32 v[12:13], v[18:19], v[12:13]
	v_mov_b32_e32 v18, v13
	v_pk_add_f32 v[42:43], v[18:19], v[16:17] neg_lo:[0,1] neg_hi:[0,1]
	v_mov_b32_e32 v7, v42
	v_pk_add_f32 v[44:45], v[38:39], v[6:7] neg_lo:[0,1] neg_hi:[0,1]
	v_mov_b32_e32 v12, v39
	v_mov_b32_e32 v38, v17
	;; [unrolled: 1-line block ×4, first 2 shown]
	v_pk_add_f32 v[12:13], v[12:13], v[38:39] neg_lo:[0,1] neg_hi:[0,1]
	v_mov_b32_e32 v36, v37
	v_mov_b32_e32 v37, v16
	v_pk_add_f32 v[12:13], v[36:37], v[12:13] neg_lo:[0,1] neg_hi:[0,1]
	v_mov_b32_e32 v44, v40
	v_pk_add_f32 v[16:17], v[44:45], v[12:13]
	v_mov_b32_e32 v20, v17
	v_pk_add_f32 v[36:37], v[16:17], v[20:21]
	v_pk_add_f32 v[18:19], v[18:19], v[36:37]
	v_mov_b32_e32 v17, v18
	v_pk_add_f32 v[38:39], v[16:17], v[40:41] neg_lo:[0,1] neg_hi:[0,1]
	v_mov_b32_e32 v13, v36
	v_sub_f32_e32 v7, v16, v38
	v_pk_add_f32 v[12:13], v[12:13], v[38:39] neg_lo:[0,1] neg_hi:[0,1]
	v_sub_f32_e32 v7, v40, v7
	v_add_f32_e32 v7, v12, v7
	v_cmp_eq_f32_e64 s[8:9], s12, v11
	s_mov_b32 s12, 0x33800000
	v_add_f32_e32 v7, v7, v13
	v_cmp_lt_f32_e64 s[12:13], |v11|, s12
	v_add_f32_e32 v7, v18, v7
	s_or_b64 s[8:9], s[8:9], s[12:13]
	v_cndmask_b32_e64 v7, v7, v11, s[8:9]
	v_add_f32_e32 v36, v6, v7
.LBB90_210:
	s_or_b64 exec, exec, s[10:11]
	v_max_f32_e32 v11, v27, v27
	v_max_f32_e32 v6, v36, v36
	v_min_f32_e32 v7, v6, v11
	v_cmp_u_f32_e64 s[10:11], v36, v36
	v_max_f32_e32 v6, v6, v11
	v_cndmask_b32_e64 v7, v7, v36, s[10:11]
	v_cmp_u_f32_e64 s[8:9], v27, v27
	v_cndmask_b32_e64 v6, v6, v36, s[10:11]
	v_cndmask_b32_e64 v7, v7, v27, s[8:9]
	;; [unrolled: 1-line block ×3, first 2 shown]
	s_movk_i32 s14, 0x1f8
	v_cmp_neq_f32_e64 s[10:11], v7, v6
	v_cmp_class_f32_e64 s[12:13], v7, s14
	s_or_b64 s[10:11], s[10:11], s[12:13]
	s_and_saveexec_b64 s[12:13], s[10:11]
	s_cbranch_execz .LBB90_212
; %bb.211:
	v_sub_f32_e32 v7, v7, v6
	s_mov_b32 s10, 0x3fb8aa3b
	v_mul_f32_e32 v12, 0x3fb8aa3b, v7
	v_fma_f32 v13, v7, s10, -v12
	v_rndne_f32_e32 v15, v12
	v_fmac_f32_e32 v13, 0x32a5705f, v7
	v_sub_f32_e32 v12, v12, v15
	v_add_f32_e32 v12, v12, v13
	v_exp_f32_e32 v12, v12
	v_cvt_i32_f32_e32 v13, v15
	s_mov_b32 s10, 0xc2ce8ed0
	v_cmp_ngt_f32_e64 s[10:11], s10, v7
	s_mov_b32 s15, 0x7f800000
	v_ldexp_f32 v12, v12, v13
	v_cndmask_b32_e64 v12, 0, v12, s[10:11]
	s_mov_b32 s10, 0x42b17218
	v_mov_b32_e32 v13, 0x7f800000
	v_cmp_nlt_f32_e64 s[10:11], s10, v7
	v_cndmask_b32_e64 v15, v13, v12, s[10:11]
	v_add_f32_e32 v7, 1.0, v15
	v_add_f32_e32 v12, -1.0, v7
	v_sub_f32_e32 v13, v12, v7
	v_add_f32_e32 v13, 1.0, v13
	v_sub_f32_e32 v12, v15, v12
	v_add_f32_e32 v16, v12, v13
	v_frexp_mant_f32_e32 v17, v7
	s_mov_b32 s10, 0x3f2aaaab
	v_cvt_f64_f32_e32 v[12:13], v7
	v_frexp_exp_i32_f64_e32 v12, v[12:13]
	v_cmp_gt_f32_e64 s[10:11], s10, v17
	v_subbrev_co_u32_e64 v20, s[10:11], 0, v12, s[10:11]
	v_sub_u32_e32 v12, 0, v20
	v_ldexp_f32 v7, v7, v12
	v_ldexp_f32 v12, v16, v12
	v_add_f32_e32 v16, -1.0, v7
	v_add_f32_e32 v13, 1.0, v16
	v_sub_f32_e32 v13, v7, v13
	v_add_f32_e32 v17, v12, v13
	v_add_f32_e32 v13, 1.0, v7
	v_add_f32_e32 v18, -1.0, v13
	v_sub_f32_e32 v7, v7, v18
	v_add_f32_e32 v7, v12, v7
	v_add_f32_e32 v38, v13, v7
	v_rcp_f32_e32 v39, v38
	v_sub_f32_e32 v12, v13, v38
	v_add_f32_e32 v13, v16, v17
	v_add_f32_e32 v7, v7, v12
	v_mul_f32_e32 v41, v13, v39
	v_sub_f32_e32 v12, v16, v13
	v_mul_f32_e32 v16, v38, v41
	v_fma_f32 v18, v41, v38, -v16
	v_fmac_f32_e32 v18, v41, v7
	v_add_f32_e32 v40, v17, v12
	v_add_f32_e32 v12, v16, v18
	v_sub_f32_e32 v17, v13, v12
	v_pk_add_f32 v[36:37], v[12:13], v[16:17] neg_lo:[0,1] neg_hi:[0,1]
	v_mov_b32_e32 v19, v12
	v_pk_add_f32 v[12:13], v[36:37], v[18:19] neg_lo:[0,1] neg_hi:[0,1]
	v_add_f32_e32 v13, v40, v13
	v_add_f32_e32 v12, v12, v13
	;; [unrolled: 1-line block ×3, first 2 shown]
	v_mul_f32_e32 v40, v39, v13
	v_mul_f32_e32 v16, v38, v40
	v_fma_f32 v18, v40, v38, -v16
	v_fmac_f32_e32 v18, v40, v7
	v_sub_f32_e32 v7, v17, v13
	v_add_f32_e32 v7, v12, v7
	v_add_f32_e32 v12, v16, v18
	v_sub_f32_e32 v17, v13, v12
	v_pk_add_f32 v[36:37], v[12:13], v[16:17] neg_lo:[0,1] neg_hi:[0,1]
	v_mov_b32_e32 v19, v12
	v_pk_add_f32 v[12:13], v[36:37], v[18:19] neg_lo:[0,1] neg_hi:[0,1]
	v_add_f32_e32 v7, v7, v13
	v_add_f32_e32 v7, v12, v7
	;; [unrolled: 1-line block ×4, first 2 shown]
	v_sub_f32_e32 v13, v12, v41
	v_mul_f32_e32 v7, v39, v7
	v_sub_f32_e32 v13, v40, v13
	v_add_f32_e32 v7, v13, v7
	v_add_f32_e32 v17, v12, v7
	v_mul_f32_e32 v18, v17, v17
	v_mov_b32_e32 v16, 0x3ecc95a3
	v_fmac_f32_e32 v16, 0x3e9b6dac, v18
	v_mov_b32_e32 v13, 0x3f2aaada
	v_fmac_f32_e32 v13, v18, v16
	v_cvt_f32_i32_e32 v16, v20
	v_sub_f32_e32 v12, v17, v12
	v_sub_f32_e32 v7, v7, v12
	v_ldexp_f32 v19, v17, 1
	v_mul_f32_e32 v17, v17, v18
	v_mov_b32_e32 v12, 0x3f317218
	s_mov_b32 s10, 0x3f317218
	v_pk_mul_f32 v[12:13], v[16:17], v[12:13]
	v_fma_f32 v18, v16, s10, -v12
	v_fmac_f32_e32 v18, 0xb102e308, v16
	v_pk_add_f32 v[16:17], v[12:13], v[18:19]
	v_sub_f32_e32 v19, v17, v19
	v_ldexp_f32 v7, v7, 1
	v_sub_f32_e32 v19, v13, v19
	v_add_f32_e32 v37, v7, v19
	v_mov_b32_e32 v36, v12
	v_pk_add_f32 v[12:13], v[16:17], v[12:13] neg_lo:[0,1] neg_hi:[0,1]
	v_pk_add_f32 v[38:39], v[16:17], v[36:37]
	v_mov_b32_e32 v13, v39
	v_mov_b32_e32 v19, v16
	v_pk_add_f32 v[40:41], v[18:19], v[12:13] neg_lo:[0,1] neg_hi:[0,1]
	v_pk_add_f32 v[12:13], v[18:19], v[12:13]
	v_mov_b32_e32 v18, v13
	v_pk_add_f32 v[42:43], v[18:19], v[16:17] neg_lo:[0,1] neg_hi:[0,1]
	v_mov_b32_e32 v7, v42
	v_pk_add_f32 v[44:45], v[38:39], v[6:7] neg_lo:[0,1] neg_hi:[0,1]
	v_mov_b32_e32 v12, v39
	v_mov_b32_e32 v38, v17
	;; [unrolled: 1-line block ×4, first 2 shown]
	v_pk_add_f32 v[12:13], v[12:13], v[38:39] neg_lo:[0,1] neg_hi:[0,1]
	v_mov_b32_e32 v36, v37
	v_mov_b32_e32 v37, v16
	v_pk_add_f32 v[12:13], v[36:37], v[12:13] neg_lo:[0,1] neg_hi:[0,1]
	v_mov_b32_e32 v44, v40
	v_pk_add_f32 v[16:17], v[44:45], v[12:13]
	v_mov_b32_e32 v20, v17
	v_pk_add_f32 v[36:37], v[16:17], v[20:21]
	v_pk_add_f32 v[18:19], v[18:19], v[36:37]
	v_mov_b32_e32 v17, v18
	v_pk_add_f32 v[38:39], v[16:17], v[40:41] neg_lo:[0,1] neg_hi:[0,1]
	v_mov_b32_e32 v13, v36
	v_sub_f32_e32 v7, v16, v38
	v_pk_add_f32 v[12:13], v[12:13], v[38:39] neg_lo:[0,1] neg_hi:[0,1]
	v_sub_f32_e32 v7, v40, v7
	v_add_f32_e32 v7, v12, v7
	v_cmp_eq_f32_e64 s[10:11], s15, v15
	s_mov_b32 s15, 0x33800000
	v_add_f32_e32 v7, v7, v13
	v_cmp_lt_f32_e64 s[16:17], |v15|, s15
	v_add_f32_e32 v7, v18, v7
	s_or_b64 s[10:11], s[10:11], s[16:17]
	v_cndmask_b32_e64 v7, v7, v15, s[10:11]
	v_add_f32_e32 v36, v6, v7
.LBB90_212:
	s_or_b64 exec, exec, s[12:13]
	v_max_f32_e32 v12, v28, v28
	v_max_f32_e32 v6, v36, v36
	v_min_f32_e32 v7, v6, v12
	v_cmp_u_f32_e64 s[12:13], v36, v36
	v_max_f32_e32 v6, v6, v12
	v_cndmask_b32_e64 v7, v7, v36, s[12:13]
	v_cmp_u_f32_e64 s[10:11], v28, v28
	v_cndmask_b32_e64 v6, v6, v36, s[12:13]
	v_cndmask_b32_e64 v7, v7, v28, s[10:11]
	;; [unrolled: 1-line block ×3, first 2 shown]
	v_cmp_neq_f32_e64 s[12:13], v7, v6
	v_cmp_class_f32_e64 s[14:15], v7, s14
	s_or_b64 s[12:13], s[12:13], s[14:15]
	s_and_saveexec_b64 s[14:15], s[12:13]
	s_cbranch_execz .LBB90_214
; %bb.213:
	v_sub_f32_e32 v7, v7, v6
	s_mov_b32 s12, 0x3fb8aa3b
	v_mul_f32_e32 v13, 0x3fb8aa3b, v7
	v_fma_f32 v15, v7, s12, -v13
	v_rndne_f32_e32 v16, v13
	v_fmac_f32_e32 v15, 0x32a5705f, v7
	v_sub_f32_e32 v13, v13, v16
	v_add_f32_e32 v13, v13, v15
	v_exp_f32_e32 v13, v13
	v_cvt_i32_f32_e32 v15, v16
	s_mov_b32 s12, 0xc2ce8ed0
	v_cmp_ngt_f32_e64 s[12:13], s12, v7
	s_mov_b32 s16, 0x7f800000
	v_ldexp_f32 v13, v13, v15
	v_cndmask_b32_e64 v13, 0, v13, s[12:13]
	s_mov_b32 s12, 0x42b17218
	v_mov_b32_e32 v15, 0x7f800000
	v_cmp_nlt_f32_e64 s[12:13], s12, v7
	v_cndmask_b32_e64 v13, v15, v13, s[12:13]
	v_add_f32_e32 v7, 1.0, v13
	v_add_f32_e32 v15, -1.0, v7
	v_sub_f32_e32 v16, v15, v7
	v_add_f32_e32 v16, 1.0, v16
	v_sub_f32_e32 v15, v13, v15
	v_add_f32_e32 v15, v15, v16
	v_frexp_mant_f32_e32 v18, v7
	s_mov_b32 s12, 0x3f2aaaab
	v_cvt_f64_f32_e32 v[16:17], v7
	v_frexp_exp_i32_f64_e32 v16, v[16:17]
	v_cmp_gt_f32_e64 s[12:13], s12, v18
	v_subbrev_co_u32_e64 v20, s[12:13], 0, v16, s[12:13]
	v_sub_u32_e32 v16, 0, v20
	v_ldexp_f32 v7, v7, v16
	v_ldexp_f32 v15, v15, v16
	v_add_f32_e32 v16, -1.0, v7
	v_add_f32_e32 v17, 1.0, v16
	v_sub_f32_e32 v17, v7, v17
	v_add_f32_e32 v18, v15, v17
	v_add_f32_e32 v17, 1.0, v7
	v_add_f32_e32 v19, -1.0, v17
	v_sub_f32_e32 v7, v7, v19
	v_add_f32_e32 v7, v15, v7
	v_add_f32_e32 v15, v17, v7
	v_rcp_f32_e32 v40, v15
	v_sub_f32_e32 v17, v17, v15
	v_add_f32_e32 v7, v7, v17
	v_add_f32_e32 v17, v16, v18
	v_sub_f32_e32 v16, v16, v17
	v_mul_f32_e32 v42, v17, v40
	v_add_f32_e32 v41, v18, v16
	v_mul_f32_e32 v18, v15, v42
	v_fma_f32 v36, v42, v15, -v18
	v_fmac_f32_e32 v36, v42, v7
	v_add_f32_e32 v16, v18, v36
	v_sub_f32_e32 v19, v17, v16
	v_pk_add_f32 v[38:39], v[16:17], v[18:19] neg_lo:[0,1] neg_hi:[0,1]
	v_mov_b32_e32 v37, v16
	v_pk_add_f32 v[16:17], v[38:39], v[36:37] neg_lo:[0,1] neg_hi:[0,1]
	v_add_f32_e32 v17, v41, v17
	v_add_f32_e32 v16, v16, v17
	;; [unrolled: 1-line block ×3, first 2 shown]
	v_mul_f32_e32 v41, v40, v17
	v_mul_f32_e32 v18, v15, v41
	v_fma_f32 v36, v41, v15, -v18
	v_fmac_f32_e32 v36, v41, v7
	v_sub_f32_e32 v7, v19, v17
	v_add_f32_e32 v7, v16, v7
	v_add_f32_e32 v16, v18, v36
	v_sub_f32_e32 v19, v17, v16
	v_pk_add_f32 v[38:39], v[16:17], v[18:19] neg_lo:[0,1] neg_hi:[0,1]
	v_mov_b32_e32 v37, v16
	v_pk_add_f32 v[16:17], v[38:39], v[36:37] neg_lo:[0,1] neg_hi:[0,1]
	v_add_f32_e32 v7, v7, v17
	v_add_f32_e32 v7, v16, v7
	;; [unrolled: 1-line block ×4, first 2 shown]
	v_sub_f32_e32 v16, v15, v42
	v_mul_f32_e32 v7, v40, v7
	v_sub_f32_e32 v16, v41, v16
	v_add_f32_e32 v7, v16, v7
	v_add_f32_e32 v16, v15, v7
	v_mul_f32_e32 v19, v16, v16
	v_mov_b32_e32 v18, 0x3ecc95a3
	v_fmac_f32_e32 v18, 0x3e9b6dac, v19
	v_mov_b32_e32 v17, 0x3f2aaada
	v_fmac_f32_e32 v17, v19, v18
	v_cvt_f32_i32_e32 v18, v20
	v_sub_f32_e32 v15, v16, v15
	v_ldexp_f32 v37, v16, 1
	v_mul_f32_e32 v19, v16, v19
	v_mov_b32_e32 v16, 0x3f317218
	s_mov_b32 s12, 0x3f317218
	v_pk_mul_f32 v[16:17], v[18:19], v[16:17]
	v_fma_f32 v36, v18, s12, -v16
	v_fmac_f32_e32 v36, 0xb102e308, v18
	v_pk_add_f32 v[18:19], v[16:17], v[36:37]
	v_sub_f32_e32 v7, v7, v15
	v_sub_f32_e32 v15, v19, v37
	v_ldexp_f32 v7, v7, 1
	v_sub_f32_e32 v15, v17, v15
	v_add_f32_e32 v39, v7, v15
	v_mov_b32_e32 v38, v16
	v_pk_add_f32 v[16:17], v[18:19], v[16:17] neg_lo:[0,1] neg_hi:[0,1]
	v_pk_add_f32 v[40:41], v[18:19], v[38:39]
	v_mov_b32_e32 v17, v41
	v_mov_b32_e32 v37, v18
	v_pk_add_f32 v[42:43], v[36:37], v[16:17] neg_lo:[0,1] neg_hi:[0,1]
	v_pk_add_f32 v[16:17], v[36:37], v[16:17]
	v_mov_b32_e32 v20, v17
	v_pk_add_f32 v[36:37], v[20:21], v[18:19] neg_lo:[0,1] neg_hi:[0,1]
	v_mov_b32_e32 v7, v36
	v_pk_add_f32 v[44:45], v[40:41], v[6:7] neg_lo:[0,1] neg_hi:[0,1]
	v_mov_b32_e32 v16, v41
	v_mov_b32_e32 v40, v19
	;; [unrolled: 1-line block ×4, first 2 shown]
	v_pk_add_f32 v[16:17], v[16:17], v[40:41] neg_lo:[0,1] neg_hi:[0,1]
	v_mov_b32_e32 v36, v39
	v_mov_b32_e32 v37, v18
	v_pk_add_f32 v[16:17], v[36:37], v[16:17] neg_lo:[0,1] neg_hi:[0,1]
	v_mov_b32_e32 v44, v42
	v_pk_add_f32 v[18:19], v[44:45], v[16:17]
	v_mov_b32_e32 v36, v19
	v_pk_add_f32 v[36:37], v[18:19], v[36:37]
	v_pk_add_f32 v[38:39], v[20:21], v[36:37]
	v_mov_b32_e32 v19, v38
	v_pk_add_f32 v[40:41], v[18:19], v[42:43] neg_lo:[0,1] neg_hi:[0,1]
	v_mov_b32_e32 v17, v36
	v_sub_f32_e32 v7, v18, v40
	v_pk_add_f32 v[16:17], v[16:17], v[40:41] neg_lo:[0,1] neg_hi:[0,1]
	v_sub_f32_e32 v7, v42, v7
	v_add_f32_e32 v7, v16, v7
	v_cmp_eq_f32_e64 s[12:13], s16, v13
	s_mov_b32 s16, 0x33800000
	v_add_f32_e32 v7, v7, v17
	v_cmp_lt_f32_e64 s[16:17], |v13|, s16
	v_add_f32_e32 v7, v38, v7
	s_or_b64 s[12:13], s[12:13], s[16:17]
	v_cndmask_b32_e64 v7, v7, v13, s[12:13]
	v_add_f32_e32 v36, v6, v7
.LBB90_214:
	s_or_b64 exec, exec, s[14:15]
	v_max_f32_e32 v13, v29, v29
	v_max_f32_e32 v6, v36, v36
	v_min_f32_e32 v7, v6, v13
	v_cmp_u_f32_e64 s[14:15], v36, v36
	v_max_f32_e32 v6, v6, v13
	v_cndmask_b32_e64 v7, v7, v36, s[14:15]
	v_cmp_u_f32_e64 s[12:13], v29, v29
	v_cndmask_b32_e64 v6, v6, v36, s[14:15]
	v_cndmask_b32_e64 v7, v7, v29, s[12:13]
	;; [unrolled: 1-line block ×3, first 2 shown]
	s_movk_i32 s18, 0x1f8
	v_cmp_neq_f32_e64 s[14:15], v7, v6
	v_cmp_class_f32_e64 s[16:17], v7, s18
	s_or_b64 s[14:15], s[14:15], s[16:17]
	s_and_saveexec_b64 s[16:17], s[14:15]
	s_cbranch_execz .LBB90_216
; %bb.215:
	v_sub_f32_e32 v7, v7, v6
	s_mov_b32 s14, 0x3fb8aa3b
	v_mul_f32_e32 v15, 0x3fb8aa3b, v7
	v_fma_f32 v16, v7, s14, -v15
	v_rndne_f32_e32 v17, v15
	v_fmac_f32_e32 v16, 0x32a5705f, v7
	v_sub_f32_e32 v15, v15, v17
	v_add_f32_e32 v15, v15, v16
	v_exp_f32_e32 v15, v15
	v_cvt_i32_f32_e32 v16, v17
	s_mov_b32 s14, 0xc2ce8ed0
	v_cmp_ngt_f32_e64 s[14:15], s14, v7
	s_mov_b32 s19, 0x7f800000
	v_ldexp_f32 v15, v15, v16
	v_cndmask_b32_e64 v15, 0, v15, s[14:15]
	s_mov_b32 s14, 0x42b17218
	v_mov_b32_e32 v16, 0x7f800000
	v_cmp_nlt_f32_e64 s[14:15], s14, v7
	v_cndmask_b32_e64 v15, v16, v15, s[14:15]
	v_add_f32_e32 v7, 1.0, v15
	v_add_f32_e32 v16, -1.0, v7
	v_sub_f32_e32 v17, v16, v7
	v_add_f32_e32 v17, 1.0, v17
	v_sub_f32_e32 v16, v15, v16
	v_add_f32_e32 v18, v16, v17
	v_frexp_mant_f32_e32 v19, v7
	s_mov_b32 s14, 0x3f2aaaab
	v_cvt_f64_f32_e32 v[16:17], v7
	v_frexp_exp_i32_f64_e32 v16, v[16:17]
	v_cmp_gt_f32_e64 s[14:15], s14, v19
	v_subbrev_co_u32_e64 v20, s[14:15], 0, v16, s[14:15]
	v_sub_u32_e32 v16, 0, v20
	v_ldexp_f32 v7, v7, v16
	v_ldexp_f32 v16, v18, v16
	v_add_f32_e32 v18, -1.0, v7
	v_add_f32_e32 v17, 1.0, v18
	v_sub_f32_e32 v17, v7, v17
	v_add_f32_e32 v19, v16, v17
	v_add_f32_e32 v17, 1.0, v7
	v_add_f32_e32 v36, -1.0, v17
	v_sub_f32_e32 v7, v7, v36
	v_add_f32_e32 v7, v16, v7
	v_add_f32_e32 v40, v17, v7
	v_rcp_f32_e32 v41, v40
	v_sub_f32_e32 v16, v17, v40
	v_add_f32_e32 v17, v18, v19
	v_add_f32_e32 v7, v7, v16
	v_mul_f32_e32 v43, v17, v41
	v_sub_f32_e32 v16, v18, v17
	v_mul_f32_e32 v18, v40, v43
	v_fma_f32 v36, v43, v40, -v18
	v_fmac_f32_e32 v36, v43, v7
	v_add_f32_e32 v42, v19, v16
	v_add_f32_e32 v16, v18, v36
	v_sub_f32_e32 v19, v17, v16
	v_pk_add_f32 v[38:39], v[16:17], v[18:19] neg_lo:[0,1] neg_hi:[0,1]
	v_mov_b32_e32 v37, v16
	v_pk_add_f32 v[16:17], v[38:39], v[36:37] neg_lo:[0,1] neg_hi:[0,1]
	v_add_f32_e32 v17, v42, v17
	v_add_f32_e32 v16, v16, v17
	;; [unrolled: 1-line block ×3, first 2 shown]
	v_mul_f32_e32 v42, v41, v17
	v_mul_f32_e32 v18, v40, v42
	v_fma_f32 v36, v42, v40, -v18
	v_fmac_f32_e32 v36, v42, v7
	v_sub_f32_e32 v7, v19, v17
	v_add_f32_e32 v7, v16, v7
	v_add_f32_e32 v16, v18, v36
	v_sub_f32_e32 v19, v17, v16
	v_pk_add_f32 v[38:39], v[16:17], v[18:19] neg_lo:[0,1] neg_hi:[0,1]
	v_mov_b32_e32 v37, v16
	v_pk_add_f32 v[16:17], v[38:39], v[36:37] neg_lo:[0,1] neg_hi:[0,1]
	v_add_f32_e32 v7, v7, v17
	v_add_f32_e32 v7, v16, v7
	v_add_f32_e32 v16, v43, v42
	v_add_f32_e32 v7, v19, v7
	v_sub_f32_e32 v17, v16, v43
	v_mul_f32_e32 v7, v41, v7
	v_sub_f32_e32 v17, v42, v17
	v_add_f32_e32 v7, v17, v7
	v_add_f32_e32 v19, v16, v7
	v_mul_f32_e32 v36, v19, v19
	v_mov_b32_e32 v18, 0x3ecc95a3
	v_fmac_f32_e32 v18, 0x3e9b6dac, v36
	v_mov_b32_e32 v17, 0x3f2aaada
	v_fmac_f32_e32 v17, v36, v18
	v_cvt_f32_i32_e32 v18, v20
	v_sub_f32_e32 v16, v19, v16
	v_sub_f32_e32 v7, v7, v16
	v_ldexp_f32 v37, v19, 1
	v_mul_f32_e32 v19, v19, v36
	v_mov_b32_e32 v16, 0x3f317218
	s_mov_b32 s14, 0x3f317218
	v_pk_mul_f32 v[16:17], v[18:19], v[16:17]
	v_fma_f32 v36, v18, s14, -v16
	v_fmac_f32_e32 v36, 0xb102e308, v18
	v_pk_add_f32 v[18:19], v[16:17], v[36:37]
	v_sub_f32_e32 v20, v19, v37
	v_ldexp_f32 v7, v7, 1
	v_sub_f32_e32 v20, v17, v20
	v_add_f32_e32 v39, v7, v20
	v_mov_b32_e32 v38, v16
	v_pk_add_f32 v[16:17], v[18:19], v[16:17] neg_lo:[0,1] neg_hi:[0,1]
	v_pk_add_f32 v[40:41], v[18:19], v[38:39]
	v_mov_b32_e32 v17, v41
	v_mov_b32_e32 v37, v18
	v_pk_add_f32 v[42:43], v[36:37], v[16:17] neg_lo:[0,1] neg_hi:[0,1]
	v_pk_add_f32 v[16:17], v[36:37], v[16:17]
	v_mov_b32_e32 v20, v17
	v_pk_add_f32 v[36:37], v[20:21], v[18:19] neg_lo:[0,1] neg_hi:[0,1]
	v_mov_b32_e32 v7, v36
	v_pk_add_f32 v[44:45], v[40:41], v[6:7] neg_lo:[0,1] neg_hi:[0,1]
	v_mov_b32_e32 v16, v41
	v_mov_b32_e32 v40, v19
	;; [unrolled: 1-line block ×4, first 2 shown]
	v_pk_add_f32 v[16:17], v[16:17], v[40:41] neg_lo:[0,1] neg_hi:[0,1]
	v_mov_b32_e32 v36, v39
	v_mov_b32_e32 v37, v18
	v_pk_add_f32 v[16:17], v[36:37], v[16:17] neg_lo:[0,1] neg_hi:[0,1]
	v_mov_b32_e32 v44, v42
	v_pk_add_f32 v[18:19], v[44:45], v[16:17]
	v_mov_b32_e32 v36, v19
	v_pk_add_f32 v[36:37], v[18:19], v[36:37]
	v_pk_add_f32 v[38:39], v[20:21], v[36:37]
	v_mov_b32_e32 v19, v38
	v_pk_add_f32 v[40:41], v[18:19], v[42:43] neg_lo:[0,1] neg_hi:[0,1]
	v_mov_b32_e32 v17, v36
	v_sub_f32_e32 v7, v18, v40
	v_pk_add_f32 v[16:17], v[16:17], v[40:41] neg_lo:[0,1] neg_hi:[0,1]
	v_sub_f32_e32 v7, v42, v7
	v_add_f32_e32 v7, v16, v7
	v_cmp_eq_f32_e64 s[14:15], s19, v15
	s_mov_b32 s19, 0x33800000
	v_add_f32_e32 v7, v7, v17
	v_cmp_lt_f32_e64 s[20:21], |v15|, s19
	v_add_f32_e32 v7, v38, v7
	s_or_b64 s[14:15], s[14:15], s[20:21]
	v_cndmask_b32_e64 v7, v7, v15, s[14:15]
	v_add_f32_e32 v36, v6, v7
.LBB90_216:
	s_or_b64 exec, exec, s[16:17]
	v_max_f32_e32 v15, v22, v22
	v_max_f32_e32 v6, v36, v36
	v_min_f32_e32 v7, v6, v15
	v_cmp_u_f32_e64 s[16:17], v36, v36
	v_max_f32_e32 v6, v6, v15
	v_cndmask_b32_e64 v7, v7, v36, s[16:17]
	v_cmp_u_f32_e64 s[14:15], v22, v22
	v_cndmask_b32_e64 v6, v6, v36, s[16:17]
	v_cndmask_b32_e64 v7, v7, v22, s[14:15]
	;; [unrolled: 1-line block ×3, first 2 shown]
	v_cmp_neq_f32_e64 s[16:17], v7, v6
	v_cmp_class_f32_e64 s[18:19], v7, s18
	s_or_b64 s[16:17], s[16:17], s[18:19]
	s_and_saveexec_b64 s[18:19], s[16:17]
	s_cbranch_execz .LBB90_218
; %bb.217:
	v_sub_f32_e32 v7, v7, v6
	s_mov_b32 s16, 0x3fb8aa3b
	v_mul_f32_e32 v16, 0x3fb8aa3b, v7
	v_fma_f32 v17, v7, s16, -v16
	v_rndne_f32_e32 v18, v16
	v_fmac_f32_e32 v17, 0x32a5705f, v7
	v_sub_f32_e32 v16, v16, v18
	v_add_f32_e32 v16, v16, v17
	v_exp_f32_e32 v16, v16
	v_cvt_i32_f32_e32 v17, v18
	s_mov_b32 s16, 0xc2ce8ed0
	v_cmp_ngt_f32_e64 s[16:17], s16, v7
	s_mov_b32 s20, 0x7f800000
	v_ldexp_f32 v16, v16, v17
	v_cndmask_b32_e64 v16, 0, v16, s[16:17]
	s_mov_b32 s16, 0x42b17218
	v_mov_b32_e32 v17, 0x7f800000
	v_cmp_nlt_f32_e64 s[16:17], s16, v7
	v_cndmask_b32_e64 v46, v17, v16, s[16:17]
	v_add_f32_e32 v7, 1.0, v46
	v_add_f32_e32 v16, -1.0, v7
	v_sub_f32_e32 v17, v16, v7
	v_add_f32_e32 v17, 1.0, v17
	v_sub_f32_e32 v16, v46, v16
	v_add_f32_e32 v18, v16, v17
	v_frexp_mant_f32_e32 v19, v7
	s_mov_b32 s16, 0x3f2aaaab
	v_cvt_f64_f32_e32 v[16:17], v7
	v_frexp_exp_i32_f64_e32 v16, v[16:17]
	v_cmp_gt_f32_e64 s[16:17], s16, v19
	v_subbrev_co_u32_e64 v20, s[16:17], 0, v16, s[16:17]
	v_sub_u32_e32 v16, 0, v20
	v_ldexp_f32 v7, v7, v16
	v_ldexp_f32 v16, v18, v16
	v_add_f32_e32 v18, -1.0, v7
	v_add_f32_e32 v17, 1.0, v18
	v_sub_f32_e32 v17, v7, v17
	v_add_f32_e32 v19, v16, v17
	v_add_f32_e32 v17, 1.0, v7
	v_add_f32_e32 v36, -1.0, v17
	v_sub_f32_e32 v7, v7, v36
	v_add_f32_e32 v7, v16, v7
	v_add_f32_e32 v40, v17, v7
	v_rcp_f32_e32 v41, v40
	v_sub_f32_e32 v16, v17, v40
	v_add_f32_e32 v17, v18, v19
	v_add_f32_e32 v7, v7, v16
	v_mul_f32_e32 v43, v17, v41
	v_sub_f32_e32 v16, v18, v17
	v_mul_f32_e32 v18, v40, v43
	v_fma_f32 v36, v43, v40, -v18
	v_fmac_f32_e32 v36, v43, v7
	v_add_f32_e32 v42, v19, v16
	v_add_f32_e32 v16, v18, v36
	v_sub_f32_e32 v19, v17, v16
	v_pk_add_f32 v[38:39], v[16:17], v[18:19] neg_lo:[0,1] neg_hi:[0,1]
	v_mov_b32_e32 v37, v16
	v_pk_add_f32 v[16:17], v[38:39], v[36:37] neg_lo:[0,1] neg_hi:[0,1]
	v_add_f32_e32 v17, v42, v17
	v_add_f32_e32 v16, v16, v17
	;; [unrolled: 1-line block ×3, first 2 shown]
	v_mul_f32_e32 v42, v41, v17
	v_mul_f32_e32 v18, v40, v42
	v_fma_f32 v36, v42, v40, -v18
	v_fmac_f32_e32 v36, v42, v7
	v_sub_f32_e32 v7, v19, v17
	v_add_f32_e32 v7, v16, v7
	v_add_f32_e32 v16, v18, v36
	v_sub_f32_e32 v19, v17, v16
	v_pk_add_f32 v[38:39], v[16:17], v[18:19] neg_lo:[0,1] neg_hi:[0,1]
	v_mov_b32_e32 v37, v16
	v_pk_add_f32 v[16:17], v[38:39], v[36:37] neg_lo:[0,1] neg_hi:[0,1]
	v_add_f32_e32 v7, v7, v17
	v_add_f32_e32 v7, v16, v7
	;; [unrolled: 1-line block ×4, first 2 shown]
	v_sub_f32_e32 v17, v16, v43
	v_mul_f32_e32 v7, v41, v7
	v_sub_f32_e32 v17, v42, v17
	v_add_f32_e32 v7, v17, v7
	v_add_f32_e32 v19, v16, v7
	v_mul_f32_e32 v36, v19, v19
	v_mov_b32_e32 v18, 0x3ecc95a3
	v_fmac_f32_e32 v18, 0x3e9b6dac, v36
	v_mov_b32_e32 v17, 0x3f2aaada
	v_fmac_f32_e32 v17, v36, v18
	v_cvt_f32_i32_e32 v18, v20
	v_sub_f32_e32 v16, v19, v16
	v_sub_f32_e32 v7, v7, v16
	v_ldexp_f32 v37, v19, 1
	v_mul_f32_e32 v19, v19, v36
	v_mov_b32_e32 v16, 0x3f317218
	s_mov_b32 s16, 0x3f317218
	v_pk_mul_f32 v[16:17], v[18:19], v[16:17]
	v_fma_f32 v36, v18, s16, -v16
	v_fmac_f32_e32 v36, 0xb102e308, v18
	v_pk_add_f32 v[18:19], v[16:17], v[36:37]
	v_sub_f32_e32 v20, v19, v37
	v_ldexp_f32 v7, v7, 1
	v_sub_f32_e32 v20, v17, v20
	v_add_f32_e32 v39, v7, v20
	v_mov_b32_e32 v38, v16
	v_pk_add_f32 v[16:17], v[18:19], v[16:17] neg_lo:[0,1] neg_hi:[0,1]
	v_pk_add_f32 v[40:41], v[18:19], v[38:39]
	v_mov_b32_e32 v17, v41
	v_mov_b32_e32 v37, v18
	v_pk_add_f32 v[42:43], v[36:37], v[16:17] neg_lo:[0,1] neg_hi:[0,1]
	v_pk_add_f32 v[16:17], v[36:37], v[16:17]
	v_mov_b32_e32 v20, v17
	v_pk_add_f32 v[36:37], v[20:21], v[18:19] neg_lo:[0,1] neg_hi:[0,1]
	v_mov_b32_e32 v7, v36
	v_pk_add_f32 v[44:45], v[40:41], v[6:7] neg_lo:[0,1] neg_hi:[0,1]
	v_mov_b32_e32 v16, v41
	v_mov_b32_e32 v40, v19
	;; [unrolled: 1-line block ×4, first 2 shown]
	v_pk_add_f32 v[16:17], v[16:17], v[40:41] neg_lo:[0,1] neg_hi:[0,1]
	v_mov_b32_e32 v36, v39
	v_mov_b32_e32 v37, v18
	v_pk_add_f32 v[16:17], v[36:37], v[16:17] neg_lo:[0,1] neg_hi:[0,1]
	v_mov_b32_e32 v44, v42
	v_pk_add_f32 v[18:19], v[44:45], v[16:17]
	v_mov_b32_e32 v36, v19
	v_pk_add_f32 v[36:37], v[18:19], v[36:37]
	v_pk_add_f32 v[38:39], v[20:21], v[36:37]
	v_mov_b32_e32 v19, v38
	v_pk_add_f32 v[40:41], v[18:19], v[42:43] neg_lo:[0,1] neg_hi:[0,1]
	v_mov_b32_e32 v17, v36
	v_sub_f32_e32 v7, v18, v40
	v_pk_add_f32 v[16:17], v[16:17], v[40:41] neg_lo:[0,1] neg_hi:[0,1]
	v_sub_f32_e32 v7, v42, v7
	v_add_f32_e32 v7, v16, v7
	v_cmp_eq_f32_e64 s[16:17], s20, v46
	s_mov_b32 s20, 0x33800000
	v_add_f32_e32 v7, v7, v17
	v_cmp_lt_f32_e64 s[20:21], |v46|, s20
	v_add_f32_e32 v7, v38, v7
	s_or_b64 s[16:17], s[16:17], s[20:21]
	v_cndmask_b32_e64 v7, v7, v46, s[16:17]
	v_add_f32_e32 v36, v6, v7
.LBB90_218:
	s_or_b64 exec, exec, s[18:19]
	v_max_f32_e32 v16, v23, v23
	v_max_f32_e32 v6, v36, v36
	v_min_f32_e32 v7, v6, v16
	v_cmp_u_f32_e64 s[18:19], v36, v36
	v_max_f32_e32 v6, v6, v16
	v_cndmask_b32_e64 v7, v7, v36, s[18:19]
	v_cmp_u_f32_e64 s[16:17], v23, v23
	v_cndmask_b32_e64 v6, v6, v36, s[18:19]
	v_cndmask_b32_e64 v7, v7, v23, s[16:17]
	;; [unrolled: 1-line block ×3, first 2 shown]
	s_movk_i32 s22, 0x1f8
	v_cmp_neq_f32_e64 s[18:19], v7, v6
	v_cmp_class_f32_e64 s[20:21], v7, s22
	s_or_b64 s[18:19], s[18:19], s[20:21]
	s_and_saveexec_b64 s[20:21], s[18:19]
	s_cbranch_execz .LBB90_220
; %bb.219:
	v_sub_f32_e32 v7, v7, v6
	s_mov_b32 s18, 0x3fb8aa3b
	v_mul_f32_e32 v17, 0x3fb8aa3b, v7
	v_fma_f32 v18, v7, s18, -v17
	v_rndne_f32_e32 v19, v17
	v_fmac_f32_e32 v18, 0x32a5705f, v7
	v_sub_f32_e32 v17, v17, v19
	v_add_f32_e32 v17, v17, v18
	v_exp_f32_e32 v17, v17
	v_cvt_i32_f32_e32 v18, v19
	s_mov_b32 s18, 0xc2ce8ed0
	v_cmp_ngt_f32_e64 s[18:19], s18, v7
	s_mov_b32 s23, 0x7f800000
	v_ldexp_f32 v17, v17, v18
	v_cndmask_b32_e64 v17, 0, v17, s[18:19]
	s_mov_b32 s18, 0x42b17218
	v_mov_b32_e32 v18, 0x7f800000
	v_cmp_nlt_f32_e64 s[18:19], s18, v7
	v_cndmask_b32_e64 v17, v18, v17, s[18:19]
	v_add_f32_e32 v7, 1.0, v17
	v_add_f32_e32 v18, -1.0, v7
	v_sub_f32_e32 v19, v18, v7
	v_add_f32_e32 v19, 1.0, v19
	v_sub_f32_e32 v18, v17, v18
	v_add_f32_e32 v20, v18, v19
	v_frexp_mant_f32_e32 v36, v7
	s_mov_b32 s18, 0x3f2aaaab
	v_cvt_f64_f32_e32 v[18:19], v7
	v_frexp_exp_i32_f64_e32 v18, v[18:19]
	v_cmp_gt_f32_e64 s[18:19], s18, v36
	v_subbrev_co_u32_e64 v42, s[18:19], 0, v18, s[18:19]
	v_sub_u32_e32 v18, 0, v42
	v_ldexp_f32 v7, v7, v18
	v_ldexp_f32 v18, v20, v18
	v_add_f32_e32 v20, -1.0, v7
	v_add_f32_e32 v19, 1.0, v20
	v_sub_f32_e32 v19, v7, v19
	v_add_f32_e32 v36, v18, v19
	v_add_f32_e32 v19, 1.0, v7
	v_add_f32_e32 v37, -1.0, v19
	v_sub_f32_e32 v7, v7, v37
	v_add_f32_e32 v7, v18, v7
	v_add_f32_e32 v43, v19, v7
	v_rcp_f32_e32 v44, v43
	v_sub_f32_e32 v18, v19, v43
	v_add_f32_e32 v19, v20, v36
	v_add_f32_e32 v7, v7, v18
	v_sub_f32_e32 v18, v20, v19
	v_mul_f32_e32 v45, v19, v44
	v_add_f32_e32 v20, v36, v18
	v_mul_f32_e32 v36, v43, v45
	v_fma_f32 v38, v45, v43, -v36
	v_fmac_f32_e32 v38, v45, v7
	v_add_f32_e32 v18, v36, v38
	v_sub_f32_e32 v37, v19, v18
	v_pk_add_f32 v[40:41], v[18:19], v[36:37] neg_lo:[0,1] neg_hi:[0,1]
	v_mov_b32_e32 v39, v18
	v_pk_add_f32 v[18:19], v[40:41], v[38:39] neg_lo:[0,1] neg_hi:[0,1]
	v_add_f32_e32 v19, v20, v19
	v_add_f32_e32 v18, v18, v19
	;; [unrolled: 1-line block ×3, first 2 shown]
	v_mul_f32_e32 v20, v44, v19
	v_mul_f32_e32 v36, v43, v20
	v_fma_f32 v38, v20, v43, -v36
	v_fmac_f32_e32 v38, v20, v7
	v_sub_f32_e32 v7, v37, v19
	v_add_f32_e32 v7, v18, v7
	v_add_f32_e32 v18, v36, v38
	v_sub_f32_e32 v37, v19, v18
	v_pk_add_f32 v[40:41], v[18:19], v[36:37] neg_lo:[0,1] neg_hi:[0,1]
	v_mov_b32_e32 v39, v18
	v_pk_add_f32 v[18:19], v[40:41], v[38:39] neg_lo:[0,1] neg_hi:[0,1]
	v_add_f32_e32 v7, v7, v19
	v_add_f32_e32 v7, v18, v7
	v_add_f32_e32 v18, v45, v20
	v_add_f32_e32 v7, v37, v7
	v_sub_f32_e32 v19, v18, v45
	v_mul_f32_e32 v7, v44, v7
	v_sub_f32_e32 v19, v20, v19
	v_add_f32_e32 v7, v19, v7
	v_add_f32_e32 v20, v18, v7
	v_mul_f32_e32 v37, v20, v20
	v_mov_b32_e32 v36, 0x3ecc95a3
	v_fmac_f32_e32 v36, 0x3e9b6dac, v37
	v_mov_b32_e32 v19, 0x3f2aaada
	v_fmac_f32_e32 v19, v37, v36
	v_cvt_f32_i32_e32 v36, v42
	v_sub_f32_e32 v18, v20, v18
	v_sub_f32_e32 v7, v7, v18
	v_mul_f32_e32 v37, v20, v37
	v_mov_b32_e32 v18, 0x3f317218
	s_mov_b32 s18, 0x3f317218
	v_pk_mul_f32 v[18:19], v[36:37], v[18:19]
	v_fma_f32 v38, v36, s18, -v18
	v_ldexp_f32 v39, v20, 1
	v_fmac_f32_e32 v38, 0xb102e308, v36
	v_pk_add_f32 v[36:37], v[18:19], v[38:39]
	v_sub_f32_e32 v20, v37, v39
	v_ldexp_f32 v7, v7, 1
	v_sub_f32_e32 v20, v19, v20
	v_add_f32_e32 v41, v7, v20
	v_mov_b32_e32 v40, v18
	v_pk_add_f32 v[18:19], v[36:37], v[18:19] neg_lo:[0,1] neg_hi:[0,1]
	v_pk_add_f32 v[42:43], v[36:37], v[40:41]
	v_mov_b32_e32 v19, v43
	v_mov_b32_e32 v39, v36
	v_pk_add_f32 v[44:45], v[38:39], v[18:19] neg_lo:[0,1] neg_hi:[0,1]
	v_pk_add_f32 v[18:19], v[38:39], v[18:19]
	v_mov_b32_e32 v20, v19
	v_pk_add_f32 v[38:39], v[20:21], v[36:37] neg_lo:[0,1] neg_hi:[0,1]
	v_mov_b32_e32 v7, v38
	v_pk_add_f32 v[46:47], v[42:43], v[6:7] neg_lo:[0,1] neg_hi:[0,1]
	v_mov_b32_e32 v18, v43
	v_mov_b32_e32 v42, v37
	;; [unrolled: 1-line block ×4, first 2 shown]
	v_pk_add_f32 v[18:19], v[18:19], v[42:43] neg_lo:[0,1] neg_hi:[0,1]
	v_mov_b32_e32 v38, v41
	v_mov_b32_e32 v39, v36
	v_pk_add_f32 v[18:19], v[38:39], v[18:19] neg_lo:[0,1] neg_hi:[0,1]
	v_mov_b32_e32 v46, v44
	v_pk_add_f32 v[36:37], v[46:47], v[18:19]
	v_mov_b32_e32 v38, v37
	v_pk_add_f32 v[38:39], v[36:37], v[38:39]
	v_pk_add_f32 v[40:41], v[20:21], v[38:39]
	v_mov_b32_e32 v37, v40
	v_pk_add_f32 v[42:43], v[36:37], v[44:45] neg_lo:[0,1] neg_hi:[0,1]
	v_mov_b32_e32 v19, v38
	v_sub_f32_e32 v7, v36, v42
	v_pk_add_f32 v[18:19], v[18:19], v[42:43] neg_lo:[0,1] neg_hi:[0,1]
	v_sub_f32_e32 v7, v44, v7
	v_add_f32_e32 v7, v18, v7
	v_cmp_eq_f32_e64 s[18:19], s23, v17
	s_mov_b32 s23, 0x33800000
	v_add_f32_e32 v7, v7, v19
	v_cmp_lt_f32_e64 s[24:25], |v17|, s23
	v_add_f32_e32 v7, v40, v7
	s_or_b64 s[18:19], s[18:19], s[24:25]
	v_cndmask_b32_e64 v7, v7, v17, s[18:19]
	v_add_f32_e32 v36, v6, v7
.LBB90_220:
	s_or_b64 exec, exec, s[20:21]
	v_max_f32_e32 v17, v24, v24
	v_max_f32_e32 v6, v36, v36
	v_min_f32_e32 v7, v6, v17
	v_cmp_u_f32_e64 s[20:21], v36, v36
	v_max_f32_e32 v6, v6, v17
	v_cndmask_b32_e64 v7, v7, v36, s[20:21]
	v_cmp_u_f32_e64 s[18:19], v24, v24
	v_cndmask_b32_e64 v6, v6, v36, s[20:21]
	v_cndmask_b32_e64 v7, v7, v24, s[18:19]
	v_cndmask_b32_e64 v6, v6, v24, s[18:19]
	v_cmp_neq_f32_e64 s[20:21], v7, v6
	v_cmp_class_f32_e64 s[22:23], v7, s22
	s_or_b64 s[20:21], s[20:21], s[22:23]
	s_and_saveexec_b64 s[22:23], s[20:21]
	s_cbranch_execz .LBB90_222
; %bb.221:
	v_sub_f32_e32 v7, v7, v6
	s_mov_b32 s20, 0x3fb8aa3b
	v_mul_f32_e32 v18, 0x3fb8aa3b, v7
	v_fma_f32 v19, v7, s20, -v18
	v_rndne_f32_e32 v20, v18
	v_fmac_f32_e32 v19, 0x32a5705f, v7
	v_sub_f32_e32 v18, v18, v20
	v_add_f32_e32 v18, v18, v19
	v_exp_f32_e32 v18, v18
	v_cvt_i32_f32_e32 v19, v20
	s_mov_b32 s20, 0xc2ce8ed0
	v_cmp_ngt_f32_e64 s[20:21], s20, v7
	s_mov_b32 s24, 0x7f800000
	v_ldexp_f32 v18, v18, v19
	v_cndmask_b32_e64 v18, 0, v18, s[20:21]
	s_mov_b32 s20, 0x42b17218
	v_mov_b32_e32 v19, 0x7f800000
	v_cmp_nlt_f32_e64 s[20:21], s20, v7
	v_cndmask_b32_e64 v48, v19, v18, s[20:21]
	v_add_f32_e32 v7, 1.0, v48
	v_add_f32_e32 v18, -1.0, v7
	v_sub_f32_e32 v19, v18, v7
	v_add_f32_e32 v19, 1.0, v19
	v_sub_f32_e32 v18, v48, v18
	v_add_f32_e32 v20, v18, v19
	v_frexp_mant_f32_e32 v36, v7
	s_mov_b32 s20, 0x3f2aaaab
	v_cvt_f64_f32_e32 v[18:19], v7
	v_frexp_exp_i32_f64_e32 v18, v[18:19]
	v_cmp_gt_f32_e64 s[20:21], s20, v36
	v_subbrev_co_u32_e64 v42, s[20:21], 0, v18, s[20:21]
	v_sub_u32_e32 v18, 0, v42
	v_ldexp_f32 v7, v7, v18
	v_ldexp_f32 v18, v20, v18
	v_add_f32_e32 v20, -1.0, v7
	v_add_f32_e32 v19, 1.0, v20
	v_sub_f32_e32 v19, v7, v19
	v_add_f32_e32 v36, v18, v19
	v_add_f32_e32 v19, 1.0, v7
	v_add_f32_e32 v37, -1.0, v19
	v_sub_f32_e32 v7, v7, v37
	v_add_f32_e32 v7, v18, v7
	v_add_f32_e32 v43, v19, v7
	v_rcp_f32_e32 v44, v43
	v_sub_f32_e32 v18, v19, v43
	v_add_f32_e32 v19, v20, v36
	v_add_f32_e32 v7, v7, v18
	v_sub_f32_e32 v18, v20, v19
	v_mul_f32_e32 v45, v19, v44
	v_add_f32_e32 v20, v36, v18
	v_mul_f32_e32 v36, v43, v45
	v_fma_f32 v38, v45, v43, -v36
	v_fmac_f32_e32 v38, v45, v7
	v_add_f32_e32 v18, v36, v38
	v_sub_f32_e32 v37, v19, v18
	v_pk_add_f32 v[40:41], v[18:19], v[36:37] neg_lo:[0,1] neg_hi:[0,1]
	v_mov_b32_e32 v39, v18
	v_pk_add_f32 v[18:19], v[40:41], v[38:39] neg_lo:[0,1] neg_hi:[0,1]
	v_add_f32_e32 v19, v20, v19
	v_add_f32_e32 v18, v18, v19
	;; [unrolled: 1-line block ×3, first 2 shown]
	v_mul_f32_e32 v20, v44, v19
	v_mul_f32_e32 v36, v43, v20
	v_fma_f32 v38, v20, v43, -v36
	v_fmac_f32_e32 v38, v20, v7
	v_sub_f32_e32 v7, v37, v19
	v_add_f32_e32 v7, v18, v7
	v_add_f32_e32 v18, v36, v38
	v_sub_f32_e32 v37, v19, v18
	v_pk_add_f32 v[40:41], v[18:19], v[36:37] neg_lo:[0,1] neg_hi:[0,1]
	v_mov_b32_e32 v39, v18
	v_pk_add_f32 v[18:19], v[40:41], v[38:39] neg_lo:[0,1] neg_hi:[0,1]
	v_add_f32_e32 v7, v7, v19
	v_add_f32_e32 v7, v18, v7
	;; [unrolled: 1-line block ×4, first 2 shown]
	v_sub_f32_e32 v19, v18, v45
	v_mul_f32_e32 v7, v44, v7
	v_sub_f32_e32 v19, v20, v19
	v_add_f32_e32 v7, v19, v7
	v_add_f32_e32 v20, v18, v7
	v_mul_f32_e32 v37, v20, v20
	v_mov_b32_e32 v36, 0x3ecc95a3
	v_fmac_f32_e32 v36, 0x3e9b6dac, v37
	v_mov_b32_e32 v19, 0x3f2aaada
	v_fmac_f32_e32 v19, v37, v36
	v_cvt_f32_i32_e32 v36, v42
	v_sub_f32_e32 v18, v20, v18
	v_sub_f32_e32 v7, v7, v18
	v_mul_f32_e32 v37, v20, v37
	v_mov_b32_e32 v18, 0x3f317218
	s_mov_b32 s20, 0x3f317218
	v_pk_mul_f32 v[18:19], v[36:37], v[18:19]
	v_fma_f32 v38, v36, s20, -v18
	v_ldexp_f32 v39, v20, 1
	v_fmac_f32_e32 v38, 0xb102e308, v36
	v_pk_add_f32 v[36:37], v[18:19], v[38:39]
	v_sub_f32_e32 v20, v37, v39
	v_ldexp_f32 v7, v7, 1
	v_sub_f32_e32 v20, v19, v20
	v_add_f32_e32 v41, v7, v20
	v_mov_b32_e32 v40, v18
	v_pk_add_f32 v[18:19], v[36:37], v[18:19] neg_lo:[0,1] neg_hi:[0,1]
	v_pk_add_f32 v[42:43], v[36:37], v[40:41]
	v_mov_b32_e32 v19, v43
	v_mov_b32_e32 v39, v36
	v_pk_add_f32 v[44:45], v[38:39], v[18:19] neg_lo:[0,1] neg_hi:[0,1]
	v_pk_add_f32 v[18:19], v[38:39], v[18:19]
	v_mov_b32_e32 v20, v19
	v_pk_add_f32 v[38:39], v[20:21], v[36:37] neg_lo:[0,1] neg_hi:[0,1]
	v_mov_b32_e32 v7, v38
	v_pk_add_f32 v[46:47], v[42:43], v[6:7] neg_lo:[0,1] neg_hi:[0,1]
	v_mov_b32_e32 v18, v43
	v_mov_b32_e32 v42, v37
	;; [unrolled: 1-line block ×4, first 2 shown]
	v_pk_add_f32 v[18:19], v[18:19], v[42:43] neg_lo:[0,1] neg_hi:[0,1]
	v_mov_b32_e32 v38, v41
	v_mov_b32_e32 v39, v36
	v_pk_add_f32 v[18:19], v[38:39], v[18:19] neg_lo:[0,1] neg_hi:[0,1]
	v_mov_b32_e32 v46, v44
	v_pk_add_f32 v[36:37], v[46:47], v[18:19]
	v_mov_b32_e32 v38, v37
	v_pk_add_f32 v[38:39], v[36:37], v[38:39]
	v_pk_add_f32 v[40:41], v[20:21], v[38:39]
	v_mov_b32_e32 v37, v40
	v_pk_add_f32 v[42:43], v[36:37], v[44:45] neg_lo:[0,1] neg_hi:[0,1]
	v_mov_b32_e32 v19, v38
	v_sub_f32_e32 v7, v36, v42
	v_pk_add_f32 v[18:19], v[18:19], v[42:43] neg_lo:[0,1] neg_hi:[0,1]
	v_sub_f32_e32 v7, v44, v7
	v_add_f32_e32 v7, v18, v7
	v_cmp_eq_f32_e64 s[20:21], s24, v48
	s_mov_b32 s24, 0x33800000
	v_add_f32_e32 v7, v7, v19
	v_cmp_lt_f32_e64 s[24:25], |v48|, s24
	v_add_f32_e32 v7, v40, v7
	s_or_b64 s[20:21], s[20:21], s[24:25]
	v_cndmask_b32_e64 v7, v7, v48, s[20:21]
	v_add_f32_e32 v36, v6, v7
.LBB90_222:
	s_or_b64 exec, exec, s[22:23]
	v_max_f32_e32 v18, v25, v25
	v_max_f32_e32 v6, v36, v36
	v_min_f32_e32 v7, v6, v18
	v_cmp_u_f32_e64 s[22:23], v36, v36
	v_max_f32_e32 v6, v6, v18
	v_cndmask_b32_e64 v7, v7, v36, s[22:23]
	v_cmp_u_f32_e64 s[20:21], v25, v25
	v_cndmask_b32_e64 v6, v6, v36, s[22:23]
	v_cndmask_b32_e64 v7, v7, v25, s[20:21]
	v_cndmask_b32_e64 v6, v6, v25, s[20:21]
	s_movk_i32 s30, 0x1f8
	v_cmp_neq_f32_e64 s[22:23], v7, v6
	v_cmp_class_f32_e64 s[24:25], v7, s30
	s_or_b64 s[22:23], s[22:23], s[24:25]
	s_and_saveexec_b64 s[24:25], s[22:23]
	s_cbranch_execz .LBB90_224
; %bb.223:
	v_sub_f32_e32 v7, v7, v6
	s_mov_b32 s22, 0x3fb8aa3b
	v_mul_f32_e32 v19, 0x3fb8aa3b, v7
	v_fma_f32 v20, v7, s22, -v19
	v_rndne_f32_e32 v36, v19
	v_fmac_f32_e32 v20, 0x32a5705f, v7
	v_sub_f32_e32 v19, v19, v36
	v_add_f32_e32 v19, v19, v20
	v_exp_f32_e32 v19, v19
	v_cvt_i32_f32_e32 v20, v36
	s_mov_b32 s22, 0xc2ce8ed0
	v_cmp_ngt_f32_e64 s[22:23], s22, v7
	s_mov_b32 s31, 0x7f800000
	v_ldexp_f32 v19, v19, v20
	v_cndmask_b32_e64 v19, 0, v19, s[22:23]
	s_mov_b32 s22, 0x42b17218
	v_mov_b32_e32 v20, 0x7f800000
	v_cmp_nlt_f32_e64 s[22:23], s22, v7
	v_cndmask_b32_e64 v19, v20, v19, s[22:23]
	v_add_f32_e32 v7, 1.0, v19
	v_add_f32_e32 v20, -1.0, v7
	v_sub_f32_e32 v36, v20, v7
	v_add_f32_e32 v36, 1.0, v36
	v_sub_f32_e32 v20, v19, v20
	v_add_f32_e32 v20, v20, v36
	v_frexp_mant_f32_e32 v38, v7
	s_mov_b32 s22, 0x3f2aaaab
	v_cvt_f64_f32_e32 v[36:37], v7
	v_frexp_exp_i32_f64_e32 v36, v[36:37]
	v_cmp_gt_f32_e64 s[22:23], s22, v38
	v_subbrev_co_u32_e64 v44, s[22:23], 0, v36, s[22:23]
	v_sub_u32_e32 v36, 0, v44
	v_ldexp_f32 v7, v7, v36
	v_ldexp_f32 v20, v20, v36
	v_add_f32_e32 v36, -1.0, v7
	v_add_f32_e32 v37, 1.0, v36
	v_sub_f32_e32 v37, v7, v37
	v_add_f32_e32 v38, v20, v37
	v_add_f32_e32 v37, 1.0, v7
	v_add_f32_e32 v39, -1.0, v37
	v_sub_f32_e32 v7, v7, v39
	v_add_f32_e32 v7, v20, v7
	v_add_f32_e32 v20, v37, v7
	v_rcp_f32_e32 v45, v20
	v_sub_f32_e32 v37, v37, v20
	v_add_f32_e32 v7, v7, v37
	v_add_f32_e32 v37, v36, v38
	v_sub_f32_e32 v36, v36, v37
	v_mul_f32_e32 v47, v37, v45
	v_add_f32_e32 v46, v38, v36
	v_mul_f32_e32 v38, v20, v47
	v_fma_f32 v40, v47, v20, -v38
	v_fmac_f32_e32 v40, v47, v7
	v_add_f32_e32 v36, v38, v40
	v_sub_f32_e32 v39, v37, v36
	v_pk_add_f32 v[42:43], v[36:37], v[38:39] neg_lo:[0,1] neg_hi:[0,1]
	v_mov_b32_e32 v41, v36
	v_pk_add_f32 v[36:37], v[42:43], v[40:41] neg_lo:[0,1] neg_hi:[0,1]
	v_add_f32_e32 v37, v46, v37
	v_add_f32_e32 v36, v36, v37
	;; [unrolled: 1-line block ×3, first 2 shown]
	v_mul_f32_e32 v46, v45, v37
	v_mul_f32_e32 v38, v20, v46
	v_fma_f32 v40, v46, v20, -v38
	v_fmac_f32_e32 v40, v46, v7
	v_sub_f32_e32 v7, v39, v37
	v_add_f32_e32 v7, v36, v7
	v_add_f32_e32 v36, v38, v40
	v_sub_f32_e32 v39, v37, v36
	v_pk_add_f32 v[42:43], v[36:37], v[38:39] neg_lo:[0,1] neg_hi:[0,1]
	v_mov_b32_e32 v41, v36
	v_pk_add_f32 v[36:37], v[42:43], v[40:41] neg_lo:[0,1] neg_hi:[0,1]
	v_add_f32_e32 v7, v7, v37
	v_add_f32_e32 v7, v36, v7
	;; [unrolled: 1-line block ×4, first 2 shown]
	v_sub_f32_e32 v36, v20, v47
	v_mul_f32_e32 v7, v45, v7
	v_sub_f32_e32 v36, v46, v36
	v_add_f32_e32 v7, v36, v7
	v_add_f32_e32 v36, v20, v7
	v_mul_f32_e32 v39, v36, v36
	v_mov_b32_e32 v38, 0x3ecc95a3
	v_fmac_f32_e32 v38, 0x3e9b6dac, v39
	v_mov_b32_e32 v37, 0x3f2aaada
	v_fmac_f32_e32 v37, v39, v38
	v_cvt_f32_i32_e32 v38, v44
	v_sub_f32_e32 v20, v36, v20
	v_ldexp_f32 v41, v36, 1
	v_mul_f32_e32 v39, v36, v39
	v_mov_b32_e32 v36, 0x3f317218
	s_mov_b32 s22, 0x3f317218
	v_pk_mul_f32 v[36:37], v[38:39], v[36:37]
	v_fma_f32 v40, v38, s22, -v36
	v_fmac_f32_e32 v40, 0xb102e308, v38
	v_pk_add_f32 v[38:39], v[36:37], v[40:41]
	v_sub_f32_e32 v7, v7, v20
	v_sub_f32_e32 v20, v39, v41
	v_ldexp_f32 v7, v7, 1
	v_sub_f32_e32 v20, v37, v20
	v_add_f32_e32 v43, v7, v20
	v_mov_b32_e32 v42, v36
	v_pk_add_f32 v[36:37], v[38:39], v[36:37] neg_lo:[0,1] neg_hi:[0,1]
	v_pk_add_f32 v[44:45], v[38:39], v[42:43]
	v_mov_b32_e32 v37, v45
	v_mov_b32_e32 v41, v38
	v_pk_add_f32 v[46:47], v[40:41], v[36:37] neg_lo:[0,1] neg_hi:[0,1]
	v_pk_add_f32 v[36:37], v[40:41], v[36:37]
	v_mov_b32_e32 v20, v37
	v_pk_add_f32 v[40:41], v[20:21], v[38:39] neg_lo:[0,1] neg_hi:[0,1]
	v_mov_b32_e32 v7, v40
	v_pk_add_f32 v[48:49], v[44:45], v[6:7] neg_lo:[0,1] neg_hi:[0,1]
	v_mov_b32_e32 v36, v45
	v_mov_b32_e32 v44, v39
	;; [unrolled: 1-line block ×4, first 2 shown]
	v_pk_add_f32 v[36:37], v[36:37], v[44:45] neg_lo:[0,1] neg_hi:[0,1]
	v_mov_b32_e32 v40, v43
	v_mov_b32_e32 v41, v38
	v_pk_add_f32 v[36:37], v[40:41], v[36:37] neg_lo:[0,1] neg_hi:[0,1]
	v_mov_b32_e32 v48, v46
	v_pk_add_f32 v[38:39], v[48:49], v[36:37]
	v_mov_b32_e32 v40, v39
	v_pk_add_f32 v[40:41], v[38:39], v[40:41]
	v_pk_add_f32 v[42:43], v[20:21], v[40:41]
	v_mov_b32_e32 v39, v42
	v_pk_add_f32 v[44:45], v[38:39], v[46:47] neg_lo:[0,1] neg_hi:[0,1]
	v_mov_b32_e32 v37, v40
	v_sub_f32_e32 v7, v38, v44
	v_pk_add_f32 v[36:37], v[36:37], v[44:45] neg_lo:[0,1] neg_hi:[0,1]
	v_sub_f32_e32 v7, v46, v7
	v_add_f32_e32 v7, v36, v7
	v_cmp_eq_f32_e64 s[22:23], s31, v19
	s_mov_b32 s31, 0x33800000
	v_add_f32_e32 v7, v7, v37
	v_cmp_lt_f32_e64 s[34:35], |v19|, s31
	v_add_f32_e32 v7, v42, v7
	s_or_b64 s[22:23], s[22:23], s[34:35]
	v_cndmask_b32_e64 v7, v7, v19, s[22:23]
	v_add_f32_e32 v36, v6, v7
.LBB90_224:
	s_or_b64 exec, exec, s[24:25]
	v_max_f32_e32 v19, v30, v30
	v_max_f32_e32 v6, v36, v36
	v_min_f32_e32 v7, v6, v19
	v_cmp_u_f32_e64 s[24:25], v36, v36
	v_max_f32_e32 v6, v6, v19
	v_cndmask_b32_e64 v7, v7, v36, s[24:25]
	v_cmp_u_f32_e64 s[22:23], v30, v30
	v_cndmask_b32_e64 v6, v6, v36, s[24:25]
	v_cndmask_b32_e64 v7, v7, v30, s[22:23]
	;; [unrolled: 1-line block ×3, first 2 shown]
	v_cmp_neq_f32_e64 s[24:25], v7, v6
	v_cmp_class_f32_e64 s[30:31], v7, s30
	s_or_b64 s[24:25], s[24:25], s[30:31]
	s_and_saveexec_b64 s[30:31], s[24:25]
	s_cbranch_execz .LBB90_226
; %bb.225:
	v_sub_f32_e32 v7, v7, v6
	s_mov_b32 s24, 0x3fb8aa3b
	v_mul_f32_e32 v20, 0x3fb8aa3b, v7
	v_fma_f32 v36, v7, s24, -v20
	v_rndne_f32_e32 v37, v20
	v_fmac_f32_e32 v36, 0x32a5705f, v7
	v_sub_f32_e32 v20, v20, v37
	v_add_f32_e32 v20, v20, v36
	v_exp_f32_e32 v20, v20
	v_cvt_i32_f32_e32 v36, v37
	s_mov_b32 s24, 0xc2ce8ed0
	v_cmp_ngt_f32_e64 s[24:25], s24, v7
	s_mov_b32 s34, 0x7f800000
	v_ldexp_f32 v20, v20, v36
	v_cndmask_b32_e64 v20, 0, v20, s[24:25]
	s_mov_b32 s24, 0x42b17218
	v_mov_b32_e32 v36, 0x7f800000
	v_cmp_nlt_f32_e64 s[24:25], s24, v7
	v_cndmask_b32_e64 v50, v36, v20, s[24:25]
	v_add_f32_e32 v7, 1.0, v50
	v_add_f32_e32 v20, -1.0, v7
	v_sub_f32_e32 v36, v20, v7
	v_add_f32_e32 v36, 1.0, v36
	v_sub_f32_e32 v20, v50, v20
	v_add_f32_e32 v20, v20, v36
	v_frexp_mant_f32_e32 v38, v7
	s_mov_b32 s24, 0x3f2aaaab
	v_cvt_f64_f32_e32 v[36:37], v7
	v_frexp_exp_i32_f64_e32 v36, v[36:37]
	v_cmp_gt_f32_e64 s[24:25], s24, v38
	v_subbrev_co_u32_e64 v44, s[24:25], 0, v36, s[24:25]
	v_sub_u32_e32 v36, 0, v44
	v_ldexp_f32 v7, v7, v36
	v_ldexp_f32 v20, v20, v36
	v_add_f32_e32 v36, -1.0, v7
	v_add_f32_e32 v37, 1.0, v36
	v_sub_f32_e32 v37, v7, v37
	v_add_f32_e32 v38, v20, v37
	v_add_f32_e32 v37, 1.0, v7
	v_add_f32_e32 v39, -1.0, v37
	v_sub_f32_e32 v7, v7, v39
	v_add_f32_e32 v7, v20, v7
	v_add_f32_e32 v20, v37, v7
	v_rcp_f32_e32 v45, v20
	v_sub_f32_e32 v37, v37, v20
	v_add_f32_e32 v7, v7, v37
	v_add_f32_e32 v37, v36, v38
	v_sub_f32_e32 v36, v36, v37
	v_mul_f32_e32 v47, v37, v45
	v_add_f32_e32 v46, v38, v36
	v_mul_f32_e32 v38, v20, v47
	v_fma_f32 v40, v47, v20, -v38
	v_fmac_f32_e32 v40, v47, v7
	v_add_f32_e32 v36, v38, v40
	v_sub_f32_e32 v39, v37, v36
	v_pk_add_f32 v[42:43], v[36:37], v[38:39] neg_lo:[0,1] neg_hi:[0,1]
	v_mov_b32_e32 v41, v36
	v_pk_add_f32 v[36:37], v[42:43], v[40:41] neg_lo:[0,1] neg_hi:[0,1]
	v_add_f32_e32 v37, v46, v37
	v_add_f32_e32 v36, v36, v37
	;; [unrolled: 1-line block ×3, first 2 shown]
	v_mul_f32_e32 v46, v45, v37
	v_mul_f32_e32 v38, v20, v46
	v_fma_f32 v40, v46, v20, -v38
	v_fmac_f32_e32 v40, v46, v7
	v_sub_f32_e32 v7, v39, v37
	v_add_f32_e32 v7, v36, v7
	v_add_f32_e32 v36, v38, v40
	v_sub_f32_e32 v39, v37, v36
	v_pk_add_f32 v[42:43], v[36:37], v[38:39] neg_lo:[0,1] neg_hi:[0,1]
	v_mov_b32_e32 v41, v36
	v_pk_add_f32 v[36:37], v[42:43], v[40:41] neg_lo:[0,1] neg_hi:[0,1]
	v_add_f32_e32 v7, v7, v37
	v_add_f32_e32 v7, v36, v7
	;; [unrolled: 1-line block ×4, first 2 shown]
	v_sub_f32_e32 v36, v20, v47
	v_mul_f32_e32 v7, v45, v7
	v_sub_f32_e32 v36, v46, v36
	v_add_f32_e32 v7, v36, v7
	v_add_f32_e32 v36, v20, v7
	v_mul_f32_e32 v39, v36, v36
	v_mov_b32_e32 v38, 0x3ecc95a3
	v_fmac_f32_e32 v38, 0x3e9b6dac, v39
	v_mov_b32_e32 v37, 0x3f2aaada
	v_fmac_f32_e32 v37, v39, v38
	v_cvt_f32_i32_e32 v38, v44
	v_sub_f32_e32 v20, v36, v20
	v_ldexp_f32 v41, v36, 1
	v_mul_f32_e32 v39, v36, v39
	v_mov_b32_e32 v36, 0x3f317218
	s_mov_b32 s24, 0x3f317218
	v_pk_mul_f32 v[36:37], v[38:39], v[36:37]
	v_fma_f32 v40, v38, s24, -v36
	v_fmac_f32_e32 v40, 0xb102e308, v38
	v_pk_add_f32 v[38:39], v[36:37], v[40:41]
	v_sub_f32_e32 v7, v7, v20
	v_sub_f32_e32 v20, v39, v41
	v_ldexp_f32 v7, v7, 1
	v_sub_f32_e32 v20, v37, v20
	v_add_f32_e32 v43, v7, v20
	v_mov_b32_e32 v42, v36
	v_pk_add_f32 v[36:37], v[38:39], v[36:37] neg_lo:[0,1] neg_hi:[0,1]
	v_pk_add_f32 v[44:45], v[38:39], v[42:43]
	v_mov_b32_e32 v37, v45
	v_mov_b32_e32 v41, v38
	v_pk_add_f32 v[46:47], v[40:41], v[36:37] neg_lo:[0,1] neg_hi:[0,1]
	v_pk_add_f32 v[36:37], v[40:41], v[36:37]
	v_mov_b32_e32 v20, v37
	v_pk_add_f32 v[40:41], v[20:21], v[38:39] neg_lo:[0,1] neg_hi:[0,1]
	v_mov_b32_e32 v7, v40
	v_pk_add_f32 v[48:49], v[44:45], v[6:7] neg_lo:[0,1] neg_hi:[0,1]
	v_mov_b32_e32 v36, v45
	v_mov_b32_e32 v44, v39
	;; [unrolled: 1-line block ×4, first 2 shown]
	v_pk_add_f32 v[36:37], v[36:37], v[44:45] neg_lo:[0,1] neg_hi:[0,1]
	v_mov_b32_e32 v40, v43
	v_mov_b32_e32 v41, v38
	v_pk_add_f32 v[36:37], v[40:41], v[36:37] neg_lo:[0,1] neg_hi:[0,1]
	v_mov_b32_e32 v48, v46
	v_pk_add_f32 v[38:39], v[48:49], v[36:37]
	v_mov_b32_e32 v40, v39
	v_pk_add_f32 v[40:41], v[38:39], v[40:41]
	v_pk_add_f32 v[42:43], v[20:21], v[40:41]
	v_mov_b32_e32 v39, v42
	v_pk_add_f32 v[44:45], v[38:39], v[46:47] neg_lo:[0,1] neg_hi:[0,1]
	v_mov_b32_e32 v37, v40
	v_sub_f32_e32 v7, v38, v44
	v_pk_add_f32 v[36:37], v[36:37], v[44:45] neg_lo:[0,1] neg_hi:[0,1]
	v_sub_f32_e32 v7, v46, v7
	v_add_f32_e32 v7, v36, v7
	v_cmp_eq_f32_e64 s[24:25], s34, v50
	s_mov_b32 s34, 0x33800000
	v_add_f32_e32 v7, v7, v37
	v_cmp_lt_f32_e64 s[34:35], |v50|, s34
	v_add_f32_e32 v7, v42, v7
	s_or_b64 s[24:25], s[24:25], s[34:35]
	v_cndmask_b32_e64 v7, v7, v50, s[24:25]
	v_add_f32_e32 v36, v6, v7
.LBB90_226:
	s_or_b64 exec, exec, s[30:31]
	v_max_f32_e32 v20, v31, v31
	v_max_f32_e32 v6, v36, v36
	v_min_f32_e32 v7, v6, v20
	v_cmp_u_f32_e64 s[30:31], v36, v36
	v_max_f32_e32 v6, v6, v20
	v_cndmask_b32_e64 v7, v7, v36, s[30:31]
	v_cmp_u_f32_e64 s[24:25], v31, v31
	v_cndmask_b32_e64 v6, v6, v36, s[30:31]
	v_cndmask_b32_e64 v7, v7, v31, s[24:25]
	;; [unrolled: 1-line block ×3, first 2 shown]
	s_movk_i32 s34, 0x1f8
	v_cmp_neq_f32_e64 s[30:31], v7, v6
	v_cmp_class_f32_e64 s[34:35], v7, s34
	s_or_b64 s[30:31], s[30:31], s[34:35]
	s_and_saveexec_b64 s[34:35], s[30:31]
	s_cbranch_execz .LBB90_228
; %bb.227:
	v_sub_f32_e32 v7, v7, v6
	s_mov_b32 s30, 0x3fb8aa3b
	v_mul_f32_e32 v36, 0x3fb8aa3b, v7
	v_fma_f32 v37, v7, s30, -v36
	v_rndne_f32_e32 v38, v36
	v_fmac_f32_e32 v37, 0x32a5705f, v7
	v_sub_f32_e32 v36, v36, v38
	v_add_f32_e32 v36, v36, v37
	v_exp_f32_e32 v36, v36
	v_cvt_i32_f32_e32 v37, v38
	s_mov_b32 s30, 0xc2ce8ed0
	v_cmp_ngt_f32_e64 s[30:31], s30, v7
	s_mov_b32 s36, 0x7f800000
	v_ldexp_f32 v36, v36, v37
	v_cndmask_b32_e64 v36, 0, v36, s[30:31]
	s_mov_b32 s30, 0x42b17218
	v_mov_b32_e32 v37, 0x7f800000
	v_cmp_nlt_f32_e64 s[30:31], s30, v7
	v_cndmask_b32_e64 v52, v37, v36, s[30:31]
	v_add_f32_e32 v7, 1.0, v52
	v_add_f32_e32 v36, -1.0, v7
	v_sub_f32_e32 v37, v36, v7
	v_add_f32_e32 v37, 1.0, v37
	v_sub_f32_e32 v36, v52, v36
	v_add_f32_e32 v38, v36, v37
	v_frexp_mant_f32_e32 v39, v7
	s_mov_b32 s30, 0x3f2aaaab
	v_cvt_f64_f32_e32 v[36:37], v7
	v_frexp_exp_i32_f64_e32 v36, v[36:37]
	v_cmp_gt_f32_e64 s[30:31], s30, v39
	v_subbrev_co_u32_e64 v44, s[30:31], 0, v36, s[30:31]
	v_sub_u32_e32 v36, 0, v44
	v_ldexp_f32 v7, v7, v36
	v_ldexp_f32 v36, v38, v36
	v_add_f32_e32 v38, -1.0, v7
	v_add_f32_e32 v37, 1.0, v38
	v_sub_f32_e32 v37, v7, v37
	v_add_f32_e32 v39, v36, v37
	v_add_f32_e32 v37, 1.0, v7
	v_add_f32_e32 v40, -1.0, v37
	v_sub_f32_e32 v7, v7, v40
	v_add_f32_e32 v7, v36, v7
	v_add_f32_e32 v45, v37, v7
	v_rcp_f32_e32 v46, v45
	v_sub_f32_e32 v36, v37, v45
	v_add_f32_e32 v37, v38, v39
	v_add_f32_e32 v7, v7, v36
	v_mul_f32_e32 v48, v37, v46
	v_sub_f32_e32 v36, v38, v37
	v_mul_f32_e32 v38, v45, v48
	v_fma_f32 v40, v48, v45, -v38
	v_fmac_f32_e32 v40, v48, v7
	v_add_f32_e32 v47, v39, v36
	v_add_f32_e32 v36, v38, v40
	v_sub_f32_e32 v39, v37, v36
	v_pk_add_f32 v[42:43], v[36:37], v[38:39] neg_lo:[0,1] neg_hi:[0,1]
	v_mov_b32_e32 v41, v36
	v_pk_add_f32 v[36:37], v[42:43], v[40:41] neg_lo:[0,1] neg_hi:[0,1]
	v_add_f32_e32 v37, v47, v37
	v_add_f32_e32 v36, v36, v37
	;; [unrolled: 1-line block ×3, first 2 shown]
	v_mul_f32_e32 v47, v46, v37
	v_mul_f32_e32 v38, v45, v47
	v_fma_f32 v40, v47, v45, -v38
	v_fmac_f32_e32 v40, v47, v7
	v_sub_f32_e32 v7, v39, v37
	v_add_f32_e32 v7, v36, v7
	v_add_f32_e32 v36, v38, v40
	v_sub_f32_e32 v39, v37, v36
	v_pk_add_f32 v[42:43], v[36:37], v[38:39] neg_lo:[0,1] neg_hi:[0,1]
	v_mov_b32_e32 v41, v36
	v_pk_add_f32 v[36:37], v[42:43], v[40:41] neg_lo:[0,1] neg_hi:[0,1]
	v_add_f32_e32 v7, v7, v37
	v_add_f32_e32 v7, v36, v7
	v_add_f32_e32 v36, v48, v47
	v_add_f32_e32 v7, v39, v7
	v_sub_f32_e32 v37, v36, v48
	v_mul_f32_e32 v7, v46, v7
	v_sub_f32_e32 v37, v47, v37
	v_add_f32_e32 v7, v37, v7
	v_add_f32_e32 v39, v36, v7
	v_mul_f32_e32 v40, v39, v39
	v_mov_b32_e32 v38, 0x3ecc95a3
	v_fmac_f32_e32 v38, 0x3e9b6dac, v40
	v_mov_b32_e32 v37, 0x3f2aaada
	v_fmac_f32_e32 v37, v40, v38
	v_cvt_f32_i32_e32 v38, v44
	v_sub_f32_e32 v36, v39, v36
	v_sub_f32_e32 v7, v7, v36
	v_ldexp_f32 v41, v39, 1
	v_mul_f32_e32 v39, v39, v40
	v_mov_b32_e32 v36, 0x3f317218
	s_mov_b32 s30, 0x3f317218
	v_pk_mul_f32 v[36:37], v[38:39], v[36:37]
	v_fma_f32 v40, v38, s30, -v36
	v_fmac_f32_e32 v40, 0xb102e308, v38
	v_pk_add_f32 v[38:39], v[36:37], v[40:41]
	v_sub_f32_e32 v41, v39, v41
	v_ldexp_f32 v7, v7, 1
	v_sub_f32_e32 v41, v37, v41
	v_add_f32_e32 v43, v7, v41
	v_mov_b32_e32 v42, v36
	v_pk_add_f32 v[36:37], v[38:39], v[36:37] neg_lo:[0,1] neg_hi:[0,1]
	v_pk_add_f32 v[44:45], v[38:39], v[42:43]
	v_mov_b32_e32 v37, v45
	v_mov_b32_e32 v41, v38
	v_pk_add_f32 v[46:47], v[40:41], v[36:37] neg_lo:[0,1] neg_hi:[0,1]
	v_pk_add_f32 v[36:37], v[40:41], v[36:37]
	v_mov_b32_e32 v40, v37
	v_pk_add_f32 v[48:49], v[40:41], v[38:39] neg_lo:[0,1] neg_hi:[0,1]
	v_mov_b32_e32 v7, v48
	v_pk_add_f32 v[50:51], v[44:45], v[6:7] neg_lo:[0,1] neg_hi:[0,1]
	v_mov_b32_e32 v36, v45
	v_mov_b32_e32 v44, v39
	v_mov_b32_e32 v45, v48
	v_mov_b32_e32 v47, v37
	v_pk_add_f32 v[36:37], v[36:37], v[44:45] neg_lo:[0,1] neg_hi:[0,1]
	v_mov_b32_e32 v42, v43
	v_mov_b32_e32 v43, v38
	v_pk_add_f32 v[36:37], v[42:43], v[36:37] neg_lo:[0,1] neg_hi:[0,1]
	v_mov_b32_e32 v50, v46
	v_pk_add_f32 v[38:39], v[50:51], v[36:37]
	v_mov_b32_e32 v42, v39
	v_pk_add_f32 v[42:43], v[38:39], v[42:43]
	v_pk_add_f32 v[40:41], v[40:41], v[42:43]
	v_mov_b32_e32 v39, v40
	v_pk_add_f32 v[44:45], v[38:39], v[46:47] neg_lo:[0,1] neg_hi:[0,1]
	v_mov_b32_e32 v37, v42
	v_sub_f32_e32 v7, v38, v44
	v_pk_add_f32 v[36:37], v[36:37], v[44:45] neg_lo:[0,1] neg_hi:[0,1]
	v_sub_f32_e32 v7, v46, v7
	v_add_f32_e32 v7, v36, v7
	v_cmp_eq_f32_e64 s[30:31], s36, v52
	s_mov_b32 s36, 0x33800000
	v_add_f32_e32 v7, v7, v37
	v_cmp_lt_f32_e64 s[36:37], |v52|, s36
	v_add_f32_e32 v7, v40, v7
	s_or_b64 s[30:31], s[30:31], s[36:37]
	v_cndmask_b32_e64 v7, v7, v52, s[30:31]
	v_add_f32_e32 v36, v6, v7
.LBB90_228:
	s_or_b64 exec, exec, s[34:35]
	v_lshrrev_b32_e32 v6, 5, v0
	v_add_lshl_u32 v6, v6, v0, 2
	v_cmp_gt_u32_e64 s[30:31], 64, v0
	ds_write_b32 v6, v36
	s_waitcnt lgkmcnt(0)
	s_barrier
	s_and_saveexec_b64 s[40:41], s[30:31]
	s_cbranch_execz .LBB90_260
; %bb.229:
	v_lshlrev_b32_e32 v6, 1, v0
	v_lshrrev_b32_e32 v7, 4, v0
	v_add_lshl_u32 v37, v7, v6, 2
	ds_read2_b32 v[6:7], v37 offset1:1
	s_movk_i32 s36, 0x1f8
	s_waitcnt lgkmcnt(0)
	v_max_f32_e32 v40, v7, v7
	v_max_f32_e32 v38, v6, v6
	v_min_f32_e32 v39, v38, v40
	v_cmp_u_f32_e64 s[30:31], v6, v6
	v_max_f32_e32 v40, v38, v40
	v_cndmask_b32_e64 v39, v39, v6, s[30:31]
	v_cmp_u_f32_e64 s[34:35], v7, v7
	v_cndmask_b32_e64 v40, v40, v6, s[30:31]
	v_cndmask_b32_e64 v39, v39, v7, s[34:35]
	;; [unrolled: 1-line block ×3, first 2 shown]
	v_cmp_neq_f32_e64 s[34:35], v39, v7
	v_cmp_class_f32_e64 s[36:37], v39, s36
	s_or_b64 s[34:35], s[34:35], s[36:37]
	v_mov_b32_e32 v40, v6
	s_and_saveexec_b64 s[36:37], s[34:35]
	s_cbranch_execz .LBB90_231
; %bb.230:
	v_sub_f32_e32 v39, v39, v7
	s_mov_b32 s34, 0x3fb8aa3b
	v_mul_f32_e32 v40, 0x3fb8aa3b, v39
	v_fma_f32 v41, v39, s34, -v40
	v_rndne_f32_e32 v42, v40
	v_fmac_f32_e32 v41, 0x32a5705f, v39
	v_sub_f32_e32 v40, v40, v42
	v_add_f32_e32 v40, v40, v41
	v_exp_f32_e32 v40, v40
	v_cvt_i32_f32_e32 v41, v42
	s_mov_b32 s34, 0xc2ce8ed0
	v_cmp_ngt_f32_e64 s[34:35], s34, v39
	s_mov_b32 s54, 0x7f800000
	v_ldexp_f32 v40, v40, v41
	v_cndmask_b32_e64 v40, 0, v40, s[34:35]
	s_mov_b32 s34, 0x42b17218
	v_mov_b32_e32 v41, 0x7f800000
	v_cmp_nlt_f32_e64 s[34:35], s34, v39
	v_cndmask_b32_e64 v56, v41, v40, s[34:35]
	v_add_f32_e32 v39, 1.0, v56
	v_add_f32_e32 v40, -1.0, v39
	v_sub_f32_e32 v41, v40, v39
	v_add_f32_e32 v41, 1.0, v41
	v_sub_f32_e32 v40, v56, v40
	v_add_f32_e32 v42, v40, v41
	v_frexp_mant_f32_e32 v43, v39
	s_mov_b32 s34, 0x3f2aaaab
	v_cvt_f64_f32_e32 v[40:41], v39
	v_frexp_exp_i32_f64_e32 v40, v[40:41]
	v_cmp_gt_f32_e64 s[34:35], s34, v43
	v_subbrev_co_u32_e64 v48, s[34:35], 0, v40, s[34:35]
	v_sub_u32_e32 v40, 0, v48
	v_ldexp_f32 v39, v39, v40
	v_ldexp_f32 v40, v42, v40
	v_add_f32_e32 v42, -1.0, v39
	v_add_f32_e32 v41, 1.0, v42
	v_sub_f32_e32 v41, v39, v41
	v_add_f32_e32 v43, v40, v41
	v_add_f32_e32 v41, 1.0, v39
	v_add_f32_e32 v44, -1.0, v41
	v_sub_f32_e32 v39, v39, v44
	v_add_f32_e32 v39, v40, v39
	v_add_f32_e32 v49, v41, v39
	v_rcp_f32_e32 v50, v49
	v_sub_f32_e32 v40, v41, v49
	v_add_f32_e32 v41, v42, v43
	v_add_f32_e32 v39, v39, v40
	v_mul_f32_e32 v52, v41, v50
	v_sub_f32_e32 v40, v42, v41
	v_mul_f32_e32 v42, v49, v52
	v_fma_f32 v44, v52, v49, -v42
	v_fmac_f32_e32 v44, v52, v39
	v_add_f32_e32 v51, v43, v40
	v_add_f32_e32 v40, v42, v44
	v_sub_f32_e32 v43, v41, v40
	v_pk_add_f32 v[46:47], v[40:41], v[42:43] neg_lo:[0,1] neg_hi:[0,1]
	v_mov_b32_e32 v45, v40
	v_pk_add_f32 v[40:41], v[46:47], v[44:45] neg_lo:[0,1] neg_hi:[0,1]
	v_add_f32_e32 v41, v51, v41
	v_add_f32_e32 v40, v40, v41
	v_add_f32_e32 v41, v43, v40
	v_mul_f32_e32 v51, v50, v41
	v_mul_f32_e32 v42, v49, v51
	v_fma_f32 v44, v51, v49, -v42
	v_fmac_f32_e32 v44, v51, v39
	v_sub_f32_e32 v39, v43, v41
	v_add_f32_e32 v39, v40, v39
	v_add_f32_e32 v40, v42, v44
	v_sub_f32_e32 v43, v41, v40
	v_pk_add_f32 v[46:47], v[40:41], v[42:43] neg_lo:[0,1] neg_hi:[0,1]
	v_mov_b32_e32 v45, v40
	v_pk_add_f32 v[40:41], v[46:47], v[44:45] neg_lo:[0,1] neg_hi:[0,1]
	v_add_f32_e32 v39, v39, v41
	v_add_f32_e32 v39, v40, v39
	;; [unrolled: 1-line block ×4, first 2 shown]
	v_sub_f32_e32 v41, v40, v52
	v_mul_f32_e32 v39, v50, v39
	v_sub_f32_e32 v41, v51, v41
	v_add_f32_e32 v39, v41, v39
	v_add_f32_e32 v43, v40, v39
	v_mul_f32_e32 v44, v43, v43
	v_mov_b32_e32 v42, 0x3ecc95a3
	v_fmac_f32_e32 v42, 0x3e9b6dac, v44
	v_mov_b32_e32 v41, 0x3f2aaada
	v_fmac_f32_e32 v41, v44, v42
	v_cvt_f32_i32_e32 v42, v48
	v_sub_f32_e32 v40, v43, v40
	v_sub_f32_e32 v39, v39, v40
	v_ldexp_f32 v45, v43, 1
	v_mul_f32_e32 v43, v43, v44
	v_mov_b32_e32 v40, 0x3f317218
	s_mov_b32 s34, 0x3f317218
	v_pk_mul_f32 v[40:41], v[42:43], v[40:41]
	v_fma_f32 v44, v42, s34, -v40
	v_fmac_f32_e32 v44, 0xb102e308, v42
	v_pk_add_f32 v[42:43], v[40:41], v[44:45]
	v_sub_f32_e32 v45, v43, v45
	v_ldexp_f32 v39, v39, 1
	v_sub_f32_e32 v45, v41, v45
	v_add_f32_e32 v47, v39, v45
	v_mov_b32_e32 v46, v40
	v_pk_add_f32 v[40:41], v[42:43], v[40:41] neg_lo:[0,1] neg_hi:[0,1]
	v_pk_add_f32 v[48:49], v[42:43], v[46:47]
	v_mov_b32_e32 v41, v49
	v_mov_b32_e32 v45, v42
	v_pk_add_f32 v[50:51], v[44:45], v[40:41] neg_lo:[0,1] neg_hi:[0,1]
	v_pk_add_f32 v[40:41], v[44:45], v[40:41]
	v_mov_b32_e32 v44, v41
	v_pk_add_f32 v[52:53], v[44:45], v[42:43] neg_lo:[0,1] neg_hi:[0,1]
	v_mov_b32_e32 v39, v52
	v_pk_add_f32 v[54:55], v[48:49], v[38:39] neg_lo:[0,1] neg_hi:[0,1]
	v_mov_b32_e32 v40, v49
	v_mov_b32_e32 v48, v43
	;; [unrolled: 1-line block ×4, first 2 shown]
	v_pk_add_f32 v[40:41], v[40:41], v[48:49] neg_lo:[0,1] neg_hi:[0,1]
	v_mov_b32_e32 v46, v47
	v_mov_b32_e32 v47, v42
	v_pk_add_f32 v[40:41], v[46:47], v[40:41] neg_lo:[0,1] neg_hi:[0,1]
	v_mov_b32_e32 v54, v50
	v_pk_add_f32 v[42:43], v[54:55], v[40:41]
	v_mov_b32_e32 v46, v43
	v_pk_add_f32 v[46:47], v[42:43], v[46:47]
	v_pk_add_f32 v[44:45], v[44:45], v[46:47]
	v_mov_b32_e32 v43, v44
	v_pk_add_f32 v[48:49], v[42:43], v[50:51] neg_lo:[0,1] neg_hi:[0,1]
	v_mov_b32_e32 v41, v46
	v_sub_f32_e32 v39, v42, v48
	v_pk_add_f32 v[40:41], v[40:41], v[48:49] neg_lo:[0,1] neg_hi:[0,1]
	v_sub_f32_e32 v39, v50, v39
	v_add_f32_e32 v39, v40, v39
	v_cmp_eq_f32_e64 s[34:35], s54, v56
	s_mov_b32 s54, 0x33800000
	v_add_f32_e32 v39, v39, v41
	v_cmp_lt_f32_e64 s[54:55], |v56|, s54
	v_add_f32_e32 v39, v44, v39
	s_or_b64 s[34:35], s[34:35], s[54:55]
	v_cndmask_b32_e64 v39, v39, v56, s[34:35]
	v_add_f32_e32 v40, v7, v39
.LBB90_231:
	s_or_b64 exec, exec, s[36:37]
	v_mbcnt_lo_u32_b32 v7, -1, 0
	v_mbcnt_hi_u32_b32 v7, -1, v7
	v_and_b32_e32 v39, 15, v7
	v_mov_b32_dpp v41, v40 row_shr:1 row_mask:0xf bank_mask:0xf
	v_cmp_ne_u32_e64 s[34:35], 0, v39
	s_and_saveexec_b64 s[54:55], s[34:35]
	s_cbranch_execz .LBB90_235
; %bb.232:
	v_max_f32_e32 v43, v40, v40
	v_max_f32_e32 v44, v41, v41
	v_min_f32_e32 v42, v44, v43
	v_cmp_u_f32_e64 s[34:35], v41, v41
	v_max_f32_e32 v43, v44, v43
	v_cndmask_b32_e64 v42, v42, v41, s[34:35]
	v_cmp_u_f32_e64 s[36:37], v40, v40
	v_cndmask_b32_e64 v43, v43, v41, s[34:35]
	v_cndmask_b32_e64 v42, v42, v40, s[36:37]
	;; [unrolled: 1-line block ×3, first 2 shown]
	s_movk_i32 s36, 0x1f8
	v_cmp_neq_f32_e64 s[34:35], v42, v40
	v_cmp_class_f32_e64 s[36:37], v42, s36
	s_or_b64 s[34:35], s[34:35], s[36:37]
	s_and_saveexec_b64 s[36:37], s[34:35]
	s_cbranch_execz .LBB90_234
; %bb.233:
	v_sub_f32_e32 v41, v42, v40
	s_mov_b32 s34, 0x3fb8aa3b
	v_mul_f32_e32 v42, 0x3fb8aa3b, v41
	v_fma_f32 v43, v41, s34, -v42
	v_rndne_f32_e32 v44, v42
	v_fmac_f32_e32 v43, 0x32a5705f, v41
	v_sub_f32_e32 v42, v42, v44
	v_add_f32_e32 v42, v42, v43
	v_exp_f32_e32 v42, v42
	v_cvt_i32_f32_e32 v43, v44
	s_mov_b32 s34, 0xc2ce8ed0
	v_cmp_ngt_f32_e64 s[34:35], s34, v41
	s_mov_b32 s57, 0x7f800000
	v_ldexp_f32 v42, v42, v43
	v_cndmask_b32_e64 v42, 0, v42, s[34:35]
	s_mov_b32 s34, 0x42b17218
	v_mov_b32_e32 v43, 0x7f800000
	v_cmp_nlt_f32_e64 s[34:35], s34, v41
	v_cndmask_b32_e64 v58, v43, v42, s[34:35]
	v_add_f32_e32 v41, 1.0, v58
	v_add_f32_e32 v42, -1.0, v41
	v_sub_f32_e32 v43, v42, v41
	v_add_f32_e32 v43, 1.0, v43
	v_sub_f32_e32 v42, v58, v42
	v_add_f32_e32 v44, v42, v43
	v_frexp_mant_f32_e32 v45, v41
	s_mov_b32 s34, 0x3f2aaaab
	v_cvt_f64_f32_e32 v[42:43], v41
	v_frexp_exp_i32_f64_e32 v42, v[42:43]
	v_cmp_gt_f32_e64 s[34:35], s34, v45
	v_subbrev_co_u32_e64 v50, s[34:35], 0, v42, s[34:35]
	v_sub_u32_e32 v42, 0, v50
	v_ldexp_f32 v41, v41, v42
	v_ldexp_f32 v42, v44, v42
	v_add_f32_e32 v44, -1.0, v41
	v_add_f32_e32 v43, 1.0, v44
	v_sub_f32_e32 v43, v41, v43
	v_add_f32_e32 v45, v42, v43
	v_add_f32_e32 v43, 1.0, v41
	v_add_f32_e32 v46, -1.0, v43
	v_sub_f32_e32 v41, v41, v46
	v_add_f32_e32 v41, v42, v41
	v_add_f32_e32 v51, v43, v41
	v_rcp_f32_e32 v52, v51
	v_sub_f32_e32 v42, v43, v51
	v_add_f32_e32 v43, v44, v45
	v_add_f32_e32 v41, v41, v42
	v_mul_f32_e32 v54, v43, v52
	v_sub_f32_e32 v42, v44, v43
	v_mul_f32_e32 v44, v51, v54
	v_fma_f32 v46, v54, v51, -v44
	v_fmac_f32_e32 v46, v54, v41
	v_add_f32_e32 v53, v45, v42
	v_add_f32_e32 v42, v44, v46
	v_sub_f32_e32 v45, v43, v42
	v_pk_add_f32 v[48:49], v[42:43], v[44:45] neg_lo:[0,1] neg_hi:[0,1]
	v_mov_b32_e32 v47, v42
	v_pk_add_f32 v[42:43], v[48:49], v[46:47] neg_lo:[0,1] neg_hi:[0,1]
	v_add_f32_e32 v43, v53, v43
	v_add_f32_e32 v42, v42, v43
	;; [unrolled: 1-line block ×3, first 2 shown]
	v_mul_f32_e32 v53, v52, v43
	v_mul_f32_e32 v44, v51, v53
	v_fma_f32 v46, v53, v51, -v44
	v_fmac_f32_e32 v46, v53, v41
	v_sub_f32_e32 v41, v45, v43
	v_add_f32_e32 v41, v42, v41
	v_add_f32_e32 v42, v44, v46
	v_sub_f32_e32 v45, v43, v42
	v_pk_add_f32 v[48:49], v[42:43], v[44:45] neg_lo:[0,1] neg_hi:[0,1]
	v_mov_b32_e32 v47, v42
	v_pk_add_f32 v[42:43], v[48:49], v[46:47] neg_lo:[0,1] neg_hi:[0,1]
	v_add_f32_e32 v41, v41, v43
	v_add_f32_e32 v41, v42, v41
	v_add_f32_e32 v42, v54, v53
	v_add_f32_e32 v41, v45, v41
	v_sub_f32_e32 v43, v42, v54
	v_mul_f32_e32 v41, v52, v41
	v_sub_f32_e32 v43, v53, v43
	v_add_f32_e32 v41, v43, v41
	v_add_f32_e32 v45, v42, v41
	v_mul_f32_e32 v46, v45, v45
	v_mov_b32_e32 v44, 0x3ecc95a3
	v_fmac_f32_e32 v44, 0x3e9b6dac, v46
	v_mov_b32_e32 v43, 0x3f2aaada
	v_fmac_f32_e32 v43, v46, v44
	v_cvt_f32_i32_e32 v44, v50
	v_sub_f32_e32 v42, v45, v42
	v_sub_f32_e32 v41, v41, v42
	v_ldexp_f32 v47, v45, 1
	v_mul_f32_e32 v45, v45, v46
	v_mov_b32_e32 v42, 0x3f317218
	s_mov_b32 s34, 0x3f317218
	v_pk_mul_f32 v[42:43], v[44:45], v[42:43]
	v_fma_f32 v46, v44, s34, -v42
	v_fmac_f32_e32 v46, 0xb102e308, v44
	v_pk_add_f32 v[44:45], v[42:43], v[46:47]
	v_sub_f32_e32 v47, v45, v47
	v_ldexp_f32 v41, v41, 1
	v_sub_f32_e32 v47, v43, v47
	v_add_f32_e32 v49, v41, v47
	v_mov_b32_e32 v48, v42
	v_pk_add_f32 v[42:43], v[44:45], v[42:43] neg_lo:[0,1] neg_hi:[0,1]
	v_pk_add_f32 v[50:51], v[44:45], v[48:49]
	v_mov_b32_e32 v43, v51
	v_mov_b32_e32 v47, v44
	v_pk_add_f32 v[52:53], v[46:47], v[42:43] neg_lo:[0,1] neg_hi:[0,1]
	v_pk_add_f32 v[42:43], v[46:47], v[42:43]
	v_mov_b32_e32 v46, v43
	v_pk_add_f32 v[54:55], v[46:47], v[44:45] neg_lo:[0,1] neg_hi:[0,1]
	v_mov_b32_e32 v41, v54
	v_pk_add_f32 v[56:57], v[50:51], v[40:41] neg_lo:[0,1] neg_hi:[0,1]
	v_mov_b32_e32 v42, v51
	v_mov_b32_e32 v50, v45
	;; [unrolled: 1-line block ×4, first 2 shown]
	v_pk_add_f32 v[42:43], v[42:43], v[50:51] neg_lo:[0,1] neg_hi:[0,1]
	v_mov_b32_e32 v48, v49
	v_mov_b32_e32 v49, v44
	v_pk_add_f32 v[42:43], v[48:49], v[42:43] neg_lo:[0,1] neg_hi:[0,1]
	v_mov_b32_e32 v56, v52
	v_pk_add_f32 v[44:45], v[56:57], v[42:43]
	v_mov_b32_e32 v48, v45
	v_pk_add_f32 v[48:49], v[44:45], v[48:49]
	v_pk_add_f32 v[46:47], v[46:47], v[48:49]
	v_mov_b32_e32 v45, v46
	v_pk_add_f32 v[50:51], v[44:45], v[52:53] neg_lo:[0,1] neg_hi:[0,1]
	v_mov_b32_e32 v43, v48
	v_sub_f32_e32 v41, v44, v50
	v_pk_add_f32 v[42:43], v[42:43], v[50:51] neg_lo:[0,1] neg_hi:[0,1]
	v_sub_f32_e32 v41, v52, v41
	v_add_f32_e32 v41, v42, v41
	v_cmp_eq_f32_e64 s[34:35], s57, v58
	s_mov_b32 s57, 0x33800000
	v_add_f32_e32 v41, v41, v43
	v_cmp_lt_f32_e64 s[58:59], |v58|, s57
	v_add_f32_e32 v41, v46, v41
	s_or_b64 s[34:35], s[34:35], s[58:59]
	v_cndmask_b32_e64 v41, v41, v58, s[34:35]
	v_add_f32_e32 v41, v40, v41
.LBB90_234:
	s_or_b64 exec, exec, s[36:37]
	v_mov_b32_e32 v40, v41
.LBB90_235:
	s_or_b64 exec, exec, s[54:55]
	s_nop 0
	v_mov_b32_dpp v41, v40 row_shr:2 row_mask:0xf bank_mask:0xf
	v_cmp_lt_u32_e64 s[34:35], 1, v39
	s_and_saveexec_b64 s[54:55], s[34:35]
	s_cbranch_execz .LBB90_239
; %bb.236:
	v_max_f32_e32 v43, v40, v40
	v_max_f32_e32 v44, v41, v41
	v_min_f32_e32 v42, v44, v43
	v_cmp_u_f32_e64 s[34:35], v41, v41
	v_max_f32_e32 v43, v44, v43
	v_cndmask_b32_e64 v42, v42, v41, s[34:35]
	v_cmp_u_f32_e64 s[36:37], v40, v40
	v_cndmask_b32_e64 v43, v43, v41, s[34:35]
	v_cndmask_b32_e64 v42, v42, v40, s[36:37]
	;; [unrolled: 1-line block ×3, first 2 shown]
	s_movk_i32 s36, 0x1f8
	v_cmp_neq_f32_e64 s[34:35], v42, v40
	v_cmp_class_f32_e64 s[36:37], v42, s36
	s_or_b64 s[34:35], s[34:35], s[36:37]
	s_and_saveexec_b64 s[36:37], s[34:35]
	s_cbranch_execz .LBB90_238
; %bb.237:
	v_sub_f32_e32 v41, v42, v40
	s_mov_b32 s34, 0x3fb8aa3b
	v_mul_f32_e32 v42, 0x3fb8aa3b, v41
	v_fma_f32 v43, v41, s34, -v42
	v_rndne_f32_e32 v44, v42
	v_fmac_f32_e32 v43, 0x32a5705f, v41
	v_sub_f32_e32 v42, v42, v44
	v_add_f32_e32 v42, v42, v43
	v_exp_f32_e32 v42, v42
	v_cvt_i32_f32_e32 v43, v44
	s_mov_b32 s34, 0xc2ce8ed0
	v_cmp_ngt_f32_e64 s[34:35], s34, v41
	s_mov_b32 s57, 0x7f800000
	v_ldexp_f32 v42, v42, v43
	v_cndmask_b32_e64 v42, 0, v42, s[34:35]
	s_mov_b32 s34, 0x42b17218
	v_mov_b32_e32 v43, 0x7f800000
	v_cmp_nlt_f32_e64 s[34:35], s34, v41
	v_cndmask_b32_e64 v58, v43, v42, s[34:35]
	v_add_f32_e32 v41, 1.0, v58
	v_add_f32_e32 v42, -1.0, v41
	v_sub_f32_e32 v43, v42, v41
	v_add_f32_e32 v43, 1.0, v43
	v_sub_f32_e32 v42, v58, v42
	v_add_f32_e32 v44, v42, v43
	v_frexp_mant_f32_e32 v45, v41
	s_mov_b32 s34, 0x3f2aaaab
	v_cvt_f64_f32_e32 v[42:43], v41
	v_frexp_exp_i32_f64_e32 v42, v[42:43]
	v_cmp_gt_f32_e64 s[34:35], s34, v45
	v_subbrev_co_u32_e64 v50, s[34:35], 0, v42, s[34:35]
	v_sub_u32_e32 v42, 0, v50
	v_ldexp_f32 v41, v41, v42
	v_ldexp_f32 v42, v44, v42
	v_add_f32_e32 v44, -1.0, v41
	v_add_f32_e32 v43, 1.0, v44
	v_sub_f32_e32 v43, v41, v43
	v_add_f32_e32 v45, v42, v43
	v_add_f32_e32 v43, 1.0, v41
	v_add_f32_e32 v46, -1.0, v43
	v_sub_f32_e32 v41, v41, v46
	v_add_f32_e32 v41, v42, v41
	v_add_f32_e32 v51, v43, v41
	v_rcp_f32_e32 v52, v51
	v_sub_f32_e32 v42, v43, v51
	v_add_f32_e32 v43, v44, v45
	v_add_f32_e32 v41, v41, v42
	v_mul_f32_e32 v54, v43, v52
	v_sub_f32_e32 v42, v44, v43
	v_mul_f32_e32 v44, v51, v54
	v_fma_f32 v46, v54, v51, -v44
	v_fmac_f32_e32 v46, v54, v41
	v_add_f32_e32 v53, v45, v42
	v_add_f32_e32 v42, v44, v46
	v_sub_f32_e32 v45, v43, v42
	v_pk_add_f32 v[48:49], v[42:43], v[44:45] neg_lo:[0,1] neg_hi:[0,1]
	v_mov_b32_e32 v47, v42
	v_pk_add_f32 v[42:43], v[48:49], v[46:47] neg_lo:[0,1] neg_hi:[0,1]
	v_add_f32_e32 v43, v53, v43
	v_add_f32_e32 v42, v42, v43
	;; [unrolled: 1-line block ×3, first 2 shown]
	v_mul_f32_e32 v53, v52, v43
	v_mul_f32_e32 v44, v51, v53
	v_fma_f32 v46, v53, v51, -v44
	v_fmac_f32_e32 v46, v53, v41
	v_sub_f32_e32 v41, v45, v43
	v_add_f32_e32 v41, v42, v41
	v_add_f32_e32 v42, v44, v46
	v_sub_f32_e32 v45, v43, v42
	v_pk_add_f32 v[48:49], v[42:43], v[44:45] neg_lo:[0,1] neg_hi:[0,1]
	v_mov_b32_e32 v47, v42
	v_pk_add_f32 v[42:43], v[48:49], v[46:47] neg_lo:[0,1] neg_hi:[0,1]
	v_add_f32_e32 v41, v41, v43
	v_add_f32_e32 v41, v42, v41
	;; [unrolled: 1-line block ×4, first 2 shown]
	v_sub_f32_e32 v43, v42, v54
	v_mul_f32_e32 v41, v52, v41
	v_sub_f32_e32 v43, v53, v43
	v_add_f32_e32 v41, v43, v41
	v_add_f32_e32 v45, v42, v41
	v_mul_f32_e32 v46, v45, v45
	v_mov_b32_e32 v44, 0x3ecc95a3
	v_fmac_f32_e32 v44, 0x3e9b6dac, v46
	v_mov_b32_e32 v43, 0x3f2aaada
	v_fmac_f32_e32 v43, v46, v44
	v_cvt_f32_i32_e32 v44, v50
	v_sub_f32_e32 v42, v45, v42
	v_sub_f32_e32 v41, v41, v42
	v_ldexp_f32 v47, v45, 1
	v_mul_f32_e32 v45, v45, v46
	v_mov_b32_e32 v42, 0x3f317218
	s_mov_b32 s34, 0x3f317218
	v_pk_mul_f32 v[42:43], v[44:45], v[42:43]
	v_fma_f32 v46, v44, s34, -v42
	v_fmac_f32_e32 v46, 0xb102e308, v44
	v_pk_add_f32 v[44:45], v[42:43], v[46:47]
	v_sub_f32_e32 v47, v45, v47
	v_ldexp_f32 v41, v41, 1
	v_sub_f32_e32 v47, v43, v47
	v_add_f32_e32 v49, v41, v47
	v_mov_b32_e32 v48, v42
	v_pk_add_f32 v[42:43], v[44:45], v[42:43] neg_lo:[0,1] neg_hi:[0,1]
	v_pk_add_f32 v[50:51], v[44:45], v[48:49]
	v_mov_b32_e32 v43, v51
	v_mov_b32_e32 v47, v44
	v_pk_add_f32 v[52:53], v[46:47], v[42:43] neg_lo:[0,1] neg_hi:[0,1]
	v_pk_add_f32 v[42:43], v[46:47], v[42:43]
	v_mov_b32_e32 v46, v43
	v_pk_add_f32 v[54:55], v[46:47], v[44:45] neg_lo:[0,1] neg_hi:[0,1]
	v_mov_b32_e32 v41, v54
	v_pk_add_f32 v[56:57], v[50:51], v[40:41] neg_lo:[0,1] neg_hi:[0,1]
	v_mov_b32_e32 v42, v51
	v_mov_b32_e32 v50, v45
	v_mov_b32_e32 v51, v54
	v_mov_b32_e32 v53, v43
	v_pk_add_f32 v[42:43], v[42:43], v[50:51] neg_lo:[0,1] neg_hi:[0,1]
	v_mov_b32_e32 v48, v49
	v_mov_b32_e32 v49, v44
	v_pk_add_f32 v[42:43], v[48:49], v[42:43] neg_lo:[0,1] neg_hi:[0,1]
	v_mov_b32_e32 v56, v52
	v_pk_add_f32 v[44:45], v[56:57], v[42:43]
	v_mov_b32_e32 v48, v45
	v_pk_add_f32 v[48:49], v[44:45], v[48:49]
	v_pk_add_f32 v[46:47], v[46:47], v[48:49]
	v_mov_b32_e32 v45, v46
	v_pk_add_f32 v[50:51], v[44:45], v[52:53] neg_lo:[0,1] neg_hi:[0,1]
	v_mov_b32_e32 v43, v48
	v_sub_f32_e32 v41, v44, v50
	v_pk_add_f32 v[42:43], v[42:43], v[50:51] neg_lo:[0,1] neg_hi:[0,1]
	v_sub_f32_e32 v41, v52, v41
	v_add_f32_e32 v41, v42, v41
	v_cmp_eq_f32_e64 s[34:35], s57, v58
	s_mov_b32 s57, 0x33800000
	v_add_f32_e32 v41, v41, v43
	v_cmp_lt_f32_e64 s[58:59], |v58|, s57
	v_add_f32_e32 v41, v46, v41
	s_or_b64 s[34:35], s[34:35], s[58:59]
	v_cndmask_b32_e64 v41, v41, v58, s[34:35]
	v_add_f32_e32 v41, v40, v41
.LBB90_238:
	s_or_b64 exec, exec, s[36:37]
	v_mov_b32_e32 v40, v41
.LBB90_239:
	s_or_b64 exec, exec, s[54:55]
	s_nop 0
	v_mov_b32_dpp v41, v40 row_shr:4 row_mask:0xf bank_mask:0xf
	v_cmp_lt_u32_e64 s[34:35], 3, v39
	s_and_saveexec_b64 s[54:55], s[34:35]
	s_cbranch_execz .LBB90_243
; %bb.240:
	v_max_f32_e32 v43, v40, v40
	v_max_f32_e32 v44, v41, v41
	v_min_f32_e32 v42, v44, v43
	v_cmp_u_f32_e64 s[34:35], v41, v41
	v_max_f32_e32 v43, v44, v43
	v_cndmask_b32_e64 v42, v42, v41, s[34:35]
	v_cmp_u_f32_e64 s[36:37], v40, v40
	v_cndmask_b32_e64 v43, v43, v41, s[34:35]
	v_cndmask_b32_e64 v42, v42, v40, s[36:37]
	;; [unrolled: 1-line block ×3, first 2 shown]
	s_movk_i32 s36, 0x1f8
	v_cmp_neq_f32_e64 s[34:35], v42, v40
	v_cmp_class_f32_e64 s[36:37], v42, s36
	s_or_b64 s[34:35], s[34:35], s[36:37]
	s_and_saveexec_b64 s[36:37], s[34:35]
	s_cbranch_execz .LBB90_242
; %bb.241:
	v_sub_f32_e32 v41, v42, v40
	s_mov_b32 s34, 0x3fb8aa3b
	v_mul_f32_e32 v42, 0x3fb8aa3b, v41
	v_fma_f32 v43, v41, s34, -v42
	v_rndne_f32_e32 v44, v42
	v_fmac_f32_e32 v43, 0x32a5705f, v41
	v_sub_f32_e32 v42, v42, v44
	v_add_f32_e32 v42, v42, v43
	v_exp_f32_e32 v42, v42
	v_cvt_i32_f32_e32 v43, v44
	s_mov_b32 s34, 0xc2ce8ed0
	v_cmp_ngt_f32_e64 s[34:35], s34, v41
	s_mov_b32 s57, 0x7f800000
	v_ldexp_f32 v42, v42, v43
	v_cndmask_b32_e64 v42, 0, v42, s[34:35]
	s_mov_b32 s34, 0x42b17218
	v_mov_b32_e32 v43, 0x7f800000
	v_cmp_nlt_f32_e64 s[34:35], s34, v41
	v_cndmask_b32_e64 v58, v43, v42, s[34:35]
	v_add_f32_e32 v41, 1.0, v58
	v_add_f32_e32 v42, -1.0, v41
	v_sub_f32_e32 v43, v42, v41
	v_add_f32_e32 v43, 1.0, v43
	v_sub_f32_e32 v42, v58, v42
	v_add_f32_e32 v44, v42, v43
	v_frexp_mant_f32_e32 v45, v41
	s_mov_b32 s34, 0x3f2aaaab
	v_cvt_f64_f32_e32 v[42:43], v41
	v_frexp_exp_i32_f64_e32 v42, v[42:43]
	v_cmp_gt_f32_e64 s[34:35], s34, v45
	v_subbrev_co_u32_e64 v50, s[34:35], 0, v42, s[34:35]
	v_sub_u32_e32 v42, 0, v50
	v_ldexp_f32 v41, v41, v42
	v_ldexp_f32 v42, v44, v42
	v_add_f32_e32 v44, -1.0, v41
	v_add_f32_e32 v43, 1.0, v44
	v_sub_f32_e32 v43, v41, v43
	v_add_f32_e32 v45, v42, v43
	v_add_f32_e32 v43, 1.0, v41
	v_add_f32_e32 v46, -1.0, v43
	v_sub_f32_e32 v41, v41, v46
	v_add_f32_e32 v41, v42, v41
	v_add_f32_e32 v51, v43, v41
	v_rcp_f32_e32 v52, v51
	v_sub_f32_e32 v42, v43, v51
	v_add_f32_e32 v43, v44, v45
	v_add_f32_e32 v41, v41, v42
	v_mul_f32_e32 v54, v43, v52
	v_sub_f32_e32 v42, v44, v43
	v_mul_f32_e32 v44, v51, v54
	v_fma_f32 v46, v54, v51, -v44
	v_fmac_f32_e32 v46, v54, v41
	v_add_f32_e32 v53, v45, v42
	v_add_f32_e32 v42, v44, v46
	v_sub_f32_e32 v45, v43, v42
	v_pk_add_f32 v[48:49], v[42:43], v[44:45] neg_lo:[0,1] neg_hi:[0,1]
	v_mov_b32_e32 v47, v42
	v_pk_add_f32 v[42:43], v[48:49], v[46:47] neg_lo:[0,1] neg_hi:[0,1]
	v_add_f32_e32 v43, v53, v43
	v_add_f32_e32 v42, v42, v43
	;; [unrolled: 1-line block ×3, first 2 shown]
	v_mul_f32_e32 v53, v52, v43
	v_mul_f32_e32 v44, v51, v53
	v_fma_f32 v46, v53, v51, -v44
	v_fmac_f32_e32 v46, v53, v41
	v_sub_f32_e32 v41, v45, v43
	v_add_f32_e32 v41, v42, v41
	v_add_f32_e32 v42, v44, v46
	v_sub_f32_e32 v45, v43, v42
	v_pk_add_f32 v[48:49], v[42:43], v[44:45] neg_lo:[0,1] neg_hi:[0,1]
	v_mov_b32_e32 v47, v42
	v_pk_add_f32 v[42:43], v[48:49], v[46:47] neg_lo:[0,1] neg_hi:[0,1]
	v_add_f32_e32 v41, v41, v43
	v_add_f32_e32 v41, v42, v41
	;; [unrolled: 1-line block ×4, first 2 shown]
	v_sub_f32_e32 v43, v42, v54
	v_mul_f32_e32 v41, v52, v41
	v_sub_f32_e32 v43, v53, v43
	v_add_f32_e32 v41, v43, v41
	v_add_f32_e32 v45, v42, v41
	v_mul_f32_e32 v46, v45, v45
	v_mov_b32_e32 v44, 0x3ecc95a3
	v_fmac_f32_e32 v44, 0x3e9b6dac, v46
	v_mov_b32_e32 v43, 0x3f2aaada
	v_fmac_f32_e32 v43, v46, v44
	v_cvt_f32_i32_e32 v44, v50
	v_sub_f32_e32 v42, v45, v42
	v_sub_f32_e32 v41, v41, v42
	v_ldexp_f32 v47, v45, 1
	v_mul_f32_e32 v45, v45, v46
	v_mov_b32_e32 v42, 0x3f317218
	s_mov_b32 s34, 0x3f317218
	v_pk_mul_f32 v[42:43], v[44:45], v[42:43]
	v_fma_f32 v46, v44, s34, -v42
	v_fmac_f32_e32 v46, 0xb102e308, v44
	v_pk_add_f32 v[44:45], v[42:43], v[46:47]
	v_sub_f32_e32 v47, v45, v47
	v_ldexp_f32 v41, v41, 1
	v_sub_f32_e32 v47, v43, v47
	v_add_f32_e32 v49, v41, v47
	v_mov_b32_e32 v48, v42
	v_pk_add_f32 v[42:43], v[44:45], v[42:43] neg_lo:[0,1] neg_hi:[0,1]
	v_pk_add_f32 v[50:51], v[44:45], v[48:49]
	v_mov_b32_e32 v43, v51
	v_mov_b32_e32 v47, v44
	v_pk_add_f32 v[52:53], v[46:47], v[42:43] neg_lo:[0,1] neg_hi:[0,1]
	v_pk_add_f32 v[42:43], v[46:47], v[42:43]
	v_mov_b32_e32 v46, v43
	v_pk_add_f32 v[54:55], v[46:47], v[44:45] neg_lo:[0,1] neg_hi:[0,1]
	v_mov_b32_e32 v41, v54
	v_pk_add_f32 v[56:57], v[50:51], v[40:41] neg_lo:[0,1] neg_hi:[0,1]
	v_mov_b32_e32 v42, v51
	v_mov_b32_e32 v50, v45
	;; [unrolled: 1-line block ×4, first 2 shown]
	v_pk_add_f32 v[42:43], v[42:43], v[50:51] neg_lo:[0,1] neg_hi:[0,1]
	v_mov_b32_e32 v48, v49
	v_mov_b32_e32 v49, v44
	v_pk_add_f32 v[42:43], v[48:49], v[42:43] neg_lo:[0,1] neg_hi:[0,1]
	v_mov_b32_e32 v56, v52
	v_pk_add_f32 v[44:45], v[56:57], v[42:43]
	v_mov_b32_e32 v48, v45
	v_pk_add_f32 v[48:49], v[44:45], v[48:49]
	v_pk_add_f32 v[46:47], v[46:47], v[48:49]
	v_mov_b32_e32 v45, v46
	v_pk_add_f32 v[50:51], v[44:45], v[52:53] neg_lo:[0,1] neg_hi:[0,1]
	v_mov_b32_e32 v43, v48
	v_sub_f32_e32 v41, v44, v50
	v_pk_add_f32 v[42:43], v[42:43], v[50:51] neg_lo:[0,1] neg_hi:[0,1]
	v_sub_f32_e32 v41, v52, v41
	v_add_f32_e32 v41, v42, v41
	v_cmp_eq_f32_e64 s[34:35], s57, v58
	s_mov_b32 s57, 0x33800000
	v_add_f32_e32 v41, v41, v43
	v_cmp_lt_f32_e64 s[58:59], |v58|, s57
	v_add_f32_e32 v41, v46, v41
	s_or_b64 s[34:35], s[34:35], s[58:59]
	v_cndmask_b32_e64 v41, v41, v58, s[34:35]
	v_add_f32_e32 v41, v40, v41
.LBB90_242:
	s_or_b64 exec, exec, s[36:37]
	v_mov_b32_e32 v40, v41
.LBB90_243:
	s_or_b64 exec, exec, s[54:55]
	s_nop 0
	v_mov_b32_dpp v41, v40 row_shr:8 row_mask:0xf bank_mask:0xf
	v_cmp_lt_u32_e64 s[34:35], 7, v39
	s_and_saveexec_b64 s[54:55], s[34:35]
	s_cbranch_execz .LBB90_247
; %bb.244:
	v_max_f32_e32 v39, v40, v40
	v_max_f32_e32 v43, v41, v41
	v_min_f32_e32 v42, v43, v39
	v_cmp_u_f32_e64 s[34:35], v41, v41
	v_max_f32_e32 v39, v43, v39
	v_cndmask_b32_e64 v42, v42, v41, s[34:35]
	v_cmp_u_f32_e64 s[36:37], v40, v40
	v_cndmask_b32_e64 v39, v39, v41, s[34:35]
	v_cndmask_b32_e64 v42, v42, v40, s[36:37]
	;; [unrolled: 1-line block ×3, first 2 shown]
	s_movk_i32 s36, 0x1f8
	v_cmp_neq_f32_e64 s[34:35], v42, v39
	v_cmp_class_f32_e64 s[36:37], v42, s36
	s_or_b64 s[34:35], s[34:35], s[36:37]
	s_and_saveexec_b64 s[36:37], s[34:35]
	s_cbranch_execz .LBB90_246
; %bb.245:
	v_sub_f32_e32 v40, v42, v39
	s_mov_b32 s34, 0x3fb8aa3b
	v_mul_f32_e32 v41, 0x3fb8aa3b, v40
	v_fma_f32 v42, v40, s34, -v41
	v_rndne_f32_e32 v43, v41
	v_fmac_f32_e32 v42, 0x32a5705f, v40
	v_sub_f32_e32 v41, v41, v43
	v_add_f32_e32 v41, v41, v42
	v_exp_f32_e32 v41, v41
	v_cvt_i32_f32_e32 v42, v43
	s_mov_b32 s34, 0xc2ce8ed0
	v_cmp_ngt_f32_e64 s[34:35], s34, v40
	s_mov_b32 s57, 0x7f800000
	v_ldexp_f32 v41, v41, v42
	v_cndmask_b32_e64 v41, 0, v41, s[34:35]
	s_mov_b32 s34, 0x42b17218
	v_mov_b32_e32 v42, 0x7f800000
	v_cmp_nlt_f32_e64 s[34:35], s34, v40
	v_cndmask_b32_e64 v56, v42, v41, s[34:35]
	v_add_f32_e32 v42, 1.0, v56
	v_add_f32_e32 v40, -1.0, v42
	v_sub_f32_e32 v41, v40, v42
	v_add_f32_e32 v41, 1.0, v41
	v_sub_f32_e32 v40, v56, v40
	v_add_f32_e32 v43, v40, v41
	v_frexp_mant_f32_e32 v44, v42
	s_mov_b32 s34, 0x3f2aaaab
	v_cvt_f64_f32_e32 v[40:41], v42
	v_frexp_exp_i32_f64_e32 v40, v[40:41]
	v_cmp_gt_f32_e64 s[34:35], s34, v44
	v_subbrev_co_u32_e64 v48, s[34:35], 0, v40, s[34:35]
	v_sub_u32_e32 v40, 0, v48
	v_ldexp_f32 v41, v42, v40
	v_add_f32_e32 v42, -1.0, v41
	v_add_f32_e32 v44, 1.0, v41
	v_ldexp_f32 v40, v43, v40
	v_add_f32_e32 v43, 1.0, v42
	v_add_f32_e32 v45, -1.0, v44
	v_sub_f32_e32 v43, v41, v43
	v_sub_f32_e32 v41, v41, v45
	v_add_f32_e32 v43, v40, v43
	v_add_f32_e32 v40, v40, v41
	;; [unrolled: 1-line block ×3, first 2 shown]
	v_rcp_f32_e32 v51, v49
	v_sub_f32_e32 v41, v44, v49
	v_add_f32_e32 v50, v40, v41
	v_add_f32_e32 v41, v42, v43
	v_mul_f32_e32 v53, v41, v51
	v_sub_f32_e32 v40, v42, v41
	v_mul_f32_e32 v42, v49, v53
	v_fma_f32 v44, v53, v49, -v42
	v_fmac_f32_e32 v44, v53, v50
	v_add_f32_e32 v52, v43, v40
	v_add_f32_e32 v40, v42, v44
	v_sub_f32_e32 v43, v41, v40
	v_pk_add_f32 v[46:47], v[40:41], v[42:43] neg_lo:[0,1] neg_hi:[0,1]
	v_mov_b32_e32 v45, v40
	v_pk_add_f32 v[40:41], v[46:47], v[44:45] neg_lo:[0,1] neg_hi:[0,1]
	v_add_f32_e32 v41, v52, v41
	v_add_f32_e32 v40, v40, v41
	;; [unrolled: 1-line block ×3, first 2 shown]
	v_mul_f32_e32 v52, v51, v41
	v_mul_f32_e32 v42, v49, v52
	v_fma_f32 v44, v52, v49, -v42
	v_fmac_f32_e32 v44, v52, v50
	v_sub_f32_e32 v43, v43, v41
	v_add_f32_e32 v49, v40, v43
	v_add_f32_e32 v40, v42, v44
	v_sub_f32_e32 v43, v41, v40
	v_pk_add_f32 v[46:47], v[40:41], v[42:43] neg_lo:[0,1] neg_hi:[0,1]
	v_mov_b32_e32 v45, v40
	v_pk_add_f32 v[40:41], v[46:47], v[44:45] neg_lo:[0,1] neg_hi:[0,1]
	v_add_f32_e32 v41, v49, v41
	v_add_f32_e32 v40, v40, v41
	;; [unrolled: 1-line block ×4, first 2 shown]
	v_sub_f32_e32 v41, v43, v53
	v_mul_f32_e32 v40, v51, v40
	v_sub_f32_e32 v41, v52, v41
	v_add_f32_e32 v40, v41, v40
	v_add_f32_e32 v44, v43, v40
	v_mul_f32_e32 v46, v44, v44
	v_mov_b32_e32 v42, 0x3ecc95a3
	v_fmac_f32_e32 v42, 0x3e9b6dac, v46
	v_mov_b32_e32 v41, 0x3f2aaada
	v_fmac_f32_e32 v41, v46, v42
	v_cvt_f32_i32_e32 v42, v48
	v_sub_f32_e32 v43, v44, v43
	v_sub_f32_e32 v40, v40, v43
	v_ldexp_f32 v47, v40, 1
	v_mul_f32_e32 v43, v44, v46
	v_mov_b32_e32 v40, 0x3f317218
	s_mov_b32 s34, 0x3f317218
	v_pk_mul_f32 v[40:41], v[42:43], v[40:41]
	v_ldexp_f32 v45, v44, 1
	v_fma_f32 v44, v42, s34, -v40
	v_fmac_f32_e32 v44, 0xb102e308, v42
	v_pk_add_f32 v[42:43], v[40:41], v[44:45]
	v_sub_f32_e32 v45, v43, v45
	v_sub_f32_e32 v45, v41, v45
	v_add_f32_e32 v47, v47, v45
	v_mov_b32_e32 v46, v40
	v_pk_add_f32 v[40:41], v[42:43], v[40:41] neg_lo:[0,1] neg_hi:[0,1]
	v_pk_add_f32 v[48:49], v[42:43], v[46:47]
	v_mov_b32_e32 v41, v49
	v_mov_b32_e32 v45, v42
	v_pk_add_f32 v[50:51], v[44:45], v[40:41] neg_lo:[0,1] neg_hi:[0,1]
	v_pk_add_f32 v[40:41], v[44:45], v[40:41]
	v_mov_b32_e32 v44, v41
	v_pk_add_f32 v[52:53], v[44:45], v[42:43] neg_lo:[0,1] neg_hi:[0,1]
	v_mov_b32_e32 v45, v52
	v_pk_add_f32 v[54:55], v[48:49], v[44:45] neg_lo:[0,1] neg_hi:[0,1]
	v_mov_b32_e32 v40, v49
	v_mov_b32_e32 v48, v43
	;; [unrolled: 1-line block ×4, first 2 shown]
	v_pk_add_f32 v[40:41], v[40:41], v[48:49] neg_lo:[0,1] neg_hi:[0,1]
	v_mov_b32_e32 v46, v47
	v_mov_b32_e32 v47, v42
	v_pk_add_f32 v[40:41], v[46:47], v[40:41] neg_lo:[0,1] neg_hi:[0,1]
	v_mov_b32_e32 v54, v50
	v_pk_add_f32 v[42:43], v[54:55], v[40:41]
	v_mov_b32_e32 v46, v43
	v_pk_add_f32 v[46:47], v[42:43], v[46:47]
	v_pk_add_f32 v[44:45], v[44:45], v[46:47]
	v_mov_b32_e32 v43, v44
	v_pk_add_f32 v[48:49], v[42:43], v[50:51] neg_lo:[0,1] neg_hi:[0,1]
	v_mov_b32_e32 v41, v46
	v_sub_f32_e32 v42, v42, v48
	v_pk_add_f32 v[40:41], v[40:41], v[48:49] neg_lo:[0,1] neg_hi:[0,1]
	v_sub_f32_e32 v42, v50, v42
	v_add_f32_e32 v40, v40, v42
	v_cmp_eq_f32_e64 s[34:35], s57, v56
	s_mov_b32 s57, 0x33800000
	v_add_f32_e32 v40, v40, v41
	v_cmp_lt_f32_e64 s[58:59], |v56|, s57
	v_add_f32_e32 v40, v44, v40
	s_or_b64 s[34:35], s[34:35], s[58:59]
	v_cndmask_b32_e64 v40, v40, v56, s[34:35]
	v_add_f32_e32 v41, v39, v40
.LBB90_246:
	s_or_b64 exec, exec, s[36:37]
	v_mov_b32_e32 v40, v41
.LBB90_247:
	s_or_b64 exec, exec, s[54:55]
	v_and_b32_e32 v39, 16, v7
	v_mov_b32_dpp v41, v40 row_bcast:15 row_mask:0xf bank_mask:0xf
	v_cmp_ne_u32_e64 s[34:35], 0, v39
	s_and_saveexec_b64 s[54:55], s[34:35]
	s_cbranch_execz .LBB90_251
; %bb.248:
	v_max_f32_e32 v39, v40, v40
	v_max_f32_e32 v43, v41, v41
	v_min_f32_e32 v42, v43, v39
	v_cmp_u_f32_e64 s[34:35], v41, v41
	v_max_f32_e32 v39, v43, v39
	v_cndmask_b32_e64 v42, v42, v41, s[34:35]
	v_cmp_u_f32_e64 s[36:37], v40, v40
	v_cndmask_b32_e64 v39, v39, v41, s[34:35]
	v_cndmask_b32_e64 v42, v42, v40, s[36:37]
	;; [unrolled: 1-line block ×3, first 2 shown]
	s_movk_i32 s36, 0x1f8
	v_cmp_neq_f32_e64 s[34:35], v42, v39
	v_cmp_class_f32_e64 s[36:37], v42, s36
	s_or_b64 s[34:35], s[34:35], s[36:37]
	s_and_saveexec_b64 s[36:37], s[34:35]
	s_cbranch_execz .LBB90_250
; %bb.249:
	v_sub_f32_e32 v40, v42, v39
	s_mov_b32 s34, 0x3fb8aa3b
	v_mul_f32_e32 v41, 0x3fb8aa3b, v40
	v_fma_f32 v42, v40, s34, -v41
	v_rndne_f32_e32 v43, v41
	v_fmac_f32_e32 v42, 0x32a5705f, v40
	v_sub_f32_e32 v41, v41, v43
	v_add_f32_e32 v41, v41, v42
	v_exp_f32_e32 v41, v41
	v_cvt_i32_f32_e32 v42, v43
	s_mov_b32 s34, 0xc2ce8ed0
	v_cmp_ngt_f32_e64 s[34:35], s34, v40
	s_mov_b32 s57, 0x7f800000
	v_ldexp_f32 v41, v41, v42
	v_cndmask_b32_e64 v41, 0, v41, s[34:35]
	s_mov_b32 s34, 0x42b17218
	v_mov_b32_e32 v42, 0x7f800000
	v_cmp_nlt_f32_e64 s[34:35], s34, v40
	v_cndmask_b32_e64 v56, v42, v41, s[34:35]
	v_add_f32_e32 v42, 1.0, v56
	v_add_f32_e32 v40, -1.0, v42
	v_sub_f32_e32 v41, v40, v42
	v_add_f32_e32 v41, 1.0, v41
	v_sub_f32_e32 v40, v56, v40
	v_add_f32_e32 v43, v40, v41
	v_frexp_mant_f32_e32 v44, v42
	s_mov_b32 s34, 0x3f2aaaab
	v_cvt_f64_f32_e32 v[40:41], v42
	v_frexp_exp_i32_f64_e32 v40, v[40:41]
	v_cmp_gt_f32_e64 s[34:35], s34, v44
	v_subbrev_co_u32_e64 v48, s[34:35], 0, v40, s[34:35]
	v_sub_u32_e32 v40, 0, v48
	v_ldexp_f32 v41, v42, v40
	v_add_f32_e32 v42, -1.0, v41
	v_add_f32_e32 v44, 1.0, v41
	v_ldexp_f32 v40, v43, v40
	v_add_f32_e32 v43, 1.0, v42
	v_add_f32_e32 v45, -1.0, v44
	v_sub_f32_e32 v43, v41, v43
	v_sub_f32_e32 v41, v41, v45
	v_add_f32_e32 v43, v40, v43
	v_add_f32_e32 v40, v40, v41
	;; [unrolled: 1-line block ×3, first 2 shown]
	v_rcp_f32_e32 v51, v49
	v_sub_f32_e32 v41, v44, v49
	v_add_f32_e32 v50, v40, v41
	v_add_f32_e32 v41, v42, v43
	v_mul_f32_e32 v53, v41, v51
	v_sub_f32_e32 v40, v42, v41
	v_mul_f32_e32 v42, v49, v53
	v_fma_f32 v44, v53, v49, -v42
	v_fmac_f32_e32 v44, v53, v50
	v_add_f32_e32 v52, v43, v40
	v_add_f32_e32 v40, v42, v44
	v_sub_f32_e32 v43, v41, v40
	v_pk_add_f32 v[46:47], v[40:41], v[42:43] neg_lo:[0,1] neg_hi:[0,1]
	v_mov_b32_e32 v45, v40
	v_pk_add_f32 v[40:41], v[46:47], v[44:45] neg_lo:[0,1] neg_hi:[0,1]
	v_add_f32_e32 v41, v52, v41
	v_add_f32_e32 v40, v40, v41
	v_add_f32_e32 v41, v43, v40
	v_mul_f32_e32 v52, v51, v41
	v_mul_f32_e32 v42, v49, v52
	v_fma_f32 v44, v52, v49, -v42
	v_fmac_f32_e32 v44, v52, v50
	v_sub_f32_e32 v43, v43, v41
	v_add_f32_e32 v49, v40, v43
	v_add_f32_e32 v40, v42, v44
	v_sub_f32_e32 v43, v41, v40
	v_pk_add_f32 v[46:47], v[40:41], v[42:43] neg_lo:[0,1] neg_hi:[0,1]
	v_mov_b32_e32 v45, v40
	v_pk_add_f32 v[40:41], v[46:47], v[44:45] neg_lo:[0,1] neg_hi:[0,1]
	v_add_f32_e32 v41, v49, v41
	v_add_f32_e32 v40, v40, v41
	;; [unrolled: 1-line block ×4, first 2 shown]
	v_sub_f32_e32 v41, v43, v53
	v_mul_f32_e32 v40, v51, v40
	v_sub_f32_e32 v41, v52, v41
	v_add_f32_e32 v40, v41, v40
	v_add_f32_e32 v44, v43, v40
	v_mul_f32_e32 v46, v44, v44
	v_mov_b32_e32 v42, 0x3ecc95a3
	v_fmac_f32_e32 v42, 0x3e9b6dac, v46
	v_mov_b32_e32 v41, 0x3f2aaada
	v_fmac_f32_e32 v41, v46, v42
	v_cvt_f32_i32_e32 v42, v48
	v_sub_f32_e32 v43, v44, v43
	v_sub_f32_e32 v40, v40, v43
	v_ldexp_f32 v47, v40, 1
	v_mul_f32_e32 v43, v44, v46
	v_mov_b32_e32 v40, 0x3f317218
	s_mov_b32 s34, 0x3f317218
	v_pk_mul_f32 v[40:41], v[42:43], v[40:41]
	v_ldexp_f32 v45, v44, 1
	v_fma_f32 v44, v42, s34, -v40
	v_fmac_f32_e32 v44, 0xb102e308, v42
	v_pk_add_f32 v[42:43], v[40:41], v[44:45]
	v_sub_f32_e32 v45, v43, v45
	v_sub_f32_e32 v45, v41, v45
	v_add_f32_e32 v47, v47, v45
	v_mov_b32_e32 v46, v40
	v_pk_add_f32 v[40:41], v[42:43], v[40:41] neg_lo:[0,1] neg_hi:[0,1]
	v_pk_add_f32 v[48:49], v[42:43], v[46:47]
	v_mov_b32_e32 v41, v49
	v_mov_b32_e32 v45, v42
	v_pk_add_f32 v[50:51], v[44:45], v[40:41] neg_lo:[0,1] neg_hi:[0,1]
	v_pk_add_f32 v[40:41], v[44:45], v[40:41]
	v_mov_b32_e32 v44, v41
	v_pk_add_f32 v[52:53], v[44:45], v[42:43] neg_lo:[0,1] neg_hi:[0,1]
	v_mov_b32_e32 v45, v52
	v_pk_add_f32 v[54:55], v[48:49], v[44:45] neg_lo:[0,1] neg_hi:[0,1]
	v_mov_b32_e32 v40, v49
	v_mov_b32_e32 v48, v43
	;; [unrolled: 1-line block ×4, first 2 shown]
	v_pk_add_f32 v[40:41], v[40:41], v[48:49] neg_lo:[0,1] neg_hi:[0,1]
	v_mov_b32_e32 v46, v47
	v_mov_b32_e32 v47, v42
	v_pk_add_f32 v[40:41], v[46:47], v[40:41] neg_lo:[0,1] neg_hi:[0,1]
	v_mov_b32_e32 v54, v50
	v_pk_add_f32 v[42:43], v[54:55], v[40:41]
	v_mov_b32_e32 v46, v43
	v_pk_add_f32 v[46:47], v[42:43], v[46:47]
	v_pk_add_f32 v[44:45], v[44:45], v[46:47]
	v_mov_b32_e32 v43, v44
	v_pk_add_f32 v[48:49], v[42:43], v[50:51] neg_lo:[0,1] neg_hi:[0,1]
	v_mov_b32_e32 v41, v46
	v_sub_f32_e32 v42, v42, v48
	v_pk_add_f32 v[40:41], v[40:41], v[48:49] neg_lo:[0,1] neg_hi:[0,1]
	v_sub_f32_e32 v42, v50, v42
	v_add_f32_e32 v40, v40, v42
	v_cmp_eq_f32_e64 s[34:35], s57, v56
	s_mov_b32 s57, 0x33800000
	v_add_f32_e32 v40, v40, v41
	v_cmp_lt_f32_e64 s[58:59], |v56|, s57
	v_add_f32_e32 v40, v44, v40
	s_or_b64 s[34:35], s[34:35], s[58:59]
	v_cndmask_b32_e64 v40, v40, v56, s[34:35]
	v_add_f32_e32 v41, v39, v40
.LBB90_250:
	s_or_b64 exec, exec, s[36:37]
	v_mov_b32_e32 v40, v41
.LBB90_251:
	s_or_b64 exec, exec, s[54:55]
	s_nop 0
	v_mov_b32_dpp v41, v40 row_bcast:31 row_mask:0xf bank_mask:0xf
	v_cmp_lt_u32_e64 s[34:35], 31, v7
	s_and_saveexec_b64 s[54:55], s[34:35]
	s_cbranch_execz .LBB90_255
; %bb.252:
	v_max_f32_e32 v39, v40, v40
	v_max_f32_e32 v43, v41, v41
	v_min_f32_e32 v42, v43, v39
	v_cmp_u_f32_e64 s[34:35], v41, v41
	v_max_f32_e32 v39, v43, v39
	v_cndmask_b32_e64 v42, v42, v41, s[34:35]
	v_cmp_u_f32_e64 s[36:37], v40, v40
	v_cndmask_b32_e64 v39, v39, v41, s[34:35]
	v_cndmask_b32_e64 v42, v42, v40, s[36:37]
	;; [unrolled: 1-line block ×3, first 2 shown]
	s_movk_i32 s36, 0x1f8
	v_cmp_neq_f32_e64 s[34:35], v42, v39
	v_cmp_class_f32_e64 s[36:37], v42, s36
	s_or_b64 s[34:35], s[34:35], s[36:37]
	s_and_saveexec_b64 s[36:37], s[34:35]
	s_cbranch_execz .LBB90_254
; %bb.253:
	v_sub_f32_e32 v40, v42, v39
	s_mov_b32 s34, 0x3fb8aa3b
	v_mul_f32_e32 v41, 0x3fb8aa3b, v40
	v_fma_f32 v42, v40, s34, -v41
	v_rndne_f32_e32 v43, v41
	v_fmac_f32_e32 v42, 0x32a5705f, v40
	v_sub_f32_e32 v41, v41, v43
	v_add_f32_e32 v41, v41, v42
	v_exp_f32_e32 v41, v41
	v_cvt_i32_f32_e32 v42, v43
	s_mov_b32 s34, 0xc2ce8ed0
	v_cmp_ngt_f32_e64 s[34:35], s34, v40
	s_mov_b32 s57, 0x7f800000
	v_ldexp_f32 v41, v41, v42
	v_cndmask_b32_e64 v41, 0, v41, s[34:35]
	s_mov_b32 s34, 0x42b17218
	v_mov_b32_e32 v42, 0x7f800000
	v_cmp_nlt_f32_e64 s[34:35], s34, v40
	v_cndmask_b32_e64 v56, v42, v41, s[34:35]
	v_add_f32_e32 v42, 1.0, v56
	v_add_f32_e32 v40, -1.0, v42
	v_sub_f32_e32 v41, v40, v42
	v_add_f32_e32 v41, 1.0, v41
	v_sub_f32_e32 v40, v56, v40
	v_add_f32_e32 v43, v40, v41
	v_frexp_mant_f32_e32 v44, v42
	s_mov_b32 s34, 0x3f2aaaab
	v_cvt_f64_f32_e32 v[40:41], v42
	v_frexp_exp_i32_f64_e32 v40, v[40:41]
	v_cmp_gt_f32_e64 s[34:35], s34, v44
	v_subbrev_co_u32_e64 v48, s[34:35], 0, v40, s[34:35]
	v_sub_u32_e32 v40, 0, v48
	v_ldexp_f32 v41, v42, v40
	v_add_f32_e32 v42, -1.0, v41
	v_add_f32_e32 v44, 1.0, v41
	v_ldexp_f32 v40, v43, v40
	v_add_f32_e32 v43, 1.0, v42
	v_add_f32_e32 v45, -1.0, v44
	v_sub_f32_e32 v43, v41, v43
	v_sub_f32_e32 v41, v41, v45
	v_add_f32_e32 v43, v40, v43
	v_add_f32_e32 v40, v40, v41
	;; [unrolled: 1-line block ×3, first 2 shown]
	v_rcp_f32_e32 v51, v49
	v_sub_f32_e32 v41, v44, v49
	v_add_f32_e32 v50, v40, v41
	v_add_f32_e32 v41, v42, v43
	v_mul_f32_e32 v53, v41, v51
	v_sub_f32_e32 v40, v42, v41
	v_mul_f32_e32 v42, v49, v53
	v_fma_f32 v44, v53, v49, -v42
	v_fmac_f32_e32 v44, v53, v50
	v_add_f32_e32 v52, v43, v40
	v_add_f32_e32 v40, v42, v44
	v_sub_f32_e32 v43, v41, v40
	v_pk_add_f32 v[46:47], v[40:41], v[42:43] neg_lo:[0,1] neg_hi:[0,1]
	v_mov_b32_e32 v45, v40
	v_pk_add_f32 v[40:41], v[46:47], v[44:45] neg_lo:[0,1] neg_hi:[0,1]
	v_add_f32_e32 v41, v52, v41
	v_add_f32_e32 v40, v40, v41
	;; [unrolled: 1-line block ×3, first 2 shown]
	v_mul_f32_e32 v52, v51, v41
	v_mul_f32_e32 v42, v49, v52
	v_fma_f32 v44, v52, v49, -v42
	v_fmac_f32_e32 v44, v52, v50
	v_sub_f32_e32 v43, v43, v41
	v_add_f32_e32 v49, v40, v43
	v_add_f32_e32 v40, v42, v44
	v_sub_f32_e32 v43, v41, v40
	v_pk_add_f32 v[46:47], v[40:41], v[42:43] neg_lo:[0,1] neg_hi:[0,1]
	v_mov_b32_e32 v45, v40
	v_pk_add_f32 v[40:41], v[46:47], v[44:45] neg_lo:[0,1] neg_hi:[0,1]
	v_add_f32_e32 v41, v49, v41
	v_add_f32_e32 v40, v40, v41
	;; [unrolled: 1-line block ×4, first 2 shown]
	v_sub_f32_e32 v41, v43, v53
	v_mul_f32_e32 v40, v51, v40
	v_sub_f32_e32 v41, v52, v41
	v_add_f32_e32 v40, v41, v40
	v_add_f32_e32 v44, v43, v40
	v_mul_f32_e32 v46, v44, v44
	v_mov_b32_e32 v42, 0x3ecc95a3
	v_fmac_f32_e32 v42, 0x3e9b6dac, v46
	v_mov_b32_e32 v41, 0x3f2aaada
	v_fmac_f32_e32 v41, v46, v42
	v_cvt_f32_i32_e32 v42, v48
	v_sub_f32_e32 v43, v44, v43
	v_sub_f32_e32 v40, v40, v43
	v_ldexp_f32 v47, v40, 1
	v_mul_f32_e32 v43, v44, v46
	v_mov_b32_e32 v40, 0x3f317218
	s_mov_b32 s34, 0x3f317218
	v_pk_mul_f32 v[40:41], v[42:43], v[40:41]
	v_ldexp_f32 v45, v44, 1
	v_fma_f32 v44, v42, s34, -v40
	v_fmac_f32_e32 v44, 0xb102e308, v42
	v_pk_add_f32 v[42:43], v[40:41], v[44:45]
	v_sub_f32_e32 v45, v43, v45
	v_sub_f32_e32 v45, v41, v45
	v_add_f32_e32 v47, v47, v45
	v_mov_b32_e32 v46, v40
	v_pk_add_f32 v[40:41], v[42:43], v[40:41] neg_lo:[0,1] neg_hi:[0,1]
	v_pk_add_f32 v[48:49], v[42:43], v[46:47]
	v_mov_b32_e32 v41, v49
	v_mov_b32_e32 v45, v42
	v_pk_add_f32 v[50:51], v[44:45], v[40:41] neg_lo:[0,1] neg_hi:[0,1]
	v_pk_add_f32 v[40:41], v[44:45], v[40:41]
	v_mov_b32_e32 v44, v41
	v_pk_add_f32 v[52:53], v[44:45], v[42:43] neg_lo:[0,1] neg_hi:[0,1]
	v_mov_b32_e32 v45, v52
	v_pk_add_f32 v[54:55], v[48:49], v[44:45] neg_lo:[0,1] neg_hi:[0,1]
	v_mov_b32_e32 v40, v49
	v_mov_b32_e32 v48, v43
	;; [unrolled: 1-line block ×4, first 2 shown]
	v_pk_add_f32 v[40:41], v[40:41], v[48:49] neg_lo:[0,1] neg_hi:[0,1]
	v_mov_b32_e32 v46, v47
	v_mov_b32_e32 v47, v42
	v_pk_add_f32 v[40:41], v[46:47], v[40:41] neg_lo:[0,1] neg_hi:[0,1]
	v_mov_b32_e32 v54, v50
	v_pk_add_f32 v[42:43], v[54:55], v[40:41]
	v_mov_b32_e32 v46, v43
	v_pk_add_f32 v[46:47], v[42:43], v[46:47]
	v_pk_add_f32 v[44:45], v[44:45], v[46:47]
	v_mov_b32_e32 v43, v44
	v_pk_add_f32 v[48:49], v[42:43], v[50:51] neg_lo:[0,1] neg_hi:[0,1]
	v_mov_b32_e32 v41, v46
	v_sub_f32_e32 v42, v42, v48
	v_pk_add_f32 v[40:41], v[40:41], v[48:49] neg_lo:[0,1] neg_hi:[0,1]
	v_sub_f32_e32 v42, v50, v42
	v_add_f32_e32 v40, v40, v42
	v_cmp_eq_f32_e64 s[34:35], s57, v56
	s_mov_b32 s57, 0x33800000
	v_add_f32_e32 v40, v40, v41
	v_cmp_lt_f32_e64 s[58:59], |v56|, s57
	v_add_f32_e32 v40, v44, v40
	s_or_b64 s[34:35], s[34:35], s[58:59]
	v_cndmask_b32_e64 v40, v40, v56, s[34:35]
	v_add_f32_e32 v41, v39, v40
.LBB90_254:
	s_or_b64 exec, exec, s[36:37]
	v_mov_b32_e32 v40, v41
.LBB90_255:
	s_or_b64 exec, exec, s[54:55]
	v_add_u32_e32 v39, -1, v7
	v_and_b32_e32 v41, 64, v7
	v_cmp_lt_i32_e64 s[34:35], v39, v41
	v_cndmask_b32_e64 v7, v39, v7, s[34:35]
	v_lshlrev_b32_e32 v7, 2, v7
	ds_bpermute_b32 v7, v7, v40
	s_movk_i32 s36, 0x1f8
	s_waitcnt lgkmcnt(0)
	v_max_f32_e32 v39, v7, v7
	v_min_f32_e32 v40, v39, v38
	v_max_f32_e32 v39, v39, v38
	v_cmp_u_f32_e64 s[34:35], v7, v7
	v_cndmask_b32_e64 v38, v40, v7, s[34:35]
	v_cndmask_b32_e64 v39, v39, v7, s[34:35]
	;; [unrolled: 1-line block ×4, first 2 shown]
	v_cmp_neq_f32_e64 s[30:31], v38, v6
	v_cmp_class_f32_e64 s[34:35], v38, s36
	s_or_b64 s[30:31], s[30:31], s[34:35]
	s_and_saveexec_b64 s[34:35], s[30:31]
	s_cbranch_execz .LBB90_257
; %bb.256:
	v_sub_f32_e32 v7, v38, v6
	s_mov_b32 s30, 0x3fb8aa3b
	v_mul_f32_e32 v38, 0x3fb8aa3b, v7
	v_fma_f32 v39, v7, s30, -v38
	v_rndne_f32_e32 v40, v38
	v_fmac_f32_e32 v39, 0x32a5705f, v7
	v_sub_f32_e32 v38, v38, v40
	v_add_f32_e32 v38, v38, v39
	v_exp_f32_e32 v38, v38
	v_cvt_i32_f32_e32 v39, v40
	s_mov_b32 s30, 0xc2ce8ed0
	v_cmp_ngt_f32_e64 s[30:31], s30, v7
	s_mov_b32 s37, 0x7f800000
	v_ldexp_f32 v38, v38, v39
	v_cndmask_b32_e64 v38, 0, v38, s[30:31]
	s_mov_b32 s30, 0x42b17218
	v_mov_b32_e32 v39, 0x7f800000
	v_cmp_nlt_f32_e64 s[30:31], s30, v7
	v_cndmask_b32_e64 v54, v39, v38, s[30:31]
	v_add_f32_e32 v7, 1.0, v54
	v_add_f32_e32 v38, -1.0, v7
	v_sub_f32_e32 v39, v38, v7
	v_add_f32_e32 v39, 1.0, v39
	v_sub_f32_e32 v38, v54, v38
	v_add_f32_e32 v40, v38, v39
	v_frexp_mant_f32_e32 v41, v7
	s_mov_b32 s30, 0x3f2aaaab
	v_cvt_f64_f32_e32 v[38:39], v7
	v_frexp_exp_i32_f64_e32 v38, v[38:39]
	v_cmp_gt_f32_e64 s[30:31], s30, v41
	v_subbrev_co_u32_e64 v46, s[30:31], 0, v38, s[30:31]
	v_sub_u32_e32 v38, 0, v46
	v_ldexp_f32 v7, v7, v38
	v_ldexp_f32 v38, v40, v38
	v_add_f32_e32 v40, -1.0, v7
	v_add_f32_e32 v39, 1.0, v40
	v_sub_f32_e32 v39, v7, v39
	v_add_f32_e32 v41, v38, v39
	v_add_f32_e32 v39, 1.0, v7
	v_add_f32_e32 v42, -1.0, v39
	v_sub_f32_e32 v7, v7, v42
	v_add_f32_e32 v7, v38, v7
	v_add_f32_e32 v47, v39, v7
	v_rcp_f32_e32 v48, v47
	v_sub_f32_e32 v38, v39, v47
	v_add_f32_e32 v39, v40, v41
	v_add_f32_e32 v7, v7, v38
	v_mul_f32_e32 v50, v39, v48
	v_sub_f32_e32 v38, v40, v39
	v_mul_f32_e32 v40, v47, v50
	v_fma_f32 v42, v50, v47, -v40
	v_fmac_f32_e32 v42, v50, v7
	v_add_f32_e32 v49, v41, v38
	v_add_f32_e32 v38, v40, v42
	v_sub_f32_e32 v41, v39, v38
	v_pk_add_f32 v[44:45], v[38:39], v[40:41] neg_lo:[0,1] neg_hi:[0,1]
	v_mov_b32_e32 v43, v38
	v_pk_add_f32 v[38:39], v[44:45], v[42:43] neg_lo:[0,1] neg_hi:[0,1]
	v_add_f32_e32 v39, v49, v39
	v_add_f32_e32 v38, v38, v39
	;; [unrolled: 1-line block ×3, first 2 shown]
	v_mul_f32_e32 v49, v48, v39
	v_mul_f32_e32 v40, v47, v49
	v_fma_f32 v42, v49, v47, -v40
	v_fmac_f32_e32 v42, v49, v7
	v_sub_f32_e32 v7, v41, v39
	v_add_f32_e32 v7, v38, v7
	v_add_f32_e32 v38, v40, v42
	v_sub_f32_e32 v41, v39, v38
	v_pk_add_f32 v[44:45], v[38:39], v[40:41] neg_lo:[0,1] neg_hi:[0,1]
	v_mov_b32_e32 v43, v38
	v_pk_add_f32 v[38:39], v[44:45], v[42:43] neg_lo:[0,1] neg_hi:[0,1]
	v_add_f32_e32 v7, v7, v39
	v_add_f32_e32 v7, v38, v7
	;; [unrolled: 1-line block ×4, first 2 shown]
	v_sub_f32_e32 v39, v38, v50
	v_mul_f32_e32 v7, v48, v7
	v_sub_f32_e32 v39, v49, v39
	v_add_f32_e32 v7, v39, v7
	v_add_f32_e32 v41, v38, v7
	v_mul_f32_e32 v42, v41, v41
	v_mov_b32_e32 v40, 0x3ecc95a3
	v_fmac_f32_e32 v40, 0x3e9b6dac, v42
	v_mov_b32_e32 v39, 0x3f2aaada
	v_fmac_f32_e32 v39, v42, v40
	v_cvt_f32_i32_e32 v40, v46
	v_sub_f32_e32 v38, v41, v38
	v_sub_f32_e32 v7, v7, v38
	v_ldexp_f32 v43, v41, 1
	v_mul_f32_e32 v41, v41, v42
	v_mov_b32_e32 v38, 0x3f317218
	s_mov_b32 s30, 0x3f317218
	v_pk_mul_f32 v[38:39], v[40:41], v[38:39]
	v_fma_f32 v42, v40, s30, -v38
	v_fmac_f32_e32 v42, 0xb102e308, v40
	v_pk_add_f32 v[40:41], v[38:39], v[42:43]
	v_sub_f32_e32 v43, v41, v43
	v_ldexp_f32 v7, v7, 1
	v_sub_f32_e32 v43, v39, v43
	v_add_f32_e32 v45, v7, v43
	v_mov_b32_e32 v44, v38
	v_pk_add_f32 v[38:39], v[40:41], v[38:39] neg_lo:[0,1] neg_hi:[0,1]
	v_pk_add_f32 v[46:47], v[40:41], v[44:45]
	v_mov_b32_e32 v39, v47
	v_mov_b32_e32 v43, v40
	v_pk_add_f32 v[48:49], v[42:43], v[38:39] neg_lo:[0,1] neg_hi:[0,1]
	v_pk_add_f32 v[38:39], v[42:43], v[38:39]
	v_mov_b32_e32 v42, v39
	v_pk_add_f32 v[50:51], v[42:43], v[40:41] neg_lo:[0,1] neg_hi:[0,1]
	v_mov_b32_e32 v7, v50
	v_pk_add_f32 v[52:53], v[46:47], v[6:7] neg_lo:[0,1] neg_hi:[0,1]
	v_mov_b32_e32 v38, v47
	v_mov_b32_e32 v46, v41
	v_mov_b32_e32 v47, v50
	v_mov_b32_e32 v49, v39
	v_pk_add_f32 v[38:39], v[38:39], v[46:47] neg_lo:[0,1] neg_hi:[0,1]
	v_mov_b32_e32 v44, v45
	v_mov_b32_e32 v45, v40
	v_pk_add_f32 v[38:39], v[44:45], v[38:39] neg_lo:[0,1] neg_hi:[0,1]
	v_mov_b32_e32 v52, v48
	v_pk_add_f32 v[40:41], v[52:53], v[38:39]
	v_mov_b32_e32 v44, v41
	v_pk_add_f32 v[44:45], v[40:41], v[44:45]
	v_pk_add_f32 v[42:43], v[42:43], v[44:45]
	v_mov_b32_e32 v41, v42
	v_pk_add_f32 v[46:47], v[40:41], v[48:49] neg_lo:[0,1] neg_hi:[0,1]
	v_mov_b32_e32 v39, v44
	v_sub_f32_e32 v7, v40, v46
	v_pk_add_f32 v[38:39], v[38:39], v[46:47] neg_lo:[0,1] neg_hi:[0,1]
	v_sub_f32_e32 v7, v48, v7
	v_add_f32_e32 v7, v38, v7
	v_cmp_eq_f32_e64 s[30:31], s37, v54
	s_mov_b32 s37, 0x33800000
	v_add_f32_e32 v7, v7, v39
	v_cmp_lt_f32_e64 s[54:55], |v54|, s37
	v_add_f32_e32 v7, v42, v7
	s_or_b64 s[30:31], s[30:31], s[54:55]
	v_cndmask_b32_e64 v7, v7, v54, s[30:31]
	v_add_f32_e32 v7, v6, v7
.LBB90_257:
	s_or_b64 exec, exec, s[34:35]
	v_cndmask_b32_e64 v7, v7, v36, s[26:27]
	; wave barrier
	ds_write_b32 v37, v7
	; wave barrier
	ds_read_b32 v6, v37 offset:4
	v_max_f32_e32 v39, v7, v7
	v_cmp_u_f32_e64 s[26:27], v7, v7
	s_waitcnt lgkmcnt(0)
	v_max_f32_e32 v40, v6, v6
	v_min_f32_e32 v38, v39, v40
	v_max_f32_e32 v39, v39, v40
	v_cndmask_b32_e64 v38, v38, v7, s[26:27]
	v_cmp_u_f32_e64 s[30:31], v6, v6
	v_cndmask_b32_e64 v39, v39, v7, s[26:27]
	v_cndmask_b32_e64 v38, v38, v6, s[30:31]
	;; [unrolled: 1-line block ×3, first 2 shown]
	v_cmp_neq_f32_e64 s[26:27], v38, v6
	v_cmp_class_f32_e64 s[30:31], v38, s36
	s_or_b64 s[26:27], s[26:27], s[30:31]
	s_and_saveexec_b64 s[30:31], s[26:27]
	s_cbranch_execz .LBB90_259
; %bb.258:
	v_sub_f32_e32 v7, v38, v6
	s_mov_b32 s26, 0x3fb8aa3b
	v_mul_f32_e32 v38, 0x3fb8aa3b, v7
	v_fma_f32 v39, v7, s26, -v38
	v_rndne_f32_e32 v40, v38
	v_fmac_f32_e32 v39, 0x32a5705f, v7
	v_sub_f32_e32 v38, v38, v40
	v_add_f32_e32 v38, v38, v39
	v_exp_f32_e32 v38, v38
	v_cvt_i32_f32_e32 v39, v40
	s_mov_b32 s26, 0xc2ce8ed0
	v_cmp_ngt_f32_e64 s[26:27], s26, v7
	s_mov_b32 s34, 0x7f800000
	v_ldexp_f32 v38, v38, v39
	v_cndmask_b32_e64 v38, 0, v38, s[26:27]
	s_mov_b32 s26, 0x42b17218
	v_mov_b32_e32 v39, 0x7f800000
	v_cmp_nlt_f32_e64 s[26:27], s26, v7
	v_cndmask_b32_e64 v54, v39, v38, s[26:27]
	v_add_f32_e32 v7, 1.0, v54
	v_add_f32_e32 v38, -1.0, v7
	v_sub_f32_e32 v39, v38, v7
	v_add_f32_e32 v39, 1.0, v39
	v_sub_f32_e32 v38, v54, v38
	v_add_f32_e32 v40, v38, v39
	v_frexp_mant_f32_e32 v41, v7
	s_mov_b32 s26, 0x3f2aaaab
	v_cvt_f64_f32_e32 v[38:39], v7
	v_frexp_exp_i32_f64_e32 v38, v[38:39]
	v_cmp_gt_f32_e64 s[26:27], s26, v41
	v_subbrev_co_u32_e64 v46, s[26:27], 0, v38, s[26:27]
	v_sub_u32_e32 v38, 0, v46
	v_ldexp_f32 v7, v7, v38
	v_ldexp_f32 v38, v40, v38
	v_add_f32_e32 v40, -1.0, v7
	v_add_f32_e32 v39, 1.0, v40
	v_sub_f32_e32 v39, v7, v39
	v_add_f32_e32 v41, v38, v39
	v_add_f32_e32 v39, 1.0, v7
	v_add_f32_e32 v42, -1.0, v39
	v_sub_f32_e32 v7, v7, v42
	v_add_f32_e32 v7, v38, v7
	v_add_f32_e32 v47, v39, v7
	v_rcp_f32_e32 v48, v47
	v_sub_f32_e32 v38, v39, v47
	v_add_f32_e32 v39, v40, v41
	v_add_f32_e32 v7, v7, v38
	v_mul_f32_e32 v50, v39, v48
	v_sub_f32_e32 v38, v40, v39
	v_mul_f32_e32 v40, v47, v50
	v_fma_f32 v42, v50, v47, -v40
	v_fmac_f32_e32 v42, v50, v7
	v_add_f32_e32 v49, v41, v38
	v_add_f32_e32 v38, v40, v42
	v_sub_f32_e32 v41, v39, v38
	v_pk_add_f32 v[44:45], v[38:39], v[40:41] neg_lo:[0,1] neg_hi:[0,1]
	v_mov_b32_e32 v43, v38
	v_pk_add_f32 v[38:39], v[44:45], v[42:43] neg_lo:[0,1] neg_hi:[0,1]
	v_add_f32_e32 v39, v49, v39
	v_add_f32_e32 v38, v38, v39
	;; [unrolled: 1-line block ×3, first 2 shown]
	v_mul_f32_e32 v49, v48, v39
	v_mul_f32_e32 v40, v47, v49
	v_fma_f32 v42, v49, v47, -v40
	v_fmac_f32_e32 v42, v49, v7
	v_sub_f32_e32 v7, v41, v39
	v_add_f32_e32 v7, v38, v7
	v_add_f32_e32 v38, v40, v42
	v_sub_f32_e32 v41, v39, v38
	v_pk_add_f32 v[44:45], v[38:39], v[40:41] neg_lo:[0,1] neg_hi:[0,1]
	v_mov_b32_e32 v43, v38
	v_pk_add_f32 v[38:39], v[44:45], v[42:43] neg_lo:[0,1] neg_hi:[0,1]
	v_add_f32_e32 v7, v7, v39
	v_add_f32_e32 v7, v38, v7
	;; [unrolled: 1-line block ×4, first 2 shown]
	v_sub_f32_e32 v39, v38, v50
	v_mul_f32_e32 v7, v48, v7
	v_sub_f32_e32 v39, v49, v39
	v_add_f32_e32 v7, v39, v7
	v_add_f32_e32 v41, v38, v7
	v_mul_f32_e32 v42, v41, v41
	v_mov_b32_e32 v40, 0x3ecc95a3
	v_fmac_f32_e32 v40, 0x3e9b6dac, v42
	v_mov_b32_e32 v39, 0x3f2aaada
	v_fmac_f32_e32 v39, v42, v40
	v_cvt_f32_i32_e32 v40, v46
	v_sub_f32_e32 v38, v41, v38
	v_sub_f32_e32 v7, v7, v38
	v_ldexp_f32 v43, v41, 1
	v_mul_f32_e32 v41, v41, v42
	v_mov_b32_e32 v38, 0x3f317218
	s_mov_b32 s26, 0x3f317218
	v_pk_mul_f32 v[38:39], v[40:41], v[38:39]
	v_fma_f32 v42, v40, s26, -v38
	v_fmac_f32_e32 v42, 0xb102e308, v40
	v_pk_add_f32 v[40:41], v[38:39], v[42:43]
	v_sub_f32_e32 v43, v41, v43
	v_ldexp_f32 v7, v7, 1
	v_sub_f32_e32 v43, v39, v43
	v_add_f32_e32 v45, v7, v43
	v_mov_b32_e32 v44, v38
	v_pk_add_f32 v[38:39], v[40:41], v[38:39] neg_lo:[0,1] neg_hi:[0,1]
	v_pk_add_f32 v[46:47], v[40:41], v[44:45]
	v_mov_b32_e32 v39, v47
	v_mov_b32_e32 v43, v40
	v_pk_add_f32 v[48:49], v[42:43], v[38:39] neg_lo:[0,1] neg_hi:[0,1]
	v_pk_add_f32 v[38:39], v[42:43], v[38:39]
	v_mov_b32_e32 v42, v39
	v_pk_add_f32 v[50:51], v[42:43], v[40:41] neg_lo:[0,1] neg_hi:[0,1]
	v_mov_b32_e32 v7, v50
	v_pk_add_f32 v[52:53], v[46:47], v[6:7] neg_lo:[0,1] neg_hi:[0,1]
	v_mov_b32_e32 v38, v47
	v_mov_b32_e32 v46, v41
	;; [unrolled: 1-line block ×4, first 2 shown]
	v_pk_add_f32 v[38:39], v[38:39], v[46:47] neg_lo:[0,1] neg_hi:[0,1]
	v_mov_b32_e32 v44, v45
	v_mov_b32_e32 v45, v40
	v_pk_add_f32 v[38:39], v[44:45], v[38:39] neg_lo:[0,1] neg_hi:[0,1]
	v_mov_b32_e32 v52, v48
	v_pk_add_f32 v[40:41], v[52:53], v[38:39]
	v_mov_b32_e32 v44, v41
	v_pk_add_f32 v[44:45], v[40:41], v[44:45]
	v_pk_add_f32 v[42:43], v[42:43], v[44:45]
	v_mov_b32_e32 v41, v42
	v_pk_add_f32 v[46:47], v[40:41], v[48:49] neg_lo:[0,1] neg_hi:[0,1]
	v_mov_b32_e32 v39, v44
	v_sub_f32_e32 v7, v40, v46
	v_pk_add_f32 v[38:39], v[38:39], v[46:47] neg_lo:[0,1] neg_hi:[0,1]
	v_sub_f32_e32 v7, v48, v7
	v_add_f32_e32 v7, v38, v7
	v_cmp_eq_f32_e64 s[26:27], s34, v54
	s_mov_b32 s34, 0x33800000
	v_add_f32_e32 v7, v7, v39
	v_cmp_lt_f32_e64 s[34:35], |v54|, s34
	v_add_f32_e32 v7, v42, v7
	s_or_b64 s[26:27], s[26:27], s[34:35]
	v_cndmask_b32_e64 v7, v7, v54, s[26:27]
	v_add_f32_e32 v7, v6, v7
.LBB90_259:
	s_or_b64 exec, exec, s[30:31]
	ds_write_b32 v37, v7 offset:4
.LBB90_260:
	s_or_b64 exec, exec, s[40:41]
	s_waitcnt lgkmcnt(0)
	s_barrier
	s_and_saveexec_b64 s[26:27], vcc
	s_cbranch_execz .LBB90_262
; %bb.261:
	v_add_u32_e32 v6, -1, v0
	v_lshrrev_b32_e32 v7, 5, v6
	v_add_lshl_u32 v6, v7, v6, 2
	ds_read_b32 v36, v6
.LBB90_262:
	s_or_b64 exec, exec, s[26:27]
	s_and_saveexec_b64 s[26:27], vcc
	s_cbranch_execz .LBB90_266
; %bb.263:
	s_waitcnt lgkmcnt(0)
	v_max_f32_e32 v7, v36, v36
	v_min_f32_e32 v6, v7, v35
	v_cmp_u_f32_e32 vcc, v36, v36
	v_max_f32_e32 v7, v7, v35
	v_cndmask_b32_e32 v6, v6, v36, vcc
	v_cndmask_b32_e32 v7, v7, v36, vcc
	v_cndmask_b32_e64 v6, v6, v2, s[28:29]
	v_cndmask_b32_e64 v2, v7, v2, s[28:29]
	s_movk_i32 s28, 0x1f8
	v_cmp_neq_f32_e32 vcc, v6, v2
	v_cmp_class_f32_e64 s[28:29], v6, s28
	s_or_b64 s[30:31], vcc, s[28:29]
	s_and_saveexec_b64 s[28:29], s[30:31]
	s_cbranch_execz .LBB90_265
; %bb.264:
	v_sub_f32_e32 v6, v6, v2
	s_mov_b32 s30, 0x3fb8aa3b
	v_mul_f32_e32 v7, 0x3fb8aa3b, v6
	v_fma_f32 v21, v6, s30, -v7
	v_rndne_f32_e32 v34, v7
	v_fmac_f32_e32 v21, 0x32a5705f, v6
	v_sub_f32_e32 v7, v7, v34
	v_add_f32_e32 v7, v7, v21
	v_exp_f32_e32 v7, v7
	v_cvt_i32_f32_e32 v21, v34
	s_mov_b32 s30, 0xc2ce8ed0
	v_cmp_ngt_f32_e32 vcc, s30, v6
	s_mov_b32 s30, 0x42b17218
	v_ldexp_f32 v7, v7, v21
	v_cndmask_b32_e32 v7, 0, v7, vcc
	v_mov_b32_e32 v21, 0x7f800000
	v_cmp_nlt_f32_e32 vcc, s30, v6
	v_cndmask_b32_e32 v48, v21, v7, vcc
	v_add_f32_e32 v21, 1.0, v48
	v_add_f32_e32 v6, -1.0, v21
	v_sub_f32_e32 v7, v6, v21
	v_add_f32_e32 v7, 1.0, v7
	v_sub_f32_e32 v6, v48, v6
	v_add_f32_e32 v34, v6, v7
	v_frexp_mant_f32_e32 v35, v21
	s_mov_b32 s30, 0x3f2aaaab
	v_cvt_f64_f32_e32 v[6:7], v21
	v_frexp_exp_i32_f64_e32 v6, v[6:7]
	v_cmp_gt_f32_e32 vcc, s30, v35
	v_subbrev_co_u32_e32 v40, vcc, 0, v6, vcc
	v_sub_u32_e32 v6, 0, v40
	v_ldexp_f32 v7, v21, v6
	v_add_f32_e32 v21, -1.0, v7
	v_add_f32_e32 v35, 1.0, v7
	v_ldexp_f32 v6, v34, v6
	v_add_f32_e32 v34, 1.0, v21
	v_add_f32_e32 v36, -1.0, v35
	v_sub_f32_e32 v34, v7, v34
	v_sub_f32_e32 v7, v7, v36
	v_add_f32_e32 v34, v6, v34
	v_add_f32_e32 v6, v6, v7
	;; [unrolled: 1-line block ×3, first 2 shown]
	v_rcp_f32_e32 v43, v41
	v_sub_f32_e32 v7, v35, v41
	v_add_f32_e32 v42, v6, v7
	v_add_f32_e32 v7, v21, v34
	v_sub_f32_e32 v6, v21, v7
	v_mul_f32_e32 v44, v7, v43
	v_add_f32_e32 v21, v34, v6
	v_mul_f32_e32 v34, v41, v44
	v_fma_f32 v36, v44, v41, -v34
	v_fmac_f32_e32 v36, v44, v42
	v_add_f32_e32 v6, v34, v36
	v_sub_f32_e32 v35, v7, v6
	v_pk_add_f32 v[38:39], v[6:7], v[34:35] neg_lo:[0,1] neg_hi:[0,1]
	v_mov_b32_e32 v37, v6
	v_pk_add_f32 v[6:7], v[38:39], v[36:37] neg_lo:[0,1] neg_hi:[0,1]
	v_add_f32_e32 v7, v21, v7
	v_add_f32_e32 v6, v6, v7
	v_add_f32_e32 v7, v35, v6
	v_mul_f32_e32 v21, v43, v7
	v_mul_f32_e32 v34, v41, v21
	v_fma_f32 v36, v21, v41, -v34
	v_fmac_f32_e32 v36, v21, v42
	v_sub_f32_e32 v35, v35, v7
	v_add_f32_e32 v41, v6, v35
	v_add_f32_e32 v6, v34, v36
	v_sub_f32_e32 v35, v7, v6
	v_pk_add_f32 v[38:39], v[6:7], v[34:35] neg_lo:[0,1] neg_hi:[0,1]
	v_mov_b32_e32 v37, v6
	v_pk_add_f32 v[6:7], v[38:39], v[36:37] neg_lo:[0,1] neg_hi:[0,1]
	v_add_f32_e32 v7, v41, v7
	v_add_f32_e32 v6, v6, v7
	;; [unrolled: 1-line block ×4, first 2 shown]
	v_sub_f32_e32 v7, v35, v44
	v_mul_f32_e32 v6, v43, v6
	v_sub_f32_e32 v7, v21, v7
	v_add_f32_e32 v6, v7, v6
	v_add_f32_e32 v21, v35, v6
	v_mul_f32_e32 v36, v21, v21
	v_mov_b32_e32 v34, 0x3ecc95a3
	v_fmac_f32_e32 v34, 0x3e9b6dac, v36
	v_mov_b32_e32 v7, 0x3f2aaada
	v_fmac_f32_e32 v7, v36, v34
	v_cvt_f32_i32_e32 v34, v40
	v_sub_f32_e32 v35, v21, v35
	v_sub_f32_e32 v6, v6, v35
	v_ldexp_f32 v38, v6, 1
	v_mul_f32_e32 v35, v21, v36
	v_mov_b32_e32 v6, 0x3f317218
	s_mov_b32 s30, 0x3f317218
	v_pk_mul_f32 v[6:7], v[34:35], v[6:7]
	v_fma_f32 v36, v34, s30, -v6
	v_ldexp_f32 v37, v21, 1
	v_fmac_f32_e32 v36, 0xb102e308, v34
	v_pk_add_f32 v[34:35], v[6:7], v[36:37]
	v_sub_f32_e32 v21, v35, v37
	v_sub_f32_e32 v21, v7, v21
	v_add_f32_e32 v39, v38, v21
	v_mov_b32_e32 v38, v6
	v_pk_add_f32 v[6:7], v[34:35], v[6:7] neg_lo:[0,1] neg_hi:[0,1]
	v_pk_add_f32 v[40:41], v[34:35], v[38:39]
	v_mov_b32_e32 v7, v41
	v_mov_b32_e32 v37, v34
	v_pk_add_f32 v[42:43], v[36:37], v[6:7] neg_lo:[0,1] neg_hi:[0,1]
	v_pk_add_f32 v[6:7], v[36:37], v[6:7]
	v_mov_b32_e32 v36, v7
	v_pk_add_f32 v[44:45], v[36:37], v[34:35] neg_lo:[0,1] neg_hi:[0,1]
	v_mov_b32_e32 v21, v44
	v_pk_add_f32 v[46:47], v[40:41], v[20:21] neg_lo:[0,1] neg_hi:[0,1]
	v_mov_b32_e32 v6, v41
	v_mov_b32_e32 v40, v35
	;; [unrolled: 1-line block ×4, first 2 shown]
	v_pk_add_f32 v[6:7], v[6:7], v[40:41] neg_lo:[0,1] neg_hi:[0,1]
	v_mov_b32_e32 v38, v39
	v_mov_b32_e32 v39, v34
	v_pk_add_f32 v[6:7], v[38:39], v[6:7] neg_lo:[0,1] neg_hi:[0,1]
	v_mov_b32_e32 v46, v42
	v_pk_add_f32 v[34:35], v[46:47], v[6:7]
	v_mov_b32_e32 v38, v35
	v_pk_add_f32 v[38:39], v[34:35], v[38:39]
	v_pk_add_f32 v[36:37], v[36:37], v[38:39]
	v_mov_b32_e32 v35, v36
	v_pk_add_f32 v[40:41], v[34:35], v[42:43] neg_lo:[0,1] neg_hi:[0,1]
	v_mov_b32_e32 v7, v38
	v_sub_f32_e32 v21, v34, v40
	v_pk_add_f32 v[6:7], v[6:7], v[40:41] neg_lo:[0,1] neg_hi:[0,1]
	v_sub_f32_e32 v21, v42, v21
	s_mov_b32 s31, 0x7f800000
	v_add_f32_e32 v6, v6, v21
	s_mov_b32 s30, 0x33800000
	v_add_f32_e32 v6, v6, v7
	v_cmp_eq_f32_e32 vcc, s31, v48
	v_cmp_lt_f32_e64 s[30:31], |v48|, s30
	v_add_f32_e32 v6, v36, v6
	s_or_b64 vcc, vcc, s[30:31]
	v_cndmask_b32_e32 v6, v6, v48, vcc
	v_add_f32_e32 v36, v2, v6
.LBB90_265:
	s_or_b64 exec, exec, s[28:29]
	v_max_f32_e32 v2, v36, v36
	v_min_f32_e32 v21, v2, v14
	v_max_f32_e32 v34, v2, v14
	v_mov_b32_e32 v2, v36
	;;#ASMSTART
	;;#ASMEND
.LBB90_266:
	s_or_b64 exec, exec, s[26:27]
	v_cmp_u_f32_e32 vcc, v2, v2
	v_cndmask_b32_e32 v6, v21, v2, vcc
	v_cndmask_b32_e64 v7, v6, v3, s[0:1]
	v_cndmask_b32_e32 v6, v34, v2, vcc
	v_cndmask_b32_e64 v6, v6, v3, s[0:1]
	s_movk_i32 s26, 0x1f8
	v_cmp_neq_f32_e32 vcc, v7, v6
	v_cmp_class_f32_e64 s[0:1], v7, s26
	s_or_b64 s[28:29], vcc, s[0:1]
	v_mov_b32_e32 v3, v2
	s_and_saveexec_b64 s[0:1], s[28:29]
	s_cbranch_execz .LBB90_268
; %bb.267:
	v_sub_f32_e32 v3, v7, v6
	s_mov_b32 s27, 0x3fb8aa3b
	v_mul_f32_e32 v7, 0x3fb8aa3b, v3
	v_fma_f32 v14, v3, s27, -v7
	v_rndne_f32_e32 v21, v7
	v_fmac_f32_e32 v14, 0x32a5705f, v3
	v_sub_f32_e32 v7, v7, v21
	v_add_f32_e32 v7, v7, v14
	v_exp_f32_e32 v7, v7
	v_cvt_i32_f32_e32 v14, v21
	s_mov_b32 s27, 0xc2ce8ed0
	v_cmp_ngt_f32_e32 vcc, s27, v3
	s_mov_b32 s27, 0x42b17218
	v_ldexp_f32 v7, v7, v14
	v_cndmask_b32_e32 v7, 0, v7, vcc
	v_mov_b32_e32 v14, 0x7f800000
	v_cmp_nlt_f32_e32 vcc, s27, v3
	v_cndmask_b32_e32 v7, v14, v7, vcc
	v_add_f32_e32 v3, 1.0, v7
	v_add_f32_e32 v14, -1.0, v3
	v_sub_f32_e32 v21, v14, v3
	v_add_f32_e32 v21, 1.0, v21
	v_sub_f32_e32 v14, v7, v14
	v_add_f32_e32 v14, v14, v21
	v_frexp_mant_f32_e32 v21, v3
	s_mov_b32 s27, 0x3f2aaaab
	v_cvt_f64_f32_e32 v[34:35], v3
	v_frexp_exp_i32_f64_e32 v34, v[34:35]
	v_cmp_gt_f32_e32 vcc, s27, v21
	v_subbrev_co_u32_e32 v21, vcc, 0, v34, vcc
	v_sub_u32_e32 v34, 0, v21
	v_ldexp_f32 v3, v3, v34
	v_ldexp_f32 v14, v14, v34
	v_add_f32_e32 v34, -1.0, v3
	v_add_f32_e32 v35, 1.0, v34
	v_sub_f32_e32 v35, v3, v35
	s_waitcnt lgkmcnt(0)
	v_add_f32_e32 v36, v14, v35
	v_add_f32_e32 v35, 1.0, v3
	v_add_f32_e32 v37, -1.0, v35
	v_sub_f32_e32 v3, v3, v37
	v_add_f32_e32 v3, v14, v3
	v_add_f32_e32 v14, v35, v3
	v_rcp_f32_e32 v42, v14
	v_sub_f32_e32 v35, v35, v14
	v_add_f32_e32 v3, v3, v35
	v_add_f32_e32 v35, v34, v36
	v_sub_f32_e32 v34, v34, v35
	v_mul_f32_e32 v44, v35, v42
	v_add_f32_e32 v43, v36, v34
	v_mul_f32_e32 v36, v14, v44
	v_fma_f32 v38, v44, v14, -v36
	v_fmac_f32_e32 v38, v44, v3
	v_add_f32_e32 v34, v36, v38
	v_sub_f32_e32 v37, v35, v34
	v_pk_add_f32 v[40:41], v[34:35], v[36:37] neg_lo:[0,1] neg_hi:[0,1]
	v_mov_b32_e32 v39, v34
	v_pk_add_f32 v[34:35], v[40:41], v[38:39] neg_lo:[0,1] neg_hi:[0,1]
	v_add_f32_e32 v35, v43, v35
	v_add_f32_e32 v34, v34, v35
	;; [unrolled: 1-line block ×3, first 2 shown]
	v_mul_f32_e32 v43, v42, v35
	v_mul_f32_e32 v36, v14, v43
	v_fma_f32 v38, v43, v14, -v36
	v_fmac_f32_e32 v38, v43, v3
	v_sub_f32_e32 v3, v37, v35
	v_add_f32_e32 v3, v34, v3
	v_add_f32_e32 v34, v36, v38
	v_sub_f32_e32 v37, v35, v34
	v_pk_add_f32 v[40:41], v[34:35], v[36:37] neg_lo:[0,1] neg_hi:[0,1]
	v_mov_b32_e32 v39, v34
	v_pk_add_f32 v[34:35], v[40:41], v[38:39] neg_lo:[0,1] neg_hi:[0,1]
	v_add_f32_e32 v3, v3, v35
	v_add_f32_e32 v3, v34, v3
	;; [unrolled: 1-line block ×4, first 2 shown]
	v_sub_f32_e32 v34, v14, v44
	v_mul_f32_e32 v3, v42, v3
	v_sub_f32_e32 v34, v43, v34
	v_add_f32_e32 v3, v34, v3
	v_add_f32_e32 v34, v14, v3
	v_mul_f32_e32 v37, v34, v34
	v_mov_b32_e32 v36, 0x3ecc95a3
	v_fmac_f32_e32 v36, 0x3e9b6dac, v37
	v_mov_b32_e32 v35, 0x3f2aaada
	v_fmac_f32_e32 v35, v37, v36
	v_cvt_f32_i32_e32 v36, v21
	v_sub_f32_e32 v14, v34, v14
	v_ldexp_f32 v39, v34, 1
	v_mul_f32_e32 v37, v34, v37
	v_mov_b32_e32 v34, 0x3f317218
	s_mov_b32 s27, 0x3f317218
	v_pk_mul_f32 v[34:35], v[36:37], v[34:35]
	v_fma_f32 v38, v36, s27, -v34
	v_fmac_f32_e32 v38, 0xb102e308, v36
	v_pk_add_f32 v[36:37], v[34:35], v[38:39]
	v_sub_f32_e32 v3, v3, v14
	v_sub_f32_e32 v14, v37, v39
	v_ldexp_f32 v3, v3, 1
	v_sub_f32_e32 v14, v35, v14
	v_add_f32_e32 v41, v3, v14
	v_mov_b32_e32 v40, v34
	v_pk_add_f32 v[34:35], v[36:37], v[34:35] neg_lo:[0,1] neg_hi:[0,1]
	v_pk_add_f32 v[42:43], v[36:37], v[40:41]
	v_mov_b32_e32 v35, v43
	v_mov_b32_e32 v39, v36
	v_pk_add_f32 v[44:45], v[38:39], v[34:35] neg_lo:[0,1] neg_hi:[0,1]
	v_pk_add_f32 v[34:35], v[38:39], v[34:35]
	v_mov_b32_e32 v14, v35
	v_pk_add_f32 v[38:39], v[14:15], v[36:37] neg_lo:[0,1] neg_hi:[0,1]
	v_mov_b32_e32 v3, v38
	v_pk_add_f32 v[46:47], v[42:43], v[2:3] neg_lo:[0,1] neg_hi:[0,1]
	v_mov_b32_e32 v34, v43
	v_mov_b32_e32 v42, v37
	;; [unrolled: 1-line block ×4, first 2 shown]
	v_pk_add_f32 v[34:35], v[34:35], v[42:43] neg_lo:[0,1] neg_hi:[0,1]
	v_mov_b32_e32 v38, v41
	v_mov_b32_e32 v39, v36
	v_pk_add_f32 v[34:35], v[38:39], v[34:35] neg_lo:[0,1] neg_hi:[0,1]
	v_mov_b32_e32 v46, v44
	v_pk_add_f32 v[36:37], v[46:47], v[34:35]
	v_mov_b32_e32 v38, v37
	v_pk_add_f32 v[38:39], v[36:37], v[38:39]
	v_pk_add_f32 v[40:41], v[14:15], v[38:39]
	v_mov_b32_e32 v37, v40
	v_pk_add_f32 v[42:43], v[36:37], v[44:45] neg_lo:[0,1] neg_hi:[0,1]
	v_mov_b32_e32 v35, v38
	v_sub_f32_e32 v3, v36, v42
	v_pk_add_f32 v[34:35], v[34:35], v[42:43] neg_lo:[0,1] neg_hi:[0,1]
	v_sub_f32_e32 v3, v44, v3
	s_mov_b32 s28, 0x7f800000
	v_add_f32_e32 v3, v34, v3
	s_mov_b32 s27, 0x33800000
	v_add_f32_e32 v3, v3, v35
	v_cmp_eq_f32_e32 vcc, s28, v7
	v_cmp_lt_f32_e64 s[28:29], |v7|, s27
	v_add_f32_e32 v3, v40, v3
	s_or_b64 vcc, vcc, s[28:29]
	v_cndmask_b32_e32 v3, v3, v7, vcc
	v_add_f32_e32 v3, v6, v3
.LBB90_268:
	s_or_b64 exec, exec, s[0:1]
	v_max_f32_e32 v6, v3, v3
	v_min_f32_e32 v7, v6, v8
	v_cmp_u_f32_e32 vcc, v3, v3
	v_max_f32_e32 v6, v6, v8
	v_cndmask_b32_e32 v7, v7, v3, vcc
	v_cndmask_b32_e32 v6, v6, v3, vcc
	v_cndmask_b32_e64 v7, v7, v4, s[2:3]
	v_cndmask_b32_e64 v6, v6, v4, s[2:3]
	v_cmp_neq_f32_e32 vcc, v7, v6
	v_cmp_class_f32_e64 s[0:1], v7, s26
	s_or_b64 s[2:3], vcc, s[0:1]
	v_mov_b32_e32 v4, v3
	s_and_saveexec_b64 s[0:1], s[2:3]
	s_cbranch_execz .LBB90_270
; %bb.269:
	v_sub_f32_e32 v4, v7, v6
	s_mov_b32 s2, 0x3fb8aa3b
	v_mul_f32_e32 v7, 0x3fb8aa3b, v4
	v_fma_f32 v8, v4, s2, -v7
	v_rndne_f32_e32 v14, v7
	v_fmac_f32_e32 v8, 0x32a5705f, v4
	v_sub_f32_e32 v7, v7, v14
	v_add_f32_e32 v7, v7, v8
	v_exp_f32_e32 v7, v7
	v_cvt_i32_f32_e32 v8, v14
	s_mov_b32 s2, 0xc2ce8ed0
	v_cmp_ngt_f32_e32 vcc, s2, v4
	s_mov_b32 s2, 0x42b17218
	v_ldexp_f32 v7, v7, v8
	v_cndmask_b32_e32 v7, 0, v7, vcc
	v_mov_b32_e32 v8, 0x7f800000
	v_cmp_nlt_f32_e32 vcc, s2, v4
	v_cndmask_b32_e32 v14, v8, v7, vcc
	v_add_f32_e32 v4, 1.0, v14
	v_add_f32_e32 v7, -1.0, v4
	v_sub_f32_e32 v8, v7, v4
	v_add_f32_e32 v8, 1.0, v8
	v_sub_f32_e32 v7, v14, v7
	v_add_f32_e32 v7, v7, v8
	v_frexp_mant_f32_e32 v8, v4
	s_mov_b32 s2, 0x3f2aaaab
	v_cvt_f64_f32_e32 v[34:35], v4
	v_frexp_exp_i32_f64_e32 v21, v[34:35]
	v_cmp_gt_f32_e32 vcc, s2, v8
	v_subbrev_co_u32_e32 v8, vcc, 0, v21, vcc
	v_sub_u32_e32 v21, 0, v8
	v_ldexp_f32 v4, v4, v21
	v_ldexp_f32 v7, v7, v21
	v_add_f32_e32 v21, -1.0, v4
	v_add_f32_e32 v35, 1.0, v4
	v_add_f32_e32 v34, 1.0, v21
	s_waitcnt lgkmcnt(0)
	v_add_f32_e32 v36, -1.0, v35
	v_sub_f32_e32 v34, v4, v34
	v_sub_f32_e32 v4, v4, v36
	v_add_f32_e32 v4, v7, v4
	v_add_f32_e32 v34, v7, v34
	;; [unrolled: 1-line block ×3, first 2 shown]
	v_rcp_f32_e32 v42, v7
	v_sub_f32_e32 v35, v35, v7
	v_add_f32_e32 v4, v4, v35
	v_add_f32_e32 v35, v21, v34
	v_mul_f32_e32 v43, v35, v42
	v_mul_f32_e32 v36, v7, v43
	v_fma_f32 v38, v43, v7, -v36
	v_sub_f32_e32 v21, v21, v35
	v_fmac_f32_e32 v38, v43, v4
	v_add_f32_e32 v21, v34, v21
	v_add_f32_e32 v34, v36, v38
	v_sub_f32_e32 v37, v35, v34
	v_pk_add_f32 v[40:41], v[34:35], v[36:37] neg_lo:[0,1] neg_hi:[0,1]
	v_mov_b32_e32 v39, v34
	v_pk_add_f32 v[34:35], v[40:41], v[38:39] neg_lo:[0,1] neg_hi:[0,1]
	v_add_f32_e32 v21, v21, v35
	v_add_f32_e32 v21, v34, v21
	;; [unrolled: 1-line block ×3, first 2 shown]
	v_mul_f32_e32 v44, v42, v35
	v_mul_f32_e32 v36, v7, v44
	v_fma_f32 v38, v44, v7, -v36
	v_fmac_f32_e32 v38, v44, v4
	v_add_f32_e32 v34, v36, v38
	v_sub_f32_e32 v4, v37, v35
	v_sub_f32_e32 v37, v35, v34
	v_pk_add_f32 v[40:41], v[34:35], v[36:37] neg_lo:[0,1] neg_hi:[0,1]
	v_mov_b32_e32 v39, v34
	v_add_f32_e32 v4, v21, v4
	v_pk_add_f32 v[34:35], v[40:41], v[38:39] neg_lo:[0,1] neg_hi:[0,1]
	v_add_f32_e32 v4, v4, v35
	v_add_f32_e32 v4, v34, v4
	;; [unrolled: 1-line block ×4, first 2 shown]
	v_sub_f32_e32 v21, v7, v43
	v_mul_f32_e32 v4, v42, v4
	v_sub_f32_e32 v21, v44, v21
	v_add_f32_e32 v4, v21, v4
	v_add_f32_e32 v21, v7, v4
	v_mul_f32_e32 v34, v21, v21
	v_mov_b32_e32 v36, 0x3ecc95a3
	v_fmac_f32_e32 v36, 0x3e9b6dac, v34
	v_mov_b32_e32 v35, 0x3f2aaada
	v_fmac_f32_e32 v35, v34, v36
	v_cvt_f32_i32_e32 v36, v8
	v_mul_f32_e32 v37, v21, v34
	v_mov_b32_e32 v34, 0x3f317218
	s_mov_b32 s2, 0x3f317218
	v_pk_mul_f32 v[34:35], v[36:37], v[34:35]
	v_fma_f32 v38, v36, s2, -v34
	v_ldexp_f32 v39, v21, 1
	v_fmac_f32_e32 v38, 0xb102e308, v36
	v_sub_f32_e32 v7, v21, v7
	v_pk_add_f32 v[36:37], v[34:35], v[38:39]
	v_sub_f32_e32 v4, v4, v7
	v_sub_f32_e32 v7, v37, v39
	v_ldexp_f32 v4, v4, 1
	v_sub_f32_e32 v7, v35, v7
	v_add_f32_e32 v41, v4, v7
	v_mov_b32_e32 v40, v34
	v_pk_add_f32 v[34:35], v[36:37], v[34:35] neg_lo:[0,1] neg_hi:[0,1]
	v_pk_add_f32 v[42:43], v[36:37], v[40:41]
	v_mov_b32_e32 v35, v43
	v_mov_b32_e32 v39, v36
	v_pk_add_f32 v[44:45], v[38:39], v[34:35] neg_lo:[0,1] neg_hi:[0,1]
	v_pk_add_f32 v[34:35], v[38:39], v[34:35]
	v_mov_b32_e32 v4, v35
	v_pk_add_f32 v[38:39], v[4:5], v[36:37] neg_lo:[0,1] neg_hi:[0,1]
	v_mov_b32_e32 v7, v38
	v_pk_add_f32 v[46:47], v[42:43], v[6:7] neg_lo:[0,1] neg_hi:[0,1]
	v_mov_b32_e32 v34, v43
	v_mov_b32_e32 v42, v37
	;; [unrolled: 1-line block ×4, first 2 shown]
	v_pk_add_f32 v[34:35], v[34:35], v[42:43] neg_lo:[0,1] neg_hi:[0,1]
	v_mov_b32_e32 v38, v41
	v_mov_b32_e32 v39, v36
	v_pk_add_f32 v[34:35], v[38:39], v[34:35] neg_lo:[0,1] neg_hi:[0,1]
	v_mov_b32_e32 v46, v44
	v_pk_add_f32 v[36:37], v[46:47], v[34:35]
	v_mov_b32_e32 v8, v37
	v_pk_add_f32 v[38:39], v[36:37], v[8:9]
	v_pk_add_f32 v[40:41], v[4:5], v[38:39]
	v_mov_b32_e32 v37, v40
	v_pk_add_f32 v[42:43], v[36:37], v[44:45] neg_lo:[0,1] neg_hi:[0,1]
	v_mov_b32_e32 v35, v38
	v_sub_f32_e32 v4, v36, v42
	v_pk_add_f32 v[34:35], v[34:35], v[42:43] neg_lo:[0,1] neg_hi:[0,1]
	v_sub_f32_e32 v4, v44, v4
	s_mov_b32 s3, 0x7f800000
	v_add_f32_e32 v4, v34, v4
	s_mov_b32 s2, 0x33800000
	v_add_f32_e32 v4, v4, v35
	v_cmp_eq_f32_e32 vcc, s3, v14
	v_cmp_lt_f32_e64 s[2:3], |v14|, s2
	v_add_f32_e32 v4, v40, v4
	s_or_b64 vcc, vcc, s[2:3]
	v_cndmask_b32_e32 v4, v4, v14, vcc
	v_add_f32_e32 v4, v6, v4
.LBB90_270:
	s_or_b64 exec, exec, s[0:1]
	v_max_f32_e32 v6, v4, v4
	v_min_f32_e32 v7, v6, v9
	v_cmp_u_f32_e32 vcc, v4, v4
	v_max_f32_e32 v6, v6, v9
	v_cndmask_b32_e32 v7, v7, v4, vcc
	v_cndmask_b32_e32 v6, v6, v4, vcc
	v_cndmask_b32_e64 v7, v7, v5, s[4:5]
	v_cndmask_b32_e64 v6, v6, v5, s[4:5]
	s_movk_i32 s2, 0x1f8
	v_cmp_neq_f32_e32 vcc, v7, v6
	v_cmp_class_f32_e64 s[0:1], v7, s2
	s_or_b64 s[4:5], vcc, s[0:1]
	v_mov_b32_e32 v5, v4
	s_and_saveexec_b64 s[0:1], s[4:5]
	s_cbranch_execz .LBB90_272
; %bb.271:
	v_sub_f32_e32 v5, v7, v6
	s_mov_b32 s3, 0x3fb8aa3b
	v_mul_f32_e32 v7, 0x3fb8aa3b, v5
	v_fma_f32 v8, v5, s3, -v7
	v_rndne_f32_e32 v9, v7
	v_fmac_f32_e32 v8, 0x32a5705f, v5
	v_sub_f32_e32 v7, v7, v9
	v_add_f32_e32 v7, v7, v8
	v_exp_f32_e32 v7, v7
	v_cvt_i32_f32_e32 v8, v9
	s_mov_b32 s3, 0xc2ce8ed0
	v_cmp_ngt_f32_e32 vcc, s3, v5
	s_mov_b32 s3, 0x42b17218
	v_ldexp_f32 v7, v7, v8
	v_cndmask_b32_e32 v7, 0, v7, vcc
	v_mov_b32_e32 v8, 0x7f800000
	v_cmp_nlt_f32_e32 vcc, s3, v5
	v_cndmask_b32_e32 v7, v8, v7, vcc
	v_add_f32_e32 v5, 1.0, v7
	v_add_f32_e32 v8, -1.0, v5
	v_sub_f32_e32 v9, v8, v5
	v_add_f32_e32 v9, 1.0, v9
	v_sub_f32_e32 v8, v7, v8
	v_add_f32_e32 v14, v8, v9
	v_frexp_mant_f32_e32 v21, v5
	s_mov_b32 s3, 0x3f2aaaab
	v_cvt_f64_f32_e32 v[8:9], v5
	v_frexp_exp_i32_f64_e32 v8, v[8:9]
	v_cmp_gt_f32_e32 vcc, s3, v21
	v_subbrev_co_u32_e32 v21, vcc, 0, v8, vcc
	v_sub_u32_e32 v8, 0, v21
	v_ldexp_f32 v5, v5, v8
	v_ldexp_f32 v8, v14, v8
	v_add_f32_e32 v14, -1.0, v5
	v_add_f32_e32 v9, 1.0, v14
	v_sub_f32_e32 v9, v5, v9
	v_add_f32_e32 v34, v8, v9
	v_add_f32_e32 v9, 1.0, v5
	v_add_f32_e32 v35, -1.0, v9
	v_sub_f32_e32 v5, v5, v35
	v_add_f32_e32 v5, v8, v5
	v_add_f32_e32 v40, v9, v5
	v_rcp_f32_e32 v41, v40
	v_sub_f32_e32 v8, v9, v40
	v_add_f32_e32 v9, v14, v34
	v_add_f32_e32 v5, v5, v8
	v_sub_f32_e32 v8, v14, v9
	v_mul_f32_e32 v42, v9, v41
	v_add_f32_e32 v14, v34, v8
	v_mul_f32_e32 v34, v40, v42
	s_waitcnt lgkmcnt(0)
	v_fma_f32 v36, v42, v40, -v34
	v_fmac_f32_e32 v36, v42, v5
	v_add_f32_e32 v8, v34, v36
	v_sub_f32_e32 v35, v9, v8
	v_pk_add_f32 v[38:39], v[8:9], v[34:35] neg_lo:[0,1] neg_hi:[0,1]
	v_mov_b32_e32 v37, v8
	v_pk_add_f32 v[8:9], v[38:39], v[36:37] neg_lo:[0,1] neg_hi:[0,1]
	v_add_f32_e32 v9, v14, v9
	v_add_f32_e32 v8, v8, v9
	;; [unrolled: 1-line block ×3, first 2 shown]
	v_mul_f32_e32 v14, v41, v9
	v_mul_f32_e32 v34, v40, v14
	v_fma_f32 v36, v14, v40, -v34
	v_fmac_f32_e32 v36, v14, v5
	v_sub_f32_e32 v5, v35, v9
	v_add_f32_e32 v5, v8, v5
	v_add_f32_e32 v8, v34, v36
	v_sub_f32_e32 v35, v9, v8
	v_pk_add_f32 v[38:39], v[8:9], v[34:35] neg_lo:[0,1] neg_hi:[0,1]
	v_mov_b32_e32 v37, v8
	v_pk_add_f32 v[8:9], v[38:39], v[36:37] neg_lo:[0,1] neg_hi:[0,1]
	v_add_f32_e32 v5, v5, v9
	v_add_f32_e32 v5, v8, v5
	;; [unrolled: 1-line block ×4, first 2 shown]
	v_sub_f32_e32 v9, v8, v42
	v_mul_f32_e32 v5, v41, v5
	v_sub_f32_e32 v9, v14, v9
	v_add_f32_e32 v5, v9, v5
	v_add_f32_e32 v14, v8, v5
	v_mul_f32_e32 v35, v14, v14
	v_mov_b32_e32 v34, 0x3ecc95a3
	v_fmac_f32_e32 v34, 0x3e9b6dac, v35
	v_mov_b32_e32 v9, 0x3f2aaada
	v_fmac_f32_e32 v9, v35, v34
	v_cvt_f32_i32_e32 v34, v21
	v_sub_f32_e32 v8, v14, v8
	v_sub_f32_e32 v5, v5, v8
	v_mul_f32_e32 v35, v14, v35
	v_mov_b32_e32 v8, 0x3f317218
	s_mov_b32 s3, 0x3f317218
	v_pk_mul_f32 v[8:9], v[34:35], v[8:9]
	v_fma_f32 v36, v34, s3, -v8
	v_ldexp_f32 v37, v14, 1
	v_fmac_f32_e32 v36, 0xb102e308, v34
	v_pk_add_f32 v[34:35], v[8:9], v[36:37]
	v_sub_f32_e32 v14, v35, v37
	v_ldexp_f32 v5, v5, 1
	v_sub_f32_e32 v14, v9, v14
	v_add_f32_e32 v39, v5, v14
	v_mov_b32_e32 v38, v8
	v_pk_add_f32 v[8:9], v[34:35], v[8:9] neg_lo:[0,1] neg_hi:[0,1]
	v_pk_add_f32 v[40:41], v[34:35], v[38:39]
	v_mov_b32_e32 v9, v41
	v_mov_b32_e32 v37, v34
	v_pk_add_f32 v[42:43], v[36:37], v[8:9] neg_lo:[0,1] neg_hi:[0,1]
	v_pk_add_f32 v[8:9], v[36:37], v[8:9]
	v_mov_b32_e32 v14, v9
	v_pk_add_f32 v[36:37], v[14:15], v[34:35] neg_lo:[0,1] neg_hi:[0,1]
	v_mov_b32_e32 v5, v36
	v_pk_add_f32 v[44:45], v[40:41], v[4:5] neg_lo:[0,1] neg_hi:[0,1]
	v_mov_b32_e32 v8, v41
	v_mov_b32_e32 v40, v35
	;; [unrolled: 1-line block ×4, first 2 shown]
	v_pk_add_f32 v[8:9], v[8:9], v[40:41] neg_lo:[0,1] neg_hi:[0,1]
	v_mov_b32_e32 v36, v39
	v_mov_b32_e32 v37, v34
	v_pk_add_f32 v[8:9], v[36:37], v[8:9] neg_lo:[0,1] neg_hi:[0,1]
	v_mov_b32_e32 v44, v42
	v_pk_add_f32 v[34:35], v[44:45], v[8:9]
	v_mov_b32_e32 v36, v35
	v_pk_add_f32 v[36:37], v[34:35], v[36:37]
	v_pk_add_f32 v[38:39], v[14:15], v[36:37]
	v_mov_b32_e32 v35, v38
	v_pk_add_f32 v[40:41], v[34:35], v[42:43] neg_lo:[0,1] neg_hi:[0,1]
	v_mov_b32_e32 v9, v36
	v_sub_f32_e32 v5, v34, v40
	v_pk_add_f32 v[8:9], v[8:9], v[40:41] neg_lo:[0,1] neg_hi:[0,1]
	v_sub_f32_e32 v5, v42, v5
	s_mov_b32 s4, 0x7f800000
	v_add_f32_e32 v5, v8, v5
	s_mov_b32 s3, 0x33800000
	v_add_f32_e32 v5, v5, v9
	v_cmp_eq_f32_e32 vcc, s4, v7
	v_cmp_lt_f32_e64 s[4:5], |v7|, s3
	v_add_f32_e32 v5, v38, v5
	s_or_b64 vcc, vcc, s[4:5]
	v_cndmask_b32_e32 v5, v5, v7, vcc
	v_add_f32_e32 v5, v6, v5
.LBB90_272:
	s_or_b64 exec, exec, s[0:1]
	v_max_f32_e32 v6, v5, v5
	v_min_f32_e32 v7, v6, v10
	v_cmp_u_f32_e32 vcc, v5, v5
	v_max_f32_e32 v6, v6, v10
	v_cndmask_b32_e32 v7, v7, v5, vcc
	v_cndmask_b32_e32 v6, v6, v5, vcc
	v_cndmask_b32_e64 v8, v7, v26, s[6:7]
	v_cndmask_b32_e64 v7, v6, v26, s[6:7]
	v_cmp_neq_f32_e32 vcc, v8, v7
	v_cmp_class_f32_e64 s[0:1], v8, s2
	s_or_b64 s[2:3], vcc, s[0:1]
	v_mov_b32_e32 v6, v5
	s_and_saveexec_b64 s[0:1], s[2:3]
	s_cbranch_execz .LBB90_274
; %bb.273:
	v_sub_f32_e32 v6, v8, v7
	s_mov_b32 s2, 0x3fb8aa3b
	v_mul_f32_e32 v8, 0x3fb8aa3b, v6
	v_fma_f32 v9, v6, s2, -v8
	v_rndne_f32_e32 v10, v8
	v_fmac_f32_e32 v9, 0x32a5705f, v6
	v_sub_f32_e32 v8, v8, v10
	v_add_f32_e32 v8, v8, v9
	v_exp_f32_e32 v8, v8
	v_cvt_i32_f32_e32 v9, v10
	s_mov_b32 s2, 0xc2ce8ed0
	v_cmp_ngt_f32_e32 vcc, s2, v6
	s_mov_b32 s2, 0x42b17218
	v_ldexp_f32 v8, v8, v9
	v_cndmask_b32_e32 v8, 0, v8, vcc
	v_mov_b32_e32 v9, 0x7f800000
	v_cmp_nlt_f32_e32 vcc, s2, v6
	v_cndmask_b32_e32 v14, v9, v8, vcc
	v_add_f32_e32 v6, 1.0, v14
	v_add_f32_e32 v8, -1.0, v6
	v_sub_f32_e32 v9, v8, v6
	v_add_f32_e32 v9, 1.0, v9
	v_sub_f32_e32 v8, v14, v8
	v_add_f32_e32 v10, v8, v9
	v_frexp_mant_f32_e32 v21, v6
	s_mov_b32 s2, 0x3f2aaaab
	v_cvt_f64_f32_e32 v[8:9], v6
	v_frexp_exp_i32_f64_e32 v8, v[8:9]
	v_cmp_gt_f32_e32 vcc, s2, v21
	v_subbrev_co_u32_e32 v21, vcc, 0, v8, vcc
	v_sub_u32_e32 v8, 0, v21
	v_ldexp_f32 v6, v6, v8
	v_ldexp_f32 v8, v10, v8
	v_add_f32_e32 v10, -1.0, v6
	v_add_f32_e32 v9, 1.0, v10
	v_sub_f32_e32 v9, v6, v9
	v_add_f32_e32 v26, v8, v9
	v_add_f32_e32 v9, 1.0, v6
	v_add_f32_e32 v34, -1.0, v9
	v_sub_f32_e32 v6, v6, v34
	v_add_f32_e32 v6, v8, v6
	v_add_f32_e32 v40, v9, v6
	v_rcp_f32_e32 v41, v40
	v_sub_f32_e32 v8, v9, v40
	v_add_f32_e32 v9, v10, v26
	v_add_f32_e32 v6, v6, v8
	v_sub_f32_e32 v8, v10, v9
	v_add_f32_e32 v10, v26, v8
	v_mul_f32_e32 v26, v9, v41
	v_mul_f32_e32 v34, v40, v26
	s_waitcnt lgkmcnt(0)
	v_fma_f32 v36, v26, v40, -v34
	v_fmac_f32_e32 v36, v26, v6
	v_add_f32_e32 v8, v34, v36
	v_sub_f32_e32 v35, v9, v8
	v_pk_add_f32 v[38:39], v[8:9], v[34:35] neg_lo:[0,1] neg_hi:[0,1]
	v_mov_b32_e32 v37, v8
	v_pk_add_f32 v[8:9], v[38:39], v[36:37] neg_lo:[0,1] neg_hi:[0,1]
	v_add_f32_e32 v9, v10, v9
	v_add_f32_e32 v8, v8, v9
	;; [unrolled: 1-line block ×3, first 2 shown]
	v_mul_f32_e32 v10, v41, v9
	v_mul_f32_e32 v34, v40, v10
	v_fma_f32 v36, v10, v40, -v34
	v_fmac_f32_e32 v36, v10, v6
	v_sub_f32_e32 v6, v35, v9
	v_add_f32_e32 v6, v8, v6
	v_add_f32_e32 v8, v34, v36
	v_sub_f32_e32 v35, v9, v8
	v_pk_add_f32 v[38:39], v[8:9], v[34:35] neg_lo:[0,1] neg_hi:[0,1]
	v_mov_b32_e32 v37, v8
	v_pk_add_f32 v[8:9], v[38:39], v[36:37] neg_lo:[0,1] neg_hi:[0,1]
	v_add_f32_e32 v6, v6, v9
	v_add_f32_e32 v6, v8, v6
	;; [unrolled: 1-line block ×4, first 2 shown]
	v_sub_f32_e32 v9, v8, v26
	v_mul_f32_e32 v6, v41, v6
	v_sub_f32_e32 v9, v10, v9
	v_add_f32_e32 v6, v9, v6
	v_add_f32_e32 v10, v8, v6
	v_mul_f32_e32 v26, v10, v10
	v_mov_b32_e32 v34, 0x3ecc95a3
	v_fmac_f32_e32 v34, 0x3e9b6dac, v26
	v_mov_b32_e32 v9, 0x3f2aaada
	v_fmac_f32_e32 v9, v26, v34
	v_cvt_f32_i32_e32 v34, v21
	v_sub_f32_e32 v8, v10, v8
	v_sub_f32_e32 v6, v6, v8
	v_mul_f32_e32 v35, v10, v26
	v_mov_b32_e32 v8, 0x3f317218
	s_mov_b32 s2, 0x3f317218
	v_pk_mul_f32 v[8:9], v[34:35], v[8:9]
	v_fma_f32 v36, v34, s2, -v8
	v_ldexp_f32 v37, v10, 1
	v_fmac_f32_e32 v36, 0xb102e308, v34
	v_pk_add_f32 v[34:35], v[8:9], v[36:37]
	v_sub_f32_e32 v10, v35, v37
	v_ldexp_f32 v6, v6, 1
	v_sub_f32_e32 v10, v9, v10
	v_add_f32_e32 v39, v6, v10
	v_mov_b32_e32 v38, v8
	v_pk_add_f32 v[8:9], v[34:35], v[8:9] neg_lo:[0,1] neg_hi:[0,1]
	v_pk_add_f32 v[40:41], v[34:35], v[38:39]
	v_mov_b32_e32 v9, v41
	v_mov_b32_e32 v37, v34
	v_pk_add_f32 v[42:43], v[36:37], v[8:9] neg_lo:[0,1] neg_hi:[0,1]
	v_pk_add_f32 v[8:9], v[36:37], v[8:9]
	v_mov_b32_e32 v6, v9
	v_pk_add_f32 v[36:37], v[6:7], v[34:35] neg_lo:[0,1] neg_hi:[0,1]
	v_mov_b32_e32 v21, v36
	v_pk_add_f32 v[44:45], v[40:41], v[20:21] neg_lo:[0,1] neg_hi:[0,1]
	v_mov_b32_e32 v8, v41
	v_mov_b32_e32 v40, v35
	;; [unrolled: 1-line block ×4, first 2 shown]
	v_pk_add_f32 v[8:9], v[8:9], v[40:41] neg_lo:[0,1] neg_hi:[0,1]
	v_mov_b32_e32 v36, v39
	v_mov_b32_e32 v37, v34
	v_pk_add_f32 v[8:9], v[36:37], v[8:9] neg_lo:[0,1] neg_hi:[0,1]
	v_mov_b32_e32 v44, v42
	v_pk_add_f32 v[34:35], v[44:45], v[8:9]
	v_mov_b32_e32 v10, v35
	v_pk_add_f32 v[36:37], v[34:35], v[10:11]
	v_pk_add_f32 v[38:39], v[6:7], v[36:37]
	v_mov_b32_e32 v35, v38
	v_pk_add_f32 v[40:41], v[34:35], v[42:43] neg_lo:[0,1] neg_hi:[0,1]
	v_mov_b32_e32 v9, v36
	v_sub_f32_e32 v6, v34, v40
	v_pk_add_f32 v[8:9], v[8:9], v[40:41] neg_lo:[0,1] neg_hi:[0,1]
	v_sub_f32_e32 v6, v42, v6
	s_mov_b32 s3, 0x7f800000
	v_add_f32_e32 v6, v8, v6
	s_mov_b32 s2, 0x33800000
	v_add_f32_e32 v6, v6, v9
	v_cmp_eq_f32_e32 vcc, s3, v14
	v_cmp_lt_f32_e64 s[2:3], |v14|, s2
	v_add_f32_e32 v6, v38, v6
	s_or_b64 vcc, vcc, s[2:3]
	v_cndmask_b32_e32 v6, v6, v14, vcc
	v_add_f32_e32 v6, v7, v6
.LBB90_274:
	s_or_b64 exec, exec, s[0:1]
	v_max_f32_e32 v7, v6, v6
	v_min_f32_e32 v8, v7, v11
	v_cmp_u_f32_e32 vcc, v6, v6
	v_max_f32_e32 v7, v7, v11
	v_cndmask_b32_e32 v8, v8, v6, vcc
	v_cndmask_b32_e32 v7, v7, v6, vcc
	v_cndmask_b32_e64 v9, v8, v27, s[8:9]
	v_cndmask_b32_e64 v8, v7, v27, s[8:9]
	s_movk_i32 s2, 0x1f8
	v_cmp_neq_f32_e32 vcc, v9, v8
	v_cmp_class_f32_e64 s[0:1], v9, s2
	s_or_b64 s[4:5], vcc, s[0:1]
	v_mov_b32_e32 v7, v6
	s_and_saveexec_b64 s[0:1], s[4:5]
	s_cbranch_execz .LBB90_276
; %bb.275:
	v_sub_f32_e32 v7, v9, v8
	s_mov_b32 s3, 0x3fb8aa3b
	v_mul_f32_e32 v9, 0x3fb8aa3b, v7
	v_fma_f32 v10, v7, s3, -v9
	v_rndne_f32_e32 v11, v9
	v_fmac_f32_e32 v10, 0x32a5705f, v7
	v_sub_f32_e32 v9, v9, v11
	v_add_f32_e32 v9, v9, v10
	v_exp_f32_e32 v9, v9
	v_cvt_i32_f32_e32 v10, v11
	s_mov_b32 s3, 0xc2ce8ed0
	v_cmp_ngt_f32_e32 vcc, s3, v7
	s_mov_b32 s3, 0x42b17218
	v_ldexp_f32 v9, v9, v10
	v_cndmask_b32_e32 v9, 0, v9, vcc
	v_mov_b32_e32 v10, 0x7f800000
	v_cmp_nlt_f32_e32 vcc, s3, v7
	v_cndmask_b32_e32 v9, v10, v9, vcc
	v_add_f32_e32 v7, 1.0, v9
	v_add_f32_e32 v10, -1.0, v7
	v_sub_f32_e32 v11, v10, v7
	v_add_f32_e32 v11, 1.0, v11
	v_sub_f32_e32 v10, v9, v10
	v_add_f32_e32 v14, v10, v11
	v_frexp_mant_f32_e32 v21, v7
	s_mov_b32 s3, 0x3f2aaaab
	v_cvt_f64_f32_e32 v[10:11], v7
	v_frexp_exp_i32_f64_e32 v10, v[10:11]
	v_cmp_gt_f32_e32 vcc, s3, v21
	v_subbrev_co_u32_e32 v21, vcc, 0, v10, vcc
	v_sub_u32_e32 v10, 0, v21
	v_ldexp_f32 v7, v7, v10
	v_ldexp_f32 v10, v14, v10
	v_add_f32_e32 v14, -1.0, v7
	v_add_f32_e32 v11, 1.0, v14
	v_sub_f32_e32 v11, v7, v11
	v_add_f32_e32 v26, v10, v11
	v_add_f32_e32 v11, 1.0, v7
	v_add_f32_e32 v27, -1.0, v11
	v_sub_f32_e32 v7, v7, v27
	v_add_f32_e32 v7, v10, v7
	v_add_f32_e32 v38, v11, v7
	v_rcp_f32_e32 v39, v38
	v_sub_f32_e32 v10, v11, v38
	v_add_f32_e32 v11, v14, v26
	v_add_f32_e32 v7, v7, v10
	v_sub_f32_e32 v10, v14, v11
	v_mul_f32_e32 v40, v11, v39
	v_add_f32_e32 v14, v26, v10
	v_mul_f32_e32 v26, v38, v40
	v_fma_f32 v34, v40, v38, -v26
	v_fmac_f32_e32 v34, v40, v7
	v_add_f32_e32 v10, v26, v34
	v_sub_f32_e32 v27, v11, v10
	s_waitcnt lgkmcnt(0)
	v_pk_add_f32 v[36:37], v[10:11], v[26:27] neg_lo:[0,1] neg_hi:[0,1]
	v_mov_b32_e32 v35, v10
	v_pk_add_f32 v[10:11], v[36:37], v[34:35] neg_lo:[0,1] neg_hi:[0,1]
	v_add_f32_e32 v11, v14, v11
	v_add_f32_e32 v10, v10, v11
	;; [unrolled: 1-line block ×3, first 2 shown]
	v_mul_f32_e32 v14, v39, v11
	v_mul_f32_e32 v26, v38, v14
	v_fma_f32 v34, v14, v38, -v26
	v_fmac_f32_e32 v34, v14, v7
	v_sub_f32_e32 v7, v27, v11
	v_add_f32_e32 v7, v10, v7
	v_add_f32_e32 v10, v26, v34
	v_sub_f32_e32 v27, v11, v10
	v_pk_add_f32 v[36:37], v[10:11], v[26:27] neg_lo:[0,1] neg_hi:[0,1]
	v_mov_b32_e32 v35, v10
	v_pk_add_f32 v[10:11], v[36:37], v[34:35] neg_lo:[0,1] neg_hi:[0,1]
	v_add_f32_e32 v7, v7, v11
	v_add_f32_e32 v7, v10, v7
	;; [unrolled: 1-line block ×4, first 2 shown]
	v_sub_f32_e32 v11, v10, v40
	v_mul_f32_e32 v7, v39, v7
	v_sub_f32_e32 v11, v14, v11
	v_add_f32_e32 v7, v11, v7
	v_add_f32_e32 v14, v10, v7
	v_mul_f32_e32 v27, v14, v14
	v_mov_b32_e32 v26, 0x3ecc95a3
	v_fmac_f32_e32 v26, 0x3e9b6dac, v27
	v_mov_b32_e32 v11, 0x3f2aaada
	v_fmac_f32_e32 v11, v27, v26
	v_cvt_f32_i32_e32 v26, v21
	v_sub_f32_e32 v10, v14, v10
	v_sub_f32_e32 v7, v7, v10
	v_mul_f32_e32 v27, v14, v27
	v_mov_b32_e32 v10, 0x3f317218
	s_mov_b32 s3, 0x3f317218
	v_pk_mul_f32 v[10:11], v[26:27], v[10:11]
	v_fma_f32 v34, v26, s3, -v10
	v_ldexp_f32 v35, v14, 1
	v_fmac_f32_e32 v34, 0xb102e308, v26
	v_pk_add_f32 v[26:27], v[10:11], v[34:35]
	v_sub_f32_e32 v14, v27, v35
	v_ldexp_f32 v7, v7, 1
	v_sub_f32_e32 v14, v11, v14
	v_add_f32_e32 v37, v7, v14
	v_mov_b32_e32 v36, v10
	v_pk_add_f32 v[10:11], v[26:27], v[10:11] neg_lo:[0,1] neg_hi:[0,1]
	v_pk_add_f32 v[38:39], v[26:27], v[36:37]
	v_mov_b32_e32 v11, v39
	v_mov_b32_e32 v35, v26
	v_pk_add_f32 v[40:41], v[34:35], v[10:11] neg_lo:[0,1] neg_hi:[0,1]
	v_pk_add_f32 v[10:11], v[34:35], v[10:11]
	v_mov_b32_e32 v14, v11
	v_pk_add_f32 v[34:35], v[14:15], v[26:27] neg_lo:[0,1] neg_hi:[0,1]
	v_mov_b32_e32 v7, v34
	v_pk_add_f32 v[42:43], v[38:39], v[6:7] neg_lo:[0,1] neg_hi:[0,1]
	v_mov_b32_e32 v10, v39
	v_mov_b32_e32 v38, v27
	v_mov_b32_e32 v39, v34
	v_mov_b32_e32 v41, v11
	v_pk_add_f32 v[10:11], v[10:11], v[38:39] neg_lo:[0,1] neg_hi:[0,1]
	v_mov_b32_e32 v34, v37
	v_mov_b32_e32 v35, v26
	v_pk_add_f32 v[10:11], v[34:35], v[10:11] neg_lo:[0,1] neg_hi:[0,1]
	v_mov_b32_e32 v42, v40
	v_pk_add_f32 v[26:27], v[42:43], v[10:11]
	v_mov_b32_e32 v34, v27
	v_pk_add_f32 v[34:35], v[26:27], v[34:35]
	v_pk_add_f32 v[36:37], v[14:15], v[34:35]
	v_mov_b32_e32 v27, v36
	v_pk_add_f32 v[38:39], v[26:27], v[40:41] neg_lo:[0,1] neg_hi:[0,1]
	v_mov_b32_e32 v11, v34
	v_sub_f32_e32 v7, v26, v38
	v_pk_add_f32 v[10:11], v[10:11], v[38:39] neg_lo:[0,1] neg_hi:[0,1]
	v_sub_f32_e32 v7, v40, v7
	s_mov_b32 s4, 0x7f800000
	v_add_f32_e32 v7, v10, v7
	s_mov_b32 s3, 0x33800000
	v_add_f32_e32 v7, v7, v11
	v_cmp_eq_f32_e32 vcc, s4, v9
	v_cmp_lt_f32_e64 s[4:5], |v9|, s3
	v_add_f32_e32 v7, v36, v7
	s_or_b64 vcc, vcc, s[4:5]
	v_cndmask_b32_e32 v7, v7, v9, vcc
	v_add_f32_e32 v7, v8, v7
.LBB90_276:
	s_or_b64 exec, exec, s[0:1]
	v_max_f32_e32 v8, v7, v7
	v_min_f32_e32 v9, v8, v12
	v_cmp_u_f32_e32 vcc, v7, v7
	v_max_f32_e32 v8, v8, v12
	v_cndmask_b32_e32 v9, v9, v7, vcc
	v_cndmask_b32_e32 v8, v8, v7, vcc
	v_cndmask_b32_e64 v10, v9, v28, s[10:11]
	v_cndmask_b32_e64 v9, v8, v28, s[10:11]
	v_cmp_neq_f32_e32 vcc, v10, v9
	v_cmp_class_f32_e64 s[0:1], v10, s2
	s_or_b64 s[2:3], vcc, s[0:1]
	v_mov_b32_e32 v8, v7
	s_and_saveexec_b64 s[0:1], s[2:3]
	s_cbranch_execz .LBB90_278
; %bb.277:
	v_sub_f32_e32 v8, v10, v9
	s_mov_b32 s2, 0x3fb8aa3b
	v_mul_f32_e32 v10, 0x3fb8aa3b, v8
	v_fma_f32 v11, v8, s2, -v10
	v_rndne_f32_e32 v12, v10
	v_fmac_f32_e32 v11, 0x32a5705f, v8
	v_sub_f32_e32 v10, v10, v12
	v_add_f32_e32 v10, v10, v11
	v_exp_f32_e32 v10, v10
	v_cvt_i32_f32_e32 v11, v12
	s_mov_b32 s2, 0xc2ce8ed0
	v_cmp_ngt_f32_e32 vcc, s2, v8
	s_mov_b32 s2, 0x42b17218
	v_ldexp_f32 v10, v10, v11
	v_cndmask_b32_e32 v10, 0, v10, vcc
	v_mov_b32_e32 v11, 0x7f800000
	v_cmp_nlt_f32_e32 vcc, s2, v8
	v_cndmask_b32_e32 v14, v11, v10, vcc
	v_add_f32_e32 v8, 1.0, v14
	v_add_f32_e32 v10, -1.0, v8
	v_sub_f32_e32 v11, v10, v8
	v_add_f32_e32 v11, 1.0, v11
	v_sub_f32_e32 v10, v14, v10
	v_add_f32_e32 v12, v10, v11
	v_frexp_mant_f32_e32 v21, v8
	s_mov_b32 s2, 0x3f2aaaab
	v_cvt_f64_f32_e32 v[10:11], v8
	v_frexp_exp_i32_f64_e32 v10, v[10:11]
	v_cmp_gt_f32_e32 vcc, s2, v21
	v_subbrev_co_u32_e32 v21, vcc, 0, v10, vcc
	v_sub_u32_e32 v10, 0, v21
	v_ldexp_f32 v8, v8, v10
	v_ldexp_f32 v10, v12, v10
	v_add_f32_e32 v12, -1.0, v8
	v_add_f32_e32 v11, 1.0, v12
	v_sub_f32_e32 v11, v8, v11
	v_add_f32_e32 v26, v10, v11
	v_add_f32_e32 v11, 1.0, v8
	v_add_f32_e32 v27, -1.0, v11
	v_sub_f32_e32 v8, v8, v27
	v_add_f32_e32 v8, v10, v8
	v_add_f32_e32 v28, v11, v8
	v_rcp_f32_e32 v38, v28
	v_sub_f32_e32 v10, v11, v28
	v_add_f32_e32 v11, v12, v26
	v_add_f32_e32 v8, v8, v10
	v_sub_f32_e32 v10, v12, v11
	v_mul_f32_e32 v39, v11, v38
	v_add_f32_e32 v12, v26, v10
	v_mul_f32_e32 v26, v28, v39
	v_fma_f32 v34, v39, v28, -v26
	v_fmac_f32_e32 v34, v39, v8
	v_add_f32_e32 v10, v26, v34
	v_sub_f32_e32 v27, v11, v10
	s_waitcnt lgkmcnt(0)
	v_pk_add_f32 v[36:37], v[10:11], v[26:27] neg_lo:[0,1] neg_hi:[0,1]
	v_mov_b32_e32 v35, v10
	v_pk_add_f32 v[10:11], v[36:37], v[34:35] neg_lo:[0,1] neg_hi:[0,1]
	v_add_f32_e32 v11, v12, v11
	v_add_f32_e32 v10, v10, v11
	;; [unrolled: 1-line block ×3, first 2 shown]
	v_mul_f32_e32 v12, v38, v11
	v_mul_f32_e32 v26, v28, v12
	v_fma_f32 v34, v12, v28, -v26
	v_fmac_f32_e32 v34, v12, v8
	v_sub_f32_e32 v8, v27, v11
	v_add_f32_e32 v8, v10, v8
	v_add_f32_e32 v10, v26, v34
	v_sub_f32_e32 v27, v11, v10
	v_pk_add_f32 v[36:37], v[10:11], v[26:27] neg_lo:[0,1] neg_hi:[0,1]
	v_mov_b32_e32 v35, v10
	v_pk_add_f32 v[10:11], v[36:37], v[34:35] neg_lo:[0,1] neg_hi:[0,1]
	v_add_f32_e32 v8, v8, v11
	v_add_f32_e32 v8, v10, v8
	;; [unrolled: 1-line block ×4, first 2 shown]
	v_sub_f32_e32 v11, v10, v39
	v_mul_f32_e32 v8, v38, v8
	v_sub_f32_e32 v11, v12, v11
	v_add_f32_e32 v8, v11, v8
	v_add_f32_e32 v12, v10, v8
	v_mul_f32_e32 v27, v12, v12
	v_mov_b32_e32 v26, 0x3ecc95a3
	v_fmac_f32_e32 v26, 0x3e9b6dac, v27
	v_mov_b32_e32 v11, 0x3f2aaada
	v_fmac_f32_e32 v11, v27, v26
	v_cvt_f32_i32_e32 v26, v21
	v_sub_f32_e32 v10, v12, v10
	v_sub_f32_e32 v8, v8, v10
	v_mul_f32_e32 v27, v12, v27
	v_mov_b32_e32 v10, 0x3f317218
	s_mov_b32 s2, 0x3f317218
	v_pk_mul_f32 v[10:11], v[26:27], v[10:11]
	v_fma_f32 v34, v26, s2, -v10
	v_ldexp_f32 v35, v12, 1
	v_fmac_f32_e32 v34, 0xb102e308, v26
	v_pk_add_f32 v[26:27], v[10:11], v[34:35]
	v_sub_f32_e32 v12, v27, v35
	v_ldexp_f32 v8, v8, 1
	v_sub_f32_e32 v12, v11, v12
	v_add_f32_e32 v37, v8, v12
	v_mov_b32_e32 v36, v10
	v_pk_add_f32 v[10:11], v[26:27], v[10:11] neg_lo:[0,1] neg_hi:[0,1]
	v_pk_add_f32 v[38:39], v[26:27], v[36:37]
	v_mov_b32_e32 v11, v39
	v_mov_b32_e32 v35, v26
	v_pk_add_f32 v[40:41], v[34:35], v[10:11] neg_lo:[0,1] neg_hi:[0,1]
	v_pk_add_f32 v[10:11], v[34:35], v[10:11]
	v_mov_b32_e32 v8, v11
	v_pk_add_f32 v[34:35], v[8:9], v[26:27] neg_lo:[0,1] neg_hi:[0,1]
	v_mov_b32_e32 v21, v34
	v_pk_add_f32 v[42:43], v[38:39], v[20:21] neg_lo:[0,1] neg_hi:[0,1]
	v_mov_b32_e32 v10, v39
	v_mov_b32_e32 v38, v27
	;; [unrolled: 1-line block ×4, first 2 shown]
	v_pk_add_f32 v[10:11], v[10:11], v[38:39] neg_lo:[0,1] neg_hi:[0,1]
	v_mov_b32_e32 v34, v37
	v_mov_b32_e32 v35, v26
	v_pk_add_f32 v[10:11], v[34:35], v[10:11] neg_lo:[0,1] neg_hi:[0,1]
	v_mov_b32_e32 v42, v40
	v_pk_add_f32 v[26:27], v[42:43], v[10:11]
	v_mov_b32_e32 v12, v27
	v_pk_add_f32 v[34:35], v[26:27], v[12:13]
	v_pk_add_f32 v[36:37], v[8:9], v[34:35]
	v_mov_b32_e32 v27, v36
	v_pk_add_f32 v[38:39], v[26:27], v[40:41] neg_lo:[0,1] neg_hi:[0,1]
	v_mov_b32_e32 v11, v34
	v_sub_f32_e32 v8, v26, v38
	v_pk_add_f32 v[10:11], v[10:11], v[38:39] neg_lo:[0,1] neg_hi:[0,1]
	v_sub_f32_e32 v8, v40, v8
	s_mov_b32 s3, 0x7f800000
	v_add_f32_e32 v8, v10, v8
	s_mov_b32 s2, 0x33800000
	v_add_f32_e32 v8, v8, v11
	v_cmp_eq_f32_e32 vcc, s3, v14
	v_cmp_lt_f32_e64 s[2:3], |v14|, s2
	v_add_f32_e32 v8, v36, v8
	s_or_b64 vcc, vcc, s[2:3]
	v_cndmask_b32_e32 v8, v8, v14, vcc
	v_add_f32_e32 v8, v9, v8
.LBB90_278:
	s_or_b64 exec, exec, s[0:1]
	v_max_f32_e32 v9, v8, v8
	v_min_f32_e32 v10, v9, v13
	v_cmp_u_f32_e32 vcc, v8, v8
	v_max_f32_e32 v9, v9, v13
	v_cndmask_b32_e32 v10, v10, v8, vcc
	v_cndmask_b32_e32 v9, v9, v8, vcc
	v_cndmask_b32_e64 v11, v10, v29, s[12:13]
	v_cndmask_b32_e64 v10, v9, v29, s[12:13]
	s_movk_i32 s2, 0x1f8
	v_cmp_neq_f32_e32 vcc, v11, v10
	v_cmp_class_f32_e64 s[0:1], v11, s2
	s_or_b64 s[4:5], vcc, s[0:1]
	v_mov_b32_e32 v9, v8
	s_and_saveexec_b64 s[0:1], s[4:5]
	s_cbranch_execz .LBB90_280
; %bb.279:
	v_sub_f32_e32 v9, v11, v10
	s_mov_b32 s3, 0x3fb8aa3b
	v_mul_f32_e32 v11, 0x3fb8aa3b, v9
	v_fma_f32 v12, v9, s3, -v11
	v_rndne_f32_e32 v13, v11
	v_fmac_f32_e32 v12, 0x32a5705f, v9
	v_sub_f32_e32 v11, v11, v13
	v_add_f32_e32 v11, v11, v12
	v_exp_f32_e32 v11, v11
	v_cvt_i32_f32_e32 v12, v13
	s_mov_b32 s3, 0xc2ce8ed0
	v_cmp_ngt_f32_e32 vcc, s3, v9
	s_mov_b32 s3, 0x42b17218
	v_ldexp_f32 v11, v11, v12
	v_cndmask_b32_e32 v11, 0, v11, vcc
	v_mov_b32_e32 v12, 0x7f800000
	v_cmp_nlt_f32_e32 vcc, s3, v9
	v_cndmask_b32_e32 v11, v12, v11, vcc
	v_add_f32_e32 v9, 1.0, v11
	v_add_f32_e32 v12, -1.0, v9
	v_sub_f32_e32 v13, v12, v9
	v_add_f32_e32 v13, 1.0, v13
	v_sub_f32_e32 v12, v11, v12
	v_add_f32_e32 v14, v12, v13
	v_frexp_mant_f32_e32 v21, v9
	s_mov_b32 s3, 0x3f2aaaab
	v_cvt_f64_f32_e32 v[12:13], v9
	v_frexp_exp_i32_f64_e32 v12, v[12:13]
	v_cmp_gt_f32_e32 vcc, s3, v21
	v_subbrev_co_u32_e32 v21, vcc, 0, v12, vcc
	v_sub_u32_e32 v12, 0, v21
	v_ldexp_f32 v9, v9, v12
	v_ldexp_f32 v12, v14, v12
	v_add_f32_e32 v14, -1.0, v9
	v_add_f32_e32 v13, 1.0, v14
	v_sub_f32_e32 v13, v9, v13
	v_add_f32_e32 v26, v12, v13
	v_add_f32_e32 v13, 1.0, v9
	v_add_f32_e32 v27, -1.0, v13
	v_sub_f32_e32 v9, v9, v27
	v_add_f32_e32 v9, v12, v9
	s_waitcnt lgkmcnt(0)
	v_add_f32_e32 v36, v13, v9
	v_rcp_f32_e32 v37, v36
	v_sub_f32_e32 v12, v13, v36
	v_add_f32_e32 v13, v14, v26
	v_add_f32_e32 v9, v9, v12
	v_sub_f32_e32 v12, v14, v13
	v_mul_f32_e32 v38, v13, v37
	v_add_f32_e32 v14, v26, v12
	v_mul_f32_e32 v26, v36, v38
	v_fma_f32 v28, v38, v36, -v26
	v_fmac_f32_e32 v28, v38, v9
	v_add_f32_e32 v12, v26, v28
	v_sub_f32_e32 v27, v13, v12
	v_pk_add_f32 v[34:35], v[12:13], v[26:27] neg_lo:[0,1] neg_hi:[0,1]
	v_mov_b32_e32 v29, v12
	v_pk_add_f32 v[12:13], v[34:35], v[28:29] neg_lo:[0,1] neg_hi:[0,1]
	v_add_f32_e32 v13, v14, v13
	v_add_f32_e32 v12, v12, v13
	;; [unrolled: 1-line block ×3, first 2 shown]
	v_mul_f32_e32 v14, v37, v13
	v_mul_f32_e32 v26, v36, v14
	v_fma_f32 v28, v14, v36, -v26
	v_fmac_f32_e32 v28, v14, v9
	v_sub_f32_e32 v9, v27, v13
	v_add_f32_e32 v9, v12, v9
	v_add_f32_e32 v12, v26, v28
	v_sub_f32_e32 v27, v13, v12
	v_pk_add_f32 v[34:35], v[12:13], v[26:27] neg_lo:[0,1] neg_hi:[0,1]
	v_mov_b32_e32 v29, v12
	v_pk_add_f32 v[12:13], v[34:35], v[28:29] neg_lo:[0,1] neg_hi:[0,1]
	v_add_f32_e32 v9, v9, v13
	v_add_f32_e32 v9, v12, v9
	;; [unrolled: 1-line block ×4, first 2 shown]
	v_sub_f32_e32 v13, v12, v38
	v_mul_f32_e32 v9, v37, v9
	v_sub_f32_e32 v13, v14, v13
	v_add_f32_e32 v9, v13, v9
	v_add_f32_e32 v14, v12, v9
	v_mul_f32_e32 v27, v14, v14
	v_mov_b32_e32 v26, 0x3ecc95a3
	v_fmac_f32_e32 v26, 0x3e9b6dac, v27
	v_mov_b32_e32 v13, 0x3f2aaada
	v_fmac_f32_e32 v13, v27, v26
	v_cvt_f32_i32_e32 v26, v21
	v_sub_f32_e32 v12, v14, v12
	v_sub_f32_e32 v9, v9, v12
	v_mul_f32_e32 v27, v14, v27
	v_mov_b32_e32 v12, 0x3f317218
	s_mov_b32 s3, 0x3f317218
	v_pk_mul_f32 v[12:13], v[26:27], v[12:13]
	v_fma_f32 v28, v26, s3, -v12
	v_ldexp_f32 v29, v14, 1
	v_fmac_f32_e32 v28, 0xb102e308, v26
	v_pk_add_f32 v[26:27], v[12:13], v[28:29]
	v_sub_f32_e32 v14, v27, v29
	v_ldexp_f32 v9, v9, 1
	v_sub_f32_e32 v14, v13, v14
	v_add_f32_e32 v35, v9, v14
	v_mov_b32_e32 v34, v12
	v_pk_add_f32 v[12:13], v[26:27], v[12:13] neg_lo:[0,1] neg_hi:[0,1]
	v_pk_add_f32 v[36:37], v[26:27], v[34:35]
	v_mov_b32_e32 v13, v37
	v_mov_b32_e32 v29, v26
	v_pk_add_f32 v[38:39], v[28:29], v[12:13] neg_lo:[0,1] neg_hi:[0,1]
	v_pk_add_f32 v[12:13], v[28:29], v[12:13]
	v_mov_b32_e32 v14, v13
	v_pk_add_f32 v[28:29], v[14:15], v[26:27] neg_lo:[0,1] neg_hi:[0,1]
	v_mov_b32_e32 v9, v28
	v_pk_add_f32 v[40:41], v[36:37], v[8:9] neg_lo:[0,1] neg_hi:[0,1]
	v_mov_b32_e32 v12, v37
	v_mov_b32_e32 v36, v27
	;; [unrolled: 1-line block ×4, first 2 shown]
	v_pk_add_f32 v[12:13], v[12:13], v[36:37] neg_lo:[0,1] neg_hi:[0,1]
	v_mov_b32_e32 v28, v35
	v_mov_b32_e32 v29, v26
	v_pk_add_f32 v[12:13], v[28:29], v[12:13] neg_lo:[0,1] neg_hi:[0,1]
	v_mov_b32_e32 v40, v38
	v_pk_add_f32 v[26:27], v[40:41], v[12:13]
	v_mov_b32_e32 v28, v27
	v_pk_add_f32 v[28:29], v[26:27], v[28:29]
	v_pk_add_f32 v[34:35], v[14:15], v[28:29]
	v_mov_b32_e32 v27, v34
	v_pk_add_f32 v[36:37], v[26:27], v[38:39] neg_lo:[0,1] neg_hi:[0,1]
	v_mov_b32_e32 v13, v28
	v_sub_f32_e32 v9, v26, v36
	v_pk_add_f32 v[12:13], v[12:13], v[36:37] neg_lo:[0,1] neg_hi:[0,1]
	v_sub_f32_e32 v9, v38, v9
	s_mov_b32 s4, 0x7f800000
	v_add_f32_e32 v9, v12, v9
	s_mov_b32 s3, 0x33800000
	v_add_f32_e32 v9, v9, v13
	v_cmp_eq_f32_e32 vcc, s4, v11
	v_cmp_lt_f32_e64 s[4:5], |v11|, s3
	v_add_f32_e32 v9, v34, v9
	s_or_b64 vcc, vcc, s[4:5]
	v_cndmask_b32_e32 v9, v9, v11, vcc
	v_add_f32_e32 v9, v10, v9
.LBB90_280:
	s_or_b64 exec, exec, s[0:1]
	v_max_f32_e32 v10, v9, v9
	v_min_f32_e32 v11, v10, v15
	v_cmp_u_f32_e32 vcc, v9, v9
	v_max_f32_e32 v10, v10, v15
	v_cndmask_b32_e32 v11, v11, v9, vcc
	v_cndmask_b32_e32 v10, v10, v9, vcc
	v_cndmask_b32_e64 v12, v11, v22, s[14:15]
	v_cndmask_b32_e64 v11, v10, v22, s[14:15]
	v_cmp_neq_f32_e32 vcc, v12, v11
	v_cmp_class_f32_e64 s[0:1], v12, s2
	s_or_b64 s[2:3], vcc, s[0:1]
	v_mov_b32_e32 v10, v9
	s_and_saveexec_b64 s[0:1], s[2:3]
	s_cbranch_execz .LBB90_282
; %bb.281:
	v_sub_f32_e32 v10, v12, v11
	s_mov_b32 s2, 0x3fb8aa3b
	v_mul_f32_e32 v12, 0x3fb8aa3b, v10
	v_fma_f32 v13, v10, s2, -v12
	v_rndne_f32_e32 v14, v12
	v_fmac_f32_e32 v13, 0x32a5705f, v10
	v_sub_f32_e32 v12, v12, v14
	v_add_f32_e32 v12, v12, v13
	v_exp_f32_e32 v12, v12
	v_cvt_i32_f32_e32 v13, v14
	s_mov_b32 s2, 0xc2ce8ed0
	v_cmp_ngt_f32_e32 vcc, s2, v10
	s_mov_b32 s2, 0x42b17218
	v_ldexp_f32 v12, v12, v13
	v_cndmask_b32_e32 v12, 0, v12, vcc
	v_mov_b32_e32 v13, 0x7f800000
	v_cmp_nlt_f32_e32 vcc, s2, v10
	v_cndmask_b32_e32 v40, v13, v12, vcc
	v_add_f32_e32 v10, 1.0, v40
	v_add_f32_e32 v12, -1.0, v10
	v_sub_f32_e32 v13, v12, v10
	v_add_f32_e32 v13, 1.0, v13
	v_sub_f32_e32 v12, v40, v12
	v_add_f32_e32 v14, v12, v13
	v_frexp_mant_f32_e32 v15, v10
	s_mov_b32 s2, 0x3f2aaaab
	v_cvt_f64_f32_e32 v[12:13], v10
	v_frexp_exp_i32_f64_e32 v12, v[12:13]
	v_cmp_gt_f32_e32 vcc, s2, v15
	v_subbrev_co_u32_e32 v21, vcc, 0, v12, vcc
	v_sub_u32_e32 v12, 0, v21
	v_ldexp_f32 v10, v10, v12
	v_ldexp_f32 v12, v14, v12
	v_add_f32_e32 v14, -1.0, v10
	v_add_f32_e32 v13, 1.0, v14
	v_sub_f32_e32 v13, v10, v13
	v_add_f32_e32 v15, v12, v13
	v_add_f32_e32 v13, 1.0, v10
	v_add_f32_e32 v22, -1.0, v13
	v_sub_f32_e32 v10, v10, v22
	v_add_f32_e32 v10, v12, v10
	v_add_f32_e32 v22, v13, v10
	v_rcp_f32_e32 v34, v22
	v_sub_f32_e32 v12, v13, v22
	v_add_f32_e32 v13, v14, v15
	v_add_f32_e32 v10, v10, v12
	s_waitcnt lgkmcnt(0)
	v_mul_f32_e32 v36, v13, v34
	v_sub_f32_e32 v12, v14, v13
	v_mul_f32_e32 v14, v22, v36
	v_fma_f32 v26, v36, v22, -v14
	v_fmac_f32_e32 v26, v36, v10
	v_add_f32_e32 v35, v15, v12
	v_add_f32_e32 v12, v14, v26
	v_sub_f32_e32 v15, v13, v12
	v_pk_add_f32 v[28:29], v[12:13], v[14:15] neg_lo:[0,1] neg_hi:[0,1]
	v_mov_b32_e32 v27, v12
	v_pk_add_f32 v[12:13], v[28:29], v[26:27] neg_lo:[0,1] neg_hi:[0,1]
	v_add_f32_e32 v13, v35, v13
	v_add_f32_e32 v12, v12, v13
	;; [unrolled: 1-line block ×3, first 2 shown]
	v_mul_f32_e32 v35, v34, v13
	v_mul_f32_e32 v14, v22, v35
	v_fma_f32 v26, v35, v22, -v14
	v_fmac_f32_e32 v26, v35, v10
	v_sub_f32_e32 v10, v15, v13
	v_add_f32_e32 v10, v12, v10
	v_add_f32_e32 v12, v14, v26
	v_sub_f32_e32 v15, v13, v12
	v_pk_add_f32 v[28:29], v[12:13], v[14:15] neg_lo:[0,1] neg_hi:[0,1]
	v_mov_b32_e32 v27, v12
	v_pk_add_f32 v[12:13], v[28:29], v[26:27] neg_lo:[0,1] neg_hi:[0,1]
	v_add_f32_e32 v10, v10, v13
	v_add_f32_e32 v10, v12, v10
	v_add_f32_e32 v12, v36, v35
	v_add_f32_e32 v10, v15, v10
	v_sub_f32_e32 v13, v12, v36
	v_mul_f32_e32 v10, v34, v10
	v_sub_f32_e32 v13, v35, v13
	v_add_f32_e32 v10, v13, v10
	v_add_f32_e32 v15, v12, v10
	v_mul_f32_e32 v22, v15, v15
	v_mov_b32_e32 v14, 0x3ecc95a3
	v_fmac_f32_e32 v14, 0x3e9b6dac, v22
	v_mov_b32_e32 v13, 0x3f2aaada
	v_fmac_f32_e32 v13, v22, v14
	v_cvt_f32_i32_e32 v14, v21
	v_sub_f32_e32 v12, v15, v12
	v_sub_f32_e32 v10, v10, v12
	v_ldexp_f32 v27, v15, 1
	v_mul_f32_e32 v15, v15, v22
	v_mov_b32_e32 v12, 0x3f317218
	s_mov_b32 s2, 0x3f317218
	v_pk_mul_f32 v[12:13], v[14:15], v[12:13]
	v_fma_f32 v26, v14, s2, -v12
	v_fmac_f32_e32 v26, 0xb102e308, v14
	v_pk_add_f32 v[14:15], v[12:13], v[26:27]
	v_sub_f32_e32 v21, v15, v27
	v_ldexp_f32 v10, v10, 1
	v_sub_f32_e32 v21, v13, v21
	v_add_f32_e32 v29, v10, v21
	v_mov_b32_e32 v28, v12
	v_pk_add_f32 v[12:13], v[14:15], v[12:13] neg_lo:[0,1] neg_hi:[0,1]
	v_pk_add_f32 v[34:35], v[14:15], v[28:29]
	v_mov_b32_e32 v13, v35
	v_mov_b32_e32 v27, v14
	v_pk_add_f32 v[36:37], v[26:27], v[12:13] neg_lo:[0,1] neg_hi:[0,1]
	v_pk_add_f32 v[12:13], v[26:27], v[12:13]
	v_mov_b32_e32 v10, v13
	v_pk_add_f32 v[26:27], v[10:11], v[14:15] neg_lo:[0,1] neg_hi:[0,1]
	v_mov_b32_e32 v21, v26
	v_pk_add_f32 v[38:39], v[34:35], v[20:21] neg_lo:[0,1] neg_hi:[0,1]
	v_mov_b32_e32 v12, v35
	v_mov_b32_e32 v34, v15
	;; [unrolled: 1-line block ×4, first 2 shown]
	v_pk_add_f32 v[12:13], v[12:13], v[34:35] neg_lo:[0,1] neg_hi:[0,1]
	v_mov_b32_e32 v26, v29
	v_mov_b32_e32 v27, v14
	v_pk_add_f32 v[12:13], v[26:27], v[12:13] neg_lo:[0,1] neg_hi:[0,1]
	v_mov_b32_e32 v38, v36
	v_pk_add_f32 v[14:15], v[38:39], v[12:13]
	v_mov_b32_e32 v22, v15
	v_pk_add_f32 v[26:27], v[14:15], v[22:23]
	v_pk_add_f32 v[28:29], v[10:11], v[26:27]
	v_mov_b32_e32 v15, v28
	v_pk_add_f32 v[34:35], v[14:15], v[36:37] neg_lo:[0,1] neg_hi:[0,1]
	v_mov_b32_e32 v13, v26
	v_sub_f32_e32 v10, v14, v34
	v_pk_add_f32 v[12:13], v[12:13], v[34:35] neg_lo:[0,1] neg_hi:[0,1]
	v_sub_f32_e32 v10, v36, v10
	s_mov_b32 s3, 0x7f800000
	v_add_f32_e32 v10, v12, v10
	s_mov_b32 s2, 0x33800000
	v_add_f32_e32 v10, v10, v13
	v_cmp_eq_f32_e32 vcc, s3, v40
	v_cmp_lt_f32_e64 s[2:3], |v40|, s2
	v_add_f32_e32 v10, v28, v10
	s_or_b64 vcc, vcc, s[2:3]
	v_cndmask_b32_e32 v10, v10, v40, vcc
	v_add_f32_e32 v10, v11, v10
.LBB90_282:
	s_or_b64 exec, exec, s[0:1]
	v_max_f32_e32 v11, v10, v10
	v_min_f32_e32 v12, v11, v16
	v_cmp_u_f32_e32 vcc, v10, v10
	v_max_f32_e32 v11, v11, v16
	v_cndmask_b32_e32 v12, v12, v10, vcc
	v_cndmask_b32_e32 v11, v11, v10, vcc
	v_cndmask_b32_e64 v13, v12, v23, s[16:17]
	v_cndmask_b32_e64 v12, v11, v23, s[16:17]
	s_movk_i32 s2, 0x1f8
	v_cmp_neq_f32_e32 vcc, v13, v12
	v_cmp_class_f32_e64 s[0:1], v13, s2
	s_or_b64 s[4:5], vcc, s[0:1]
	v_mov_b32_e32 v11, v10
	s_and_saveexec_b64 s[0:1], s[4:5]
	s_cbranch_execz .LBB90_284
; %bb.283:
	v_sub_f32_e32 v11, v13, v12
	s_mov_b32 s3, 0x3fb8aa3b
	v_mul_f32_e32 v13, 0x3fb8aa3b, v11
	v_fma_f32 v14, v11, s3, -v13
	v_rndne_f32_e32 v15, v13
	v_fmac_f32_e32 v14, 0x32a5705f, v11
	v_sub_f32_e32 v13, v13, v15
	v_add_f32_e32 v13, v13, v14
	v_exp_f32_e32 v13, v13
	v_cvt_i32_f32_e32 v14, v15
	s_mov_b32 s3, 0xc2ce8ed0
	v_cmp_ngt_f32_e32 vcc, s3, v11
	s_mov_b32 s3, 0x42b17218
	v_ldexp_f32 v13, v13, v14
	v_cndmask_b32_e32 v13, 0, v13, vcc
	v_mov_b32_e32 v14, 0x7f800000
	v_cmp_nlt_f32_e32 vcc, s3, v11
	v_cndmask_b32_e32 v13, v14, v13, vcc
	v_add_f32_e32 v11, 1.0, v13
	v_add_f32_e32 v14, -1.0, v11
	v_sub_f32_e32 v15, v14, v11
	v_add_f32_e32 v15, 1.0, v15
	v_sub_f32_e32 v14, v13, v14
	v_add_f32_e32 v16, v14, v15
	v_frexp_mant_f32_e32 v21, v11
	s_mov_b32 s3, 0x3f2aaaab
	v_cvt_f64_f32_e32 v[14:15], v11
	v_frexp_exp_i32_f64_e32 v14, v[14:15]
	v_cmp_gt_f32_e32 vcc, s3, v21
	v_subbrev_co_u32_e32 v21, vcc, 0, v14, vcc
	v_sub_u32_e32 v14, 0, v21
	v_ldexp_f32 v11, v11, v14
	v_ldexp_f32 v14, v16, v14
	v_add_f32_e32 v16, -1.0, v11
	v_add_f32_e32 v15, 1.0, v16
	v_sub_f32_e32 v15, v11, v15
	v_add_f32_e32 v22, v14, v15
	v_add_f32_e32 v15, 1.0, v11
	v_add_f32_e32 v23, -1.0, v15
	v_sub_f32_e32 v11, v11, v23
	v_add_f32_e32 v11, v14, v11
	v_add_f32_e32 v34, v15, v11
	v_rcp_f32_e32 v35, v34
	v_sub_f32_e32 v14, v15, v34
	v_add_f32_e32 v15, v16, v22
	v_add_f32_e32 v11, v11, v14
	v_sub_f32_e32 v14, v16, v15
	s_waitcnt lgkmcnt(0)
	v_mul_f32_e32 v36, v15, v35
	v_add_f32_e32 v16, v22, v14
	v_mul_f32_e32 v22, v34, v36
	v_fma_f32 v26, v36, v34, -v22
	v_fmac_f32_e32 v26, v36, v11
	v_add_f32_e32 v14, v22, v26
	v_sub_f32_e32 v23, v15, v14
	v_pk_add_f32 v[28:29], v[14:15], v[22:23] neg_lo:[0,1] neg_hi:[0,1]
	v_mov_b32_e32 v27, v14
	v_pk_add_f32 v[14:15], v[28:29], v[26:27] neg_lo:[0,1] neg_hi:[0,1]
	v_add_f32_e32 v15, v16, v15
	v_add_f32_e32 v14, v14, v15
	v_add_f32_e32 v15, v23, v14
	v_mul_f32_e32 v16, v35, v15
	v_mul_f32_e32 v22, v34, v16
	v_fma_f32 v26, v16, v34, -v22
	v_fmac_f32_e32 v26, v16, v11
	v_sub_f32_e32 v11, v23, v15
	v_add_f32_e32 v11, v14, v11
	v_add_f32_e32 v14, v22, v26
	v_sub_f32_e32 v23, v15, v14
	v_pk_add_f32 v[28:29], v[14:15], v[22:23] neg_lo:[0,1] neg_hi:[0,1]
	v_mov_b32_e32 v27, v14
	v_pk_add_f32 v[14:15], v[28:29], v[26:27] neg_lo:[0,1] neg_hi:[0,1]
	v_add_f32_e32 v11, v11, v15
	v_add_f32_e32 v11, v14, v11
	;; [unrolled: 1-line block ×4, first 2 shown]
	v_sub_f32_e32 v15, v14, v36
	v_mul_f32_e32 v11, v35, v11
	v_sub_f32_e32 v15, v16, v15
	v_add_f32_e32 v11, v15, v11
	v_add_f32_e32 v16, v14, v11
	v_mul_f32_e32 v23, v16, v16
	v_mov_b32_e32 v22, 0x3ecc95a3
	v_fmac_f32_e32 v22, 0x3e9b6dac, v23
	v_mov_b32_e32 v15, 0x3f2aaada
	v_fmac_f32_e32 v15, v23, v22
	v_cvt_f32_i32_e32 v22, v21
	v_sub_f32_e32 v14, v16, v14
	v_sub_f32_e32 v11, v11, v14
	v_mul_f32_e32 v23, v16, v23
	v_mov_b32_e32 v14, 0x3f317218
	s_mov_b32 s3, 0x3f317218
	v_pk_mul_f32 v[14:15], v[22:23], v[14:15]
	v_fma_f32 v26, v22, s3, -v14
	v_ldexp_f32 v27, v16, 1
	v_fmac_f32_e32 v26, 0xb102e308, v22
	v_pk_add_f32 v[22:23], v[14:15], v[26:27]
	v_sub_f32_e32 v16, v23, v27
	v_ldexp_f32 v11, v11, 1
	v_sub_f32_e32 v16, v15, v16
	v_add_f32_e32 v29, v11, v16
	v_mov_b32_e32 v28, v14
	v_pk_add_f32 v[14:15], v[22:23], v[14:15] neg_lo:[0,1] neg_hi:[0,1]
	v_pk_add_f32 v[34:35], v[22:23], v[28:29]
	v_mov_b32_e32 v15, v35
	v_mov_b32_e32 v27, v22
	v_pk_add_f32 v[36:37], v[26:27], v[14:15] neg_lo:[0,1] neg_hi:[0,1]
	v_pk_add_f32 v[14:15], v[26:27], v[14:15]
	v_mov_b32_e32 v16, v15
	v_pk_add_f32 v[26:27], v[16:17], v[22:23] neg_lo:[0,1] neg_hi:[0,1]
	v_mov_b32_e32 v11, v26
	v_pk_add_f32 v[38:39], v[34:35], v[10:11] neg_lo:[0,1] neg_hi:[0,1]
	v_mov_b32_e32 v14, v35
	v_mov_b32_e32 v34, v23
	;; [unrolled: 1-line block ×4, first 2 shown]
	v_pk_add_f32 v[14:15], v[14:15], v[34:35] neg_lo:[0,1] neg_hi:[0,1]
	v_mov_b32_e32 v26, v29
	v_mov_b32_e32 v27, v22
	v_pk_add_f32 v[14:15], v[26:27], v[14:15] neg_lo:[0,1] neg_hi:[0,1]
	v_mov_b32_e32 v38, v36
	v_pk_add_f32 v[22:23], v[38:39], v[14:15]
	v_mov_b32_e32 v26, v23
	v_pk_add_f32 v[26:27], v[22:23], v[26:27]
	v_pk_add_f32 v[28:29], v[16:17], v[26:27]
	v_mov_b32_e32 v23, v28
	v_pk_add_f32 v[34:35], v[22:23], v[36:37] neg_lo:[0,1] neg_hi:[0,1]
	v_mov_b32_e32 v15, v26
	v_sub_f32_e32 v11, v22, v34
	v_pk_add_f32 v[14:15], v[14:15], v[34:35] neg_lo:[0,1] neg_hi:[0,1]
	v_sub_f32_e32 v11, v36, v11
	s_mov_b32 s4, 0x7f800000
	v_add_f32_e32 v11, v14, v11
	s_mov_b32 s3, 0x33800000
	v_add_f32_e32 v11, v11, v15
	v_cmp_eq_f32_e32 vcc, s4, v13
	v_cmp_lt_f32_e64 s[4:5], |v13|, s3
	v_add_f32_e32 v11, v28, v11
	s_or_b64 vcc, vcc, s[4:5]
	v_cndmask_b32_e32 v11, v11, v13, vcc
	v_add_f32_e32 v11, v12, v11
.LBB90_284:
	s_or_b64 exec, exec, s[0:1]
	v_max_f32_e32 v12, v11, v11
	v_min_f32_e32 v13, v12, v17
	v_cmp_u_f32_e32 vcc, v11, v11
	v_max_f32_e32 v12, v12, v17
	v_cndmask_b32_e32 v13, v13, v11, vcc
	v_cndmask_b32_e32 v12, v12, v11, vcc
	v_cndmask_b32_e64 v14, v13, v24, s[18:19]
	v_cndmask_b32_e64 v13, v12, v24, s[18:19]
	v_cmp_neq_f32_e32 vcc, v14, v13
	v_cmp_class_f32_e64 s[0:1], v14, s2
	s_or_b64 s[2:3], vcc, s[0:1]
	v_mov_b32_e32 v12, v11
	s_and_saveexec_b64 s[0:1], s[2:3]
	s_cbranch_execz .LBB90_286
; %bb.285:
	v_sub_f32_e32 v12, v14, v13
	s_mov_b32 s2, 0x3fb8aa3b
	v_mul_f32_e32 v14, 0x3fb8aa3b, v12
	v_fma_f32 v15, v12, s2, -v14
	v_rndne_f32_e32 v16, v14
	v_fmac_f32_e32 v15, 0x32a5705f, v12
	v_sub_f32_e32 v14, v14, v16
	v_add_f32_e32 v14, v14, v15
	v_exp_f32_e32 v14, v14
	v_cvt_i32_f32_e32 v15, v16
	s_mov_b32 s2, 0xc2ce8ed0
	v_cmp_ngt_f32_e32 vcc, s2, v12
	s_mov_b32 s2, 0x42b17218
	v_ldexp_f32 v14, v14, v15
	v_cndmask_b32_e32 v14, 0, v14, vcc
	v_mov_b32_e32 v15, 0x7f800000
	v_cmp_nlt_f32_e32 vcc, s2, v12
	v_cndmask_b32_e32 v24, v15, v14, vcc
	v_add_f32_e32 v12, 1.0, v24
	v_add_f32_e32 v14, -1.0, v12
	v_sub_f32_e32 v15, v14, v12
	v_add_f32_e32 v15, 1.0, v15
	v_sub_f32_e32 v14, v24, v14
	v_add_f32_e32 v16, v14, v15
	v_frexp_mant_f32_e32 v17, v12
	s_mov_b32 s2, 0x3f2aaaab
	v_cvt_f64_f32_e32 v[14:15], v12
	v_frexp_exp_i32_f64_e32 v14, v[14:15]
	v_cmp_gt_f32_e32 vcc, s2, v17
	v_subbrev_co_u32_e32 v21, vcc, 0, v14, vcc
	v_sub_u32_e32 v14, 0, v21
	v_ldexp_f32 v12, v12, v14
	v_ldexp_f32 v14, v16, v14
	v_add_f32_e32 v16, -1.0, v12
	v_add_f32_e32 v15, 1.0, v16
	v_sub_f32_e32 v15, v12, v15
	v_add_f32_e32 v17, v14, v15
	v_add_f32_e32 v15, 1.0, v12
	v_add_f32_e32 v22, -1.0, v15
	v_sub_f32_e32 v12, v12, v22
	v_add_f32_e32 v12, v14, v12
	v_add_f32_e32 v28, v15, v12
	v_rcp_f32_e32 v29, v28
	v_sub_f32_e32 v14, v15, v28
	v_add_f32_e32 v15, v16, v17
	v_add_f32_e32 v12, v12, v14
	v_mul_f32_e32 v35, v15, v29
	v_sub_f32_e32 v14, v16, v15
	v_mul_f32_e32 v16, v28, v35
	v_fma_f32 v22, v35, v28, -v16
	v_fmac_f32_e32 v22, v35, v12
	v_add_f32_e32 v34, v17, v14
	v_add_f32_e32 v14, v16, v22
	v_sub_f32_e32 v17, v15, v14
	v_pk_add_f32 v[26:27], v[14:15], v[16:17] neg_lo:[0,1] neg_hi:[0,1]
	v_mov_b32_e32 v23, v14
	v_pk_add_f32 v[14:15], v[26:27], v[22:23] neg_lo:[0,1] neg_hi:[0,1]
	v_add_f32_e32 v15, v34, v15
	v_add_f32_e32 v14, v14, v15
	;; [unrolled: 1-line block ×3, first 2 shown]
	v_mul_f32_e32 v34, v29, v15
	v_mul_f32_e32 v16, v28, v34
	v_fma_f32 v22, v34, v28, -v16
	v_fmac_f32_e32 v22, v34, v12
	v_sub_f32_e32 v12, v17, v15
	v_add_f32_e32 v12, v14, v12
	v_add_f32_e32 v14, v16, v22
	v_sub_f32_e32 v17, v15, v14
	v_pk_add_f32 v[26:27], v[14:15], v[16:17] neg_lo:[0,1] neg_hi:[0,1]
	v_mov_b32_e32 v23, v14
	v_pk_add_f32 v[14:15], v[26:27], v[22:23] neg_lo:[0,1] neg_hi:[0,1]
	v_add_f32_e32 v12, v12, v15
	v_add_f32_e32 v12, v14, v12
	;; [unrolled: 1-line block ×4, first 2 shown]
	v_sub_f32_e32 v15, v14, v35
	v_mul_f32_e32 v12, v29, v12
	v_sub_f32_e32 v15, v34, v15
	v_add_f32_e32 v12, v15, v12
	v_add_f32_e32 v17, v14, v12
	v_mul_f32_e32 v22, v17, v17
	v_mov_b32_e32 v16, 0x3ecc95a3
	v_fmac_f32_e32 v16, 0x3e9b6dac, v22
	v_mov_b32_e32 v15, 0x3f2aaada
	v_fmac_f32_e32 v15, v22, v16
	v_cvt_f32_i32_e32 v16, v21
	v_sub_f32_e32 v14, v17, v14
	v_sub_f32_e32 v12, v12, v14
	v_ldexp_f32 v23, v17, 1
	v_mul_f32_e32 v17, v17, v22
	v_mov_b32_e32 v14, 0x3f317218
	s_mov_b32 s2, 0x3f317218
	v_pk_mul_f32 v[14:15], v[16:17], v[14:15]
	v_fma_f32 v22, v16, s2, -v14
	v_fmac_f32_e32 v22, 0xb102e308, v16
	v_pk_add_f32 v[16:17], v[14:15], v[22:23]
	v_sub_f32_e32 v21, v17, v23
	v_ldexp_f32 v12, v12, 1
	v_sub_f32_e32 v21, v15, v21
	v_add_f32_e32 v27, v12, v21
	v_mov_b32_e32 v26, v14
	v_pk_add_f32 v[14:15], v[16:17], v[14:15] neg_lo:[0,1] neg_hi:[0,1]
	v_pk_add_f32 v[28:29], v[16:17], v[26:27]
	v_mov_b32_e32 v15, v29
	v_mov_b32_e32 v23, v16
	v_pk_add_f32 v[34:35], v[22:23], v[14:15] neg_lo:[0,1] neg_hi:[0,1]
	v_pk_add_f32 v[14:15], v[22:23], v[14:15]
	v_mov_b32_e32 v12, v15
	v_pk_add_f32 v[22:23], v[12:13], v[16:17] neg_lo:[0,1] neg_hi:[0,1]
	v_mov_b32_e32 v21, v22
	s_waitcnt lgkmcnt(0)
	v_pk_add_f32 v[36:37], v[28:29], v[20:21] neg_lo:[0,1] neg_hi:[0,1]
	v_mov_b32_e32 v14, v29
	v_mov_b32_e32 v28, v17
	;; [unrolled: 1-line block ×4, first 2 shown]
	v_pk_add_f32 v[14:15], v[14:15], v[28:29] neg_lo:[0,1] neg_hi:[0,1]
	v_mov_b32_e32 v22, v27
	v_mov_b32_e32 v23, v16
	v_pk_add_f32 v[14:15], v[22:23], v[14:15] neg_lo:[0,1] neg_hi:[0,1]
	v_mov_b32_e32 v36, v34
	v_pk_add_f32 v[16:17], v[36:37], v[14:15]
	v_mov_b32_e32 v22, v17
	v_pk_add_f32 v[22:23], v[16:17], v[22:23]
	v_pk_add_f32 v[26:27], v[12:13], v[22:23]
	v_mov_b32_e32 v17, v26
	v_pk_add_f32 v[28:29], v[16:17], v[34:35] neg_lo:[0,1] neg_hi:[0,1]
	v_mov_b32_e32 v15, v22
	v_sub_f32_e32 v12, v16, v28
	v_pk_add_f32 v[14:15], v[14:15], v[28:29] neg_lo:[0,1] neg_hi:[0,1]
	v_sub_f32_e32 v12, v34, v12
	s_mov_b32 s3, 0x7f800000
	v_add_f32_e32 v12, v14, v12
	s_mov_b32 s2, 0x33800000
	v_add_f32_e32 v12, v12, v15
	v_cmp_eq_f32_e32 vcc, s3, v24
	v_cmp_lt_f32_e64 s[2:3], |v24|, s2
	v_add_f32_e32 v12, v26, v12
	s_or_b64 vcc, vcc, s[2:3]
	v_cndmask_b32_e32 v12, v12, v24, vcc
	v_add_f32_e32 v12, v13, v12
.LBB90_286:
	s_or_b64 exec, exec, s[0:1]
	v_max_f32_e32 v13, v12, v12
	v_min_f32_e32 v14, v13, v18
	v_cmp_u_f32_e32 vcc, v12, v12
	v_max_f32_e32 v13, v13, v18
	v_cndmask_b32_e32 v14, v14, v12, vcc
	v_cndmask_b32_e32 v13, v13, v12, vcc
	v_cndmask_b32_e64 v15, v14, v25, s[20:21]
	v_cndmask_b32_e64 v14, v13, v25, s[20:21]
	s_movk_i32 s2, 0x1f8
	v_cmp_neq_f32_e32 vcc, v15, v14
	v_cmp_class_f32_e64 s[0:1], v15, s2
	s_or_b64 s[4:5], vcc, s[0:1]
	v_mov_b32_e32 v13, v12
	s_and_saveexec_b64 s[0:1], s[4:5]
	s_cbranch_execz .LBB90_288
; %bb.287:
	v_sub_f32_e32 v13, v15, v14
	s_mov_b32 s3, 0x3fb8aa3b
	v_mul_f32_e32 v15, 0x3fb8aa3b, v13
	v_fma_f32 v16, v13, s3, -v15
	v_rndne_f32_e32 v17, v15
	v_fmac_f32_e32 v16, 0x32a5705f, v13
	v_sub_f32_e32 v15, v15, v17
	v_add_f32_e32 v15, v15, v16
	v_exp_f32_e32 v15, v15
	v_cvt_i32_f32_e32 v16, v17
	s_mov_b32 s3, 0xc2ce8ed0
	v_cmp_ngt_f32_e32 vcc, s3, v13
	s_mov_b32 s3, 0x42b17218
	v_ldexp_f32 v15, v15, v16
	v_cndmask_b32_e32 v15, 0, v15, vcc
	v_mov_b32_e32 v16, 0x7f800000
	v_cmp_nlt_f32_e32 vcc, s3, v13
	v_cndmask_b32_e32 v15, v16, v15, vcc
	v_add_f32_e32 v13, 1.0, v15
	v_add_f32_e32 v16, -1.0, v13
	v_sub_f32_e32 v17, v16, v13
	v_add_f32_e32 v17, 1.0, v17
	v_sub_f32_e32 v16, v15, v16
	v_add_f32_e32 v18, v16, v17
	v_frexp_mant_f32_e32 v21, v13
	s_mov_b32 s3, 0x3f2aaaab
	v_cvt_f64_f32_e32 v[16:17], v13
	v_frexp_exp_i32_f64_e32 v16, v[16:17]
	v_cmp_gt_f32_e32 vcc, s3, v21
	v_subbrev_co_u32_e32 v21, vcc, 0, v16, vcc
	v_sub_u32_e32 v16, 0, v21
	v_ldexp_f32 v13, v13, v16
	v_ldexp_f32 v16, v18, v16
	v_add_f32_e32 v18, -1.0, v13
	v_add_f32_e32 v17, 1.0, v18
	v_sub_f32_e32 v17, v13, v17
	v_add_f32_e32 v22, v16, v17
	v_add_f32_e32 v17, 1.0, v13
	v_add_f32_e32 v23, -1.0, v17
	v_sub_f32_e32 v13, v13, v23
	v_add_f32_e32 v13, v16, v13
	v_add_f32_e32 v28, v17, v13
	v_rcp_f32_e32 v29, v28
	v_sub_f32_e32 v16, v17, v28
	v_add_f32_e32 v17, v18, v22
	v_add_f32_e32 v13, v13, v16
	v_sub_f32_e32 v16, v18, v17
	v_mul_f32_e32 v34, v17, v29
	v_add_f32_e32 v18, v22, v16
	v_mul_f32_e32 v22, v28, v34
	v_fma_f32 v24, v34, v28, -v22
	v_fmac_f32_e32 v24, v34, v13
	v_add_f32_e32 v16, v22, v24
	v_sub_f32_e32 v23, v17, v16
	v_pk_add_f32 v[26:27], v[16:17], v[22:23] neg_lo:[0,1] neg_hi:[0,1]
	v_mov_b32_e32 v25, v16
	v_pk_add_f32 v[16:17], v[26:27], v[24:25] neg_lo:[0,1] neg_hi:[0,1]
	v_add_f32_e32 v17, v18, v17
	v_add_f32_e32 v16, v16, v17
	;; [unrolled: 1-line block ×3, first 2 shown]
	v_mul_f32_e32 v18, v29, v17
	v_mul_f32_e32 v22, v28, v18
	v_fma_f32 v24, v18, v28, -v22
	v_fmac_f32_e32 v24, v18, v13
	v_sub_f32_e32 v13, v23, v17
	v_add_f32_e32 v13, v16, v13
	v_add_f32_e32 v16, v22, v24
	v_sub_f32_e32 v23, v17, v16
	v_pk_add_f32 v[26:27], v[16:17], v[22:23] neg_lo:[0,1] neg_hi:[0,1]
	v_mov_b32_e32 v25, v16
	v_pk_add_f32 v[16:17], v[26:27], v[24:25] neg_lo:[0,1] neg_hi:[0,1]
	v_add_f32_e32 v13, v13, v17
	v_add_f32_e32 v13, v16, v13
	;; [unrolled: 1-line block ×4, first 2 shown]
	v_sub_f32_e32 v17, v16, v34
	v_mul_f32_e32 v13, v29, v13
	v_sub_f32_e32 v17, v18, v17
	v_add_f32_e32 v13, v17, v13
	v_add_f32_e32 v18, v16, v13
	v_mul_f32_e32 v23, v18, v18
	v_mov_b32_e32 v22, 0x3ecc95a3
	v_fmac_f32_e32 v22, 0x3e9b6dac, v23
	v_mov_b32_e32 v17, 0x3f2aaada
	v_fmac_f32_e32 v17, v23, v22
	v_cvt_f32_i32_e32 v22, v21
	v_sub_f32_e32 v16, v18, v16
	v_sub_f32_e32 v13, v13, v16
	v_mul_f32_e32 v23, v18, v23
	v_mov_b32_e32 v16, 0x3f317218
	s_mov_b32 s3, 0x3f317218
	v_pk_mul_f32 v[16:17], v[22:23], v[16:17]
	v_fma_f32 v24, v22, s3, -v16
	v_ldexp_f32 v25, v18, 1
	v_fmac_f32_e32 v24, 0xb102e308, v22
	v_pk_add_f32 v[22:23], v[16:17], v[24:25]
	v_sub_f32_e32 v18, v23, v25
	v_ldexp_f32 v13, v13, 1
	v_sub_f32_e32 v18, v17, v18
	v_add_f32_e32 v27, v13, v18
	v_mov_b32_e32 v26, v16
	v_pk_add_f32 v[16:17], v[22:23], v[16:17] neg_lo:[0,1] neg_hi:[0,1]
	v_pk_add_f32 v[28:29], v[22:23], v[26:27]
	v_mov_b32_e32 v17, v29
	v_mov_b32_e32 v25, v22
	v_pk_add_f32 v[34:35], v[24:25], v[16:17] neg_lo:[0,1] neg_hi:[0,1]
	v_pk_add_f32 v[16:17], v[24:25], v[16:17]
	v_mov_b32_e32 v18, v17
	v_pk_add_f32 v[24:25], v[18:19], v[22:23] neg_lo:[0,1] neg_hi:[0,1]
	v_mov_b32_e32 v13, v24
	s_waitcnt lgkmcnt(0)
	v_pk_add_f32 v[36:37], v[28:29], v[12:13] neg_lo:[0,1] neg_hi:[0,1]
	v_mov_b32_e32 v16, v29
	v_mov_b32_e32 v28, v23
	v_mov_b32_e32 v29, v24
	v_mov_b32_e32 v35, v17
	v_pk_add_f32 v[16:17], v[16:17], v[28:29] neg_lo:[0,1] neg_hi:[0,1]
	v_mov_b32_e32 v24, v27
	v_mov_b32_e32 v25, v22
	v_pk_add_f32 v[16:17], v[24:25], v[16:17] neg_lo:[0,1] neg_hi:[0,1]
	v_mov_b32_e32 v36, v34
	v_pk_add_f32 v[22:23], v[36:37], v[16:17]
	v_mov_b32_e32 v24, v23
	v_pk_add_f32 v[24:25], v[22:23], v[24:25]
	v_pk_add_f32 v[26:27], v[18:19], v[24:25]
	v_mov_b32_e32 v23, v26
	v_pk_add_f32 v[28:29], v[22:23], v[34:35] neg_lo:[0,1] neg_hi:[0,1]
	v_mov_b32_e32 v17, v24
	v_sub_f32_e32 v13, v22, v28
	v_pk_add_f32 v[16:17], v[16:17], v[28:29] neg_lo:[0,1] neg_hi:[0,1]
	v_sub_f32_e32 v13, v34, v13
	s_mov_b32 s4, 0x7f800000
	v_add_f32_e32 v13, v16, v13
	s_mov_b32 s3, 0x33800000
	v_add_f32_e32 v13, v13, v17
	v_cmp_eq_f32_e32 vcc, s4, v15
	v_cmp_lt_f32_e64 s[4:5], |v15|, s3
	v_add_f32_e32 v13, v26, v13
	s_or_b64 vcc, vcc, s[4:5]
	v_cndmask_b32_e32 v13, v13, v15, vcc
	v_add_f32_e32 v13, v14, v13
.LBB90_288:
	s_or_b64 exec, exec, s[0:1]
	v_max_f32_e32 v14, v13, v13
	v_min_f32_e32 v15, v14, v19
	v_cmp_u_f32_e32 vcc, v13, v13
	v_max_f32_e32 v14, v14, v19
	v_cndmask_b32_e32 v15, v15, v13, vcc
	v_cndmask_b32_e32 v14, v14, v13, vcc
	v_cndmask_b32_e64 v16, v15, v30, s[22:23]
	v_cndmask_b32_e64 v15, v14, v30, s[22:23]
	v_cmp_neq_f32_e32 vcc, v16, v15
	v_cmp_class_f32_e64 s[0:1], v16, s2
	s_or_b64 s[2:3], vcc, s[0:1]
	v_mov_b32_e32 v14, v13
	s_and_saveexec_b64 s[0:1], s[2:3]
	s_cbranch_execz .LBB90_290
; %bb.289:
	v_sub_f32_e32 v14, v16, v15
	s_mov_b32 s2, 0x3fb8aa3b
	v_mul_f32_e32 v16, 0x3fb8aa3b, v14
	v_fma_f32 v17, v14, s2, -v16
	v_rndne_f32_e32 v18, v16
	v_fmac_f32_e32 v17, 0x32a5705f, v14
	v_sub_f32_e32 v16, v16, v18
	v_add_f32_e32 v16, v16, v17
	v_exp_f32_e32 v16, v16
	v_cvt_i32_f32_e32 v17, v18
	s_mov_b32 s2, 0xc2ce8ed0
	v_cmp_ngt_f32_e32 vcc, s2, v14
	s_mov_b32 s2, 0x42b17218
	v_ldexp_f32 v16, v16, v17
	v_cndmask_b32_e32 v16, 0, v16, vcc
	v_mov_b32_e32 v17, 0x7f800000
	v_cmp_nlt_f32_e32 vcc, s2, v14
	v_cndmask_b32_e32 v30, v17, v16, vcc
	v_add_f32_e32 v14, 1.0, v30
	v_add_f32_e32 v16, -1.0, v14
	v_sub_f32_e32 v17, v16, v14
	v_add_f32_e32 v17, 1.0, v17
	v_sub_f32_e32 v16, v30, v16
	v_add_f32_e32 v18, v16, v17
	v_frexp_mant_f32_e32 v19, v14
	s_mov_b32 s2, 0x3f2aaaab
	v_cvt_f64_f32_e32 v[16:17], v14
	v_frexp_exp_i32_f64_e32 v16, v[16:17]
	v_cmp_gt_f32_e32 vcc, s2, v19
	v_subbrev_co_u32_e32 v21, vcc, 0, v16, vcc
	v_sub_u32_e32 v16, 0, v21
	v_ldexp_f32 v14, v14, v16
	v_ldexp_f32 v16, v18, v16
	v_add_f32_e32 v18, -1.0, v14
	v_add_f32_e32 v17, 1.0, v18
	v_sub_f32_e32 v17, v14, v17
	v_add_f32_e32 v19, v16, v17
	v_add_f32_e32 v17, 1.0, v14
	v_add_f32_e32 v22, -1.0, v17
	v_sub_f32_e32 v14, v14, v22
	v_add_f32_e32 v14, v16, v14
	v_add_f32_e32 v26, v17, v14
	v_rcp_f32_e32 v27, v26
	v_sub_f32_e32 v16, v17, v26
	v_add_f32_e32 v17, v18, v19
	v_add_f32_e32 v14, v14, v16
	v_mul_f32_e32 v29, v17, v27
	v_sub_f32_e32 v16, v18, v17
	v_mul_f32_e32 v18, v26, v29
	v_fma_f32 v22, v29, v26, -v18
	v_fmac_f32_e32 v22, v29, v14
	v_add_f32_e32 v28, v19, v16
	v_add_f32_e32 v16, v18, v22
	v_sub_f32_e32 v19, v17, v16
	v_pk_add_f32 v[24:25], v[16:17], v[18:19] neg_lo:[0,1] neg_hi:[0,1]
	v_mov_b32_e32 v23, v16
	v_pk_add_f32 v[16:17], v[24:25], v[22:23] neg_lo:[0,1] neg_hi:[0,1]
	v_add_f32_e32 v17, v28, v17
	v_add_f32_e32 v16, v16, v17
	;; [unrolled: 1-line block ×3, first 2 shown]
	v_mul_f32_e32 v28, v27, v17
	v_mul_f32_e32 v18, v26, v28
	v_fma_f32 v22, v28, v26, -v18
	v_fmac_f32_e32 v22, v28, v14
	v_sub_f32_e32 v14, v19, v17
	v_add_f32_e32 v14, v16, v14
	v_add_f32_e32 v16, v18, v22
	v_sub_f32_e32 v19, v17, v16
	v_pk_add_f32 v[24:25], v[16:17], v[18:19] neg_lo:[0,1] neg_hi:[0,1]
	v_mov_b32_e32 v23, v16
	v_pk_add_f32 v[16:17], v[24:25], v[22:23] neg_lo:[0,1] neg_hi:[0,1]
	v_add_f32_e32 v14, v14, v17
	v_add_f32_e32 v14, v16, v14
	;; [unrolled: 1-line block ×4, first 2 shown]
	v_sub_f32_e32 v17, v16, v29
	v_mul_f32_e32 v14, v27, v14
	v_sub_f32_e32 v17, v28, v17
	v_add_f32_e32 v14, v17, v14
	v_add_f32_e32 v19, v16, v14
	v_mul_f32_e32 v22, v19, v19
	v_mov_b32_e32 v18, 0x3ecc95a3
	v_fmac_f32_e32 v18, 0x3e9b6dac, v22
	v_mov_b32_e32 v17, 0x3f2aaada
	v_fmac_f32_e32 v17, v22, v18
	v_cvt_f32_i32_e32 v18, v21
	v_sub_f32_e32 v16, v19, v16
	v_sub_f32_e32 v14, v14, v16
	v_ldexp_f32 v23, v19, 1
	v_mul_f32_e32 v19, v19, v22
	v_mov_b32_e32 v16, 0x3f317218
	s_mov_b32 s2, 0x3f317218
	v_pk_mul_f32 v[16:17], v[18:19], v[16:17]
	v_fma_f32 v22, v18, s2, -v16
	v_fmac_f32_e32 v22, 0xb102e308, v18
	v_pk_add_f32 v[18:19], v[16:17], v[22:23]
	v_sub_f32_e32 v21, v19, v23
	v_ldexp_f32 v14, v14, 1
	v_sub_f32_e32 v21, v17, v21
	v_add_f32_e32 v25, v14, v21
	v_mov_b32_e32 v24, v16
	v_pk_add_f32 v[16:17], v[18:19], v[16:17] neg_lo:[0,1] neg_hi:[0,1]
	v_pk_add_f32 v[26:27], v[18:19], v[24:25]
	v_mov_b32_e32 v17, v27
	v_mov_b32_e32 v23, v18
	v_pk_add_f32 v[28:29], v[22:23], v[16:17] neg_lo:[0,1] neg_hi:[0,1]
	v_pk_add_f32 v[16:17], v[22:23], v[16:17]
	v_mov_b32_e32 v14, v17
	v_pk_add_f32 v[22:23], v[14:15], v[18:19] neg_lo:[0,1] neg_hi:[0,1]
	v_mov_b32_e32 v21, v22
	v_pk_add_f32 v[34:35], v[26:27], v[20:21] neg_lo:[0,1] neg_hi:[0,1]
	v_mov_b32_e32 v16, v27
	v_mov_b32_e32 v26, v19
	;; [unrolled: 1-line block ×4, first 2 shown]
	v_pk_add_f32 v[16:17], v[16:17], v[26:27] neg_lo:[0,1] neg_hi:[0,1]
	v_mov_b32_e32 v22, v25
	v_mov_b32_e32 v23, v18
	v_pk_add_f32 v[16:17], v[22:23], v[16:17] neg_lo:[0,1] neg_hi:[0,1]
	v_mov_b32_e32 v34, v28
	v_pk_add_f32 v[18:19], v[34:35], v[16:17]
	v_mov_b32_e32 v22, v19
	v_pk_add_f32 v[22:23], v[18:19], v[22:23]
	v_pk_add_f32 v[24:25], v[14:15], v[22:23]
	v_mov_b32_e32 v19, v24
	v_pk_add_f32 v[26:27], v[18:19], v[28:29] neg_lo:[0,1] neg_hi:[0,1]
	v_mov_b32_e32 v17, v22
	v_sub_f32_e32 v14, v18, v26
	v_pk_add_f32 v[16:17], v[16:17], v[26:27] neg_lo:[0,1] neg_hi:[0,1]
	v_sub_f32_e32 v14, v28, v14
	s_mov_b32 s3, 0x7f800000
	v_add_f32_e32 v14, v16, v14
	s_mov_b32 s2, 0x33800000
	v_add_f32_e32 v14, v14, v17
	v_cmp_eq_f32_e32 vcc, s3, v30
	v_cmp_lt_f32_e64 s[2:3], |v30|, s2
	v_add_f32_e32 v14, v24, v14
	s_or_b64 vcc, vcc, s[2:3]
	v_cndmask_b32_e32 v14, v14, v30, vcc
	v_add_f32_e32 v14, v15, v14
.LBB90_290:
	s_or_b64 exec, exec, s[0:1]
	v_max_f32_e32 v15, v14, v14
	v_min_f32_e32 v16, v15, v20
	v_cmp_u_f32_e32 vcc, v14, v14
	v_max_f32_e32 v15, v15, v20
	v_cndmask_b32_e32 v16, v16, v14, vcc
	v_cndmask_b32_e32 v15, v15, v14, vcc
	v_cndmask_b32_e64 v17, v16, v31, s[24:25]
	v_cndmask_b32_e64 v16, v15, v31, s[24:25]
	s_movk_i32 s0, 0x1f8
	v_cmp_neq_f32_e32 vcc, v17, v16
	v_cmp_class_f32_e64 s[0:1], v17, s0
	s_or_b64 s[2:3], vcc, s[0:1]
	v_mov_b32_e32 v15, v14
	s_and_saveexec_b64 s[0:1], s[2:3]
	s_cbranch_execz .LBB90_292
; %bb.291:
	v_sub_f32_e32 v15, v17, v16
	s_mov_b32 s2, 0x3fb8aa3b
	v_mul_f32_e32 v17, 0x3fb8aa3b, v15
	v_fma_f32 v18, v15, s2, -v17
	v_rndne_f32_e32 v19, v17
	v_fmac_f32_e32 v18, 0x32a5705f, v15
	v_sub_f32_e32 v17, v17, v19
	v_add_f32_e32 v17, v17, v18
	v_exp_f32_e32 v17, v17
	v_cvt_i32_f32_e32 v18, v19
	s_mov_b32 s2, 0xc2ce8ed0
	v_cmp_ngt_f32_e32 vcc, s2, v15
	s_mov_b32 s2, 0x42b17218
	v_ldexp_f32 v17, v17, v18
	v_cndmask_b32_e32 v17, 0, v17, vcc
	v_mov_b32_e32 v18, 0x7f800000
	v_cmp_nlt_f32_e32 vcc, s2, v15
	v_cndmask_b32_e32 v17, v18, v17, vcc
	v_add_f32_e32 v15, 1.0, v17
	v_add_f32_e32 v18, -1.0, v15
	v_sub_f32_e32 v19, v18, v15
	v_add_f32_e32 v19, 1.0, v19
	v_sub_f32_e32 v18, v17, v18
	v_add_f32_e32 v20, v18, v19
	v_frexp_mant_f32_e32 v21, v15
	s_mov_b32 s2, 0x3f2aaaab
	v_cvt_f64_f32_e32 v[18:19], v15
	v_frexp_exp_i32_f64_e32 v18, v[18:19]
	v_cmp_gt_f32_e32 vcc, s2, v21
	v_subbrev_co_u32_e32 v26, vcc, 0, v18, vcc
	v_sub_u32_e32 v18, 0, v26
	v_ldexp_f32 v15, v15, v18
	v_ldexp_f32 v18, v20, v18
	v_add_f32_e32 v20, -1.0, v15
	v_add_f32_e32 v19, 1.0, v20
	v_sub_f32_e32 v19, v15, v19
	v_add_f32_e32 v21, v18, v19
	v_add_f32_e32 v19, 1.0, v15
	v_add_f32_e32 v22, -1.0, v19
	v_sub_f32_e32 v15, v15, v22
	v_add_f32_e32 v15, v18, v15
	v_add_f32_e32 v27, v19, v15
	v_rcp_f32_e32 v28, v27
	v_sub_f32_e32 v18, v19, v27
	v_add_f32_e32 v19, v20, v21
	v_add_f32_e32 v15, v15, v18
	v_mul_f32_e32 v30, v19, v28
	v_sub_f32_e32 v18, v20, v19
	v_mul_f32_e32 v20, v27, v30
	v_fma_f32 v22, v30, v27, -v20
	v_fmac_f32_e32 v22, v30, v15
	v_add_f32_e32 v29, v21, v18
	v_add_f32_e32 v18, v20, v22
	v_sub_f32_e32 v21, v19, v18
	v_pk_add_f32 v[24:25], v[18:19], v[20:21] neg_lo:[0,1] neg_hi:[0,1]
	v_mov_b32_e32 v23, v18
	v_pk_add_f32 v[18:19], v[24:25], v[22:23] neg_lo:[0,1] neg_hi:[0,1]
	v_add_f32_e32 v19, v29, v19
	v_add_f32_e32 v18, v18, v19
	;; [unrolled: 1-line block ×3, first 2 shown]
	v_mul_f32_e32 v29, v28, v19
	v_mul_f32_e32 v20, v27, v29
	v_fma_f32 v22, v29, v27, -v20
	v_fmac_f32_e32 v22, v29, v15
	v_sub_f32_e32 v15, v21, v19
	v_add_f32_e32 v15, v18, v15
	v_add_f32_e32 v18, v20, v22
	v_sub_f32_e32 v21, v19, v18
	v_pk_add_f32 v[24:25], v[18:19], v[20:21] neg_lo:[0,1] neg_hi:[0,1]
	v_mov_b32_e32 v23, v18
	v_pk_add_f32 v[18:19], v[24:25], v[22:23] neg_lo:[0,1] neg_hi:[0,1]
	v_add_f32_e32 v15, v15, v19
	v_add_f32_e32 v15, v18, v15
	;; [unrolled: 1-line block ×4, first 2 shown]
	v_sub_f32_e32 v19, v18, v30
	v_mul_f32_e32 v15, v28, v15
	v_sub_f32_e32 v19, v29, v19
	v_add_f32_e32 v15, v19, v15
	v_add_f32_e32 v21, v18, v15
	v_mul_f32_e32 v22, v21, v21
	v_mov_b32_e32 v20, 0x3ecc95a3
	v_fmac_f32_e32 v20, 0x3e9b6dac, v22
	v_mov_b32_e32 v19, 0x3f2aaada
	v_fmac_f32_e32 v19, v22, v20
	v_cvt_f32_i32_e32 v20, v26
	v_sub_f32_e32 v18, v21, v18
	v_sub_f32_e32 v15, v15, v18
	v_ldexp_f32 v23, v21, 1
	v_mul_f32_e32 v21, v21, v22
	v_mov_b32_e32 v18, 0x3f317218
	s_mov_b32 s2, 0x3f317218
	v_pk_mul_f32 v[18:19], v[20:21], v[18:19]
	v_fma_f32 v22, v20, s2, -v18
	v_fmac_f32_e32 v22, 0xb102e308, v20
	v_pk_add_f32 v[20:21], v[18:19], v[22:23]
	v_sub_f32_e32 v23, v21, v23
	v_ldexp_f32 v15, v15, 1
	v_sub_f32_e32 v23, v19, v23
	v_add_f32_e32 v25, v15, v23
	v_mov_b32_e32 v24, v18
	v_pk_add_f32 v[18:19], v[20:21], v[18:19] neg_lo:[0,1] neg_hi:[0,1]
	v_pk_add_f32 v[26:27], v[20:21], v[24:25]
	v_mov_b32_e32 v19, v27
	v_mov_b32_e32 v23, v20
	v_pk_add_f32 v[28:29], v[22:23], v[18:19] neg_lo:[0,1] neg_hi:[0,1]
	v_pk_add_f32 v[18:19], v[22:23], v[18:19]
	v_mov_b32_e32 v22, v19
	v_pk_add_f32 v[30:31], v[22:23], v[20:21] neg_lo:[0,1] neg_hi:[0,1]
	v_mov_b32_e32 v15, v30
	v_pk_add_f32 v[34:35], v[26:27], v[14:15] neg_lo:[0,1] neg_hi:[0,1]
	v_mov_b32_e32 v18, v27
	v_mov_b32_e32 v26, v21
	;; [unrolled: 1-line block ×4, first 2 shown]
	v_pk_add_f32 v[18:19], v[18:19], v[26:27] neg_lo:[0,1] neg_hi:[0,1]
	v_mov_b32_e32 v24, v25
	v_mov_b32_e32 v25, v20
	v_pk_add_f32 v[18:19], v[24:25], v[18:19] neg_lo:[0,1] neg_hi:[0,1]
	v_mov_b32_e32 v34, v28
	v_pk_add_f32 v[20:21], v[34:35], v[18:19]
	v_mov_b32_e32 v24, v21
	v_pk_add_f32 v[24:25], v[20:21], v[24:25]
	v_pk_add_f32 v[22:23], v[22:23], v[24:25]
	v_mov_b32_e32 v21, v22
	v_pk_add_f32 v[26:27], v[20:21], v[28:29] neg_lo:[0,1] neg_hi:[0,1]
	v_mov_b32_e32 v19, v24
	v_sub_f32_e32 v15, v20, v26
	v_pk_add_f32 v[18:19], v[18:19], v[26:27] neg_lo:[0,1] neg_hi:[0,1]
	v_sub_f32_e32 v15, v28, v15
	s_mov_b32 s3, 0x7f800000
	v_add_f32_e32 v15, v18, v15
	s_mov_b32 s2, 0x33800000
	v_add_f32_e32 v15, v15, v19
	v_cmp_eq_f32_e32 vcc, s3, v17
	v_cmp_lt_f32_e64 s[2:3], |v17|, s2
	v_add_f32_e32 v15, v22, v15
	s_or_b64 vcc, vcc, s[2:3]
	v_cndmask_b32_e32 v15, v15, v17, vcc
	v_add_f32_e32 v15, v16, v15
.LBB90_292:
	s_or_b64 exec, exec, s[0:1]
	s_movk_i32 s0, 0x7f
	v_cmp_eq_u32_e32 vcc, s0, v0
	s_and_saveexec_b64 s[0:1], vcc
	s_cbranch_execz .LBB90_294
; %bb.293:
	v_mov_b32_e32 v18, 0
	v_mov_b32_e32 v17, 2
	;; [unrolled: 1-line block ×3, first 2 shown]
	global_store_dwordx2 v18, v[16:17], s[52:53] offset:512
.LBB90_294:
	s_or_b64 exec, exec, s[0:1]
	v_pk_mov_b32 v[20:21], v[16:17], v[16:17] op_sel:[0,1]
	v_pk_mov_b32 v[18:19], v[14:15], v[14:15] op_sel:[0,1]
	;; [unrolled: 1-line block ×8, first 2 shown]
.LBB90_295:
	s_add_u32 s0, s44, s48
	s_addc_u32 s1, s45, s49
	s_add_u32 s0, s0, s50
	s_addc_u32 s1, s1, s51
	s_mov_b64 s[2:3], -1
	s_and_b64 vcc, exec, s[46:47]
	s_waitcnt lgkmcnt(0)
	s_barrier
	s_cbranch_vccz .LBB90_297
; %bb.296:
	ds_write2_b64 v1, v[6:7], v[8:9] offset1:1
	ds_write2_b64 v1, v[10:11], v[12:13] offset0:2 offset1:3
	ds_write2_b64 v1, v[14:15], v[16:17] offset0:4 offset1:5
	ds_write_b64 v1, v[18:19] offset:48
	s_waitcnt lgkmcnt(0)
	s_barrier
	ds_read2st64_b32 v[2:3], v32 offset1:2
	ds_read2st64_b32 v[4:5], v32 offset0:4 offset1:6
	ds_read2st64_b32 v[20:21], v32 offset0:8 offset1:10
	;; [unrolled: 1-line block ×6, first 2 shown]
	v_mov_b32_e32 v30, s1
	v_add_co_u32_e32 v31, vcc, s0, v32
	v_addc_co_u32_e32 v30, vcc, 0, v30, vcc
	s_waitcnt lgkmcnt(6)
	global_store_dword v32, v2, s[0:1]
	global_store_dword v32, v3, s[0:1] offset:512
	s_waitcnt lgkmcnt(5)
	global_store_dword v32, v4, s[0:1] offset:1024
	global_store_dword v32, v5, s[0:1] offset:1536
	s_waitcnt lgkmcnt(4)
	global_store_dword v32, v20, s[0:1] offset:2048
	;; [unrolled: 3-line block ×3, first 2 shown]
	global_store_dword v32, v23, s[0:1] offset:3584
	v_add_co_u32_e32 v2, vcc, 0x1000, v31
	v_addc_co_u32_e32 v3, vcc, 0, v30, vcc
	s_waitcnt lgkmcnt(2)
	global_store_dword v[2:3], v24, off
	global_store_dword v[2:3], v25, off offset:512
	s_waitcnt lgkmcnt(1)
	global_store_dword v[2:3], v26, off offset:1024
	global_store_dword v[2:3], v27, off offset:1536
	s_waitcnt lgkmcnt(0)
	global_store_dword v[2:3], v28, off offset:2048
	global_store_dword v[2:3], v29, off offset:2560
	s_mov_b64 s[2:3], 0
.LBB90_297:
	s_andn2_b64 vcc, exec, s[2:3]
	s_cbranch_vccnz .LBB90_377
; %bb.298:
	ds_write2_b64 v1, v[6:7], v[8:9] offset1:1
	ds_write2_b64 v1, v[10:11], v[12:13] offset0:2 offset1:3
	ds_write2_b64 v1, v[14:15], v[16:17] offset0:4 offset1:5
	ds_write_b64 v1, v[18:19] offset:48
	s_waitcnt lgkmcnt(0)
	s_barrier
	ds_read2st64_b32 v[4:5], v32 offset1:2
	ds_read2st64_b32 v[6:7], v32 offset0:4 offset1:6
	ds_read2st64_b32 v[8:9], v32 offset0:8 offset1:10
	;; [unrolled: 1-line block ×6, first 2 shown]
	v_mov_b32_e32 v17, s1
	v_add_co_u32_e32 v16, vcc, s0, v32
	v_addc_co_u32_e32 v17, vcc, 0, v17, vcc
	v_mov_b32_e32 v1, 0
	v_cmp_gt_u32_e32 vcc, s33, v0
	s_and_saveexec_b64 s[0:1], vcc
	s_cbranch_execz .LBB90_300
; %bb.299:
	s_waitcnt lgkmcnt(6)
	global_store_dword v[16:17], v4, off
.LBB90_300:
	s_or_b64 exec, exec, s[0:1]
	v_or_b32_e32 v18, 0x80, v0
	v_cmp_gt_u32_e32 vcc, s33, v18
	s_and_saveexec_b64 s[0:1], vcc
	s_cbranch_execz .LBB90_302
; %bb.301:
	s_waitcnt lgkmcnt(6)
	global_store_dword v[16:17], v5, off offset:512
.LBB90_302:
	s_or_b64 exec, exec, s[0:1]
	v_or_b32_e32 v18, 0x100, v0
	v_cmp_gt_u32_e32 vcc, s33, v18
	s_and_saveexec_b64 s[0:1], vcc
	s_cbranch_execz .LBB90_304
; %bb.303:
	s_waitcnt lgkmcnt(5)
	global_store_dword v[16:17], v6, off offset:1024
.LBB90_304:
	;; [unrolled: 9-line block ×7, first 2 shown]
	s_or_b64 exec, exec, s[0:1]
	v_or_b32_e32 v18, 0x400, v0
	v_cmp_gt_u32_e32 vcc, s33, v18
	s_and_saveexec_b64 s[0:1], vcc
	s_cbranch_execz .LBB90_316
; %bb.315:
	v_add_co_u32_e32 v18, vcc, 0x1000, v16
	v_addc_co_u32_e32 v19, vcc, 0, v17, vcc
	s_waitcnt lgkmcnt(2)
	global_store_dword v[18:19], v12, off
.LBB90_316:
	s_or_b64 exec, exec, s[0:1]
	v_or_b32_e32 v18, 0x480, v0
	v_cmp_gt_u32_e32 vcc, s33, v18
	s_and_saveexec_b64 s[0:1], vcc
	s_cbranch_execz .LBB90_318
; %bb.317:
	v_add_co_u32_e32 v18, vcc, 0x1000, v16
	v_addc_co_u32_e32 v19, vcc, 0, v17, vcc
	s_waitcnt lgkmcnt(2)
	global_store_dword v[18:19], v13, off offset:512
.LBB90_318:
	s_or_b64 exec, exec, s[0:1]
	v_or_b32_e32 v18, 0x500, v0
	v_cmp_gt_u32_e32 vcc, s33, v18
	s_and_saveexec_b64 s[0:1], vcc
	s_cbranch_execz .LBB90_320
; %bb.319:
	v_add_co_u32_e32 v18, vcc, 0x1000, v16
	v_addc_co_u32_e32 v19, vcc, 0, v17, vcc
	s_waitcnt lgkmcnt(1)
	global_store_dword v[18:19], v10, off offset:1024
.LBB90_320:
	;; [unrolled: 11-line block ×5, first 2 shown]
	s_or_b64 exec, exec, s[0:1]
	v_cmp_lt_u64_e64 s[0:1], s[42:43], 2
	s_and_b64 vcc, exec, s[0:1]
	s_cbranch_vccnz .LBB90_377
; %bb.327:
	s_add_u32 s0, s33, -1
	s_addc_u32 s1, s56, -1
	s_add_u32 s2, 0, 0x49240800
	s_addc_u32 s3, 0, 50
	s_add_i32 s3, s3, 0x12492460
	s_mul_hi_u32 s7, s2, -14
	s_sub_i32 s7, s7, s2
	s_mul_i32 s8, s3, -14
	s_mul_i32 s4, s2, -14
	s_add_i32 s7, s7, s8
	s_mul_hi_u32 s5, s3, s4
	s_mul_i32 s6, s3, s4
	s_mul_i32 s9, s2, s7
	s_mul_hi_u32 s4, s2, s4
	s_mul_hi_u32 s8, s2, s7
	s_add_u32 s4, s4, s9
	s_addc_u32 s8, 0, s8
	s_add_u32 s4, s4, s6
	s_mul_hi_u32 s9, s3, s7
	s_addc_u32 s4, s8, s5
	s_addc_u32 s5, s9, 0
	s_mul_i32 s6, s3, s7
	s_add_u32 s4, s4, s6
	v_mov_b32_e32 v16, s4
	s_addc_u32 s5, 0, s5
	v_add_co_u32_e32 v16, vcc, s2, v16
	s_cmp_lg_u64 vcc, 0
	s_addc_u32 s2, s3, s5
	v_readfirstlane_b32 s5, v16
	s_mul_i32 s4, s0, s2
	s_mul_hi_u32 s6, s0, s5
	s_mul_hi_u32 s3, s0, s2
	s_add_u32 s4, s6, s4
	s_addc_u32 s3, 0, s3
	s_mul_hi_u32 s7, s1, s5
	s_mul_i32 s5, s1, s5
	s_add_u32 s4, s4, s5
	s_mul_hi_u32 s6, s1, s2
	s_addc_u32 s3, s3, s7
	s_addc_u32 s4, s6, 0
	s_mul_i32 s2, s1, s2
	s_add_u32 s2, s3, s2
	s_addc_u32 s3, 0, s4
	s_add_u32 s4, s2, 1
	s_addc_u32 s5, s3, 0
	s_add_u32 s6, s2, 2
	s_mul_i32 s8, s3, 14
	s_mul_hi_u32 s9, s2, 14
	s_addc_u32 s7, s3, 0
	s_add_i32 s9, s9, s8
	s_mul_i32 s8, s2, 14
	v_mov_b32_e32 v16, s8
	v_sub_co_u32_e32 v16, vcc, s0, v16
	s_cmp_lg_u64 vcc, 0
	s_subb_u32 s8, s1, s9
	v_subrev_co_u32_e32 v17, vcc, 14, v16
	s_cmp_lg_u64 vcc, 0
	s_subb_u32 s9, s8, 0
	v_readfirstlane_b32 s10, v17
	s_cmp_gt_u32 s10, 13
	s_cselect_b32 s10, -1, 0
	s_cmp_eq_u32 s9, 0
	s_cselect_b32 s9, s10, -1
	s_cmp_lg_u32 s9, 0
	s_cselect_b32 s4, s6, s4
	v_readfirstlane_b32 s6, v16
	s_cselect_b32 s5, s7, s5
	s_cmp_gt_u32 s6, 13
	s_cselect_b32 s6, -1, 0
	s_cmp_eq_u32 s8, 0
	s_cselect_b32 s6, s6, -1
	s_cmp_lg_u32 s6, 0
	s_cselect_b32 s3, s5, s3
	s_cselect_b32 s2, s4, s2
	v_cmp_eq_u64_e32 vcc, s[2:3], v[0:1]
	s_and_saveexec_b64 s[2:3], vcc
	s_cbranch_execz .LBB90_377
; %bb.328:
	v_mul_hi_u32_u24_e32 v1, 14, v0
	v_mov_b32_e32 v16, s1
	v_sub_co_u32_e32 v0, vcc, s0, v33
	v_subb_co_u32_e32 v1, vcc, v16, v1, vcc
	v_cmp_lt_i64_e32 vcc, 6, v[0:1]
	s_and_saveexec_b64 s[0:1], vcc
	s_xor_b64 s[0:1], exec, s[0:1]
	s_cbranch_execz .LBB90_354
; %bb.329:
	v_cmp_lt_i64_e32 vcc, 9, v[0:1]
	s_and_saveexec_b64 s[2:3], vcc
	s_xor_b64 s[2:3], exec, s[2:3]
	s_cbranch_execz .LBB90_343
; %bb.330:
	;; [unrolled: 5-line block ×4, first 2 shown]
	v_mov_b32_e32 v0, 0
	s_waitcnt lgkmcnt(0)
	global_store_dword v0, v15, s[38:39]
                                        ; implicit-def: $vgpr14_vgpr15
.LBB90_333:
	s_andn2_saveexec_b64 s[6:7], s[6:7]
	s_cbranch_execz .LBB90_335
; %bb.334:
	v_mov_b32_e32 v0, 0
	s_waitcnt lgkmcnt(0)
	global_store_dword v0, v14, s[38:39]
.LBB90_335:
	s_or_b64 exec, exec, s[6:7]
                                        ; implicit-def: $vgpr10_vgpr11
                                        ; implicit-def: $vgpr0_vgpr1
.LBB90_336:
	s_andn2_saveexec_b64 s[4:5], s[4:5]
	s_cbranch_execz .LBB90_342
; %bb.337:
	v_cmp_lt_i64_e32 vcc, 10, v[0:1]
	s_and_saveexec_b64 s[6:7], vcc
	s_xor_b64 s[6:7], exec, s[6:7]
	s_cbranch_execz .LBB90_339
; %bb.338:
	v_mov_b32_e32 v0, 0
	s_waitcnt lgkmcnt(1)
	global_store_dword v0, v11, s[38:39]
                                        ; implicit-def: $vgpr10_vgpr11
.LBB90_339:
	s_andn2_saveexec_b64 s[6:7], s[6:7]
	s_cbranch_execz .LBB90_341
; %bb.340:
	v_mov_b32_e32 v0, 0
	s_waitcnt lgkmcnt(1)
	global_store_dword v0, v10, s[38:39]
.LBB90_341:
	s_or_b64 exec, exec, s[6:7]
.LBB90_342:
	s_or_b64 exec, exec, s[4:5]
                                        ; implicit-def: $vgpr2_vgpr3
                                        ; implicit-def: $vgpr0_vgpr1
                                        ; implicit-def: $vgpr12_vgpr13
.LBB90_343:
	s_andn2_saveexec_b64 s[2:3], s[2:3]
	s_cbranch_execz .LBB90_353
; %bb.344:
	v_cmp_lt_i64_e32 vcc, 7, v[0:1]
	s_and_saveexec_b64 s[4:5], vcc
	s_xor_b64 s[4:5], exec, s[4:5]
	s_cbranch_execz .LBB90_350
; %bb.345:
	v_cmp_lt_i64_e32 vcc, 8, v[0:1]
	s_and_saveexec_b64 s[6:7], vcc
	s_xor_b64 s[6:7], exec, s[6:7]
	s_cbranch_execz .LBB90_347
; %bb.346:
	v_mov_b32_e32 v0, 0
	s_waitcnt lgkmcnt(2)
	global_store_dword v0, v13, s[38:39]
                                        ; implicit-def: $vgpr12_vgpr13
.LBB90_347:
	s_andn2_saveexec_b64 s[6:7], s[6:7]
	s_cbranch_execz .LBB90_349
; %bb.348:
	v_mov_b32_e32 v0, 0
	s_waitcnt lgkmcnt(2)
	global_store_dword v0, v12, s[38:39]
.LBB90_349:
	s_or_b64 exec, exec, s[6:7]
                                        ; implicit-def: $vgpr2_vgpr3
.LBB90_350:
	s_andn2_saveexec_b64 s[4:5], s[4:5]
	s_cbranch_execz .LBB90_352
; %bb.351:
	v_mov_b32_e32 v0, 0
	s_waitcnt lgkmcnt(3)
	global_store_dword v0, v3, s[38:39]
.LBB90_352:
	s_or_b64 exec, exec, s[4:5]
.LBB90_353:
	s_or_b64 exec, exec, s[2:3]
                                        ; implicit-def: $vgpr0_vgpr1
                                        ; implicit-def: $vgpr8_vgpr9
                                        ; implicit-def: $vgpr4_vgpr5
                                        ; implicit-def: $vgpr6_vgpr7
                                        ; implicit-def: $vgpr2_vgpr3
.LBB90_354:
	s_andn2_saveexec_b64 s[0:1], s[0:1]
	s_cbranch_execz .LBB90_377
; %bb.355:
	v_cmp_lt_i64_e32 vcc, 3, v[0:1]
	s_and_saveexec_b64 s[0:1], vcc
	s_xor_b64 s[0:1], exec, s[0:1]
	s_cbranch_execz .LBB90_365
; %bb.356:
	v_cmp_lt_i64_e32 vcc, 4, v[0:1]
	s_and_saveexec_b64 s[2:3], vcc
	s_xor_b64 s[2:3], exec, s[2:3]
	;; [unrolled: 5-line block ×3, first 2 shown]
	s_cbranch_execz .LBB90_359
; %bb.358:
	v_mov_b32_e32 v0, 0
	s_waitcnt lgkmcnt(3)
	global_store_dword v0, v2, s[38:39]
                                        ; implicit-def: $vgpr8_vgpr9
.LBB90_359:
	s_andn2_saveexec_b64 s[4:5], s[4:5]
	s_cbranch_execz .LBB90_361
; %bb.360:
	v_mov_b32_e32 v0, 0
	s_waitcnt lgkmcnt(4)
	global_store_dword v0, v9, s[38:39]
.LBB90_361:
	s_or_b64 exec, exec, s[4:5]
                                        ; implicit-def: $vgpr8_vgpr9
.LBB90_362:
	s_andn2_saveexec_b64 s[2:3], s[2:3]
	s_cbranch_execz .LBB90_364
; %bb.363:
	v_mov_b32_e32 v0, 0
	s_waitcnt lgkmcnt(4)
	global_store_dword v0, v8, s[38:39]
.LBB90_364:
	s_or_b64 exec, exec, s[2:3]
                                        ; implicit-def: $vgpr0_vgpr1
                                        ; implicit-def: $vgpr4_vgpr5
                                        ; implicit-def: $vgpr6_vgpr7
.LBB90_365:
	s_andn2_saveexec_b64 s[0:1], s[0:1]
	s_cbranch_execz .LBB90_377
; %bb.366:
	v_cmp_lt_i64_e32 vcc, 1, v[0:1]
	s_and_saveexec_b64 s[0:1], vcc
	s_xor_b64 s[0:1], exec, s[0:1]
	s_cbranch_execz .LBB90_372
; %bb.367:
	v_cmp_lt_i64_e32 vcc, 2, v[0:1]
	s_and_saveexec_b64 s[2:3], vcc
	s_xor_b64 s[2:3], exec, s[2:3]
	s_cbranch_execz .LBB90_369
; %bb.368:
	v_mov_b32_e32 v0, 0
	s_waitcnt lgkmcnt(5)
	global_store_dword v0, v7, s[38:39]
                                        ; implicit-def: $vgpr6_vgpr7
.LBB90_369:
	s_andn2_saveexec_b64 s[2:3], s[2:3]
	s_cbranch_execz .LBB90_371
; %bb.370:
	v_mov_b32_e32 v0, 0
	s_waitcnt lgkmcnt(5)
	global_store_dword v0, v6, s[38:39]
.LBB90_371:
	s_or_b64 exec, exec, s[2:3]
                                        ; implicit-def: $vgpr4_vgpr5
                                        ; implicit-def: $vgpr0_vgpr1
.LBB90_372:
	s_andn2_saveexec_b64 s[0:1], s[0:1]
	s_cbranch_execz .LBB90_377
; %bb.373:
	v_cmp_ne_u64_e32 vcc, 1, v[0:1]
	s_and_saveexec_b64 s[0:1], vcc
	s_xor_b64 s[0:1], exec, s[0:1]
	s_cbranch_execz .LBB90_375
; %bb.374:
	v_mov_b32_e32 v0, 0
	s_waitcnt lgkmcnt(6)
	global_store_dword v0, v4, s[38:39]
                                        ; implicit-def: $vgpr4_vgpr5
.LBB90_375:
	s_andn2_saveexec_b64 s[0:1], s[0:1]
	s_cbranch_execz .LBB90_377
; %bb.376:
	v_mov_b32_e32 v0, 0
	s_waitcnt lgkmcnt(6)
	global_store_dword v0, v5, s[38:39]
.LBB90_377:
	s_endpgm
	.section	.rodata,"a",@progbits
	.p2align	6, 0x0
	.amdhsa_kernel _ZN7rocprim17ROCPRIM_400000_NS6detail17trampoline_kernelINS0_14default_configENS1_20scan_config_selectorIfEEZZNS1_9scan_implILNS1_25lookback_scan_determinismE0ELb0ELb0ES3_PKfPffZZZN2at6native31launch_logcumsumexp_cuda_kernelERKNSB_10TensorBaseESF_lENKUlvE_clEvENKUlvE0_clEvEUlffE_fEEDaPvRmT3_T4_T5_mT6_P12ihipStream_tbENKUlT_T0_E_clISt17integral_constantIbLb0EESW_EEDaSR_SS_EUlSR_E_NS1_11comp_targetILNS1_3genE4ELNS1_11target_archE910ELNS1_3gpuE8ELNS1_3repE0EEENS1_30default_config_static_selectorELNS0_4arch9wavefront6targetE1EEEvT1_
		.amdhsa_group_segment_fixed_size 7168
		.amdhsa_private_segment_fixed_size 0
		.amdhsa_kernarg_size 96
		.amdhsa_user_sgpr_count 6
		.amdhsa_user_sgpr_private_segment_buffer 1
		.amdhsa_user_sgpr_dispatch_ptr 0
		.amdhsa_user_sgpr_queue_ptr 0
		.amdhsa_user_sgpr_kernarg_segment_ptr 1
		.amdhsa_user_sgpr_dispatch_id 0
		.amdhsa_user_sgpr_flat_scratch_init 0
		.amdhsa_user_sgpr_kernarg_preload_length 0
		.amdhsa_user_sgpr_kernarg_preload_offset 0
		.amdhsa_user_sgpr_private_segment_size 0
		.amdhsa_uses_dynamic_stack 0
		.amdhsa_system_sgpr_private_segment_wavefront_offset 0
		.amdhsa_system_sgpr_workgroup_id_x 1
		.amdhsa_system_sgpr_workgroup_id_y 0
		.amdhsa_system_sgpr_workgroup_id_z 0
		.amdhsa_system_sgpr_workgroup_info 0
		.amdhsa_system_vgpr_workitem_id 0
		.amdhsa_next_free_vgpr 76
		.amdhsa_next_free_sgpr 66
		.amdhsa_accum_offset 76
		.amdhsa_reserve_vcc 1
		.amdhsa_reserve_flat_scratch 0
		.amdhsa_float_round_mode_32 0
		.amdhsa_float_round_mode_16_64 0
		.amdhsa_float_denorm_mode_32 3
		.amdhsa_float_denorm_mode_16_64 3
		.amdhsa_dx10_clamp 1
		.amdhsa_ieee_mode 1
		.amdhsa_fp16_overflow 0
		.amdhsa_tg_split 0
		.amdhsa_exception_fp_ieee_invalid_op 0
		.amdhsa_exception_fp_denorm_src 0
		.amdhsa_exception_fp_ieee_div_zero 0
		.amdhsa_exception_fp_ieee_overflow 0
		.amdhsa_exception_fp_ieee_underflow 0
		.amdhsa_exception_fp_ieee_inexact 0
		.amdhsa_exception_int_div_zero 0
	.end_amdhsa_kernel
	.section	.text._ZN7rocprim17ROCPRIM_400000_NS6detail17trampoline_kernelINS0_14default_configENS1_20scan_config_selectorIfEEZZNS1_9scan_implILNS1_25lookback_scan_determinismE0ELb0ELb0ES3_PKfPffZZZN2at6native31launch_logcumsumexp_cuda_kernelERKNSB_10TensorBaseESF_lENKUlvE_clEvENKUlvE0_clEvEUlffE_fEEDaPvRmT3_T4_T5_mT6_P12ihipStream_tbENKUlT_T0_E_clISt17integral_constantIbLb0EESW_EEDaSR_SS_EUlSR_E_NS1_11comp_targetILNS1_3genE4ELNS1_11target_archE910ELNS1_3gpuE8ELNS1_3repE0EEENS1_30default_config_static_selectorELNS0_4arch9wavefront6targetE1EEEvT1_,"axG",@progbits,_ZN7rocprim17ROCPRIM_400000_NS6detail17trampoline_kernelINS0_14default_configENS1_20scan_config_selectorIfEEZZNS1_9scan_implILNS1_25lookback_scan_determinismE0ELb0ELb0ES3_PKfPffZZZN2at6native31launch_logcumsumexp_cuda_kernelERKNSB_10TensorBaseESF_lENKUlvE_clEvENKUlvE0_clEvEUlffE_fEEDaPvRmT3_T4_T5_mT6_P12ihipStream_tbENKUlT_T0_E_clISt17integral_constantIbLb0EESW_EEDaSR_SS_EUlSR_E_NS1_11comp_targetILNS1_3genE4ELNS1_11target_archE910ELNS1_3gpuE8ELNS1_3repE0EEENS1_30default_config_static_selectorELNS0_4arch9wavefront6targetE1EEEvT1_,comdat
.Lfunc_end90:
	.size	_ZN7rocprim17ROCPRIM_400000_NS6detail17trampoline_kernelINS0_14default_configENS1_20scan_config_selectorIfEEZZNS1_9scan_implILNS1_25lookback_scan_determinismE0ELb0ELb0ES3_PKfPffZZZN2at6native31launch_logcumsumexp_cuda_kernelERKNSB_10TensorBaseESF_lENKUlvE_clEvENKUlvE0_clEvEUlffE_fEEDaPvRmT3_T4_T5_mT6_P12ihipStream_tbENKUlT_T0_E_clISt17integral_constantIbLb0EESW_EEDaSR_SS_EUlSR_E_NS1_11comp_targetILNS1_3genE4ELNS1_11target_archE910ELNS1_3gpuE8ELNS1_3repE0EEENS1_30default_config_static_selectorELNS0_4arch9wavefront6targetE1EEEvT1_, .Lfunc_end90-_ZN7rocprim17ROCPRIM_400000_NS6detail17trampoline_kernelINS0_14default_configENS1_20scan_config_selectorIfEEZZNS1_9scan_implILNS1_25lookback_scan_determinismE0ELb0ELb0ES3_PKfPffZZZN2at6native31launch_logcumsumexp_cuda_kernelERKNSB_10TensorBaseESF_lENKUlvE_clEvENKUlvE0_clEvEUlffE_fEEDaPvRmT3_T4_T5_mT6_P12ihipStream_tbENKUlT_T0_E_clISt17integral_constantIbLb0EESW_EEDaSR_SS_EUlSR_E_NS1_11comp_targetILNS1_3genE4ELNS1_11target_archE910ELNS1_3gpuE8ELNS1_3repE0EEENS1_30default_config_static_selectorELNS0_4arch9wavefront6targetE1EEEvT1_
                                        ; -- End function
	.section	.AMDGPU.csdata,"",@progbits
; Kernel info:
; codeLenInByte = 78244
; NumSgprs: 70
; NumVgprs: 76
; NumAgprs: 0
; TotalNumVgprs: 76
; ScratchSize: 0
; MemoryBound: 0
; FloatMode: 240
; IeeeMode: 1
; LDSByteSize: 7168 bytes/workgroup (compile time only)
; SGPRBlocks: 8
; VGPRBlocks: 9
; NumSGPRsForWavesPerEU: 70
; NumVGPRsForWavesPerEU: 76
; AccumOffset: 76
; Occupancy: 5
; WaveLimiterHint : 1
; COMPUTE_PGM_RSRC2:SCRATCH_EN: 0
; COMPUTE_PGM_RSRC2:USER_SGPR: 6
; COMPUTE_PGM_RSRC2:TRAP_HANDLER: 0
; COMPUTE_PGM_RSRC2:TGID_X_EN: 1
; COMPUTE_PGM_RSRC2:TGID_Y_EN: 0
; COMPUTE_PGM_RSRC2:TGID_Z_EN: 0
; COMPUTE_PGM_RSRC2:TIDIG_COMP_CNT: 0
; COMPUTE_PGM_RSRC3_GFX90A:ACCUM_OFFSET: 18
; COMPUTE_PGM_RSRC3_GFX90A:TG_SPLIT: 0
	.section	.text._ZN7rocprim17ROCPRIM_400000_NS6detail17trampoline_kernelINS0_14default_configENS1_20scan_config_selectorIfEEZZNS1_9scan_implILNS1_25lookback_scan_determinismE0ELb0ELb0ES3_PKfPffZZZN2at6native31launch_logcumsumexp_cuda_kernelERKNSB_10TensorBaseESF_lENKUlvE_clEvENKUlvE0_clEvEUlffE_fEEDaPvRmT3_T4_T5_mT6_P12ihipStream_tbENKUlT_T0_E_clISt17integral_constantIbLb0EESW_EEDaSR_SS_EUlSR_E_NS1_11comp_targetILNS1_3genE3ELNS1_11target_archE908ELNS1_3gpuE7ELNS1_3repE0EEENS1_30default_config_static_selectorELNS0_4arch9wavefront6targetE1EEEvT1_,"axG",@progbits,_ZN7rocprim17ROCPRIM_400000_NS6detail17trampoline_kernelINS0_14default_configENS1_20scan_config_selectorIfEEZZNS1_9scan_implILNS1_25lookback_scan_determinismE0ELb0ELb0ES3_PKfPffZZZN2at6native31launch_logcumsumexp_cuda_kernelERKNSB_10TensorBaseESF_lENKUlvE_clEvENKUlvE0_clEvEUlffE_fEEDaPvRmT3_T4_T5_mT6_P12ihipStream_tbENKUlT_T0_E_clISt17integral_constantIbLb0EESW_EEDaSR_SS_EUlSR_E_NS1_11comp_targetILNS1_3genE3ELNS1_11target_archE908ELNS1_3gpuE7ELNS1_3repE0EEENS1_30default_config_static_selectorELNS0_4arch9wavefront6targetE1EEEvT1_,comdat
	.globl	_ZN7rocprim17ROCPRIM_400000_NS6detail17trampoline_kernelINS0_14default_configENS1_20scan_config_selectorIfEEZZNS1_9scan_implILNS1_25lookback_scan_determinismE0ELb0ELb0ES3_PKfPffZZZN2at6native31launch_logcumsumexp_cuda_kernelERKNSB_10TensorBaseESF_lENKUlvE_clEvENKUlvE0_clEvEUlffE_fEEDaPvRmT3_T4_T5_mT6_P12ihipStream_tbENKUlT_T0_E_clISt17integral_constantIbLb0EESW_EEDaSR_SS_EUlSR_E_NS1_11comp_targetILNS1_3genE3ELNS1_11target_archE908ELNS1_3gpuE7ELNS1_3repE0EEENS1_30default_config_static_selectorELNS0_4arch9wavefront6targetE1EEEvT1_ ; -- Begin function _ZN7rocprim17ROCPRIM_400000_NS6detail17trampoline_kernelINS0_14default_configENS1_20scan_config_selectorIfEEZZNS1_9scan_implILNS1_25lookback_scan_determinismE0ELb0ELb0ES3_PKfPffZZZN2at6native31launch_logcumsumexp_cuda_kernelERKNSB_10TensorBaseESF_lENKUlvE_clEvENKUlvE0_clEvEUlffE_fEEDaPvRmT3_T4_T5_mT6_P12ihipStream_tbENKUlT_T0_E_clISt17integral_constantIbLb0EESW_EEDaSR_SS_EUlSR_E_NS1_11comp_targetILNS1_3genE3ELNS1_11target_archE908ELNS1_3gpuE7ELNS1_3repE0EEENS1_30default_config_static_selectorELNS0_4arch9wavefront6targetE1EEEvT1_
	.p2align	8
	.type	_ZN7rocprim17ROCPRIM_400000_NS6detail17trampoline_kernelINS0_14default_configENS1_20scan_config_selectorIfEEZZNS1_9scan_implILNS1_25lookback_scan_determinismE0ELb0ELb0ES3_PKfPffZZZN2at6native31launch_logcumsumexp_cuda_kernelERKNSB_10TensorBaseESF_lENKUlvE_clEvENKUlvE0_clEvEUlffE_fEEDaPvRmT3_T4_T5_mT6_P12ihipStream_tbENKUlT_T0_E_clISt17integral_constantIbLb0EESW_EEDaSR_SS_EUlSR_E_NS1_11comp_targetILNS1_3genE3ELNS1_11target_archE908ELNS1_3gpuE7ELNS1_3repE0EEENS1_30default_config_static_selectorELNS0_4arch9wavefront6targetE1EEEvT1_,@function
_ZN7rocprim17ROCPRIM_400000_NS6detail17trampoline_kernelINS0_14default_configENS1_20scan_config_selectorIfEEZZNS1_9scan_implILNS1_25lookback_scan_determinismE0ELb0ELb0ES3_PKfPffZZZN2at6native31launch_logcumsumexp_cuda_kernelERKNSB_10TensorBaseESF_lENKUlvE_clEvENKUlvE0_clEvEUlffE_fEEDaPvRmT3_T4_T5_mT6_P12ihipStream_tbENKUlT_T0_E_clISt17integral_constantIbLb0EESW_EEDaSR_SS_EUlSR_E_NS1_11comp_targetILNS1_3genE3ELNS1_11target_archE908ELNS1_3gpuE7ELNS1_3repE0EEENS1_30default_config_static_selectorELNS0_4arch9wavefront6targetE1EEEvT1_: ; @_ZN7rocprim17ROCPRIM_400000_NS6detail17trampoline_kernelINS0_14default_configENS1_20scan_config_selectorIfEEZZNS1_9scan_implILNS1_25lookback_scan_determinismE0ELb0ELb0ES3_PKfPffZZZN2at6native31launch_logcumsumexp_cuda_kernelERKNSB_10TensorBaseESF_lENKUlvE_clEvENKUlvE0_clEvEUlffE_fEEDaPvRmT3_T4_T5_mT6_P12ihipStream_tbENKUlT_T0_E_clISt17integral_constantIbLb0EESW_EEDaSR_SS_EUlSR_E_NS1_11comp_targetILNS1_3genE3ELNS1_11target_archE908ELNS1_3gpuE7ELNS1_3repE0EEENS1_30default_config_static_selectorELNS0_4arch9wavefront6targetE1EEEvT1_
; %bb.0:
	.section	.rodata,"a",@progbits
	.p2align	6, 0x0
	.amdhsa_kernel _ZN7rocprim17ROCPRIM_400000_NS6detail17trampoline_kernelINS0_14default_configENS1_20scan_config_selectorIfEEZZNS1_9scan_implILNS1_25lookback_scan_determinismE0ELb0ELb0ES3_PKfPffZZZN2at6native31launch_logcumsumexp_cuda_kernelERKNSB_10TensorBaseESF_lENKUlvE_clEvENKUlvE0_clEvEUlffE_fEEDaPvRmT3_T4_T5_mT6_P12ihipStream_tbENKUlT_T0_E_clISt17integral_constantIbLb0EESW_EEDaSR_SS_EUlSR_E_NS1_11comp_targetILNS1_3genE3ELNS1_11target_archE908ELNS1_3gpuE7ELNS1_3repE0EEENS1_30default_config_static_selectorELNS0_4arch9wavefront6targetE1EEEvT1_
		.amdhsa_group_segment_fixed_size 0
		.amdhsa_private_segment_fixed_size 0
		.amdhsa_kernarg_size 96
		.amdhsa_user_sgpr_count 6
		.amdhsa_user_sgpr_private_segment_buffer 1
		.amdhsa_user_sgpr_dispatch_ptr 0
		.amdhsa_user_sgpr_queue_ptr 0
		.amdhsa_user_sgpr_kernarg_segment_ptr 1
		.amdhsa_user_sgpr_dispatch_id 0
		.amdhsa_user_sgpr_flat_scratch_init 0
		.amdhsa_user_sgpr_kernarg_preload_length 0
		.amdhsa_user_sgpr_kernarg_preload_offset 0
		.amdhsa_user_sgpr_private_segment_size 0
		.amdhsa_uses_dynamic_stack 0
		.amdhsa_system_sgpr_private_segment_wavefront_offset 0
		.amdhsa_system_sgpr_workgroup_id_x 1
		.amdhsa_system_sgpr_workgroup_id_y 0
		.amdhsa_system_sgpr_workgroup_id_z 0
		.amdhsa_system_sgpr_workgroup_info 0
		.amdhsa_system_vgpr_workitem_id 0
		.amdhsa_next_free_vgpr 1
		.amdhsa_next_free_sgpr 0
		.amdhsa_accum_offset 4
		.amdhsa_reserve_vcc 0
		.amdhsa_reserve_flat_scratch 0
		.amdhsa_float_round_mode_32 0
		.amdhsa_float_round_mode_16_64 0
		.amdhsa_float_denorm_mode_32 3
		.amdhsa_float_denorm_mode_16_64 3
		.amdhsa_dx10_clamp 1
		.amdhsa_ieee_mode 1
		.amdhsa_fp16_overflow 0
		.amdhsa_tg_split 0
		.amdhsa_exception_fp_ieee_invalid_op 0
		.amdhsa_exception_fp_denorm_src 0
		.amdhsa_exception_fp_ieee_div_zero 0
		.amdhsa_exception_fp_ieee_overflow 0
		.amdhsa_exception_fp_ieee_underflow 0
		.amdhsa_exception_fp_ieee_inexact 0
		.amdhsa_exception_int_div_zero 0
	.end_amdhsa_kernel
	.section	.text._ZN7rocprim17ROCPRIM_400000_NS6detail17trampoline_kernelINS0_14default_configENS1_20scan_config_selectorIfEEZZNS1_9scan_implILNS1_25lookback_scan_determinismE0ELb0ELb0ES3_PKfPffZZZN2at6native31launch_logcumsumexp_cuda_kernelERKNSB_10TensorBaseESF_lENKUlvE_clEvENKUlvE0_clEvEUlffE_fEEDaPvRmT3_T4_T5_mT6_P12ihipStream_tbENKUlT_T0_E_clISt17integral_constantIbLb0EESW_EEDaSR_SS_EUlSR_E_NS1_11comp_targetILNS1_3genE3ELNS1_11target_archE908ELNS1_3gpuE7ELNS1_3repE0EEENS1_30default_config_static_selectorELNS0_4arch9wavefront6targetE1EEEvT1_,"axG",@progbits,_ZN7rocprim17ROCPRIM_400000_NS6detail17trampoline_kernelINS0_14default_configENS1_20scan_config_selectorIfEEZZNS1_9scan_implILNS1_25lookback_scan_determinismE0ELb0ELb0ES3_PKfPffZZZN2at6native31launch_logcumsumexp_cuda_kernelERKNSB_10TensorBaseESF_lENKUlvE_clEvENKUlvE0_clEvEUlffE_fEEDaPvRmT3_T4_T5_mT6_P12ihipStream_tbENKUlT_T0_E_clISt17integral_constantIbLb0EESW_EEDaSR_SS_EUlSR_E_NS1_11comp_targetILNS1_3genE3ELNS1_11target_archE908ELNS1_3gpuE7ELNS1_3repE0EEENS1_30default_config_static_selectorELNS0_4arch9wavefront6targetE1EEEvT1_,comdat
.Lfunc_end91:
	.size	_ZN7rocprim17ROCPRIM_400000_NS6detail17trampoline_kernelINS0_14default_configENS1_20scan_config_selectorIfEEZZNS1_9scan_implILNS1_25lookback_scan_determinismE0ELb0ELb0ES3_PKfPffZZZN2at6native31launch_logcumsumexp_cuda_kernelERKNSB_10TensorBaseESF_lENKUlvE_clEvENKUlvE0_clEvEUlffE_fEEDaPvRmT3_T4_T5_mT6_P12ihipStream_tbENKUlT_T0_E_clISt17integral_constantIbLb0EESW_EEDaSR_SS_EUlSR_E_NS1_11comp_targetILNS1_3genE3ELNS1_11target_archE908ELNS1_3gpuE7ELNS1_3repE0EEENS1_30default_config_static_selectorELNS0_4arch9wavefront6targetE1EEEvT1_, .Lfunc_end91-_ZN7rocprim17ROCPRIM_400000_NS6detail17trampoline_kernelINS0_14default_configENS1_20scan_config_selectorIfEEZZNS1_9scan_implILNS1_25lookback_scan_determinismE0ELb0ELb0ES3_PKfPffZZZN2at6native31launch_logcumsumexp_cuda_kernelERKNSB_10TensorBaseESF_lENKUlvE_clEvENKUlvE0_clEvEUlffE_fEEDaPvRmT3_T4_T5_mT6_P12ihipStream_tbENKUlT_T0_E_clISt17integral_constantIbLb0EESW_EEDaSR_SS_EUlSR_E_NS1_11comp_targetILNS1_3genE3ELNS1_11target_archE908ELNS1_3gpuE7ELNS1_3repE0EEENS1_30default_config_static_selectorELNS0_4arch9wavefront6targetE1EEEvT1_
                                        ; -- End function
	.section	.AMDGPU.csdata,"",@progbits
; Kernel info:
; codeLenInByte = 0
; NumSgprs: 4
; NumVgprs: 0
; NumAgprs: 0
; TotalNumVgprs: 0
; ScratchSize: 0
; MemoryBound: 0
; FloatMode: 240
; IeeeMode: 1
; LDSByteSize: 0 bytes/workgroup (compile time only)
; SGPRBlocks: 0
; VGPRBlocks: 0
; NumSGPRsForWavesPerEU: 4
; NumVGPRsForWavesPerEU: 1
; AccumOffset: 4
; Occupancy: 8
; WaveLimiterHint : 0
; COMPUTE_PGM_RSRC2:SCRATCH_EN: 0
; COMPUTE_PGM_RSRC2:USER_SGPR: 6
; COMPUTE_PGM_RSRC2:TRAP_HANDLER: 0
; COMPUTE_PGM_RSRC2:TGID_X_EN: 1
; COMPUTE_PGM_RSRC2:TGID_Y_EN: 0
; COMPUTE_PGM_RSRC2:TGID_Z_EN: 0
; COMPUTE_PGM_RSRC2:TIDIG_COMP_CNT: 0
; COMPUTE_PGM_RSRC3_GFX90A:ACCUM_OFFSET: 0
; COMPUTE_PGM_RSRC3_GFX90A:TG_SPLIT: 0
	.section	.text._ZN7rocprim17ROCPRIM_400000_NS6detail17trampoline_kernelINS0_14default_configENS1_20scan_config_selectorIfEEZZNS1_9scan_implILNS1_25lookback_scan_determinismE0ELb0ELb0ES3_PKfPffZZZN2at6native31launch_logcumsumexp_cuda_kernelERKNSB_10TensorBaseESF_lENKUlvE_clEvENKUlvE0_clEvEUlffE_fEEDaPvRmT3_T4_T5_mT6_P12ihipStream_tbENKUlT_T0_E_clISt17integral_constantIbLb0EESW_EEDaSR_SS_EUlSR_E_NS1_11comp_targetILNS1_3genE2ELNS1_11target_archE906ELNS1_3gpuE6ELNS1_3repE0EEENS1_30default_config_static_selectorELNS0_4arch9wavefront6targetE1EEEvT1_,"axG",@progbits,_ZN7rocprim17ROCPRIM_400000_NS6detail17trampoline_kernelINS0_14default_configENS1_20scan_config_selectorIfEEZZNS1_9scan_implILNS1_25lookback_scan_determinismE0ELb0ELb0ES3_PKfPffZZZN2at6native31launch_logcumsumexp_cuda_kernelERKNSB_10TensorBaseESF_lENKUlvE_clEvENKUlvE0_clEvEUlffE_fEEDaPvRmT3_T4_T5_mT6_P12ihipStream_tbENKUlT_T0_E_clISt17integral_constantIbLb0EESW_EEDaSR_SS_EUlSR_E_NS1_11comp_targetILNS1_3genE2ELNS1_11target_archE906ELNS1_3gpuE6ELNS1_3repE0EEENS1_30default_config_static_selectorELNS0_4arch9wavefront6targetE1EEEvT1_,comdat
	.globl	_ZN7rocprim17ROCPRIM_400000_NS6detail17trampoline_kernelINS0_14default_configENS1_20scan_config_selectorIfEEZZNS1_9scan_implILNS1_25lookback_scan_determinismE0ELb0ELb0ES3_PKfPffZZZN2at6native31launch_logcumsumexp_cuda_kernelERKNSB_10TensorBaseESF_lENKUlvE_clEvENKUlvE0_clEvEUlffE_fEEDaPvRmT3_T4_T5_mT6_P12ihipStream_tbENKUlT_T0_E_clISt17integral_constantIbLb0EESW_EEDaSR_SS_EUlSR_E_NS1_11comp_targetILNS1_3genE2ELNS1_11target_archE906ELNS1_3gpuE6ELNS1_3repE0EEENS1_30default_config_static_selectorELNS0_4arch9wavefront6targetE1EEEvT1_ ; -- Begin function _ZN7rocprim17ROCPRIM_400000_NS6detail17trampoline_kernelINS0_14default_configENS1_20scan_config_selectorIfEEZZNS1_9scan_implILNS1_25lookback_scan_determinismE0ELb0ELb0ES3_PKfPffZZZN2at6native31launch_logcumsumexp_cuda_kernelERKNSB_10TensorBaseESF_lENKUlvE_clEvENKUlvE0_clEvEUlffE_fEEDaPvRmT3_T4_T5_mT6_P12ihipStream_tbENKUlT_T0_E_clISt17integral_constantIbLb0EESW_EEDaSR_SS_EUlSR_E_NS1_11comp_targetILNS1_3genE2ELNS1_11target_archE906ELNS1_3gpuE6ELNS1_3repE0EEENS1_30default_config_static_selectorELNS0_4arch9wavefront6targetE1EEEvT1_
	.p2align	8
	.type	_ZN7rocprim17ROCPRIM_400000_NS6detail17trampoline_kernelINS0_14default_configENS1_20scan_config_selectorIfEEZZNS1_9scan_implILNS1_25lookback_scan_determinismE0ELb0ELb0ES3_PKfPffZZZN2at6native31launch_logcumsumexp_cuda_kernelERKNSB_10TensorBaseESF_lENKUlvE_clEvENKUlvE0_clEvEUlffE_fEEDaPvRmT3_T4_T5_mT6_P12ihipStream_tbENKUlT_T0_E_clISt17integral_constantIbLb0EESW_EEDaSR_SS_EUlSR_E_NS1_11comp_targetILNS1_3genE2ELNS1_11target_archE906ELNS1_3gpuE6ELNS1_3repE0EEENS1_30default_config_static_selectorELNS0_4arch9wavefront6targetE1EEEvT1_,@function
_ZN7rocprim17ROCPRIM_400000_NS6detail17trampoline_kernelINS0_14default_configENS1_20scan_config_selectorIfEEZZNS1_9scan_implILNS1_25lookback_scan_determinismE0ELb0ELb0ES3_PKfPffZZZN2at6native31launch_logcumsumexp_cuda_kernelERKNSB_10TensorBaseESF_lENKUlvE_clEvENKUlvE0_clEvEUlffE_fEEDaPvRmT3_T4_T5_mT6_P12ihipStream_tbENKUlT_T0_E_clISt17integral_constantIbLb0EESW_EEDaSR_SS_EUlSR_E_NS1_11comp_targetILNS1_3genE2ELNS1_11target_archE906ELNS1_3gpuE6ELNS1_3repE0EEENS1_30default_config_static_selectorELNS0_4arch9wavefront6targetE1EEEvT1_: ; @_ZN7rocprim17ROCPRIM_400000_NS6detail17trampoline_kernelINS0_14default_configENS1_20scan_config_selectorIfEEZZNS1_9scan_implILNS1_25lookback_scan_determinismE0ELb0ELb0ES3_PKfPffZZZN2at6native31launch_logcumsumexp_cuda_kernelERKNSB_10TensorBaseESF_lENKUlvE_clEvENKUlvE0_clEvEUlffE_fEEDaPvRmT3_T4_T5_mT6_P12ihipStream_tbENKUlT_T0_E_clISt17integral_constantIbLb0EESW_EEDaSR_SS_EUlSR_E_NS1_11comp_targetILNS1_3genE2ELNS1_11target_archE906ELNS1_3gpuE6ELNS1_3repE0EEENS1_30default_config_static_selectorELNS0_4arch9wavefront6targetE1EEEvT1_
; %bb.0:
	.section	.rodata,"a",@progbits
	.p2align	6, 0x0
	.amdhsa_kernel _ZN7rocprim17ROCPRIM_400000_NS6detail17trampoline_kernelINS0_14default_configENS1_20scan_config_selectorIfEEZZNS1_9scan_implILNS1_25lookback_scan_determinismE0ELb0ELb0ES3_PKfPffZZZN2at6native31launch_logcumsumexp_cuda_kernelERKNSB_10TensorBaseESF_lENKUlvE_clEvENKUlvE0_clEvEUlffE_fEEDaPvRmT3_T4_T5_mT6_P12ihipStream_tbENKUlT_T0_E_clISt17integral_constantIbLb0EESW_EEDaSR_SS_EUlSR_E_NS1_11comp_targetILNS1_3genE2ELNS1_11target_archE906ELNS1_3gpuE6ELNS1_3repE0EEENS1_30default_config_static_selectorELNS0_4arch9wavefront6targetE1EEEvT1_
		.amdhsa_group_segment_fixed_size 0
		.amdhsa_private_segment_fixed_size 0
		.amdhsa_kernarg_size 96
		.amdhsa_user_sgpr_count 6
		.amdhsa_user_sgpr_private_segment_buffer 1
		.amdhsa_user_sgpr_dispatch_ptr 0
		.amdhsa_user_sgpr_queue_ptr 0
		.amdhsa_user_sgpr_kernarg_segment_ptr 1
		.amdhsa_user_sgpr_dispatch_id 0
		.amdhsa_user_sgpr_flat_scratch_init 0
		.amdhsa_user_sgpr_kernarg_preload_length 0
		.amdhsa_user_sgpr_kernarg_preload_offset 0
		.amdhsa_user_sgpr_private_segment_size 0
		.amdhsa_uses_dynamic_stack 0
		.amdhsa_system_sgpr_private_segment_wavefront_offset 0
		.amdhsa_system_sgpr_workgroup_id_x 1
		.amdhsa_system_sgpr_workgroup_id_y 0
		.amdhsa_system_sgpr_workgroup_id_z 0
		.amdhsa_system_sgpr_workgroup_info 0
		.amdhsa_system_vgpr_workitem_id 0
		.amdhsa_next_free_vgpr 1
		.amdhsa_next_free_sgpr 0
		.amdhsa_accum_offset 4
		.amdhsa_reserve_vcc 0
		.amdhsa_reserve_flat_scratch 0
		.amdhsa_float_round_mode_32 0
		.amdhsa_float_round_mode_16_64 0
		.amdhsa_float_denorm_mode_32 3
		.amdhsa_float_denorm_mode_16_64 3
		.amdhsa_dx10_clamp 1
		.amdhsa_ieee_mode 1
		.amdhsa_fp16_overflow 0
		.amdhsa_tg_split 0
		.amdhsa_exception_fp_ieee_invalid_op 0
		.amdhsa_exception_fp_denorm_src 0
		.amdhsa_exception_fp_ieee_div_zero 0
		.amdhsa_exception_fp_ieee_overflow 0
		.amdhsa_exception_fp_ieee_underflow 0
		.amdhsa_exception_fp_ieee_inexact 0
		.amdhsa_exception_int_div_zero 0
	.end_amdhsa_kernel
	.section	.text._ZN7rocprim17ROCPRIM_400000_NS6detail17trampoline_kernelINS0_14default_configENS1_20scan_config_selectorIfEEZZNS1_9scan_implILNS1_25lookback_scan_determinismE0ELb0ELb0ES3_PKfPffZZZN2at6native31launch_logcumsumexp_cuda_kernelERKNSB_10TensorBaseESF_lENKUlvE_clEvENKUlvE0_clEvEUlffE_fEEDaPvRmT3_T4_T5_mT6_P12ihipStream_tbENKUlT_T0_E_clISt17integral_constantIbLb0EESW_EEDaSR_SS_EUlSR_E_NS1_11comp_targetILNS1_3genE2ELNS1_11target_archE906ELNS1_3gpuE6ELNS1_3repE0EEENS1_30default_config_static_selectorELNS0_4arch9wavefront6targetE1EEEvT1_,"axG",@progbits,_ZN7rocprim17ROCPRIM_400000_NS6detail17trampoline_kernelINS0_14default_configENS1_20scan_config_selectorIfEEZZNS1_9scan_implILNS1_25lookback_scan_determinismE0ELb0ELb0ES3_PKfPffZZZN2at6native31launch_logcumsumexp_cuda_kernelERKNSB_10TensorBaseESF_lENKUlvE_clEvENKUlvE0_clEvEUlffE_fEEDaPvRmT3_T4_T5_mT6_P12ihipStream_tbENKUlT_T0_E_clISt17integral_constantIbLb0EESW_EEDaSR_SS_EUlSR_E_NS1_11comp_targetILNS1_3genE2ELNS1_11target_archE906ELNS1_3gpuE6ELNS1_3repE0EEENS1_30default_config_static_selectorELNS0_4arch9wavefront6targetE1EEEvT1_,comdat
.Lfunc_end92:
	.size	_ZN7rocprim17ROCPRIM_400000_NS6detail17trampoline_kernelINS0_14default_configENS1_20scan_config_selectorIfEEZZNS1_9scan_implILNS1_25lookback_scan_determinismE0ELb0ELb0ES3_PKfPffZZZN2at6native31launch_logcumsumexp_cuda_kernelERKNSB_10TensorBaseESF_lENKUlvE_clEvENKUlvE0_clEvEUlffE_fEEDaPvRmT3_T4_T5_mT6_P12ihipStream_tbENKUlT_T0_E_clISt17integral_constantIbLb0EESW_EEDaSR_SS_EUlSR_E_NS1_11comp_targetILNS1_3genE2ELNS1_11target_archE906ELNS1_3gpuE6ELNS1_3repE0EEENS1_30default_config_static_selectorELNS0_4arch9wavefront6targetE1EEEvT1_, .Lfunc_end92-_ZN7rocprim17ROCPRIM_400000_NS6detail17trampoline_kernelINS0_14default_configENS1_20scan_config_selectorIfEEZZNS1_9scan_implILNS1_25lookback_scan_determinismE0ELb0ELb0ES3_PKfPffZZZN2at6native31launch_logcumsumexp_cuda_kernelERKNSB_10TensorBaseESF_lENKUlvE_clEvENKUlvE0_clEvEUlffE_fEEDaPvRmT3_T4_T5_mT6_P12ihipStream_tbENKUlT_T0_E_clISt17integral_constantIbLb0EESW_EEDaSR_SS_EUlSR_E_NS1_11comp_targetILNS1_3genE2ELNS1_11target_archE906ELNS1_3gpuE6ELNS1_3repE0EEENS1_30default_config_static_selectorELNS0_4arch9wavefront6targetE1EEEvT1_
                                        ; -- End function
	.section	.AMDGPU.csdata,"",@progbits
; Kernel info:
; codeLenInByte = 0
; NumSgprs: 4
; NumVgprs: 0
; NumAgprs: 0
; TotalNumVgprs: 0
; ScratchSize: 0
; MemoryBound: 0
; FloatMode: 240
; IeeeMode: 1
; LDSByteSize: 0 bytes/workgroup (compile time only)
; SGPRBlocks: 0
; VGPRBlocks: 0
; NumSGPRsForWavesPerEU: 4
; NumVGPRsForWavesPerEU: 1
; AccumOffset: 4
; Occupancy: 8
; WaveLimiterHint : 0
; COMPUTE_PGM_RSRC2:SCRATCH_EN: 0
; COMPUTE_PGM_RSRC2:USER_SGPR: 6
; COMPUTE_PGM_RSRC2:TRAP_HANDLER: 0
; COMPUTE_PGM_RSRC2:TGID_X_EN: 1
; COMPUTE_PGM_RSRC2:TGID_Y_EN: 0
; COMPUTE_PGM_RSRC2:TGID_Z_EN: 0
; COMPUTE_PGM_RSRC2:TIDIG_COMP_CNT: 0
; COMPUTE_PGM_RSRC3_GFX90A:ACCUM_OFFSET: 0
; COMPUTE_PGM_RSRC3_GFX90A:TG_SPLIT: 0
	.section	.text._ZN7rocprim17ROCPRIM_400000_NS6detail17trampoline_kernelINS0_14default_configENS1_20scan_config_selectorIfEEZZNS1_9scan_implILNS1_25lookback_scan_determinismE0ELb0ELb0ES3_PKfPffZZZN2at6native31launch_logcumsumexp_cuda_kernelERKNSB_10TensorBaseESF_lENKUlvE_clEvENKUlvE0_clEvEUlffE_fEEDaPvRmT3_T4_T5_mT6_P12ihipStream_tbENKUlT_T0_E_clISt17integral_constantIbLb0EESW_EEDaSR_SS_EUlSR_E_NS1_11comp_targetILNS1_3genE10ELNS1_11target_archE1201ELNS1_3gpuE5ELNS1_3repE0EEENS1_30default_config_static_selectorELNS0_4arch9wavefront6targetE1EEEvT1_,"axG",@progbits,_ZN7rocprim17ROCPRIM_400000_NS6detail17trampoline_kernelINS0_14default_configENS1_20scan_config_selectorIfEEZZNS1_9scan_implILNS1_25lookback_scan_determinismE0ELb0ELb0ES3_PKfPffZZZN2at6native31launch_logcumsumexp_cuda_kernelERKNSB_10TensorBaseESF_lENKUlvE_clEvENKUlvE0_clEvEUlffE_fEEDaPvRmT3_T4_T5_mT6_P12ihipStream_tbENKUlT_T0_E_clISt17integral_constantIbLb0EESW_EEDaSR_SS_EUlSR_E_NS1_11comp_targetILNS1_3genE10ELNS1_11target_archE1201ELNS1_3gpuE5ELNS1_3repE0EEENS1_30default_config_static_selectorELNS0_4arch9wavefront6targetE1EEEvT1_,comdat
	.globl	_ZN7rocprim17ROCPRIM_400000_NS6detail17trampoline_kernelINS0_14default_configENS1_20scan_config_selectorIfEEZZNS1_9scan_implILNS1_25lookback_scan_determinismE0ELb0ELb0ES3_PKfPffZZZN2at6native31launch_logcumsumexp_cuda_kernelERKNSB_10TensorBaseESF_lENKUlvE_clEvENKUlvE0_clEvEUlffE_fEEDaPvRmT3_T4_T5_mT6_P12ihipStream_tbENKUlT_T0_E_clISt17integral_constantIbLb0EESW_EEDaSR_SS_EUlSR_E_NS1_11comp_targetILNS1_3genE10ELNS1_11target_archE1201ELNS1_3gpuE5ELNS1_3repE0EEENS1_30default_config_static_selectorELNS0_4arch9wavefront6targetE1EEEvT1_ ; -- Begin function _ZN7rocprim17ROCPRIM_400000_NS6detail17trampoline_kernelINS0_14default_configENS1_20scan_config_selectorIfEEZZNS1_9scan_implILNS1_25lookback_scan_determinismE0ELb0ELb0ES3_PKfPffZZZN2at6native31launch_logcumsumexp_cuda_kernelERKNSB_10TensorBaseESF_lENKUlvE_clEvENKUlvE0_clEvEUlffE_fEEDaPvRmT3_T4_T5_mT6_P12ihipStream_tbENKUlT_T0_E_clISt17integral_constantIbLb0EESW_EEDaSR_SS_EUlSR_E_NS1_11comp_targetILNS1_3genE10ELNS1_11target_archE1201ELNS1_3gpuE5ELNS1_3repE0EEENS1_30default_config_static_selectorELNS0_4arch9wavefront6targetE1EEEvT1_
	.p2align	8
	.type	_ZN7rocprim17ROCPRIM_400000_NS6detail17trampoline_kernelINS0_14default_configENS1_20scan_config_selectorIfEEZZNS1_9scan_implILNS1_25lookback_scan_determinismE0ELb0ELb0ES3_PKfPffZZZN2at6native31launch_logcumsumexp_cuda_kernelERKNSB_10TensorBaseESF_lENKUlvE_clEvENKUlvE0_clEvEUlffE_fEEDaPvRmT3_T4_T5_mT6_P12ihipStream_tbENKUlT_T0_E_clISt17integral_constantIbLb0EESW_EEDaSR_SS_EUlSR_E_NS1_11comp_targetILNS1_3genE10ELNS1_11target_archE1201ELNS1_3gpuE5ELNS1_3repE0EEENS1_30default_config_static_selectorELNS0_4arch9wavefront6targetE1EEEvT1_,@function
_ZN7rocprim17ROCPRIM_400000_NS6detail17trampoline_kernelINS0_14default_configENS1_20scan_config_selectorIfEEZZNS1_9scan_implILNS1_25lookback_scan_determinismE0ELb0ELb0ES3_PKfPffZZZN2at6native31launch_logcumsumexp_cuda_kernelERKNSB_10TensorBaseESF_lENKUlvE_clEvENKUlvE0_clEvEUlffE_fEEDaPvRmT3_T4_T5_mT6_P12ihipStream_tbENKUlT_T0_E_clISt17integral_constantIbLb0EESW_EEDaSR_SS_EUlSR_E_NS1_11comp_targetILNS1_3genE10ELNS1_11target_archE1201ELNS1_3gpuE5ELNS1_3repE0EEENS1_30default_config_static_selectorELNS0_4arch9wavefront6targetE1EEEvT1_: ; @_ZN7rocprim17ROCPRIM_400000_NS6detail17trampoline_kernelINS0_14default_configENS1_20scan_config_selectorIfEEZZNS1_9scan_implILNS1_25lookback_scan_determinismE0ELb0ELb0ES3_PKfPffZZZN2at6native31launch_logcumsumexp_cuda_kernelERKNSB_10TensorBaseESF_lENKUlvE_clEvENKUlvE0_clEvEUlffE_fEEDaPvRmT3_T4_T5_mT6_P12ihipStream_tbENKUlT_T0_E_clISt17integral_constantIbLb0EESW_EEDaSR_SS_EUlSR_E_NS1_11comp_targetILNS1_3genE10ELNS1_11target_archE1201ELNS1_3gpuE5ELNS1_3repE0EEENS1_30default_config_static_selectorELNS0_4arch9wavefront6targetE1EEEvT1_
; %bb.0:
	.section	.rodata,"a",@progbits
	.p2align	6, 0x0
	.amdhsa_kernel _ZN7rocprim17ROCPRIM_400000_NS6detail17trampoline_kernelINS0_14default_configENS1_20scan_config_selectorIfEEZZNS1_9scan_implILNS1_25lookback_scan_determinismE0ELb0ELb0ES3_PKfPffZZZN2at6native31launch_logcumsumexp_cuda_kernelERKNSB_10TensorBaseESF_lENKUlvE_clEvENKUlvE0_clEvEUlffE_fEEDaPvRmT3_T4_T5_mT6_P12ihipStream_tbENKUlT_T0_E_clISt17integral_constantIbLb0EESW_EEDaSR_SS_EUlSR_E_NS1_11comp_targetILNS1_3genE10ELNS1_11target_archE1201ELNS1_3gpuE5ELNS1_3repE0EEENS1_30default_config_static_selectorELNS0_4arch9wavefront6targetE1EEEvT1_
		.amdhsa_group_segment_fixed_size 0
		.amdhsa_private_segment_fixed_size 0
		.amdhsa_kernarg_size 96
		.amdhsa_user_sgpr_count 6
		.amdhsa_user_sgpr_private_segment_buffer 1
		.amdhsa_user_sgpr_dispatch_ptr 0
		.amdhsa_user_sgpr_queue_ptr 0
		.amdhsa_user_sgpr_kernarg_segment_ptr 1
		.amdhsa_user_sgpr_dispatch_id 0
		.amdhsa_user_sgpr_flat_scratch_init 0
		.amdhsa_user_sgpr_kernarg_preload_length 0
		.amdhsa_user_sgpr_kernarg_preload_offset 0
		.amdhsa_user_sgpr_private_segment_size 0
		.amdhsa_uses_dynamic_stack 0
		.amdhsa_system_sgpr_private_segment_wavefront_offset 0
		.amdhsa_system_sgpr_workgroup_id_x 1
		.amdhsa_system_sgpr_workgroup_id_y 0
		.amdhsa_system_sgpr_workgroup_id_z 0
		.amdhsa_system_sgpr_workgroup_info 0
		.amdhsa_system_vgpr_workitem_id 0
		.amdhsa_next_free_vgpr 1
		.amdhsa_next_free_sgpr 0
		.amdhsa_accum_offset 4
		.amdhsa_reserve_vcc 0
		.amdhsa_reserve_flat_scratch 0
		.amdhsa_float_round_mode_32 0
		.amdhsa_float_round_mode_16_64 0
		.amdhsa_float_denorm_mode_32 3
		.amdhsa_float_denorm_mode_16_64 3
		.amdhsa_dx10_clamp 1
		.amdhsa_ieee_mode 1
		.amdhsa_fp16_overflow 0
		.amdhsa_tg_split 0
		.amdhsa_exception_fp_ieee_invalid_op 0
		.amdhsa_exception_fp_denorm_src 0
		.amdhsa_exception_fp_ieee_div_zero 0
		.amdhsa_exception_fp_ieee_overflow 0
		.amdhsa_exception_fp_ieee_underflow 0
		.amdhsa_exception_fp_ieee_inexact 0
		.amdhsa_exception_int_div_zero 0
	.end_amdhsa_kernel
	.section	.text._ZN7rocprim17ROCPRIM_400000_NS6detail17trampoline_kernelINS0_14default_configENS1_20scan_config_selectorIfEEZZNS1_9scan_implILNS1_25lookback_scan_determinismE0ELb0ELb0ES3_PKfPffZZZN2at6native31launch_logcumsumexp_cuda_kernelERKNSB_10TensorBaseESF_lENKUlvE_clEvENKUlvE0_clEvEUlffE_fEEDaPvRmT3_T4_T5_mT6_P12ihipStream_tbENKUlT_T0_E_clISt17integral_constantIbLb0EESW_EEDaSR_SS_EUlSR_E_NS1_11comp_targetILNS1_3genE10ELNS1_11target_archE1201ELNS1_3gpuE5ELNS1_3repE0EEENS1_30default_config_static_selectorELNS0_4arch9wavefront6targetE1EEEvT1_,"axG",@progbits,_ZN7rocprim17ROCPRIM_400000_NS6detail17trampoline_kernelINS0_14default_configENS1_20scan_config_selectorIfEEZZNS1_9scan_implILNS1_25lookback_scan_determinismE0ELb0ELb0ES3_PKfPffZZZN2at6native31launch_logcumsumexp_cuda_kernelERKNSB_10TensorBaseESF_lENKUlvE_clEvENKUlvE0_clEvEUlffE_fEEDaPvRmT3_T4_T5_mT6_P12ihipStream_tbENKUlT_T0_E_clISt17integral_constantIbLb0EESW_EEDaSR_SS_EUlSR_E_NS1_11comp_targetILNS1_3genE10ELNS1_11target_archE1201ELNS1_3gpuE5ELNS1_3repE0EEENS1_30default_config_static_selectorELNS0_4arch9wavefront6targetE1EEEvT1_,comdat
.Lfunc_end93:
	.size	_ZN7rocprim17ROCPRIM_400000_NS6detail17trampoline_kernelINS0_14default_configENS1_20scan_config_selectorIfEEZZNS1_9scan_implILNS1_25lookback_scan_determinismE0ELb0ELb0ES3_PKfPffZZZN2at6native31launch_logcumsumexp_cuda_kernelERKNSB_10TensorBaseESF_lENKUlvE_clEvENKUlvE0_clEvEUlffE_fEEDaPvRmT3_T4_T5_mT6_P12ihipStream_tbENKUlT_T0_E_clISt17integral_constantIbLb0EESW_EEDaSR_SS_EUlSR_E_NS1_11comp_targetILNS1_3genE10ELNS1_11target_archE1201ELNS1_3gpuE5ELNS1_3repE0EEENS1_30default_config_static_selectorELNS0_4arch9wavefront6targetE1EEEvT1_, .Lfunc_end93-_ZN7rocprim17ROCPRIM_400000_NS6detail17trampoline_kernelINS0_14default_configENS1_20scan_config_selectorIfEEZZNS1_9scan_implILNS1_25lookback_scan_determinismE0ELb0ELb0ES3_PKfPffZZZN2at6native31launch_logcumsumexp_cuda_kernelERKNSB_10TensorBaseESF_lENKUlvE_clEvENKUlvE0_clEvEUlffE_fEEDaPvRmT3_T4_T5_mT6_P12ihipStream_tbENKUlT_T0_E_clISt17integral_constantIbLb0EESW_EEDaSR_SS_EUlSR_E_NS1_11comp_targetILNS1_3genE10ELNS1_11target_archE1201ELNS1_3gpuE5ELNS1_3repE0EEENS1_30default_config_static_selectorELNS0_4arch9wavefront6targetE1EEEvT1_
                                        ; -- End function
	.section	.AMDGPU.csdata,"",@progbits
; Kernel info:
; codeLenInByte = 0
; NumSgprs: 4
; NumVgprs: 0
; NumAgprs: 0
; TotalNumVgprs: 0
; ScratchSize: 0
; MemoryBound: 0
; FloatMode: 240
; IeeeMode: 1
; LDSByteSize: 0 bytes/workgroup (compile time only)
; SGPRBlocks: 0
; VGPRBlocks: 0
; NumSGPRsForWavesPerEU: 4
; NumVGPRsForWavesPerEU: 1
; AccumOffset: 4
; Occupancy: 8
; WaveLimiterHint : 0
; COMPUTE_PGM_RSRC2:SCRATCH_EN: 0
; COMPUTE_PGM_RSRC2:USER_SGPR: 6
; COMPUTE_PGM_RSRC2:TRAP_HANDLER: 0
; COMPUTE_PGM_RSRC2:TGID_X_EN: 1
; COMPUTE_PGM_RSRC2:TGID_Y_EN: 0
; COMPUTE_PGM_RSRC2:TGID_Z_EN: 0
; COMPUTE_PGM_RSRC2:TIDIG_COMP_CNT: 0
; COMPUTE_PGM_RSRC3_GFX90A:ACCUM_OFFSET: 0
; COMPUTE_PGM_RSRC3_GFX90A:TG_SPLIT: 0
	.section	.text._ZN7rocprim17ROCPRIM_400000_NS6detail17trampoline_kernelINS0_14default_configENS1_20scan_config_selectorIfEEZZNS1_9scan_implILNS1_25lookback_scan_determinismE0ELb0ELb0ES3_PKfPffZZZN2at6native31launch_logcumsumexp_cuda_kernelERKNSB_10TensorBaseESF_lENKUlvE_clEvENKUlvE0_clEvEUlffE_fEEDaPvRmT3_T4_T5_mT6_P12ihipStream_tbENKUlT_T0_E_clISt17integral_constantIbLb0EESW_EEDaSR_SS_EUlSR_E_NS1_11comp_targetILNS1_3genE10ELNS1_11target_archE1200ELNS1_3gpuE4ELNS1_3repE0EEENS1_30default_config_static_selectorELNS0_4arch9wavefront6targetE1EEEvT1_,"axG",@progbits,_ZN7rocprim17ROCPRIM_400000_NS6detail17trampoline_kernelINS0_14default_configENS1_20scan_config_selectorIfEEZZNS1_9scan_implILNS1_25lookback_scan_determinismE0ELb0ELb0ES3_PKfPffZZZN2at6native31launch_logcumsumexp_cuda_kernelERKNSB_10TensorBaseESF_lENKUlvE_clEvENKUlvE0_clEvEUlffE_fEEDaPvRmT3_T4_T5_mT6_P12ihipStream_tbENKUlT_T0_E_clISt17integral_constantIbLb0EESW_EEDaSR_SS_EUlSR_E_NS1_11comp_targetILNS1_3genE10ELNS1_11target_archE1200ELNS1_3gpuE4ELNS1_3repE0EEENS1_30default_config_static_selectorELNS0_4arch9wavefront6targetE1EEEvT1_,comdat
	.globl	_ZN7rocprim17ROCPRIM_400000_NS6detail17trampoline_kernelINS0_14default_configENS1_20scan_config_selectorIfEEZZNS1_9scan_implILNS1_25lookback_scan_determinismE0ELb0ELb0ES3_PKfPffZZZN2at6native31launch_logcumsumexp_cuda_kernelERKNSB_10TensorBaseESF_lENKUlvE_clEvENKUlvE0_clEvEUlffE_fEEDaPvRmT3_T4_T5_mT6_P12ihipStream_tbENKUlT_T0_E_clISt17integral_constantIbLb0EESW_EEDaSR_SS_EUlSR_E_NS1_11comp_targetILNS1_3genE10ELNS1_11target_archE1200ELNS1_3gpuE4ELNS1_3repE0EEENS1_30default_config_static_selectorELNS0_4arch9wavefront6targetE1EEEvT1_ ; -- Begin function _ZN7rocprim17ROCPRIM_400000_NS6detail17trampoline_kernelINS0_14default_configENS1_20scan_config_selectorIfEEZZNS1_9scan_implILNS1_25lookback_scan_determinismE0ELb0ELb0ES3_PKfPffZZZN2at6native31launch_logcumsumexp_cuda_kernelERKNSB_10TensorBaseESF_lENKUlvE_clEvENKUlvE0_clEvEUlffE_fEEDaPvRmT3_T4_T5_mT6_P12ihipStream_tbENKUlT_T0_E_clISt17integral_constantIbLb0EESW_EEDaSR_SS_EUlSR_E_NS1_11comp_targetILNS1_3genE10ELNS1_11target_archE1200ELNS1_3gpuE4ELNS1_3repE0EEENS1_30default_config_static_selectorELNS0_4arch9wavefront6targetE1EEEvT1_
	.p2align	8
	.type	_ZN7rocprim17ROCPRIM_400000_NS6detail17trampoline_kernelINS0_14default_configENS1_20scan_config_selectorIfEEZZNS1_9scan_implILNS1_25lookback_scan_determinismE0ELb0ELb0ES3_PKfPffZZZN2at6native31launch_logcumsumexp_cuda_kernelERKNSB_10TensorBaseESF_lENKUlvE_clEvENKUlvE0_clEvEUlffE_fEEDaPvRmT3_T4_T5_mT6_P12ihipStream_tbENKUlT_T0_E_clISt17integral_constantIbLb0EESW_EEDaSR_SS_EUlSR_E_NS1_11comp_targetILNS1_3genE10ELNS1_11target_archE1200ELNS1_3gpuE4ELNS1_3repE0EEENS1_30default_config_static_selectorELNS0_4arch9wavefront6targetE1EEEvT1_,@function
_ZN7rocprim17ROCPRIM_400000_NS6detail17trampoline_kernelINS0_14default_configENS1_20scan_config_selectorIfEEZZNS1_9scan_implILNS1_25lookback_scan_determinismE0ELb0ELb0ES3_PKfPffZZZN2at6native31launch_logcumsumexp_cuda_kernelERKNSB_10TensorBaseESF_lENKUlvE_clEvENKUlvE0_clEvEUlffE_fEEDaPvRmT3_T4_T5_mT6_P12ihipStream_tbENKUlT_T0_E_clISt17integral_constantIbLb0EESW_EEDaSR_SS_EUlSR_E_NS1_11comp_targetILNS1_3genE10ELNS1_11target_archE1200ELNS1_3gpuE4ELNS1_3repE0EEENS1_30default_config_static_selectorELNS0_4arch9wavefront6targetE1EEEvT1_: ; @_ZN7rocprim17ROCPRIM_400000_NS6detail17trampoline_kernelINS0_14default_configENS1_20scan_config_selectorIfEEZZNS1_9scan_implILNS1_25lookback_scan_determinismE0ELb0ELb0ES3_PKfPffZZZN2at6native31launch_logcumsumexp_cuda_kernelERKNSB_10TensorBaseESF_lENKUlvE_clEvENKUlvE0_clEvEUlffE_fEEDaPvRmT3_T4_T5_mT6_P12ihipStream_tbENKUlT_T0_E_clISt17integral_constantIbLb0EESW_EEDaSR_SS_EUlSR_E_NS1_11comp_targetILNS1_3genE10ELNS1_11target_archE1200ELNS1_3gpuE4ELNS1_3repE0EEENS1_30default_config_static_selectorELNS0_4arch9wavefront6targetE1EEEvT1_
; %bb.0:
	.section	.rodata,"a",@progbits
	.p2align	6, 0x0
	.amdhsa_kernel _ZN7rocprim17ROCPRIM_400000_NS6detail17trampoline_kernelINS0_14default_configENS1_20scan_config_selectorIfEEZZNS1_9scan_implILNS1_25lookback_scan_determinismE0ELb0ELb0ES3_PKfPffZZZN2at6native31launch_logcumsumexp_cuda_kernelERKNSB_10TensorBaseESF_lENKUlvE_clEvENKUlvE0_clEvEUlffE_fEEDaPvRmT3_T4_T5_mT6_P12ihipStream_tbENKUlT_T0_E_clISt17integral_constantIbLb0EESW_EEDaSR_SS_EUlSR_E_NS1_11comp_targetILNS1_3genE10ELNS1_11target_archE1200ELNS1_3gpuE4ELNS1_3repE0EEENS1_30default_config_static_selectorELNS0_4arch9wavefront6targetE1EEEvT1_
		.amdhsa_group_segment_fixed_size 0
		.amdhsa_private_segment_fixed_size 0
		.amdhsa_kernarg_size 96
		.amdhsa_user_sgpr_count 6
		.amdhsa_user_sgpr_private_segment_buffer 1
		.amdhsa_user_sgpr_dispatch_ptr 0
		.amdhsa_user_sgpr_queue_ptr 0
		.amdhsa_user_sgpr_kernarg_segment_ptr 1
		.amdhsa_user_sgpr_dispatch_id 0
		.amdhsa_user_sgpr_flat_scratch_init 0
		.amdhsa_user_sgpr_kernarg_preload_length 0
		.amdhsa_user_sgpr_kernarg_preload_offset 0
		.amdhsa_user_sgpr_private_segment_size 0
		.amdhsa_uses_dynamic_stack 0
		.amdhsa_system_sgpr_private_segment_wavefront_offset 0
		.amdhsa_system_sgpr_workgroup_id_x 1
		.amdhsa_system_sgpr_workgroup_id_y 0
		.amdhsa_system_sgpr_workgroup_id_z 0
		.amdhsa_system_sgpr_workgroup_info 0
		.amdhsa_system_vgpr_workitem_id 0
		.amdhsa_next_free_vgpr 1
		.amdhsa_next_free_sgpr 0
		.amdhsa_accum_offset 4
		.amdhsa_reserve_vcc 0
		.amdhsa_reserve_flat_scratch 0
		.amdhsa_float_round_mode_32 0
		.amdhsa_float_round_mode_16_64 0
		.amdhsa_float_denorm_mode_32 3
		.amdhsa_float_denorm_mode_16_64 3
		.amdhsa_dx10_clamp 1
		.amdhsa_ieee_mode 1
		.amdhsa_fp16_overflow 0
		.amdhsa_tg_split 0
		.amdhsa_exception_fp_ieee_invalid_op 0
		.amdhsa_exception_fp_denorm_src 0
		.amdhsa_exception_fp_ieee_div_zero 0
		.amdhsa_exception_fp_ieee_overflow 0
		.amdhsa_exception_fp_ieee_underflow 0
		.amdhsa_exception_fp_ieee_inexact 0
		.amdhsa_exception_int_div_zero 0
	.end_amdhsa_kernel
	.section	.text._ZN7rocprim17ROCPRIM_400000_NS6detail17trampoline_kernelINS0_14default_configENS1_20scan_config_selectorIfEEZZNS1_9scan_implILNS1_25lookback_scan_determinismE0ELb0ELb0ES3_PKfPffZZZN2at6native31launch_logcumsumexp_cuda_kernelERKNSB_10TensorBaseESF_lENKUlvE_clEvENKUlvE0_clEvEUlffE_fEEDaPvRmT3_T4_T5_mT6_P12ihipStream_tbENKUlT_T0_E_clISt17integral_constantIbLb0EESW_EEDaSR_SS_EUlSR_E_NS1_11comp_targetILNS1_3genE10ELNS1_11target_archE1200ELNS1_3gpuE4ELNS1_3repE0EEENS1_30default_config_static_selectorELNS0_4arch9wavefront6targetE1EEEvT1_,"axG",@progbits,_ZN7rocprim17ROCPRIM_400000_NS6detail17trampoline_kernelINS0_14default_configENS1_20scan_config_selectorIfEEZZNS1_9scan_implILNS1_25lookback_scan_determinismE0ELb0ELb0ES3_PKfPffZZZN2at6native31launch_logcumsumexp_cuda_kernelERKNSB_10TensorBaseESF_lENKUlvE_clEvENKUlvE0_clEvEUlffE_fEEDaPvRmT3_T4_T5_mT6_P12ihipStream_tbENKUlT_T0_E_clISt17integral_constantIbLb0EESW_EEDaSR_SS_EUlSR_E_NS1_11comp_targetILNS1_3genE10ELNS1_11target_archE1200ELNS1_3gpuE4ELNS1_3repE0EEENS1_30default_config_static_selectorELNS0_4arch9wavefront6targetE1EEEvT1_,comdat
.Lfunc_end94:
	.size	_ZN7rocprim17ROCPRIM_400000_NS6detail17trampoline_kernelINS0_14default_configENS1_20scan_config_selectorIfEEZZNS1_9scan_implILNS1_25lookback_scan_determinismE0ELb0ELb0ES3_PKfPffZZZN2at6native31launch_logcumsumexp_cuda_kernelERKNSB_10TensorBaseESF_lENKUlvE_clEvENKUlvE0_clEvEUlffE_fEEDaPvRmT3_T4_T5_mT6_P12ihipStream_tbENKUlT_T0_E_clISt17integral_constantIbLb0EESW_EEDaSR_SS_EUlSR_E_NS1_11comp_targetILNS1_3genE10ELNS1_11target_archE1200ELNS1_3gpuE4ELNS1_3repE0EEENS1_30default_config_static_selectorELNS0_4arch9wavefront6targetE1EEEvT1_, .Lfunc_end94-_ZN7rocprim17ROCPRIM_400000_NS6detail17trampoline_kernelINS0_14default_configENS1_20scan_config_selectorIfEEZZNS1_9scan_implILNS1_25lookback_scan_determinismE0ELb0ELb0ES3_PKfPffZZZN2at6native31launch_logcumsumexp_cuda_kernelERKNSB_10TensorBaseESF_lENKUlvE_clEvENKUlvE0_clEvEUlffE_fEEDaPvRmT3_T4_T5_mT6_P12ihipStream_tbENKUlT_T0_E_clISt17integral_constantIbLb0EESW_EEDaSR_SS_EUlSR_E_NS1_11comp_targetILNS1_3genE10ELNS1_11target_archE1200ELNS1_3gpuE4ELNS1_3repE0EEENS1_30default_config_static_selectorELNS0_4arch9wavefront6targetE1EEEvT1_
                                        ; -- End function
	.section	.AMDGPU.csdata,"",@progbits
; Kernel info:
; codeLenInByte = 0
; NumSgprs: 4
; NumVgprs: 0
; NumAgprs: 0
; TotalNumVgprs: 0
; ScratchSize: 0
; MemoryBound: 0
; FloatMode: 240
; IeeeMode: 1
; LDSByteSize: 0 bytes/workgroup (compile time only)
; SGPRBlocks: 0
; VGPRBlocks: 0
; NumSGPRsForWavesPerEU: 4
; NumVGPRsForWavesPerEU: 1
; AccumOffset: 4
; Occupancy: 8
; WaveLimiterHint : 0
; COMPUTE_PGM_RSRC2:SCRATCH_EN: 0
; COMPUTE_PGM_RSRC2:USER_SGPR: 6
; COMPUTE_PGM_RSRC2:TRAP_HANDLER: 0
; COMPUTE_PGM_RSRC2:TGID_X_EN: 1
; COMPUTE_PGM_RSRC2:TGID_Y_EN: 0
; COMPUTE_PGM_RSRC2:TGID_Z_EN: 0
; COMPUTE_PGM_RSRC2:TIDIG_COMP_CNT: 0
; COMPUTE_PGM_RSRC3_GFX90A:ACCUM_OFFSET: 0
; COMPUTE_PGM_RSRC3_GFX90A:TG_SPLIT: 0
	.section	.text._ZN7rocprim17ROCPRIM_400000_NS6detail17trampoline_kernelINS0_14default_configENS1_20scan_config_selectorIfEEZZNS1_9scan_implILNS1_25lookback_scan_determinismE0ELb0ELb0ES3_PKfPffZZZN2at6native31launch_logcumsumexp_cuda_kernelERKNSB_10TensorBaseESF_lENKUlvE_clEvENKUlvE0_clEvEUlffE_fEEDaPvRmT3_T4_T5_mT6_P12ihipStream_tbENKUlT_T0_E_clISt17integral_constantIbLb0EESW_EEDaSR_SS_EUlSR_E_NS1_11comp_targetILNS1_3genE9ELNS1_11target_archE1100ELNS1_3gpuE3ELNS1_3repE0EEENS1_30default_config_static_selectorELNS0_4arch9wavefront6targetE1EEEvT1_,"axG",@progbits,_ZN7rocprim17ROCPRIM_400000_NS6detail17trampoline_kernelINS0_14default_configENS1_20scan_config_selectorIfEEZZNS1_9scan_implILNS1_25lookback_scan_determinismE0ELb0ELb0ES3_PKfPffZZZN2at6native31launch_logcumsumexp_cuda_kernelERKNSB_10TensorBaseESF_lENKUlvE_clEvENKUlvE0_clEvEUlffE_fEEDaPvRmT3_T4_T5_mT6_P12ihipStream_tbENKUlT_T0_E_clISt17integral_constantIbLb0EESW_EEDaSR_SS_EUlSR_E_NS1_11comp_targetILNS1_3genE9ELNS1_11target_archE1100ELNS1_3gpuE3ELNS1_3repE0EEENS1_30default_config_static_selectorELNS0_4arch9wavefront6targetE1EEEvT1_,comdat
	.globl	_ZN7rocprim17ROCPRIM_400000_NS6detail17trampoline_kernelINS0_14default_configENS1_20scan_config_selectorIfEEZZNS1_9scan_implILNS1_25lookback_scan_determinismE0ELb0ELb0ES3_PKfPffZZZN2at6native31launch_logcumsumexp_cuda_kernelERKNSB_10TensorBaseESF_lENKUlvE_clEvENKUlvE0_clEvEUlffE_fEEDaPvRmT3_T4_T5_mT6_P12ihipStream_tbENKUlT_T0_E_clISt17integral_constantIbLb0EESW_EEDaSR_SS_EUlSR_E_NS1_11comp_targetILNS1_3genE9ELNS1_11target_archE1100ELNS1_3gpuE3ELNS1_3repE0EEENS1_30default_config_static_selectorELNS0_4arch9wavefront6targetE1EEEvT1_ ; -- Begin function _ZN7rocprim17ROCPRIM_400000_NS6detail17trampoline_kernelINS0_14default_configENS1_20scan_config_selectorIfEEZZNS1_9scan_implILNS1_25lookback_scan_determinismE0ELb0ELb0ES3_PKfPffZZZN2at6native31launch_logcumsumexp_cuda_kernelERKNSB_10TensorBaseESF_lENKUlvE_clEvENKUlvE0_clEvEUlffE_fEEDaPvRmT3_T4_T5_mT6_P12ihipStream_tbENKUlT_T0_E_clISt17integral_constantIbLb0EESW_EEDaSR_SS_EUlSR_E_NS1_11comp_targetILNS1_3genE9ELNS1_11target_archE1100ELNS1_3gpuE3ELNS1_3repE0EEENS1_30default_config_static_selectorELNS0_4arch9wavefront6targetE1EEEvT1_
	.p2align	8
	.type	_ZN7rocprim17ROCPRIM_400000_NS6detail17trampoline_kernelINS0_14default_configENS1_20scan_config_selectorIfEEZZNS1_9scan_implILNS1_25lookback_scan_determinismE0ELb0ELb0ES3_PKfPffZZZN2at6native31launch_logcumsumexp_cuda_kernelERKNSB_10TensorBaseESF_lENKUlvE_clEvENKUlvE0_clEvEUlffE_fEEDaPvRmT3_T4_T5_mT6_P12ihipStream_tbENKUlT_T0_E_clISt17integral_constantIbLb0EESW_EEDaSR_SS_EUlSR_E_NS1_11comp_targetILNS1_3genE9ELNS1_11target_archE1100ELNS1_3gpuE3ELNS1_3repE0EEENS1_30default_config_static_selectorELNS0_4arch9wavefront6targetE1EEEvT1_,@function
_ZN7rocprim17ROCPRIM_400000_NS6detail17trampoline_kernelINS0_14default_configENS1_20scan_config_selectorIfEEZZNS1_9scan_implILNS1_25lookback_scan_determinismE0ELb0ELb0ES3_PKfPffZZZN2at6native31launch_logcumsumexp_cuda_kernelERKNSB_10TensorBaseESF_lENKUlvE_clEvENKUlvE0_clEvEUlffE_fEEDaPvRmT3_T4_T5_mT6_P12ihipStream_tbENKUlT_T0_E_clISt17integral_constantIbLb0EESW_EEDaSR_SS_EUlSR_E_NS1_11comp_targetILNS1_3genE9ELNS1_11target_archE1100ELNS1_3gpuE3ELNS1_3repE0EEENS1_30default_config_static_selectorELNS0_4arch9wavefront6targetE1EEEvT1_: ; @_ZN7rocprim17ROCPRIM_400000_NS6detail17trampoline_kernelINS0_14default_configENS1_20scan_config_selectorIfEEZZNS1_9scan_implILNS1_25lookback_scan_determinismE0ELb0ELb0ES3_PKfPffZZZN2at6native31launch_logcumsumexp_cuda_kernelERKNSB_10TensorBaseESF_lENKUlvE_clEvENKUlvE0_clEvEUlffE_fEEDaPvRmT3_T4_T5_mT6_P12ihipStream_tbENKUlT_T0_E_clISt17integral_constantIbLb0EESW_EEDaSR_SS_EUlSR_E_NS1_11comp_targetILNS1_3genE9ELNS1_11target_archE1100ELNS1_3gpuE3ELNS1_3repE0EEENS1_30default_config_static_selectorELNS0_4arch9wavefront6targetE1EEEvT1_
; %bb.0:
	.section	.rodata,"a",@progbits
	.p2align	6, 0x0
	.amdhsa_kernel _ZN7rocprim17ROCPRIM_400000_NS6detail17trampoline_kernelINS0_14default_configENS1_20scan_config_selectorIfEEZZNS1_9scan_implILNS1_25lookback_scan_determinismE0ELb0ELb0ES3_PKfPffZZZN2at6native31launch_logcumsumexp_cuda_kernelERKNSB_10TensorBaseESF_lENKUlvE_clEvENKUlvE0_clEvEUlffE_fEEDaPvRmT3_T4_T5_mT6_P12ihipStream_tbENKUlT_T0_E_clISt17integral_constantIbLb0EESW_EEDaSR_SS_EUlSR_E_NS1_11comp_targetILNS1_3genE9ELNS1_11target_archE1100ELNS1_3gpuE3ELNS1_3repE0EEENS1_30default_config_static_selectorELNS0_4arch9wavefront6targetE1EEEvT1_
		.amdhsa_group_segment_fixed_size 0
		.amdhsa_private_segment_fixed_size 0
		.amdhsa_kernarg_size 96
		.amdhsa_user_sgpr_count 6
		.amdhsa_user_sgpr_private_segment_buffer 1
		.amdhsa_user_sgpr_dispatch_ptr 0
		.amdhsa_user_sgpr_queue_ptr 0
		.amdhsa_user_sgpr_kernarg_segment_ptr 1
		.amdhsa_user_sgpr_dispatch_id 0
		.amdhsa_user_sgpr_flat_scratch_init 0
		.amdhsa_user_sgpr_kernarg_preload_length 0
		.amdhsa_user_sgpr_kernarg_preload_offset 0
		.amdhsa_user_sgpr_private_segment_size 0
		.amdhsa_uses_dynamic_stack 0
		.amdhsa_system_sgpr_private_segment_wavefront_offset 0
		.amdhsa_system_sgpr_workgroup_id_x 1
		.amdhsa_system_sgpr_workgroup_id_y 0
		.amdhsa_system_sgpr_workgroup_id_z 0
		.amdhsa_system_sgpr_workgroup_info 0
		.amdhsa_system_vgpr_workitem_id 0
		.amdhsa_next_free_vgpr 1
		.amdhsa_next_free_sgpr 0
		.amdhsa_accum_offset 4
		.amdhsa_reserve_vcc 0
		.amdhsa_reserve_flat_scratch 0
		.amdhsa_float_round_mode_32 0
		.amdhsa_float_round_mode_16_64 0
		.amdhsa_float_denorm_mode_32 3
		.amdhsa_float_denorm_mode_16_64 3
		.amdhsa_dx10_clamp 1
		.amdhsa_ieee_mode 1
		.amdhsa_fp16_overflow 0
		.amdhsa_tg_split 0
		.amdhsa_exception_fp_ieee_invalid_op 0
		.amdhsa_exception_fp_denorm_src 0
		.amdhsa_exception_fp_ieee_div_zero 0
		.amdhsa_exception_fp_ieee_overflow 0
		.amdhsa_exception_fp_ieee_underflow 0
		.amdhsa_exception_fp_ieee_inexact 0
		.amdhsa_exception_int_div_zero 0
	.end_amdhsa_kernel
	.section	.text._ZN7rocprim17ROCPRIM_400000_NS6detail17trampoline_kernelINS0_14default_configENS1_20scan_config_selectorIfEEZZNS1_9scan_implILNS1_25lookback_scan_determinismE0ELb0ELb0ES3_PKfPffZZZN2at6native31launch_logcumsumexp_cuda_kernelERKNSB_10TensorBaseESF_lENKUlvE_clEvENKUlvE0_clEvEUlffE_fEEDaPvRmT3_T4_T5_mT6_P12ihipStream_tbENKUlT_T0_E_clISt17integral_constantIbLb0EESW_EEDaSR_SS_EUlSR_E_NS1_11comp_targetILNS1_3genE9ELNS1_11target_archE1100ELNS1_3gpuE3ELNS1_3repE0EEENS1_30default_config_static_selectorELNS0_4arch9wavefront6targetE1EEEvT1_,"axG",@progbits,_ZN7rocprim17ROCPRIM_400000_NS6detail17trampoline_kernelINS0_14default_configENS1_20scan_config_selectorIfEEZZNS1_9scan_implILNS1_25lookback_scan_determinismE0ELb0ELb0ES3_PKfPffZZZN2at6native31launch_logcumsumexp_cuda_kernelERKNSB_10TensorBaseESF_lENKUlvE_clEvENKUlvE0_clEvEUlffE_fEEDaPvRmT3_T4_T5_mT6_P12ihipStream_tbENKUlT_T0_E_clISt17integral_constantIbLb0EESW_EEDaSR_SS_EUlSR_E_NS1_11comp_targetILNS1_3genE9ELNS1_11target_archE1100ELNS1_3gpuE3ELNS1_3repE0EEENS1_30default_config_static_selectorELNS0_4arch9wavefront6targetE1EEEvT1_,comdat
.Lfunc_end95:
	.size	_ZN7rocprim17ROCPRIM_400000_NS6detail17trampoline_kernelINS0_14default_configENS1_20scan_config_selectorIfEEZZNS1_9scan_implILNS1_25lookback_scan_determinismE0ELb0ELb0ES3_PKfPffZZZN2at6native31launch_logcumsumexp_cuda_kernelERKNSB_10TensorBaseESF_lENKUlvE_clEvENKUlvE0_clEvEUlffE_fEEDaPvRmT3_T4_T5_mT6_P12ihipStream_tbENKUlT_T0_E_clISt17integral_constantIbLb0EESW_EEDaSR_SS_EUlSR_E_NS1_11comp_targetILNS1_3genE9ELNS1_11target_archE1100ELNS1_3gpuE3ELNS1_3repE0EEENS1_30default_config_static_selectorELNS0_4arch9wavefront6targetE1EEEvT1_, .Lfunc_end95-_ZN7rocprim17ROCPRIM_400000_NS6detail17trampoline_kernelINS0_14default_configENS1_20scan_config_selectorIfEEZZNS1_9scan_implILNS1_25lookback_scan_determinismE0ELb0ELb0ES3_PKfPffZZZN2at6native31launch_logcumsumexp_cuda_kernelERKNSB_10TensorBaseESF_lENKUlvE_clEvENKUlvE0_clEvEUlffE_fEEDaPvRmT3_T4_T5_mT6_P12ihipStream_tbENKUlT_T0_E_clISt17integral_constantIbLb0EESW_EEDaSR_SS_EUlSR_E_NS1_11comp_targetILNS1_3genE9ELNS1_11target_archE1100ELNS1_3gpuE3ELNS1_3repE0EEENS1_30default_config_static_selectorELNS0_4arch9wavefront6targetE1EEEvT1_
                                        ; -- End function
	.section	.AMDGPU.csdata,"",@progbits
; Kernel info:
; codeLenInByte = 0
; NumSgprs: 4
; NumVgprs: 0
; NumAgprs: 0
; TotalNumVgprs: 0
; ScratchSize: 0
; MemoryBound: 0
; FloatMode: 240
; IeeeMode: 1
; LDSByteSize: 0 bytes/workgroup (compile time only)
; SGPRBlocks: 0
; VGPRBlocks: 0
; NumSGPRsForWavesPerEU: 4
; NumVGPRsForWavesPerEU: 1
; AccumOffset: 4
; Occupancy: 8
; WaveLimiterHint : 0
; COMPUTE_PGM_RSRC2:SCRATCH_EN: 0
; COMPUTE_PGM_RSRC2:USER_SGPR: 6
; COMPUTE_PGM_RSRC2:TRAP_HANDLER: 0
; COMPUTE_PGM_RSRC2:TGID_X_EN: 1
; COMPUTE_PGM_RSRC2:TGID_Y_EN: 0
; COMPUTE_PGM_RSRC2:TGID_Z_EN: 0
; COMPUTE_PGM_RSRC2:TIDIG_COMP_CNT: 0
; COMPUTE_PGM_RSRC3_GFX90A:ACCUM_OFFSET: 0
; COMPUTE_PGM_RSRC3_GFX90A:TG_SPLIT: 0
	.section	.text._ZN7rocprim17ROCPRIM_400000_NS6detail17trampoline_kernelINS0_14default_configENS1_20scan_config_selectorIfEEZZNS1_9scan_implILNS1_25lookback_scan_determinismE0ELb0ELb0ES3_PKfPffZZZN2at6native31launch_logcumsumexp_cuda_kernelERKNSB_10TensorBaseESF_lENKUlvE_clEvENKUlvE0_clEvEUlffE_fEEDaPvRmT3_T4_T5_mT6_P12ihipStream_tbENKUlT_T0_E_clISt17integral_constantIbLb0EESW_EEDaSR_SS_EUlSR_E_NS1_11comp_targetILNS1_3genE8ELNS1_11target_archE1030ELNS1_3gpuE2ELNS1_3repE0EEENS1_30default_config_static_selectorELNS0_4arch9wavefront6targetE1EEEvT1_,"axG",@progbits,_ZN7rocprim17ROCPRIM_400000_NS6detail17trampoline_kernelINS0_14default_configENS1_20scan_config_selectorIfEEZZNS1_9scan_implILNS1_25lookback_scan_determinismE0ELb0ELb0ES3_PKfPffZZZN2at6native31launch_logcumsumexp_cuda_kernelERKNSB_10TensorBaseESF_lENKUlvE_clEvENKUlvE0_clEvEUlffE_fEEDaPvRmT3_T4_T5_mT6_P12ihipStream_tbENKUlT_T0_E_clISt17integral_constantIbLb0EESW_EEDaSR_SS_EUlSR_E_NS1_11comp_targetILNS1_3genE8ELNS1_11target_archE1030ELNS1_3gpuE2ELNS1_3repE0EEENS1_30default_config_static_selectorELNS0_4arch9wavefront6targetE1EEEvT1_,comdat
	.globl	_ZN7rocprim17ROCPRIM_400000_NS6detail17trampoline_kernelINS0_14default_configENS1_20scan_config_selectorIfEEZZNS1_9scan_implILNS1_25lookback_scan_determinismE0ELb0ELb0ES3_PKfPffZZZN2at6native31launch_logcumsumexp_cuda_kernelERKNSB_10TensorBaseESF_lENKUlvE_clEvENKUlvE0_clEvEUlffE_fEEDaPvRmT3_T4_T5_mT6_P12ihipStream_tbENKUlT_T0_E_clISt17integral_constantIbLb0EESW_EEDaSR_SS_EUlSR_E_NS1_11comp_targetILNS1_3genE8ELNS1_11target_archE1030ELNS1_3gpuE2ELNS1_3repE0EEENS1_30default_config_static_selectorELNS0_4arch9wavefront6targetE1EEEvT1_ ; -- Begin function _ZN7rocprim17ROCPRIM_400000_NS6detail17trampoline_kernelINS0_14default_configENS1_20scan_config_selectorIfEEZZNS1_9scan_implILNS1_25lookback_scan_determinismE0ELb0ELb0ES3_PKfPffZZZN2at6native31launch_logcumsumexp_cuda_kernelERKNSB_10TensorBaseESF_lENKUlvE_clEvENKUlvE0_clEvEUlffE_fEEDaPvRmT3_T4_T5_mT6_P12ihipStream_tbENKUlT_T0_E_clISt17integral_constantIbLb0EESW_EEDaSR_SS_EUlSR_E_NS1_11comp_targetILNS1_3genE8ELNS1_11target_archE1030ELNS1_3gpuE2ELNS1_3repE0EEENS1_30default_config_static_selectorELNS0_4arch9wavefront6targetE1EEEvT1_
	.p2align	8
	.type	_ZN7rocprim17ROCPRIM_400000_NS6detail17trampoline_kernelINS0_14default_configENS1_20scan_config_selectorIfEEZZNS1_9scan_implILNS1_25lookback_scan_determinismE0ELb0ELb0ES3_PKfPffZZZN2at6native31launch_logcumsumexp_cuda_kernelERKNSB_10TensorBaseESF_lENKUlvE_clEvENKUlvE0_clEvEUlffE_fEEDaPvRmT3_T4_T5_mT6_P12ihipStream_tbENKUlT_T0_E_clISt17integral_constantIbLb0EESW_EEDaSR_SS_EUlSR_E_NS1_11comp_targetILNS1_3genE8ELNS1_11target_archE1030ELNS1_3gpuE2ELNS1_3repE0EEENS1_30default_config_static_selectorELNS0_4arch9wavefront6targetE1EEEvT1_,@function
_ZN7rocprim17ROCPRIM_400000_NS6detail17trampoline_kernelINS0_14default_configENS1_20scan_config_selectorIfEEZZNS1_9scan_implILNS1_25lookback_scan_determinismE0ELb0ELb0ES3_PKfPffZZZN2at6native31launch_logcumsumexp_cuda_kernelERKNSB_10TensorBaseESF_lENKUlvE_clEvENKUlvE0_clEvEUlffE_fEEDaPvRmT3_T4_T5_mT6_P12ihipStream_tbENKUlT_T0_E_clISt17integral_constantIbLb0EESW_EEDaSR_SS_EUlSR_E_NS1_11comp_targetILNS1_3genE8ELNS1_11target_archE1030ELNS1_3gpuE2ELNS1_3repE0EEENS1_30default_config_static_selectorELNS0_4arch9wavefront6targetE1EEEvT1_: ; @_ZN7rocprim17ROCPRIM_400000_NS6detail17trampoline_kernelINS0_14default_configENS1_20scan_config_selectorIfEEZZNS1_9scan_implILNS1_25lookback_scan_determinismE0ELb0ELb0ES3_PKfPffZZZN2at6native31launch_logcumsumexp_cuda_kernelERKNSB_10TensorBaseESF_lENKUlvE_clEvENKUlvE0_clEvEUlffE_fEEDaPvRmT3_T4_T5_mT6_P12ihipStream_tbENKUlT_T0_E_clISt17integral_constantIbLb0EESW_EEDaSR_SS_EUlSR_E_NS1_11comp_targetILNS1_3genE8ELNS1_11target_archE1030ELNS1_3gpuE2ELNS1_3repE0EEENS1_30default_config_static_selectorELNS0_4arch9wavefront6targetE1EEEvT1_
; %bb.0:
	.section	.rodata,"a",@progbits
	.p2align	6, 0x0
	.amdhsa_kernel _ZN7rocprim17ROCPRIM_400000_NS6detail17trampoline_kernelINS0_14default_configENS1_20scan_config_selectorIfEEZZNS1_9scan_implILNS1_25lookback_scan_determinismE0ELb0ELb0ES3_PKfPffZZZN2at6native31launch_logcumsumexp_cuda_kernelERKNSB_10TensorBaseESF_lENKUlvE_clEvENKUlvE0_clEvEUlffE_fEEDaPvRmT3_T4_T5_mT6_P12ihipStream_tbENKUlT_T0_E_clISt17integral_constantIbLb0EESW_EEDaSR_SS_EUlSR_E_NS1_11comp_targetILNS1_3genE8ELNS1_11target_archE1030ELNS1_3gpuE2ELNS1_3repE0EEENS1_30default_config_static_selectorELNS0_4arch9wavefront6targetE1EEEvT1_
		.amdhsa_group_segment_fixed_size 0
		.amdhsa_private_segment_fixed_size 0
		.amdhsa_kernarg_size 96
		.amdhsa_user_sgpr_count 6
		.amdhsa_user_sgpr_private_segment_buffer 1
		.amdhsa_user_sgpr_dispatch_ptr 0
		.amdhsa_user_sgpr_queue_ptr 0
		.amdhsa_user_sgpr_kernarg_segment_ptr 1
		.amdhsa_user_sgpr_dispatch_id 0
		.amdhsa_user_sgpr_flat_scratch_init 0
		.amdhsa_user_sgpr_kernarg_preload_length 0
		.amdhsa_user_sgpr_kernarg_preload_offset 0
		.amdhsa_user_sgpr_private_segment_size 0
		.amdhsa_uses_dynamic_stack 0
		.amdhsa_system_sgpr_private_segment_wavefront_offset 0
		.amdhsa_system_sgpr_workgroup_id_x 1
		.amdhsa_system_sgpr_workgroup_id_y 0
		.amdhsa_system_sgpr_workgroup_id_z 0
		.amdhsa_system_sgpr_workgroup_info 0
		.amdhsa_system_vgpr_workitem_id 0
		.amdhsa_next_free_vgpr 1
		.amdhsa_next_free_sgpr 0
		.amdhsa_accum_offset 4
		.amdhsa_reserve_vcc 0
		.amdhsa_reserve_flat_scratch 0
		.amdhsa_float_round_mode_32 0
		.amdhsa_float_round_mode_16_64 0
		.amdhsa_float_denorm_mode_32 3
		.amdhsa_float_denorm_mode_16_64 3
		.amdhsa_dx10_clamp 1
		.amdhsa_ieee_mode 1
		.amdhsa_fp16_overflow 0
		.amdhsa_tg_split 0
		.amdhsa_exception_fp_ieee_invalid_op 0
		.amdhsa_exception_fp_denorm_src 0
		.amdhsa_exception_fp_ieee_div_zero 0
		.amdhsa_exception_fp_ieee_overflow 0
		.amdhsa_exception_fp_ieee_underflow 0
		.amdhsa_exception_fp_ieee_inexact 0
		.amdhsa_exception_int_div_zero 0
	.end_amdhsa_kernel
	.section	.text._ZN7rocprim17ROCPRIM_400000_NS6detail17trampoline_kernelINS0_14default_configENS1_20scan_config_selectorIfEEZZNS1_9scan_implILNS1_25lookback_scan_determinismE0ELb0ELb0ES3_PKfPffZZZN2at6native31launch_logcumsumexp_cuda_kernelERKNSB_10TensorBaseESF_lENKUlvE_clEvENKUlvE0_clEvEUlffE_fEEDaPvRmT3_T4_T5_mT6_P12ihipStream_tbENKUlT_T0_E_clISt17integral_constantIbLb0EESW_EEDaSR_SS_EUlSR_E_NS1_11comp_targetILNS1_3genE8ELNS1_11target_archE1030ELNS1_3gpuE2ELNS1_3repE0EEENS1_30default_config_static_selectorELNS0_4arch9wavefront6targetE1EEEvT1_,"axG",@progbits,_ZN7rocprim17ROCPRIM_400000_NS6detail17trampoline_kernelINS0_14default_configENS1_20scan_config_selectorIfEEZZNS1_9scan_implILNS1_25lookback_scan_determinismE0ELb0ELb0ES3_PKfPffZZZN2at6native31launch_logcumsumexp_cuda_kernelERKNSB_10TensorBaseESF_lENKUlvE_clEvENKUlvE0_clEvEUlffE_fEEDaPvRmT3_T4_T5_mT6_P12ihipStream_tbENKUlT_T0_E_clISt17integral_constantIbLb0EESW_EEDaSR_SS_EUlSR_E_NS1_11comp_targetILNS1_3genE8ELNS1_11target_archE1030ELNS1_3gpuE2ELNS1_3repE0EEENS1_30default_config_static_selectorELNS0_4arch9wavefront6targetE1EEEvT1_,comdat
.Lfunc_end96:
	.size	_ZN7rocprim17ROCPRIM_400000_NS6detail17trampoline_kernelINS0_14default_configENS1_20scan_config_selectorIfEEZZNS1_9scan_implILNS1_25lookback_scan_determinismE0ELb0ELb0ES3_PKfPffZZZN2at6native31launch_logcumsumexp_cuda_kernelERKNSB_10TensorBaseESF_lENKUlvE_clEvENKUlvE0_clEvEUlffE_fEEDaPvRmT3_T4_T5_mT6_P12ihipStream_tbENKUlT_T0_E_clISt17integral_constantIbLb0EESW_EEDaSR_SS_EUlSR_E_NS1_11comp_targetILNS1_3genE8ELNS1_11target_archE1030ELNS1_3gpuE2ELNS1_3repE0EEENS1_30default_config_static_selectorELNS0_4arch9wavefront6targetE1EEEvT1_, .Lfunc_end96-_ZN7rocprim17ROCPRIM_400000_NS6detail17trampoline_kernelINS0_14default_configENS1_20scan_config_selectorIfEEZZNS1_9scan_implILNS1_25lookback_scan_determinismE0ELb0ELb0ES3_PKfPffZZZN2at6native31launch_logcumsumexp_cuda_kernelERKNSB_10TensorBaseESF_lENKUlvE_clEvENKUlvE0_clEvEUlffE_fEEDaPvRmT3_T4_T5_mT6_P12ihipStream_tbENKUlT_T0_E_clISt17integral_constantIbLb0EESW_EEDaSR_SS_EUlSR_E_NS1_11comp_targetILNS1_3genE8ELNS1_11target_archE1030ELNS1_3gpuE2ELNS1_3repE0EEENS1_30default_config_static_selectorELNS0_4arch9wavefront6targetE1EEEvT1_
                                        ; -- End function
	.section	.AMDGPU.csdata,"",@progbits
; Kernel info:
; codeLenInByte = 0
; NumSgprs: 4
; NumVgprs: 0
; NumAgprs: 0
; TotalNumVgprs: 0
; ScratchSize: 0
; MemoryBound: 0
; FloatMode: 240
; IeeeMode: 1
; LDSByteSize: 0 bytes/workgroup (compile time only)
; SGPRBlocks: 0
; VGPRBlocks: 0
; NumSGPRsForWavesPerEU: 4
; NumVGPRsForWavesPerEU: 1
; AccumOffset: 4
; Occupancy: 8
; WaveLimiterHint : 0
; COMPUTE_PGM_RSRC2:SCRATCH_EN: 0
; COMPUTE_PGM_RSRC2:USER_SGPR: 6
; COMPUTE_PGM_RSRC2:TRAP_HANDLER: 0
; COMPUTE_PGM_RSRC2:TGID_X_EN: 1
; COMPUTE_PGM_RSRC2:TGID_Y_EN: 0
; COMPUTE_PGM_RSRC2:TGID_Z_EN: 0
; COMPUTE_PGM_RSRC2:TIDIG_COMP_CNT: 0
; COMPUTE_PGM_RSRC3_GFX90A:ACCUM_OFFSET: 0
; COMPUTE_PGM_RSRC3_GFX90A:TG_SPLIT: 0
	.section	.text._ZN7rocprim17ROCPRIM_400000_NS6detail17trampoline_kernelINS0_14default_configENS1_25transform_config_selectorIfLb1EEEZNS1_14transform_implILb1ES3_S5_PfS7_NS0_8identityIfEEEE10hipError_tT2_T3_mT4_P12ihipStream_tbEUlT_E_NS1_11comp_targetILNS1_3genE0ELNS1_11target_archE4294967295ELNS1_3gpuE0ELNS1_3repE0EEENS1_30default_config_static_selectorELNS0_4arch9wavefront6targetE1EEEvT1_,"axG",@progbits,_ZN7rocprim17ROCPRIM_400000_NS6detail17trampoline_kernelINS0_14default_configENS1_25transform_config_selectorIfLb1EEEZNS1_14transform_implILb1ES3_S5_PfS7_NS0_8identityIfEEEE10hipError_tT2_T3_mT4_P12ihipStream_tbEUlT_E_NS1_11comp_targetILNS1_3genE0ELNS1_11target_archE4294967295ELNS1_3gpuE0ELNS1_3repE0EEENS1_30default_config_static_selectorELNS0_4arch9wavefront6targetE1EEEvT1_,comdat
	.protected	_ZN7rocprim17ROCPRIM_400000_NS6detail17trampoline_kernelINS0_14default_configENS1_25transform_config_selectorIfLb1EEEZNS1_14transform_implILb1ES3_S5_PfS7_NS0_8identityIfEEEE10hipError_tT2_T3_mT4_P12ihipStream_tbEUlT_E_NS1_11comp_targetILNS1_3genE0ELNS1_11target_archE4294967295ELNS1_3gpuE0ELNS1_3repE0EEENS1_30default_config_static_selectorELNS0_4arch9wavefront6targetE1EEEvT1_ ; -- Begin function _ZN7rocprim17ROCPRIM_400000_NS6detail17trampoline_kernelINS0_14default_configENS1_25transform_config_selectorIfLb1EEEZNS1_14transform_implILb1ES3_S5_PfS7_NS0_8identityIfEEEE10hipError_tT2_T3_mT4_P12ihipStream_tbEUlT_E_NS1_11comp_targetILNS1_3genE0ELNS1_11target_archE4294967295ELNS1_3gpuE0ELNS1_3repE0EEENS1_30default_config_static_selectorELNS0_4arch9wavefront6targetE1EEEvT1_
	.globl	_ZN7rocprim17ROCPRIM_400000_NS6detail17trampoline_kernelINS0_14default_configENS1_25transform_config_selectorIfLb1EEEZNS1_14transform_implILb1ES3_S5_PfS7_NS0_8identityIfEEEE10hipError_tT2_T3_mT4_P12ihipStream_tbEUlT_E_NS1_11comp_targetILNS1_3genE0ELNS1_11target_archE4294967295ELNS1_3gpuE0ELNS1_3repE0EEENS1_30default_config_static_selectorELNS0_4arch9wavefront6targetE1EEEvT1_
	.p2align	8
	.type	_ZN7rocprim17ROCPRIM_400000_NS6detail17trampoline_kernelINS0_14default_configENS1_25transform_config_selectorIfLb1EEEZNS1_14transform_implILb1ES3_S5_PfS7_NS0_8identityIfEEEE10hipError_tT2_T3_mT4_P12ihipStream_tbEUlT_E_NS1_11comp_targetILNS1_3genE0ELNS1_11target_archE4294967295ELNS1_3gpuE0ELNS1_3repE0EEENS1_30default_config_static_selectorELNS0_4arch9wavefront6targetE1EEEvT1_,@function
_ZN7rocprim17ROCPRIM_400000_NS6detail17trampoline_kernelINS0_14default_configENS1_25transform_config_selectorIfLb1EEEZNS1_14transform_implILb1ES3_S5_PfS7_NS0_8identityIfEEEE10hipError_tT2_T3_mT4_P12ihipStream_tbEUlT_E_NS1_11comp_targetILNS1_3genE0ELNS1_11target_archE4294967295ELNS1_3gpuE0ELNS1_3repE0EEENS1_30default_config_static_selectorELNS0_4arch9wavefront6targetE1EEEvT1_: ; @_ZN7rocprim17ROCPRIM_400000_NS6detail17trampoline_kernelINS0_14default_configENS1_25transform_config_selectorIfLb1EEEZNS1_14transform_implILb1ES3_S5_PfS7_NS0_8identityIfEEEE10hipError_tT2_T3_mT4_P12ihipStream_tbEUlT_E_NS1_11comp_targetILNS1_3genE0ELNS1_11target_archE4294967295ELNS1_3gpuE0ELNS1_3repE0EEENS1_30default_config_static_selectorELNS0_4arch9wavefront6targetE1EEEvT1_
; %bb.0:
	.section	.rodata,"a",@progbits
	.p2align	6, 0x0
	.amdhsa_kernel _ZN7rocprim17ROCPRIM_400000_NS6detail17trampoline_kernelINS0_14default_configENS1_25transform_config_selectorIfLb1EEEZNS1_14transform_implILb1ES3_S5_PfS7_NS0_8identityIfEEEE10hipError_tT2_T3_mT4_P12ihipStream_tbEUlT_E_NS1_11comp_targetILNS1_3genE0ELNS1_11target_archE4294967295ELNS1_3gpuE0ELNS1_3repE0EEENS1_30default_config_static_selectorELNS0_4arch9wavefront6targetE1EEEvT1_
		.amdhsa_group_segment_fixed_size 0
		.amdhsa_private_segment_fixed_size 0
		.amdhsa_kernarg_size 40
		.amdhsa_user_sgpr_count 6
		.amdhsa_user_sgpr_private_segment_buffer 1
		.amdhsa_user_sgpr_dispatch_ptr 0
		.amdhsa_user_sgpr_queue_ptr 0
		.amdhsa_user_sgpr_kernarg_segment_ptr 1
		.amdhsa_user_sgpr_dispatch_id 0
		.amdhsa_user_sgpr_flat_scratch_init 0
		.amdhsa_user_sgpr_kernarg_preload_length 0
		.amdhsa_user_sgpr_kernarg_preload_offset 0
		.amdhsa_user_sgpr_private_segment_size 0
		.amdhsa_uses_dynamic_stack 0
		.amdhsa_system_sgpr_private_segment_wavefront_offset 0
		.amdhsa_system_sgpr_workgroup_id_x 1
		.amdhsa_system_sgpr_workgroup_id_y 0
		.amdhsa_system_sgpr_workgroup_id_z 0
		.amdhsa_system_sgpr_workgroup_info 0
		.amdhsa_system_vgpr_workitem_id 0
		.amdhsa_next_free_vgpr 1
		.amdhsa_next_free_sgpr 0
		.amdhsa_accum_offset 4
		.amdhsa_reserve_vcc 0
		.amdhsa_reserve_flat_scratch 0
		.amdhsa_float_round_mode_32 0
		.amdhsa_float_round_mode_16_64 0
		.amdhsa_float_denorm_mode_32 3
		.amdhsa_float_denorm_mode_16_64 3
		.amdhsa_dx10_clamp 1
		.amdhsa_ieee_mode 1
		.amdhsa_fp16_overflow 0
		.amdhsa_tg_split 0
		.amdhsa_exception_fp_ieee_invalid_op 0
		.amdhsa_exception_fp_denorm_src 0
		.amdhsa_exception_fp_ieee_div_zero 0
		.amdhsa_exception_fp_ieee_overflow 0
		.amdhsa_exception_fp_ieee_underflow 0
		.amdhsa_exception_fp_ieee_inexact 0
		.amdhsa_exception_int_div_zero 0
	.end_amdhsa_kernel
	.section	.text._ZN7rocprim17ROCPRIM_400000_NS6detail17trampoline_kernelINS0_14default_configENS1_25transform_config_selectorIfLb1EEEZNS1_14transform_implILb1ES3_S5_PfS7_NS0_8identityIfEEEE10hipError_tT2_T3_mT4_P12ihipStream_tbEUlT_E_NS1_11comp_targetILNS1_3genE0ELNS1_11target_archE4294967295ELNS1_3gpuE0ELNS1_3repE0EEENS1_30default_config_static_selectorELNS0_4arch9wavefront6targetE1EEEvT1_,"axG",@progbits,_ZN7rocprim17ROCPRIM_400000_NS6detail17trampoline_kernelINS0_14default_configENS1_25transform_config_selectorIfLb1EEEZNS1_14transform_implILb1ES3_S5_PfS7_NS0_8identityIfEEEE10hipError_tT2_T3_mT4_P12ihipStream_tbEUlT_E_NS1_11comp_targetILNS1_3genE0ELNS1_11target_archE4294967295ELNS1_3gpuE0ELNS1_3repE0EEENS1_30default_config_static_selectorELNS0_4arch9wavefront6targetE1EEEvT1_,comdat
.Lfunc_end97:
	.size	_ZN7rocprim17ROCPRIM_400000_NS6detail17trampoline_kernelINS0_14default_configENS1_25transform_config_selectorIfLb1EEEZNS1_14transform_implILb1ES3_S5_PfS7_NS0_8identityIfEEEE10hipError_tT2_T3_mT4_P12ihipStream_tbEUlT_E_NS1_11comp_targetILNS1_3genE0ELNS1_11target_archE4294967295ELNS1_3gpuE0ELNS1_3repE0EEENS1_30default_config_static_selectorELNS0_4arch9wavefront6targetE1EEEvT1_, .Lfunc_end97-_ZN7rocprim17ROCPRIM_400000_NS6detail17trampoline_kernelINS0_14default_configENS1_25transform_config_selectorIfLb1EEEZNS1_14transform_implILb1ES3_S5_PfS7_NS0_8identityIfEEEE10hipError_tT2_T3_mT4_P12ihipStream_tbEUlT_E_NS1_11comp_targetILNS1_3genE0ELNS1_11target_archE4294967295ELNS1_3gpuE0ELNS1_3repE0EEENS1_30default_config_static_selectorELNS0_4arch9wavefront6targetE1EEEvT1_
                                        ; -- End function
	.section	.AMDGPU.csdata,"",@progbits
; Kernel info:
; codeLenInByte = 0
; NumSgprs: 4
; NumVgprs: 0
; NumAgprs: 0
; TotalNumVgprs: 0
; ScratchSize: 0
; MemoryBound: 0
; FloatMode: 240
; IeeeMode: 1
; LDSByteSize: 0 bytes/workgroup (compile time only)
; SGPRBlocks: 0
; VGPRBlocks: 0
; NumSGPRsForWavesPerEU: 4
; NumVGPRsForWavesPerEU: 1
; AccumOffset: 4
; Occupancy: 8
; WaveLimiterHint : 0
; COMPUTE_PGM_RSRC2:SCRATCH_EN: 0
; COMPUTE_PGM_RSRC2:USER_SGPR: 6
; COMPUTE_PGM_RSRC2:TRAP_HANDLER: 0
; COMPUTE_PGM_RSRC2:TGID_X_EN: 1
; COMPUTE_PGM_RSRC2:TGID_Y_EN: 0
; COMPUTE_PGM_RSRC2:TGID_Z_EN: 0
; COMPUTE_PGM_RSRC2:TIDIG_COMP_CNT: 0
; COMPUTE_PGM_RSRC3_GFX90A:ACCUM_OFFSET: 0
; COMPUTE_PGM_RSRC3_GFX90A:TG_SPLIT: 0
	.section	.text._ZN7rocprim17ROCPRIM_400000_NS6detail17trampoline_kernelINS0_14default_configENS1_25transform_config_selectorIfLb1EEEZNS1_14transform_implILb1ES3_S5_PfS7_NS0_8identityIfEEEE10hipError_tT2_T3_mT4_P12ihipStream_tbEUlT_E_NS1_11comp_targetILNS1_3genE10ELNS1_11target_archE1201ELNS1_3gpuE5ELNS1_3repE0EEENS1_30default_config_static_selectorELNS0_4arch9wavefront6targetE1EEEvT1_,"axG",@progbits,_ZN7rocprim17ROCPRIM_400000_NS6detail17trampoline_kernelINS0_14default_configENS1_25transform_config_selectorIfLb1EEEZNS1_14transform_implILb1ES3_S5_PfS7_NS0_8identityIfEEEE10hipError_tT2_T3_mT4_P12ihipStream_tbEUlT_E_NS1_11comp_targetILNS1_3genE10ELNS1_11target_archE1201ELNS1_3gpuE5ELNS1_3repE0EEENS1_30default_config_static_selectorELNS0_4arch9wavefront6targetE1EEEvT1_,comdat
	.protected	_ZN7rocprim17ROCPRIM_400000_NS6detail17trampoline_kernelINS0_14default_configENS1_25transform_config_selectorIfLb1EEEZNS1_14transform_implILb1ES3_S5_PfS7_NS0_8identityIfEEEE10hipError_tT2_T3_mT4_P12ihipStream_tbEUlT_E_NS1_11comp_targetILNS1_3genE10ELNS1_11target_archE1201ELNS1_3gpuE5ELNS1_3repE0EEENS1_30default_config_static_selectorELNS0_4arch9wavefront6targetE1EEEvT1_ ; -- Begin function _ZN7rocprim17ROCPRIM_400000_NS6detail17trampoline_kernelINS0_14default_configENS1_25transform_config_selectorIfLb1EEEZNS1_14transform_implILb1ES3_S5_PfS7_NS0_8identityIfEEEE10hipError_tT2_T3_mT4_P12ihipStream_tbEUlT_E_NS1_11comp_targetILNS1_3genE10ELNS1_11target_archE1201ELNS1_3gpuE5ELNS1_3repE0EEENS1_30default_config_static_selectorELNS0_4arch9wavefront6targetE1EEEvT1_
	.globl	_ZN7rocprim17ROCPRIM_400000_NS6detail17trampoline_kernelINS0_14default_configENS1_25transform_config_selectorIfLb1EEEZNS1_14transform_implILb1ES3_S5_PfS7_NS0_8identityIfEEEE10hipError_tT2_T3_mT4_P12ihipStream_tbEUlT_E_NS1_11comp_targetILNS1_3genE10ELNS1_11target_archE1201ELNS1_3gpuE5ELNS1_3repE0EEENS1_30default_config_static_selectorELNS0_4arch9wavefront6targetE1EEEvT1_
	.p2align	8
	.type	_ZN7rocprim17ROCPRIM_400000_NS6detail17trampoline_kernelINS0_14default_configENS1_25transform_config_selectorIfLb1EEEZNS1_14transform_implILb1ES3_S5_PfS7_NS0_8identityIfEEEE10hipError_tT2_T3_mT4_P12ihipStream_tbEUlT_E_NS1_11comp_targetILNS1_3genE10ELNS1_11target_archE1201ELNS1_3gpuE5ELNS1_3repE0EEENS1_30default_config_static_selectorELNS0_4arch9wavefront6targetE1EEEvT1_,@function
_ZN7rocprim17ROCPRIM_400000_NS6detail17trampoline_kernelINS0_14default_configENS1_25transform_config_selectorIfLb1EEEZNS1_14transform_implILb1ES3_S5_PfS7_NS0_8identityIfEEEE10hipError_tT2_T3_mT4_P12ihipStream_tbEUlT_E_NS1_11comp_targetILNS1_3genE10ELNS1_11target_archE1201ELNS1_3gpuE5ELNS1_3repE0EEENS1_30default_config_static_selectorELNS0_4arch9wavefront6targetE1EEEvT1_: ; @_ZN7rocprim17ROCPRIM_400000_NS6detail17trampoline_kernelINS0_14default_configENS1_25transform_config_selectorIfLb1EEEZNS1_14transform_implILb1ES3_S5_PfS7_NS0_8identityIfEEEE10hipError_tT2_T3_mT4_P12ihipStream_tbEUlT_E_NS1_11comp_targetILNS1_3genE10ELNS1_11target_archE1201ELNS1_3gpuE5ELNS1_3repE0EEENS1_30default_config_static_selectorELNS0_4arch9wavefront6targetE1EEEvT1_
; %bb.0:
	.section	.rodata,"a",@progbits
	.p2align	6, 0x0
	.amdhsa_kernel _ZN7rocprim17ROCPRIM_400000_NS6detail17trampoline_kernelINS0_14default_configENS1_25transform_config_selectorIfLb1EEEZNS1_14transform_implILb1ES3_S5_PfS7_NS0_8identityIfEEEE10hipError_tT2_T3_mT4_P12ihipStream_tbEUlT_E_NS1_11comp_targetILNS1_3genE10ELNS1_11target_archE1201ELNS1_3gpuE5ELNS1_3repE0EEENS1_30default_config_static_selectorELNS0_4arch9wavefront6targetE1EEEvT1_
		.amdhsa_group_segment_fixed_size 0
		.amdhsa_private_segment_fixed_size 0
		.amdhsa_kernarg_size 40
		.amdhsa_user_sgpr_count 6
		.amdhsa_user_sgpr_private_segment_buffer 1
		.amdhsa_user_sgpr_dispatch_ptr 0
		.amdhsa_user_sgpr_queue_ptr 0
		.amdhsa_user_sgpr_kernarg_segment_ptr 1
		.amdhsa_user_sgpr_dispatch_id 0
		.amdhsa_user_sgpr_flat_scratch_init 0
		.amdhsa_user_sgpr_kernarg_preload_length 0
		.amdhsa_user_sgpr_kernarg_preload_offset 0
		.amdhsa_user_sgpr_private_segment_size 0
		.amdhsa_uses_dynamic_stack 0
		.amdhsa_system_sgpr_private_segment_wavefront_offset 0
		.amdhsa_system_sgpr_workgroup_id_x 1
		.amdhsa_system_sgpr_workgroup_id_y 0
		.amdhsa_system_sgpr_workgroup_id_z 0
		.amdhsa_system_sgpr_workgroup_info 0
		.amdhsa_system_vgpr_workitem_id 0
		.amdhsa_next_free_vgpr 1
		.amdhsa_next_free_sgpr 0
		.amdhsa_accum_offset 4
		.amdhsa_reserve_vcc 0
		.amdhsa_reserve_flat_scratch 0
		.amdhsa_float_round_mode_32 0
		.amdhsa_float_round_mode_16_64 0
		.amdhsa_float_denorm_mode_32 3
		.amdhsa_float_denorm_mode_16_64 3
		.amdhsa_dx10_clamp 1
		.amdhsa_ieee_mode 1
		.amdhsa_fp16_overflow 0
		.amdhsa_tg_split 0
		.amdhsa_exception_fp_ieee_invalid_op 0
		.amdhsa_exception_fp_denorm_src 0
		.amdhsa_exception_fp_ieee_div_zero 0
		.amdhsa_exception_fp_ieee_overflow 0
		.amdhsa_exception_fp_ieee_underflow 0
		.amdhsa_exception_fp_ieee_inexact 0
		.amdhsa_exception_int_div_zero 0
	.end_amdhsa_kernel
	.section	.text._ZN7rocprim17ROCPRIM_400000_NS6detail17trampoline_kernelINS0_14default_configENS1_25transform_config_selectorIfLb1EEEZNS1_14transform_implILb1ES3_S5_PfS7_NS0_8identityIfEEEE10hipError_tT2_T3_mT4_P12ihipStream_tbEUlT_E_NS1_11comp_targetILNS1_3genE10ELNS1_11target_archE1201ELNS1_3gpuE5ELNS1_3repE0EEENS1_30default_config_static_selectorELNS0_4arch9wavefront6targetE1EEEvT1_,"axG",@progbits,_ZN7rocprim17ROCPRIM_400000_NS6detail17trampoline_kernelINS0_14default_configENS1_25transform_config_selectorIfLb1EEEZNS1_14transform_implILb1ES3_S5_PfS7_NS0_8identityIfEEEE10hipError_tT2_T3_mT4_P12ihipStream_tbEUlT_E_NS1_11comp_targetILNS1_3genE10ELNS1_11target_archE1201ELNS1_3gpuE5ELNS1_3repE0EEENS1_30default_config_static_selectorELNS0_4arch9wavefront6targetE1EEEvT1_,comdat
.Lfunc_end98:
	.size	_ZN7rocprim17ROCPRIM_400000_NS6detail17trampoline_kernelINS0_14default_configENS1_25transform_config_selectorIfLb1EEEZNS1_14transform_implILb1ES3_S5_PfS7_NS0_8identityIfEEEE10hipError_tT2_T3_mT4_P12ihipStream_tbEUlT_E_NS1_11comp_targetILNS1_3genE10ELNS1_11target_archE1201ELNS1_3gpuE5ELNS1_3repE0EEENS1_30default_config_static_selectorELNS0_4arch9wavefront6targetE1EEEvT1_, .Lfunc_end98-_ZN7rocprim17ROCPRIM_400000_NS6detail17trampoline_kernelINS0_14default_configENS1_25transform_config_selectorIfLb1EEEZNS1_14transform_implILb1ES3_S5_PfS7_NS0_8identityIfEEEE10hipError_tT2_T3_mT4_P12ihipStream_tbEUlT_E_NS1_11comp_targetILNS1_3genE10ELNS1_11target_archE1201ELNS1_3gpuE5ELNS1_3repE0EEENS1_30default_config_static_selectorELNS0_4arch9wavefront6targetE1EEEvT1_
                                        ; -- End function
	.section	.AMDGPU.csdata,"",@progbits
; Kernel info:
; codeLenInByte = 0
; NumSgprs: 4
; NumVgprs: 0
; NumAgprs: 0
; TotalNumVgprs: 0
; ScratchSize: 0
; MemoryBound: 0
; FloatMode: 240
; IeeeMode: 1
; LDSByteSize: 0 bytes/workgroup (compile time only)
; SGPRBlocks: 0
; VGPRBlocks: 0
; NumSGPRsForWavesPerEU: 4
; NumVGPRsForWavesPerEU: 1
; AccumOffset: 4
; Occupancy: 8
; WaveLimiterHint : 0
; COMPUTE_PGM_RSRC2:SCRATCH_EN: 0
; COMPUTE_PGM_RSRC2:USER_SGPR: 6
; COMPUTE_PGM_RSRC2:TRAP_HANDLER: 0
; COMPUTE_PGM_RSRC2:TGID_X_EN: 1
; COMPUTE_PGM_RSRC2:TGID_Y_EN: 0
; COMPUTE_PGM_RSRC2:TGID_Z_EN: 0
; COMPUTE_PGM_RSRC2:TIDIG_COMP_CNT: 0
; COMPUTE_PGM_RSRC3_GFX90A:ACCUM_OFFSET: 0
; COMPUTE_PGM_RSRC3_GFX90A:TG_SPLIT: 0
	.section	.text._ZN7rocprim17ROCPRIM_400000_NS6detail17trampoline_kernelINS0_14default_configENS1_25transform_config_selectorIfLb1EEEZNS1_14transform_implILb1ES3_S5_PfS7_NS0_8identityIfEEEE10hipError_tT2_T3_mT4_P12ihipStream_tbEUlT_E_NS1_11comp_targetILNS1_3genE5ELNS1_11target_archE942ELNS1_3gpuE9ELNS1_3repE0EEENS1_30default_config_static_selectorELNS0_4arch9wavefront6targetE1EEEvT1_,"axG",@progbits,_ZN7rocprim17ROCPRIM_400000_NS6detail17trampoline_kernelINS0_14default_configENS1_25transform_config_selectorIfLb1EEEZNS1_14transform_implILb1ES3_S5_PfS7_NS0_8identityIfEEEE10hipError_tT2_T3_mT4_P12ihipStream_tbEUlT_E_NS1_11comp_targetILNS1_3genE5ELNS1_11target_archE942ELNS1_3gpuE9ELNS1_3repE0EEENS1_30default_config_static_selectorELNS0_4arch9wavefront6targetE1EEEvT1_,comdat
	.protected	_ZN7rocprim17ROCPRIM_400000_NS6detail17trampoline_kernelINS0_14default_configENS1_25transform_config_selectorIfLb1EEEZNS1_14transform_implILb1ES3_S5_PfS7_NS0_8identityIfEEEE10hipError_tT2_T3_mT4_P12ihipStream_tbEUlT_E_NS1_11comp_targetILNS1_3genE5ELNS1_11target_archE942ELNS1_3gpuE9ELNS1_3repE0EEENS1_30default_config_static_selectorELNS0_4arch9wavefront6targetE1EEEvT1_ ; -- Begin function _ZN7rocprim17ROCPRIM_400000_NS6detail17trampoline_kernelINS0_14default_configENS1_25transform_config_selectorIfLb1EEEZNS1_14transform_implILb1ES3_S5_PfS7_NS0_8identityIfEEEE10hipError_tT2_T3_mT4_P12ihipStream_tbEUlT_E_NS1_11comp_targetILNS1_3genE5ELNS1_11target_archE942ELNS1_3gpuE9ELNS1_3repE0EEENS1_30default_config_static_selectorELNS0_4arch9wavefront6targetE1EEEvT1_
	.globl	_ZN7rocprim17ROCPRIM_400000_NS6detail17trampoline_kernelINS0_14default_configENS1_25transform_config_selectorIfLb1EEEZNS1_14transform_implILb1ES3_S5_PfS7_NS0_8identityIfEEEE10hipError_tT2_T3_mT4_P12ihipStream_tbEUlT_E_NS1_11comp_targetILNS1_3genE5ELNS1_11target_archE942ELNS1_3gpuE9ELNS1_3repE0EEENS1_30default_config_static_selectorELNS0_4arch9wavefront6targetE1EEEvT1_
	.p2align	8
	.type	_ZN7rocprim17ROCPRIM_400000_NS6detail17trampoline_kernelINS0_14default_configENS1_25transform_config_selectorIfLb1EEEZNS1_14transform_implILb1ES3_S5_PfS7_NS0_8identityIfEEEE10hipError_tT2_T3_mT4_P12ihipStream_tbEUlT_E_NS1_11comp_targetILNS1_3genE5ELNS1_11target_archE942ELNS1_3gpuE9ELNS1_3repE0EEENS1_30default_config_static_selectorELNS0_4arch9wavefront6targetE1EEEvT1_,@function
_ZN7rocprim17ROCPRIM_400000_NS6detail17trampoline_kernelINS0_14default_configENS1_25transform_config_selectorIfLb1EEEZNS1_14transform_implILb1ES3_S5_PfS7_NS0_8identityIfEEEE10hipError_tT2_T3_mT4_P12ihipStream_tbEUlT_E_NS1_11comp_targetILNS1_3genE5ELNS1_11target_archE942ELNS1_3gpuE9ELNS1_3repE0EEENS1_30default_config_static_selectorELNS0_4arch9wavefront6targetE1EEEvT1_: ; @_ZN7rocprim17ROCPRIM_400000_NS6detail17trampoline_kernelINS0_14default_configENS1_25transform_config_selectorIfLb1EEEZNS1_14transform_implILb1ES3_S5_PfS7_NS0_8identityIfEEEE10hipError_tT2_T3_mT4_P12ihipStream_tbEUlT_E_NS1_11comp_targetILNS1_3genE5ELNS1_11target_archE942ELNS1_3gpuE9ELNS1_3repE0EEENS1_30default_config_static_selectorELNS0_4arch9wavefront6targetE1EEEvT1_
; %bb.0:
	.section	.rodata,"a",@progbits
	.p2align	6, 0x0
	.amdhsa_kernel _ZN7rocprim17ROCPRIM_400000_NS6detail17trampoline_kernelINS0_14default_configENS1_25transform_config_selectorIfLb1EEEZNS1_14transform_implILb1ES3_S5_PfS7_NS0_8identityIfEEEE10hipError_tT2_T3_mT4_P12ihipStream_tbEUlT_E_NS1_11comp_targetILNS1_3genE5ELNS1_11target_archE942ELNS1_3gpuE9ELNS1_3repE0EEENS1_30default_config_static_selectorELNS0_4arch9wavefront6targetE1EEEvT1_
		.amdhsa_group_segment_fixed_size 0
		.amdhsa_private_segment_fixed_size 0
		.amdhsa_kernarg_size 40
		.amdhsa_user_sgpr_count 6
		.amdhsa_user_sgpr_private_segment_buffer 1
		.amdhsa_user_sgpr_dispatch_ptr 0
		.amdhsa_user_sgpr_queue_ptr 0
		.amdhsa_user_sgpr_kernarg_segment_ptr 1
		.amdhsa_user_sgpr_dispatch_id 0
		.amdhsa_user_sgpr_flat_scratch_init 0
		.amdhsa_user_sgpr_kernarg_preload_length 0
		.amdhsa_user_sgpr_kernarg_preload_offset 0
		.amdhsa_user_sgpr_private_segment_size 0
		.amdhsa_uses_dynamic_stack 0
		.amdhsa_system_sgpr_private_segment_wavefront_offset 0
		.amdhsa_system_sgpr_workgroup_id_x 1
		.amdhsa_system_sgpr_workgroup_id_y 0
		.amdhsa_system_sgpr_workgroup_id_z 0
		.amdhsa_system_sgpr_workgroup_info 0
		.amdhsa_system_vgpr_workitem_id 0
		.amdhsa_next_free_vgpr 1
		.amdhsa_next_free_sgpr 0
		.amdhsa_accum_offset 4
		.amdhsa_reserve_vcc 0
		.amdhsa_reserve_flat_scratch 0
		.amdhsa_float_round_mode_32 0
		.amdhsa_float_round_mode_16_64 0
		.amdhsa_float_denorm_mode_32 3
		.amdhsa_float_denorm_mode_16_64 3
		.amdhsa_dx10_clamp 1
		.amdhsa_ieee_mode 1
		.amdhsa_fp16_overflow 0
		.amdhsa_tg_split 0
		.amdhsa_exception_fp_ieee_invalid_op 0
		.amdhsa_exception_fp_denorm_src 0
		.amdhsa_exception_fp_ieee_div_zero 0
		.amdhsa_exception_fp_ieee_overflow 0
		.amdhsa_exception_fp_ieee_underflow 0
		.amdhsa_exception_fp_ieee_inexact 0
		.amdhsa_exception_int_div_zero 0
	.end_amdhsa_kernel
	.section	.text._ZN7rocprim17ROCPRIM_400000_NS6detail17trampoline_kernelINS0_14default_configENS1_25transform_config_selectorIfLb1EEEZNS1_14transform_implILb1ES3_S5_PfS7_NS0_8identityIfEEEE10hipError_tT2_T3_mT4_P12ihipStream_tbEUlT_E_NS1_11comp_targetILNS1_3genE5ELNS1_11target_archE942ELNS1_3gpuE9ELNS1_3repE0EEENS1_30default_config_static_selectorELNS0_4arch9wavefront6targetE1EEEvT1_,"axG",@progbits,_ZN7rocprim17ROCPRIM_400000_NS6detail17trampoline_kernelINS0_14default_configENS1_25transform_config_selectorIfLb1EEEZNS1_14transform_implILb1ES3_S5_PfS7_NS0_8identityIfEEEE10hipError_tT2_T3_mT4_P12ihipStream_tbEUlT_E_NS1_11comp_targetILNS1_3genE5ELNS1_11target_archE942ELNS1_3gpuE9ELNS1_3repE0EEENS1_30default_config_static_selectorELNS0_4arch9wavefront6targetE1EEEvT1_,comdat
.Lfunc_end99:
	.size	_ZN7rocprim17ROCPRIM_400000_NS6detail17trampoline_kernelINS0_14default_configENS1_25transform_config_selectorIfLb1EEEZNS1_14transform_implILb1ES3_S5_PfS7_NS0_8identityIfEEEE10hipError_tT2_T3_mT4_P12ihipStream_tbEUlT_E_NS1_11comp_targetILNS1_3genE5ELNS1_11target_archE942ELNS1_3gpuE9ELNS1_3repE0EEENS1_30default_config_static_selectorELNS0_4arch9wavefront6targetE1EEEvT1_, .Lfunc_end99-_ZN7rocprim17ROCPRIM_400000_NS6detail17trampoline_kernelINS0_14default_configENS1_25transform_config_selectorIfLb1EEEZNS1_14transform_implILb1ES3_S5_PfS7_NS0_8identityIfEEEE10hipError_tT2_T3_mT4_P12ihipStream_tbEUlT_E_NS1_11comp_targetILNS1_3genE5ELNS1_11target_archE942ELNS1_3gpuE9ELNS1_3repE0EEENS1_30default_config_static_selectorELNS0_4arch9wavefront6targetE1EEEvT1_
                                        ; -- End function
	.section	.AMDGPU.csdata,"",@progbits
; Kernel info:
; codeLenInByte = 0
; NumSgprs: 4
; NumVgprs: 0
; NumAgprs: 0
; TotalNumVgprs: 0
; ScratchSize: 0
; MemoryBound: 0
; FloatMode: 240
; IeeeMode: 1
; LDSByteSize: 0 bytes/workgroup (compile time only)
; SGPRBlocks: 0
; VGPRBlocks: 0
; NumSGPRsForWavesPerEU: 4
; NumVGPRsForWavesPerEU: 1
; AccumOffset: 4
; Occupancy: 8
; WaveLimiterHint : 0
; COMPUTE_PGM_RSRC2:SCRATCH_EN: 0
; COMPUTE_PGM_RSRC2:USER_SGPR: 6
; COMPUTE_PGM_RSRC2:TRAP_HANDLER: 0
; COMPUTE_PGM_RSRC2:TGID_X_EN: 1
; COMPUTE_PGM_RSRC2:TGID_Y_EN: 0
; COMPUTE_PGM_RSRC2:TGID_Z_EN: 0
; COMPUTE_PGM_RSRC2:TIDIG_COMP_CNT: 0
; COMPUTE_PGM_RSRC3_GFX90A:ACCUM_OFFSET: 0
; COMPUTE_PGM_RSRC3_GFX90A:TG_SPLIT: 0
	.section	.text._ZN7rocprim17ROCPRIM_400000_NS6detail17trampoline_kernelINS0_14default_configENS1_25transform_config_selectorIfLb1EEEZNS1_14transform_implILb1ES3_S5_PfS7_NS0_8identityIfEEEE10hipError_tT2_T3_mT4_P12ihipStream_tbEUlT_E_NS1_11comp_targetILNS1_3genE4ELNS1_11target_archE910ELNS1_3gpuE8ELNS1_3repE0EEENS1_30default_config_static_selectorELNS0_4arch9wavefront6targetE1EEEvT1_,"axG",@progbits,_ZN7rocprim17ROCPRIM_400000_NS6detail17trampoline_kernelINS0_14default_configENS1_25transform_config_selectorIfLb1EEEZNS1_14transform_implILb1ES3_S5_PfS7_NS0_8identityIfEEEE10hipError_tT2_T3_mT4_P12ihipStream_tbEUlT_E_NS1_11comp_targetILNS1_3genE4ELNS1_11target_archE910ELNS1_3gpuE8ELNS1_3repE0EEENS1_30default_config_static_selectorELNS0_4arch9wavefront6targetE1EEEvT1_,comdat
	.protected	_ZN7rocprim17ROCPRIM_400000_NS6detail17trampoline_kernelINS0_14default_configENS1_25transform_config_selectorIfLb1EEEZNS1_14transform_implILb1ES3_S5_PfS7_NS0_8identityIfEEEE10hipError_tT2_T3_mT4_P12ihipStream_tbEUlT_E_NS1_11comp_targetILNS1_3genE4ELNS1_11target_archE910ELNS1_3gpuE8ELNS1_3repE0EEENS1_30default_config_static_selectorELNS0_4arch9wavefront6targetE1EEEvT1_ ; -- Begin function _ZN7rocprim17ROCPRIM_400000_NS6detail17trampoline_kernelINS0_14default_configENS1_25transform_config_selectorIfLb1EEEZNS1_14transform_implILb1ES3_S5_PfS7_NS0_8identityIfEEEE10hipError_tT2_T3_mT4_P12ihipStream_tbEUlT_E_NS1_11comp_targetILNS1_3genE4ELNS1_11target_archE910ELNS1_3gpuE8ELNS1_3repE0EEENS1_30default_config_static_selectorELNS0_4arch9wavefront6targetE1EEEvT1_
	.globl	_ZN7rocprim17ROCPRIM_400000_NS6detail17trampoline_kernelINS0_14default_configENS1_25transform_config_selectorIfLb1EEEZNS1_14transform_implILb1ES3_S5_PfS7_NS0_8identityIfEEEE10hipError_tT2_T3_mT4_P12ihipStream_tbEUlT_E_NS1_11comp_targetILNS1_3genE4ELNS1_11target_archE910ELNS1_3gpuE8ELNS1_3repE0EEENS1_30default_config_static_selectorELNS0_4arch9wavefront6targetE1EEEvT1_
	.p2align	8
	.type	_ZN7rocprim17ROCPRIM_400000_NS6detail17trampoline_kernelINS0_14default_configENS1_25transform_config_selectorIfLb1EEEZNS1_14transform_implILb1ES3_S5_PfS7_NS0_8identityIfEEEE10hipError_tT2_T3_mT4_P12ihipStream_tbEUlT_E_NS1_11comp_targetILNS1_3genE4ELNS1_11target_archE910ELNS1_3gpuE8ELNS1_3repE0EEENS1_30default_config_static_selectorELNS0_4arch9wavefront6targetE1EEEvT1_,@function
_ZN7rocprim17ROCPRIM_400000_NS6detail17trampoline_kernelINS0_14default_configENS1_25transform_config_selectorIfLb1EEEZNS1_14transform_implILb1ES3_S5_PfS7_NS0_8identityIfEEEE10hipError_tT2_T3_mT4_P12ihipStream_tbEUlT_E_NS1_11comp_targetILNS1_3genE4ELNS1_11target_archE910ELNS1_3gpuE8ELNS1_3repE0EEENS1_30default_config_static_selectorELNS0_4arch9wavefront6targetE1EEEvT1_: ; @_ZN7rocprim17ROCPRIM_400000_NS6detail17trampoline_kernelINS0_14default_configENS1_25transform_config_selectorIfLb1EEEZNS1_14transform_implILb1ES3_S5_PfS7_NS0_8identityIfEEEE10hipError_tT2_T3_mT4_P12ihipStream_tbEUlT_E_NS1_11comp_targetILNS1_3genE4ELNS1_11target_archE910ELNS1_3gpuE8ELNS1_3repE0EEENS1_30default_config_static_selectorELNS0_4arch9wavefront6targetE1EEEvT1_
; %bb.0:
	s_load_dwordx8 s[8:15], s[4:5], 0x0
	s_load_dword s2, s[4:5], 0x28
	s_waitcnt lgkmcnt(0)
	s_lshl_b64 s[0:1], s[10:11], 2
	s_add_u32 s3, s8, s0
	s_addc_u32 s4, s9, s1
	s_add_u32 s13, s14, s0
	s_addc_u32 s14, s15, s1
	s_lshl_b32 s0, s6, 12
	s_mov_b32 s1, 0
	s_add_i32 s2, s2, -1
	s_lshl_b64 s[8:9], s[0:1], 2
	s_add_u32 s10, s3, s8
	s_addc_u32 s11, s4, s9
	s_cmp_lg_u32 s6, s2
	s_mov_b64 s[2:3], -1
	s_cbranch_scc0 .LBB100_2
; %bb.1:
	v_lshlrev_b32_e32 v1, 4, v0
	global_load_dwordx4 v[2:5], v1, s[10:11]
	s_add_u32 s2, s13, s8
	s_addc_u32 s3, s14, s9
	s_waitcnt vmcnt(0)
	global_store_dwordx4 v1, v[2:5], s[2:3]
	s_mov_b64 s[2:3], 0
.LBB100_2:
	s_andn2_b64 vcc, exec, s[2:3]
	s_cbranch_vccnz .LBB100_16
; %bb.3:
	s_sub_i32 s6, s12, s0
	v_cmp_gt_u32_e32 vcc, s6, v0
	v_lshlrev_b32_e32 v1, 2, v0
                                        ; implicit-def: $vgpr2_vgpr3_vgpr4_vgpr5
	s_and_saveexec_b64 s[0:1], vcc
	s_cbranch_execz .LBB100_5
; %bb.4:
	global_load_dword v2, v1, s[10:11]
.LBB100_5:
	s_or_b64 exec, exec, s[0:1]
	v_or_b32_e32 v6, 0x400, v0
	v_cmp_gt_u32_e64 s[4:5], s6, v6
	s_and_saveexec_b64 s[0:1], s[4:5]
	s_cbranch_execz .LBB100_7
; %bb.6:
	v_lshlrev_b32_e32 v3, 2, v6
	global_load_dword v3, v3, s[10:11]
.LBB100_7:
	s_or_b64 exec, exec, s[0:1]
	v_or_b32_e32 v6, 0x800, v0
	v_cmp_gt_u32_e64 s[0:1], s6, v6
	s_and_saveexec_b64 s[2:3], s[0:1]
	s_cbranch_execz .LBB100_9
; %bb.8:
	v_lshlrev_b32_e32 v4, 2, v6
	global_load_dword v4, v4, s[10:11]
.LBB100_9:
	;; [unrolled: 9-line block ×3, first 2 shown]
	s_or_b64 exec, exec, s[6:7]
	s_add_u32 s6, s13, s8
	s_addc_u32 s7, s14, s9
	v_mov_b32_e32 v6, s7
	v_add_co_u32_e64 v0, s[6:7], s6, v1
	v_addc_co_u32_e64 v1, s[6:7], 0, v6, s[6:7]
	s_and_saveexec_b64 s[6:7], vcc
	s_cbranch_execnz .LBB100_17
; %bb.12:
	s_or_b64 exec, exec, s[6:7]
	s_and_saveexec_b64 s[6:7], s[4:5]
	s_cbranch_execnz .LBB100_18
.LBB100_13:
	s_or_b64 exec, exec, s[6:7]
	s_and_saveexec_b64 s[4:5], s[0:1]
	s_cbranch_execnz .LBB100_19
.LBB100_14:
	s_or_b64 exec, exec, s[4:5]
	s_and_saveexec_b64 s[0:1], s[2:3]
	s_cbranch_execz .LBB100_16
.LBB100_15:
	v_add_co_u32_e32 v0, vcc, 0x3000, v0
	s_waitcnt vmcnt(0)
	v_cndmask_b32_e64 v2, v5, v5, s[2:3]
	v_addc_co_u32_e32 v1, vcc, 0, v1, vcc
	global_store_dword v[0:1], v2, off
.LBB100_16:
	s_endpgm
.LBB100_17:
	s_waitcnt vmcnt(0)
	global_store_dword v[0:1], v2, off
	s_or_b64 exec, exec, s[6:7]
	s_and_saveexec_b64 s[6:7], s[4:5]
	s_cbranch_execz .LBB100_13
.LBB100_18:
	v_add_co_u32_e32 v6, vcc, 0x1000, v0
	v_addc_co_u32_e32 v7, vcc, 0, v1, vcc
	s_waitcnt vmcnt(0)
	global_store_dword v[6:7], v3, off
	s_or_b64 exec, exec, s[6:7]
	s_and_saveexec_b64 s[4:5], s[0:1]
	s_cbranch_execz .LBB100_14
.LBB100_19:
	s_waitcnt vmcnt(0)
	v_add_co_u32_e32 v2, vcc, 0x2000, v0
	v_cndmask_b32_e64 v4, v4, v4, s[0:1]
	v_addc_co_u32_e32 v3, vcc, 0, v1, vcc
	global_store_dword v[2:3], v4, off
	s_or_b64 exec, exec, s[4:5]
	s_and_saveexec_b64 s[0:1], s[2:3]
	s_cbranch_execnz .LBB100_15
	s_branch .LBB100_16
	.section	.rodata,"a",@progbits
	.p2align	6, 0x0
	.amdhsa_kernel _ZN7rocprim17ROCPRIM_400000_NS6detail17trampoline_kernelINS0_14default_configENS1_25transform_config_selectorIfLb1EEEZNS1_14transform_implILb1ES3_S5_PfS7_NS0_8identityIfEEEE10hipError_tT2_T3_mT4_P12ihipStream_tbEUlT_E_NS1_11comp_targetILNS1_3genE4ELNS1_11target_archE910ELNS1_3gpuE8ELNS1_3repE0EEENS1_30default_config_static_selectorELNS0_4arch9wavefront6targetE1EEEvT1_
		.amdhsa_group_segment_fixed_size 0
		.amdhsa_private_segment_fixed_size 0
		.amdhsa_kernarg_size 296
		.amdhsa_user_sgpr_count 6
		.amdhsa_user_sgpr_private_segment_buffer 1
		.amdhsa_user_sgpr_dispatch_ptr 0
		.amdhsa_user_sgpr_queue_ptr 0
		.amdhsa_user_sgpr_kernarg_segment_ptr 1
		.amdhsa_user_sgpr_dispatch_id 0
		.amdhsa_user_sgpr_flat_scratch_init 0
		.amdhsa_user_sgpr_kernarg_preload_length 0
		.amdhsa_user_sgpr_kernarg_preload_offset 0
		.amdhsa_user_sgpr_private_segment_size 0
		.amdhsa_uses_dynamic_stack 0
		.amdhsa_system_sgpr_private_segment_wavefront_offset 0
		.amdhsa_system_sgpr_workgroup_id_x 1
		.amdhsa_system_sgpr_workgroup_id_y 0
		.amdhsa_system_sgpr_workgroup_id_z 0
		.amdhsa_system_sgpr_workgroup_info 0
		.amdhsa_system_vgpr_workitem_id 0
		.amdhsa_next_free_vgpr 8
		.amdhsa_next_free_sgpr 16
		.amdhsa_accum_offset 8
		.amdhsa_reserve_vcc 1
		.amdhsa_reserve_flat_scratch 0
		.amdhsa_float_round_mode_32 0
		.amdhsa_float_round_mode_16_64 0
		.amdhsa_float_denorm_mode_32 3
		.amdhsa_float_denorm_mode_16_64 3
		.amdhsa_dx10_clamp 1
		.amdhsa_ieee_mode 1
		.amdhsa_fp16_overflow 0
		.amdhsa_tg_split 0
		.amdhsa_exception_fp_ieee_invalid_op 0
		.amdhsa_exception_fp_denorm_src 0
		.amdhsa_exception_fp_ieee_div_zero 0
		.amdhsa_exception_fp_ieee_overflow 0
		.amdhsa_exception_fp_ieee_underflow 0
		.amdhsa_exception_fp_ieee_inexact 0
		.amdhsa_exception_int_div_zero 0
	.end_amdhsa_kernel
	.section	.text._ZN7rocprim17ROCPRIM_400000_NS6detail17trampoline_kernelINS0_14default_configENS1_25transform_config_selectorIfLb1EEEZNS1_14transform_implILb1ES3_S5_PfS7_NS0_8identityIfEEEE10hipError_tT2_T3_mT4_P12ihipStream_tbEUlT_E_NS1_11comp_targetILNS1_3genE4ELNS1_11target_archE910ELNS1_3gpuE8ELNS1_3repE0EEENS1_30default_config_static_selectorELNS0_4arch9wavefront6targetE1EEEvT1_,"axG",@progbits,_ZN7rocprim17ROCPRIM_400000_NS6detail17trampoline_kernelINS0_14default_configENS1_25transform_config_selectorIfLb1EEEZNS1_14transform_implILb1ES3_S5_PfS7_NS0_8identityIfEEEE10hipError_tT2_T3_mT4_P12ihipStream_tbEUlT_E_NS1_11comp_targetILNS1_3genE4ELNS1_11target_archE910ELNS1_3gpuE8ELNS1_3repE0EEENS1_30default_config_static_selectorELNS0_4arch9wavefront6targetE1EEEvT1_,comdat
.Lfunc_end100:
	.size	_ZN7rocprim17ROCPRIM_400000_NS6detail17trampoline_kernelINS0_14default_configENS1_25transform_config_selectorIfLb1EEEZNS1_14transform_implILb1ES3_S5_PfS7_NS0_8identityIfEEEE10hipError_tT2_T3_mT4_P12ihipStream_tbEUlT_E_NS1_11comp_targetILNS1_3genE4ELNS1_11target_archE910ELNS1_3gpuE8ELNS1_3repE0EEENS1_30default_config_static_selectorELNS0_4arch9wavefront6targetE1EEEvT1_, .Lfunc_end100-_ZN7rocprim17ROCPRIM_400000_NS6detail17trampoline_kernelINS0_14default_configENS1_25transform_config_selectorIfLb1EEEZNS1_14transform_implILb1ES3_S5_PfS7_NS0_8identityIfEEEE10hipError_tT2_T3_mT4_P12ihipStream_tbEUlT_E_NS1_11comp_targetILNS1_3genE4ELNS1_11target_archE910ELNS1_3gpuE8ELNS1_3repE0EEENS1_30default_config_static_selectorELNS0_4arch9wavefront6targetE1EEEvT1_
                                        ; -- End function
	.section	.AMDGPU.csdata,"",@progbits
; Kernel info:
; codeLenInByte = 488
; NumSgprs: 20
; NumVgprs: 8
; NumAgprs: 0
; TotalNumVgprs: 8
; ScratchSize: 0
; MemoryBound: 1
; FloatMode: 240
; IeeeMode: 1
; LDSByteSize: 0 bytes/workgroup (compile time only)
; SGPRBlocks: 2
; VGPRBlocks: 0
; NumSGPRsForWavesPerEU: 20
; NumVGPRsForWavesPerEU: 8
; AccumOffset: 8
; Occupancy: 8
; WaveLimiterHint : 0
; COMPUTE_PGM_RSRC2:SCRATCH_EN: 0
; COMPUTE_PGM_RSRC2:USER_SGPR: 6
; COMPUTE_PGM_RSRC2:TRAP_HANDLER: 0
; COMPUTE_PGM_RSRC2:TGID_X_EN: 1
; COMPUTE_PGM_RSRC2:TGID_Y_EN: 0
; COMPUTE_PGM_RSRC2:TGID_Z_EN: 0
; COMPUTE_PGM_RSRC2:TIDIG_COMP_CNT: 0
; COMPUTE_PGM_RSRC3_GFX90A:ACCUM_OFFSET: 1
; COMPUTE_PGM_RSRC3_GFX90A:TG_SPLIT: 0
	.section	.text._ZN7rocprim17ROCPRIM_400000_NS6detail17trampoline_kernelINS0_14default_configENS1_25transform_config_selectorIfLb1EEEZNS1_14transform_implILb1ES3_S5_PfS7_NS0_8identityIfEEEE10hipError_tT2_T3_mT4_P12ihipStream_tbEUlT_E_NS1_11comp_targetILNS1_3genE3ELNS1_11target_archE908ELNS1_3gpuE7ELNS1_3repE0EEENS1_30default_config_static_selectorELNS0_4arch9wavefront6targetE1EEEvT1_,"axG",@progbits,_ZN7rocprim17ROCPRIM_400000_NS6detail17trampoline_kernelINS0_14default_configENS1_25transform_config_selectorIfLb1EEEZNS1_14transform_implILb1ES3_S5_PfS7_NS0_8identityIfEEEE10hipError_tT2_T3_mT4_P12ihipStream_tbEUlT_E_NS1_11comp_targetILNS1_3genE3ELNS1_11target_archE908ELNS1_3gpuE7ELNS1_3repE0EEENS1_30default_config_static_selectorELNS0_4arch9wavefront6targetE1EEEvT1_,comdat
	.protected	_ZN7rocprim17ROCPRIM_400000_NS6detail17trampoline_kernelINS0_14default_configENS1_25transform_config_selectorIfLb1EEEZNS1_14transform_implILb1ES3_S5_PfS7_NS0_8identityIfEEEE10hipError_tT2_T3_mT4_P12ihipStream_tbEUlT_E_NS1_11comp_targetILNS1_3genE3ELNS1_11target_archE908ELNS1_3gpuE7ELNS1_3repE0EEENS1_30default_config_static_selectorELNS0_4arch9wavefront6targetE1EEEvT1_ ; -- Begin function _ZN7rocprim17ROCPRIM_400000_NS6detail17trampoline_kernelINS0_14default_configENS1_25transform_config_selectorIfLb1EEEZNS1_14transform_implILb1ES3_S5_PfS7_NS0_8identityIfEEEE10hipError_tT2_T3_mT4_P12ihipStream_tbEUlT_E_NS1_11comp_targetILNS1_3genE3ELNS1_11target_archE908ELNS1_3gpuE7ELNS1_3repE0EEENS1_30default_config_static_selectorELNS0_4arch9wavefront6targetE1EEEvT1_
	.globl	_ZN7rocprim17ROCPRIM_400000_NS6detail17trampoline_kernelINS0_14default_configENS1_25transform_config_selectorIfLb1EEEZNS1_14transform_implILb1ES3_S5_PfS7_NS0_8identityIfEEEE10hipError_tT2_T3_mT4_P12ihipStream_tbEUlT_E_NS1_11comp_targetILNS1_3genE3ELNS1_11target_archE908ELNS1_3gpuE7ELNS1_3repE0EEENS1_30default_config_static_selectorELNS0_4arch9wavefront6targetE1EEEvT1_
	.p2align	8
	.type	_ZN7rocprim17ROCPRIM_400000_NS6detail17trampoline_kernelINS0_14default_configENS1_25transform_config_selectorIfLb1EEEZNS1_14transform_implILb1ES3_S5_PfS7_NS0_8identityIfEEEE10hipError_tT2_T3_mT4_P12ihipStream_tbEUlT_E_NS1_11comp_targetILNS1_3genE3ELNS1_11target_archE908ELNS1_3gpuE7ELNS1_3repE0EEENS1_30default_config_static_selectorELNS0_4arch9wavefront6targetE1EEEvT1_,@function
_ZN7rocprim17ROCPRIM_400000_NS6detail17trampoline_kernelINS0_14default_configENS1_25transform_config_selectorIfLb1EEEZNS1_14transform_implILb1ES3_S5_PfS7_NS0_8identityIfEEEE10hipError_tT2_T3_mT4_P12ihipStream_tbEUlT_E_NS1_11comp_targetILNS1_3genE3ELNS1_11target_archE908ELNS1_3gpuE7ELNS1_3repE0EEENS1_30default_config_static_selectorELNS0_4arch9wavefront6targetE1EEEvT1_: ; @_ZN7rocprim17ROCPRIM_400000_NS6detail17trampoline_kernelINS0_14default_configENS1_25transform_config_selectorIfLb1EEEZNS1_14transform_implILb1ES3_S5_PfS7_NS0_8identityIfEEEE10hipError_tT2_T3_mT4_P12ihipStream_tbEUlT_E_NS1_11comp_targetILNS1_3genE3ELNS1_11target_archE908ELNS1_3gpuE7ELNS1_3repE0EEENS1_30default_config_static_selectorELNS0_4arch9wavefront6targetE1EEEvT1_
; %bb.0:
	.section	.rodata,"a",@progbits
	.p2align	6, 0x0
	.amdhsa_kernel _ZN7rocprim17ROCPRIM_400000_NS6detail17trampoline_kernelINS0_14default_configENS1_25transform_config_selectorIfLb1EEEZNS1_14transform_implILb1ES3_S5_PfS7_NS0_8identityIfEEEE10hipError_tT2_T3_mT4_P12ihipStream_tbEUlT_E_NS1_11comp_targetILNS1_3genE3ELNS1_11target_archE908ELNS1_3gpuE7ELNS1_3repE0EEENS1_30default_config_static_selectorELNS0_4arch9wavefront6targetE1EEEvT1_
		.amdhsa_group_segment_fixed_size 0
		.amdhsa_private_segment_fixed_size 0
		.amdhsa_kernarg_size 40
		.amdhsa_user_sgpr_count 6
		.amdhsa_user_sgpr_private_segment_buffer 1
		.amdhsa_user_sgpr_dispatch_ptr 0
		.amdhsa_user_sgpr_queue_ptr 0
		.amdhsa_user_sgpr_kernarg_segment_ptr 1
		.amdhsa_user_sgpr_dispatch_id 0
		.amdhsa_user_sgpr_flat_scratch_init 0
		.amdhsa_user_sgpr_kernarg_preload_length 0
		.amdhsa_user_sgpr_kernarg_preload_offset 0
		.amdhsa_user_sgpr_private_segment_size 0
		.amdhsa_uses_dynamic_stack 0
		.amdhsa_system_sgpr_private_segment_wavefront_offset 0
		.amdhsa_system_sgpr_workgroup_id_x 1
		.amdhsa_system_sgpr_workgroup_id_y 0
		.amdhsa_system_sgpr_workgroup_id_z 0
		.amdhsa_system_sgpr_workgroup_info 0
		.amdhsa_system_vgpr_workitem_id 0
		.amdhsa_next_free_vgpr 1
		.amdhsa_next_free_sgpr 0
		.amdhsa_accum_offset 4
		.amdhsa_reserve_vcc 0
		.amdhsa_reserve_flat_scratch 0
		.amdhsa_float_round_mode_32 0
		.amdhsa_float_round_mode_16_64 0
		.amdhsa_float_denorm_mode_32 3
		.amdhsa_float_denorm_mode_16_64 3
		.amdhsa_dx10_clamp 1
		.amdhsa_ieee_mode 1
		.amdhsa_fp16_overflow 0
		.amdhsa_tg_split 0
		.amdhsa_exception_fp_ieee_invalid_op 0
		.amdhsa_exception_fp_denorm_src 0
		.amdhsa_exception_fp_ieee_div_zero 0
		.amdhsa_exception_fp_ieee_overflow 0
		.amdhsa_exception_fp_ieee_underflow 0
		.amdhsa_exception_fp_ieee_inexact 0
		.amdhsa_exception_int_div_zero 0
	.end_amdhsa_kernel
	.section	.text._ZN7rocprim17ROCPRIM_400000_NS6detail17trampoline_kernelINS0_14default_configENS1_25transform_config_selectorIfLb1EEEZNS1_14transform_implILb1ES3_S5_PfS7_NS0_8identityIfEEEE10hipError_tT2_T3_mT4_P12ihipStream_tbEUlT_E_NS1_11comp_targetILNS1_3genE3ELNS1_11target_archE908ELNS1_3gpuE7ELNS1_3repE0EEENS1_30default_config_static_selectorELNS0_4arch9wavefront6targetE1EEEvT1_,"axG",@progbits,_ZN7rocprim17ROCPRIM_400000_NS6detail17trampoline_kernelINS0_14default_configENS1_25transform_config_selectorIfLb1EEEZNS1_14transform_implILb1ES3_S5_PfS7_NS0_8identityIfEEEE10hipError_tT2_T3_mT4_P12ihipStream_tbEUlT_E_NS1_11comp_targetILNS1_3genE3ELNS1_11target_archE908ELNS1_3gpuE7ELNS1_3repE0EEENS1_30default_config_static_selectorELNS0_4arch9wavefront6targetE1EEEvT1_,comdat
.Lfunc_end101:
	.size	_ZN7rocprim17ROCPRIM_400000_NS6detail17trampoline_kernelINS0_14default_configENS1_25transform_config_selectorIfLb1EEEZNS1_14transform_implILb1ES3_S5_PfS7_NS0_8identityIfEEEE10hipError_tT2_T3_mT4_P12ihipStream_tbEUlT_E_NS1_11comp_targetILNS1_3genE3ELNS1_11target_archE908ELNS1_3gpuE7ELNS1_3repE0EEENS1_30default_config_static_selectorELNS0_4arch9wavefront6targetE1EEEvT1_, .Lfunc_end101-_ZN7rocprim17ROCPRIM_400000_NS6detail17trampoline_kernelINS0_14default_configENS1_25transform_config_selectorIfLb1EEEZNS1_14transform_implILb1ES3_S5_PfS7_NS0_8identityIfEEEE10hipError_tT2_T3_mT4_P12ihipStream_tbEUlT_E_NS1_11comp_targetILNS1_3genE3ELNS1_11target_archE908ELNS1_3gpuE7ELNS1_3repE0EEENS1_30default_config_static_selectorELNS0_4arch9wavefront6targetE1EEEvT1_
                                        ; -- End function
	.section	.AMDGPU.csdata,"",@progbits
; Kernel info:
; codeLenInByte = 0
; NumSgprs: 4
; NumVgprs: 0
; NumAgprs: 0
; TotalNumVgprs: 0
; ScratchSize: 0
; MemoryBound: 0
; FloatMode: 240
; IeeeMode: 1
; LDSByteSize: 0 bytes/workgroup (compile time only)
; SGPRBlocks: 0
; VGPRBlocks: 0
; NumSGPRsForWavesPerEU: 4
; NumVGPRsForWavesPerEU: 1
; AccumOffset: 4
; Occupancy: 8
; WaveLimiterHint : 0
; COMPUTE_PGM_RSRC2:SCRATCH_EN: 0
; COMPUTE_PGM_RSRC2:USER_SGPR: 6
; COMPUTE_PGM_RSRC2:TRAP_HANDLER: 0
; COMPUTE_PGM_RSRC2:TGID_X_EN: 1
; COMPUTE_PGM_RSRC2:TGID_Y_EN: 0
; COMPUTE_PGM_RSRC2:TGID_Z_EN: 0
; COMPUTE_PGM_RSRC2:TIDIG_COMP_CNT: 0
; COMPUTE_PGM_RSRC3_GFX90A:ACCUM_OFFSET: 0
; COMPUTE_PGM_RSRC3_GFX90A:TG_SPLIT: 0
	.section	.text._ZN7rocprim17ROCPRIM_400000_NS6detail17trampoline_kernelINS0_14default_configENS1_25transform_config_selectorIfLb1EEEZNS1_14transform_implILb1ES3_S5_PfS7_NS0_8identityIfEEEE10hipError_tT2_T3_mT4_P12ihipStream_tbEUlT_E_NS1_11comp_targetILNS1_3genE2ELNS1_11target_archE906ELNS1_3gpuE6ELNS1_3repE0EEENS1_30default_config_static_selectorELNS0_4arch9wavefront6targetE1EEEvT1_,"axG",@progbits,_ZN7rocprim17ROCPRIM_400000_NS6detail17trampoline_kernelINS0_14default_configENS1_25transform_config_selectorIfLb1EEEZNS1_14transform_implILb1ES3_S5_PfS7_NS0_8identityIfEEEE10hipError_tT2_T3_mT4_P12ihipStream_tbEUlT_E_NS1_11comp_targetILNS1_3genE2ELNS1_11target_archE906ELNS1_3gpuE6ELNS1_3repE0EEENS1_30default_config_static_selectorELNS0_4arch9wavefront6targetE1EEEvT1_,comdat
	.protected	_ZN7rocprim17ROCPRIM_400000_NS6detail17trampoline_kernelINS0_14default_configENS1_25transform_config_selectorIfLb1EEEZNS1_14transform_implILb1ES3_S5_PfS7_NS0_8identityIfEEEE10hipError_tT2_T3_mT4_P12ihipStream_tbEUlT_E_NS1_11comp_targetILNS1_3genE2ELNS1_11target_archE906ELNS1_3gpuE6ELNS1_3repE0EEENS1_30default_config_static_selectorELNS0_4arch9wavefront6targetE1EEEvT1_ ; -- Begin function _ZN7rocprim17ROCPRIM_400000_NS6detail17trampoline_kernelINS0_14default_configENS1_25transform_config_selectorIfLb1EEEZNS1_14transform_implILb1ES3_S5_PfS7_NS0_8identityIfEEEE10hipError_tT2_T3_mT4_P12ihipStream_tbEUlT_E_NS1_11comp_targetILNS1_3genE2ELNS1_11target_archE906ELNS1_3gpuE6ELNS1_3repE0EEENS1_30default_config_static_selectorELNS0_4arch9wavefront6targetE1EEEvT1_
	.globl	_ZN7rocprim17ROCPRIM_400000_NS6detail17trampoline_kernelINS0_14default_configENS1_25transform_config_selectorIfLb1EEEZNS1_14transform_implILb1ES3_S5_PfS7_NS0_8identityIfEEEE10hipError_tT2_T3_mT4_P12ihipStream_tbEUlT_E_NS1_11comp_targetILNS1_3genE2ELNS1_11target_archE906ELNS1_3gpuE6ELNS1_3repE0EEENS1_30default_config_static_selectorELNS0_4arch9wavefront6targetE1EEEvT1_
	.p2align	8
	.type	_ZN7rocprim17ROCPRIM_400000_NS6detail17trampoline_kernelINS0_14default_configENS1_25transform_config_selectorIfLb1EEEZNS1_14transform_implILb1ES3_S5_PfS7_NS0_8identityIfEEEE10hipError_tT2_T3_mT4_P12ihipStream_tbEUlT_E_NS1_11comp_targetILNS1_3genE2ELNS1_11target_archE906ELNS1_3gpuE6ELNS1_3repE0EEENS1_30default_config_static_selectorELNS0_4arch9wavefront6targetE1EEEvT1_,@function
_ZN7rocprim17ROCPRIM_400000_NS6detail17trampoline_kernelINS0_14default_configENS1_25transform_config_selectorIfLb1EEEZNS1_14transform_implILb1ES3_S5_PfS7_NS0_8identityIfEEEE10hipError_tT2_T3_mT4_P12ihipStream_tbEUlT_E_NS1_11comp_targetILNS1_3genE2ELNS1_11target_archE906ELNS1_3gpuE6ELNS1_3repE0EEENS1_30default_config_static_selectorELNS0_4arch9wavefront6targetE1EEEvT1_: ; @_ZN7rocprim17ROCPRIM_400000_NS6detail17trampoline_kernelINS0_14default_configENS1_25transform_config_selectorIfLb1EEEZNS1_14transform_implILb1ES3_S5_PfS7_NS0_8identityIfEEEE10hipError_tT2_T3_mT4_P12ihipStream_tbEUlT_E_NS1_11comp_targetILNS1_3genE2ELNS1_11target_archE906ELNS1_3gpuE6ELNS1_3repE0EEENS1_30default_config_static_selectorELNS0_4arch9wavefront6targetE1EEEvT1_
; %bb.0:
	.section	.rodata,"a",@progbits
	.p2align	6, 0x0
	.amdhsa_kernel _ZN7rocprim17ROCPRIM_400000_NS6detail17trampoline_kernelINS0_14default_configENS1_25transform_config_selectorIfLb1EEEZNS1_14transform_implILb1ES3_S5_PfS7_NS0_8identityIfEEEE10hipError_tT2_T3_mT4_P12ihipStream_tbEUlT_E_NS1_11comp_targetILNS1_3genE2ELNS1_11target_archE906ELNS1_3gpuE6ELNS1_3repE0EEENS1_30default_config_static_selectorELNS0_4arch9wavefront6targetE1EEEvT1_
		.amdhsa_group_segment_fixed_size 0
		.amdhsa_private_segment_fixed_size 0
		.amdhsa_kernarg_size 40
		.amdhsa_user_sgpr_count 6
		.amdhsa_user_sgpr_private_segment_buffer 1
		.amdhsa_user_sgpr_dispatch_ptr 0
		.amdhsa_user_sgpr_queue_ptr 0
		.amdhsa_user_sgpr_kernarg_segment_ptr 1
		.amdhsa_user_sgpr_dispatch_id 0
		.amdhsa_user_sgpr_flat_scratch_init 0
		.amdhsa_user_sgpr_kernarg_preload_length 0
		.amdhsa_user_sgpr_kernarg_preload_offset 0
		.amdhsa_user_sgpr_private_segment_size 0
		.amdhsa_uses_dynamic_stack 0
		.amdhsa_system_sgpr_private_segment_wavefront_offset 0
		.amdhsa_system_sgpr_workgroup_id_x 1
		.amdhsa_system_sgpr_workgroup_id_y 0
		.amdhsa_system_sgpr_workgroup_id_z 0
		.amdhsa_system_sgpr_workgroup_info 0
		.amdhsa_system_vgpr_workitem_id 0
		.amdhsa_next_free_vgpr 1
		.amdhsa_next_free_sgpr 0
		.amdhsa_accum_offset 4
		.amdhsa_reserve_vcc 0
		.amdhsa_reserve_flat_scratch 0
		.amdhsa_float_round_mode_32 0
		.amdhsa_float_round_mode_16_64 0
		.amdhsa_float_denorm_mode_32 3
		.amdhsa_float_denorm_mode_16_64 3
		.amdhsa_dx10_clamp 1
		.amdhsa_ieee_mode 1
		.amdhsa_fp16_overflow 0
		.amdhsa_tg_split 0
		.amdhsa_exception_fp_ieee_invalid_op 0
		.amdhsa_exception_fp_denorm_src 0
		.amdhsa_exception_fp_ieee_div_zero 0
		.amdhsa_exception_fp_ieee_overflow 0
		.amdhsa_exception_fp_ieee_underflow 0
		.amdhsa_exception_fp_ieee_inexact 0
		.amdhsa_exception_int_div_zero 0
	.end_amdhsa_kernel
	.section	.text._ZN7rocprim17ROCPRIM_400000_NS6detail17trampoline_kernelINS0_14default_configENS1_25transform_config_selectorIfLb1EEEZNS1_14transform_implILb1ES3_S5_PfS7_NS0_8identityIfEEEE10hipError_tT2_T3_mT4_P12ihipStream_tbEUlT_E_NS1_11comp_targetILNS1_3genE2ELNS1_11target_archE906ELNS1_3gpuE6ELNS1_3repE0EEENS1_30default_config_static_selectorELNS0_4arch9wavefront6targetE1EEEvT1_,"axG",@progbits,_ZN7rocprim17ROCPRIM_400000_NS6detail17trampoline_kernelINS0_14default_configENS1_25transform_config_selectorIfLb1EEEZNS1_14transform_implILb1ES3_S5_PfS7_NS0_8identityIfEEEE10hipError_tT2_T3_mT4_P12ihipStream_tbEUlT_E_NS1_11comp_targetILNS1_3genE2ELNS1_11target_archE906ELNS1_3gpuE6ELNS1_3repE0EEENS1_30default_config_static_selectorELNS0_4arch9wavefront6targetE1EEEvT1_,comdat
.Lfunc_end102:
	.size	_ZN7rocprim17ROCPRIM_400000_NS6detail17trampoline_kernelINS0_14default_configENS1_25transform_config_selectorIfLb1EEEZNS1_14transform_implILb1ES3_S5_PfS7_NS0_8identityIfEEEE10hipError_tT2_T3_mT4_P12ihipStream_tbEUlT_E_NS1_11comp_targetILNS1_3genE2ELNS1_11target_archE906ELNS1_3gpuE6ELNS1_3repE0EEENS1_30default_config_static_selectorELNS0_4arch9wavefront6targetE1EEEvT1_, .Lfunc_end102-_ZN7rocprim17ROCPRIM_400000_NS6detail17trampoline_kernelINS0_14default_configENS1_25transform_config_selectorIfLb1EEEZNS1_14transform_implILb1ES3_S5_PfS7_NS0_8identityIfEEEE10hipError_tT2_T3_mT4_P12ihipStream_tbEUlT_E_NS1_11comp_targetILNS1_3genE2ELNS1_11target_archE906ELNS1_3gpuE6ELNS1_3repE0EEENS1_30default_config_static_selectorELNS0_4arch9wavefront6targetE1EEEvT1_
                                        ; -- End function
	.section	.AMDGPU.csdata,"",@progbits
; Kernel info:
; codeLenInByte = 0
; NumSgprs: 4
; NumVgprs: 0
; NumAgprs: 0
; TotalNumVgprs: 0
; ScratchSize: 0
; MemoryBound: 0
; FloatMode: 240
; IeeeMode: 1
; LDSByteSize: 0 bytes/workgroup (compile time only)
; SGPRBlocks: 0
; VGPRBlocks: 0
; NumSGPRsForWavesPerEU: 4
; NumVGPRsForWavesPerEU: 1
; AccumOffset: 4
; Occupancy: 8
; WaveLimiterHint : 0
; COMPUTE_PGM_RSRC2:SCRATCH_EN: 0
; COMPUTE_PGM_RSRC2:USER_SGPR: 6
; COMPUTE_PGM_RSRC2:TRAP_HANDLER: 0
; COMPUTE_PGM_RSRC2:TGID_X_EN: 1
; COMPUTE_PGM_RSRC2:TGID_Y_EN: 0
; COMPUTE_PGM_RSRC2:TGID_Z_EN: 0
; COMPUTE_PGM_RSRC2:TIDIG_COMP_CNT: 0
; COMPUTE_PGM_RSRC3_GFX90A:ACCUM_OFFSET: 0
; COMPUTE_PGM_RSRC3_GFX90A:TG_SPLIT: 0
	.section	.text._ZN7rocprim17ROCPRIM_400000_NS6detail17trampoline_kernelINS0_14default_configENS1_25transform_config_selectorIfLb1EEEZNS1_14transform_implILb1ES3_S5_PfS7_NS0_8identityIfEEEE10hipError_tT2_T3_mT4_P12ihipStream_tbEUlT_E_NS1_11comp_targetILNS1_3genE9ELNS1_11target_archE1100ELNS1_3gpuE3ELNS1_3repE0EEENS1_30default_config_static_selectorELNS0_4arch9wavefront6targetE1EEEvT1_,"axG",@progbits,_ZN7rocprim17ROCPRIM_400000_NS6detail17trampoline_kernelINS0_14default_configENS1_25transform_config_selectorIfLb1EEEZNS1_14transform_implILb1ES3_S5_PfS7_NS0_8identityIfEEEE10hipError_tT2_T3_mT4_P12ihipStream_tbEUlT_E_NS1_11comp_targetILNS1_3genE9ELNS1_11target_archE1100ELNS1_3gpuE3ELNS1_3repE0EEENS1_30default_config_static_selectorELNS0_4arch9wavefront6targetE1EEEvT1_,comdat
	.protected	_ZN7rocprim17ROCPRIM_400000_NS6detail17trampoline_kernelINS0_14default_configENS1_25transform_config_selectorIfLb1EEEZNS1_14transform_implILb1ES3_S5_PfS7_NS0_8identityIfEEEE10hipError_tT2_T3_mT4_P12ihipStream_tbEUlT_E_NS1_11comp_targetILNS1_3genE9ELNS1_11target_archE1100ELNS1_3gpuE3ELNS1_3repE0EEENS1_30default_config_static_selectorELNS0_4arch9wavefront6targetE1EEEvT1_ ; -- Begin function _ZN7rocprim17ROCPRIM_400000_NS6detail17trampoline_kernelINS0_14default_configENS1_25transform_config_selectorIfLb1EEEZNS1_14transform_implILb1ES3_S5_PfS7_NS0_8identityIfEEEE10hipError_tT2_T3_mT4_P12ihipStream_tbEUlT_E_NS1_11comp_targetILNS1_3genE9ELNS1_11target_archE1100ELNS1_3gpuE3ELNS1_3repE0EEENS1_30default_config_static_selectorELNS0_4arch9wavefront6targetE1EEEvT1_
	.globl	_ZN7rocprim17ROCPRIM_400000_NS6detail17trampoline_kernelINS0_14default_configENS1_25transform_config_selectorIfLb1EEEZNS1_14transform_implILb1ES3_S5_PfS7_NS0_8identityIfEEEE10hipError_tT2_T3_mT4_P12ihipStream_tbEUlT_E_NS1_11comp_targetILNS1_3genE9ELNS1_11target_archE1100ELNS1_3gpuE3ELNS1_3repE0EEENS1_30default_config_static_selectorELNS0_4arch9wavefront6targetE1EEEvT1_
	.p2align	8
	.type	_ZN7rocprim17ROCPRIM_400000_NS6detail17trampoline_kernelINS0_14default_configENS1_25transform_config_selectorIfLb1EEEZNS1_14transform_implILb1ES3_S5_PfS7_NS0_8identityIfEEEE10hipError_tT2_T3_mT4_P12ihipStream_tbEUlT_E_NS1_11comp_targetILNS1_3genE9ELNS1_11target_archE1100ELNS1_3gpuE3ELNS1_3repE0EEENS1_30default_config_static_selectorELNS0_4arch9wavefront6targetE1EEEvT1_,@function
_ZN7rocprim17ROCPRIM_400000_NS6detail17trampoline_kernelINS0_14default_configENS1_25transform_config_selectorIfLb1EEEZNS1_14transform_implILb1ES3_S5_PfS7_NS0_8identityIfEEEE10hipError_tT2_T3_mT4_P12ihipStream_tbEUlT_E_NS1_11comp_targetILNS1_3genE9ELNS1_11target_archE1100ELNS1_3gpuE3ELNS1_3repE0EEENS1_30default_config_static_selectorELNS0_4arch9wavefront6targetE1EEEvT1_: ; @_ZN7rocprim17ROCPRIM_400000_NS6detail17trampoline_kernelINS0_14default_configENS1_25transform_config_selectorIfLb1EEEZNS1_14transform_implILb1ES3_S5_PfS7_NS0_8identityIfEEEE10hipError_tT2_T3_mT4_P12ihipStream_tbEUlT_E_NS1_11comp_targetILNS1_3genE9ELNS1_11target_archE1100ELNS1_3gpuE3ELNS1_3repE0EEENS1_30default_config_static_selectorELNS0_4arch9wavefront6targetE1EEEvT1_
; %bb.0:
	.section	.rodata,"a",@progbits
	.p2align	6, 0x0
	.amdhsa_kernel _ZN7rocprim17ROCPRIM_400000_NS6detail17trampoline_kernelINS0_14default_configENS1_25transform_config_selectorIfLb1EEEZNS1_14transform_implILb1ES3_S5_PfS7_NS0_8identityIfEEEE10hipError_tT2_T3_mT4_P12ihipStream_tbEUlT_E_NS1_11comp_targetILNS1_3genE9ELNS1_11target_archE1100ELNS1_3gpuE3ELNS1_3repE0EEENS1_30default_config_static_selectorELNS0_4arch9wavefront6targetE1EEEvT1_
		.amdhsa_group_segment_fixed_size 0
		.amdhsa_private_segment_fixed_size 0
		.amdhsa_kernarg_size 40
		.amdhsa_user_sgpr_count 6
		.amdhsa_user_sgpr_private_segment_buffer 1
		.amdhsa_user_sgpr_dispatch_ptr 0
		.amdhsa_user_sgpr_queue_ptr 0
		.amdhsa_user_sgpr_kernarg_segment_ptr 1
		.amdhsa_user_sgpr_dispatch_id 0
		.amdhsa_user_sgpr_flat_scratch_init 0
		.amdhsa_user_sgpr_kernarg_preload_length 0
		.amdhsa_user_sgpr_kernarg_preload_offset 0
		.amdhsa_user_sgpr_private_segment_size 0
		.amdhsa_uses_dynamic_stack 0
		.amdhsa_system_sgpr_private_segment_wavefront_offset 0
		.amdhsa_system_sgpr_workgroup_id_x 1
		.amdhsa_system_sgpr_workgroup_id_y 0
		.amdhsa_system_sgpr_workgroup_id_z 0
		.amdhsa_system_sgpr_workgroup_info 0
		.amdhsa_system_vgpr_workitem_id 0
		.amdhsa_next_free_vgpr 1
		.amdhsa_next_free_sgpr 0
		.amdhsa_accum_offset 4
		.amdhsa_reserve_vcc 0
		.amdhsa_reserve_flat_scratch 0
		.amdhsa_float_round_mode_32 0
		.amdhsa_float_round_mode_16_64 0
		.amdhsa_float_denorm_mode_32 3
		.amdhsa_float_denorm_mode_16_64 3
		.amdhsa_dx10_clamp 1
		.amdhsa_ieee_mode 1
		.amdhsa_fp16_overflow 0
		.amdhsa_tg_split 0
		.amdhsa_exception_fp_ieee_invalid_op 0
		.amdhsa_exception_fp_denorm_src 0
		.amdhsa_exception_fp_ieee_div_zero 0
		.amdhsa_exception_fp_ieee_overflow 0
		.amdhsa_exception_fp_ieee_underflow 0
		.amdhsa_exception_fp_ieee_inexact 0
		.amdhsa_exception_int_div_zero 0
	.end_amdhsa_kernel
	.section	.text._ZN7rocprim17ROCPRIM_400000_NS6detail17trampoline_kernelINS0_14default_configENS1_25transform_config_selectorIfLb1EEEZNS1_14transform_implILb1ES3_S5_PfS7_NS0_8identityIfEEEE10hipError_tT2_T3_mT4_P12ihipStream_tbEUlT_E_NS1_11comp_targetILNS1_3genE9ELNS1_11target_archE1100ELNS1_3gpuE3ELNS1_3repE0EEENS1_30default_config_static_selectorELNS0_4arch9wavefront6targetE1EEEvT1_,"axG",@progbits,_ZN7rocprim17ROCPRIM_400000_NS6detail17trampoline_kernelINS0_14default_configENS1_25transform_config_selectorIfLb1EEEZNS1_14transform_implILb1ES3_S5_PfS7_NS0_8identityIfEEEE10hipError_tT2_T3_mT4_P12ihipStream_tbEUlT_E_NS1_11comp_targetILNS1_3genE9ELNS1_11target_archE1100ELNS1_3gpuE3ELNS1_3repE0EEENS1_30default_config_static_selectorELNS0_4arch9wavefront6targetE1EEEvT1_,comdat
.Lfunc_end103:
	.size	_ZN7rocprim17ROCPRIM_400000_NS6detail17trampoline_kernelINS0_14default_configENS1_25transform_config_selectorIfLb1EEEZNS1_14transform_implILb1ES3_S5_PfS7_NS0_8identityIfEEEE10hipError_tT2_T3_mT4_P12ihipStream_tbEUlT_E_NS1_11comp_targetILNS1_3genE9ELNS1_11target_archE1100ELNS1_3gpuE3ELNS1_3repE0EEENS1_30default_config_static_selectorELNS0_4arch9wavefront6targetE1EEEvT1_, .Lfunc_end103-_ZN7rocprim17ROCPRIM_400000_NS6detail17trampoline_kernelINS0_14default_configENS1_25transform_config_selectorIfLb1EEEZNS1_14transform_implILb1ES3_S5_PfS7_NS0_8identityIfEEEE10hipError_tT2_T3_mT4_P12ihipStream_tbEUlT_E_NS1_11comp_targetILNS1_3genE9ELNS1_11target_archE1100ELNS1_3gpuE3ELNS1_3repE0EEENS1_30default_config_static_selectorELNS0_4arch9wavefront6targetE1EEEvT1_
                                        ; -- End function
	.section	.AMDGPU.csdata,"",@progbits
; Kernel info:
; codeLenInByte = 0
; NumSgprs: 4
; NumVgprs: 0
; NumAgprs: 0
; TotalNumVgprs: 0
; ScratchSize: 0
; MemoryBound: 0
; FloatMode: 240
; IeeeMode: 1
; LDSByteSize: 0 bytes/workgroup (compile time only)
; SGPRBlocks: 0
; VGPRBlocks: 0
; NumSGPRsForWavesPerEU: 4
; NumVGPRsForWavesPerEU: 1
; AccumOffset: 4
; Occupancy: 8
; WaveLimiterHint : 0
; COMPUTE_PGM_RSRC2:SCRATCH_EN: 0
; COMPUTE_PGM_RSRC2:USER_SGPR: 6
; COMPUTE_PGM_RSRC2:TRAP_HANDLER: 0
; COMPUTE_PGM_RSRC2:TGID_X_EN: 1
; COMPUTE_PGM_RSRC2:TGID_Y_EN: 0
; COMPUTE_PGM_RSRC2:TGID_Z_EN: 0
; COMPUTE_PGM_RSRC2:TIDIG_COMP_CNT: 0
; COMPUTE_PGM_RSRC3_GFX90A:ACCUM_OFFSET: 0
; COMPUTE_PGM_RSRC3_GFX90A:TG_SPLIT: 0
	.section	.text._ZN7rocprim17ROCPRIM_400000_NS6detail17trampoline_kernelINS0_14default_configENS1_25transform_config_selectorIfLb1EEEZNS1_14transform_implILb1ES3_S5_PfS7_NS0_8identityIfEEEE10hipError_tT2_T3_mT4_P12ihipStream_tbEUlT_E_NS1_11comp_targetILNS1_3genE8ELNS1_11target_archE1030ELNS1_3gpuE2ELNS1_3repE0EEENS1_30default_config_static_selectorELNS0_4arch9wavefront6targetE1EEEvT1_,"axG",@progbits,_ZN7rocprim17ROCPRIM_400000_NS6detail17trampoline_kernelINS0_14default_configENS1_25transform_config_selectorIfLb1EEEZNS1_14transform_implILb1ES3_S5_PfS7_NS0_8identityIfEEEE10hipError_tT2_T3_mT4_P12ihipStream_tbEUlT_E_NS1_11comp_targetILNS1_3genE8ELNS1_11target_archE1030ELNS1_3gpuE2ELNS1_3repE0EEENS1_30default_config_static_selectorELNS0_4arch9wavefront6targetE1EEEvT1_,comdat
	.protected	_ZN7rocprim17ROCPRIM_400000_NS6detail17trampoline_kernelINS0_14default_configENS1_25transform_config_selectorIfLb1EEEZNS1_14transform_implILb1ES3_S5_PfS7_NS0_8identityIfEEEE10hipError_tT2_T3_mT4_P12ihipStream_tbEUlT_E_NS1_11comp_targetILNS1_3genE8ELNS1_11target_archE1030ELNS1_3gpuE2ELNS1_3repE0EEENS1_30default_config_static_selectorELNS0_4arch9wavefront6targetE1EEEvT1_ ; -- Begin function _ZN7rocprim17ROCPRIM_400000_NS6detail17trampoline_kernelINS0_14default_configENS1_25transform_config_selectorIfLb1EEEZNS1_14transform_implILb1ES3_S5_PfS7_NS0_8identityIfEEEE10hipError_tT2_T3_mT4_P12ihipStream_tbEUlT_E_NS1_11comp_targetILNS1_3genE8ELNS1_11target_archE1030ELNS1_3gpuE2ELNS1_3repE0EEENS1_30default_config_static_selectorELNS0_4arch9wavefront6targetE1EEEvT1_
	.globl	_ZN7rocprim17ROCPRIM_400000_NS6detail17trampoline_kernelINS0_14default_configENS1_25transform_config_selectorIfLb1EEEZNS1_14transform_implILb1ES3_S5_PfS7_NS0_8identityIfEEEE10hipError_tT2_T3_mT4_P12ihipStream_tbEUlT_E_NS1_11comp_targetILNS1_3genE8ELNS1_11target_archE1030ELNS1_3gpuE2ELNS1_3repE0EEENS1_30default_config_static_selectorELNS0_4arch9wavefront6targetE1EEEvT1_
	.p2align	8
	.type	_ZN7rocprim17ROCPRIM_400000_NS6detail17trampoline_kernelINS0_14default_configENS1_25transform_config_selectorIfLb1EEEZNS1_14transform_implILb1ES3_S5_PfS7_NS0_8identityIfEEEE10hipError_tT2_T3_mT4_P12ihipStream_tbEUlT_E_NS1_11comp_targetILNS1_3genE8ELNS1_11target_archE1030ELNS1_3gpuE2ELNS1_3repE0EEENS1_30default_config_static_selectorELNS0_4arch9wavefront6targetE1EEEvT1_,@function
_ZN7rocprim17ROCPRIM_400000_NS6detail17trampoline_kernelINS0_14default_configENS1_25transform_config_selectorIfLb1EEEZNS1_14transform_implILb1ES3_S5_PfS7_NS0_8identityIfEEEE10hipError_tT2_T3_mT4_P12ihipStream_tbEUlT_E_NS1_11comp_targetILNS1_3genE8ELNS1_11target_archE1030ELNS1_3gpuE2ELNS1_3repE0EEENS1_30default_config_static_selectorELNS0_4arch9wavefront6targetE1EEEvT1_: ; @_ZN7rocprim17ROCPRIM_400000_NS6detail17trampoline_kernelINS0_14default_configENS1_25transform_config_selectorIfLb1EEEZNS1_14transform_implILb1ES3_S5_PfS7_NS0_8identityIfEEEE10hipError_tT2_T3_mT4_P12ihipStream_tbEUlT_E_NS1_11comp_targetILNS1_3genE8ELNS1_11target_archE1030ELNS1_3gpuE2ELNS1_3repE0EEENS1_30default_config_static_selectorELNS0_4arch9wavefront6targetE1EEEvT1_
; %bb.0:
	.section	.rodata,"a",@progbits
	.p2align	6, 0x0
	.amdhsa_kernel _ZN7rocprim17ROCPRIM_400000_NS6detail17trampoline_kernelINS0_14default_configENS1_25transform_config_selectorIfLb1EEEZNS1_14transform_implILb1ES3_S5_PfS7_NS0_8identityIfEEEE10hipError_tT2_T3_mT4_P12ihipStream_tbEUlT_E_NS1_11comp_targetILNS1_3genE8ELNS1_11target_archE1030ELNS1_3gpuE2ELNS1_3repE0EEENS1_30default_config_static_selectorELNS0_4arch9wavefront6targetE1EEEvT1_
		.amdhsa_group_segment_fixed_size 0
		.amdhsa_private_segment_fixed_size 0
		.amdhsa_kernarg_size 40
		.amdhsa_user_sgpr_count 6
		.amdhsa_user_sgpr_private_segment_buffer 1
		.amdhsa_user_sgpr_dispatch_ptr 0
		.amdhsa_user_sgpr_queue_ptr 0
		.amdhsa_user_sgpr_kernarg_segment_ptr 1
		.amdhsa_user_sgpr_dispatch_id 0
		.amdhsa_user_sgpr_flat_scratch_init 0
		.amdhsa_user_sgpr_kernarg_preload_length 0
		.amdhsa_user_sgpr_kernarg_preload_offset 0
		.amdhsa_user_sgpr_private_segment_size 0
		.amdhsa_uses_dynamic_stack 0
		.amdhsa_system_sgpr_private_segment_wavefront_offset 0
		.amdhsa_system_sgpr_workgroup_id_x 1
		.amdhsa_system_sgpr_workgroup_id_y 0
		.amdhsa_system_sgpr_workgroup_id_z 0
		.amdhsa_system_sgpr_workgroup_info 0
		.amdhsa_system_vgpr_workitem_id 0
		.amdhsa_next_free_vgpr 1
		.amdhsa_next_free_sgpr 0
		.amdhsa_accum_offset 4
		.amdhsa_reserve_vcc 0
		.amdhsa_reserve_flat_scratch 0
		.amdhsa_float_round_mode_32 0
		.amdhsa_float_round_mode_16_64 0
		.amdhsa_float_denorm_mode_32 3
		.amdhsa_float_denorm_mode_16_64 3
		.amdhsa_dx10_clamp 1
		.amdhsa_ieee_mode 1
		.amdhsa_fp16_overflow 0
		.amdhsa_tg_split 0
		.amdhsa_exception_fp_ieee_invalid_op 0
		.amdhsa_exception_fp_denorm_src 0
		.amdhsa_exception_fp_ieee_div_zero 0
		.amdhsa_exception_fp_ieee_overflow 0
		.amdhsa_exception_fp_ieee_underflow 0
		.amdhsa_exception_fp_ieee_inexact 0
		.amdhsa_exception_int_div_zero 0
	.end_amdhsa_kernel
	.section	.text._ZN7rocprim17ROCPRIM_400000_NS6detail17trampoline_kernelINS0_14default_configENS1_25transform_config_selectorIfLb1EEEZNS1_14transform_implILb1ES3_S5_PfS7_NS0_8identityIfEEEE10hipError_tT2_T3_mT4_P12ihipStream_tbEUlT_E_NS1_11comp_targetILNS1_3genE8ELNS1_11target_archE1030ELNS1_3gpuE2ELNS1_3repE0EEENS1_30default_config_static_selectorELNS0_4arch9wavefront6targetE1EEEvT1_,"axG",@progbits,_ZN7rocprim17ROCPRIM_400000_NS6detail17trampoline_kernelINS0_14default_configENS1_25transform_config_selectorIfLb1EEEZNS1_14transform_implILb1ES3_S5_PfS7_NS0_8identityIfEEEE10hipError_tT2_T3_mT4_P12ihipStream_tbEUlT_E_NS1_11comp_targetILNS1_3genE8ELNS1_11target_archE1030ELNS1_3gpuE2ELNS1_3repE0EEENS1_30default_config_static_selectorELNS0_4arch9wavefront6targetE1EEEvT1_,comdat
.Lfunc_end104:
	.size	_ZN7rocprim17ROCPRIM_400000_NS6detail17trampoline_kernelINS0_14default_configENS1_25transform_config_selectorIfLb1EEEZNS1_14transform_implILb1ES3_S5_PfS7_NS0_8identityIfEEEE10hipError_tT2_T3_mT4_P12ihipStream_tbEUlT_E_NS1_11comp_targetILNS1_3genE8ELNS1_11target_archE1030ELNS1_3gpuE2ELNS1_3repE0EEENS1_30default_config_static_selectorELNS0_4arch9wavefront6targetE1EEEvT1_, .Lfunc_end104-_ZN7rocprim17ROCPRIM_400000_NS6detail17trampoline_kernelINS0_14default_configENS1_25transform_config_selectorIfLb1EEEZNS1_14transform_implILb1ES3_S5_PfS7_NS0_8identityIfEEEE10hipError_tT2_T3_mT4_P12ihipStream_tbEUlT_E_NS1_11comp_targetILNS1_3genE8ELNS1_11target_archE1030ELNS1_3gpuE2ELNS1_3repE0EEENS1_30default_config_static_selectorELNS0_4arch9wavefront6targetE1EEEvT1_
                                        ; -- End function
	.section	.AMDGPU.csdata,"",@progbits
; Kernel info:
; codeLenInByte = 0
; NumSgprs: 4
; NumVgprs: 0
; NumAgprs: 0
; TotalNumVgprs: 0
; ScratchSize: 0
; MemoryBound: 0
; FloatMode: 240
; IeeeMode: 1
; LDSByteSize: 0 bytes/workgroup (compile time only)
; SGPRBlocks: 0
; VGPRBlocks: 0
; NumSGPRsForWavesPerEU: 4
; NumVGPRsForWavesPerEU: 1
; AccumOffset: 4
; Occupancy: 8
; WaveLimiterHint : 0
; COMPUTE_PGM_RSRC2:SCRATCH_EN: 0
; COMPUTE_PGM_RSRC2:USER_SGPR: 6
; COMPUTE_PGM_RSRC2:TRAP_HANDLER: 0
; COMPUTE_PGM_RSRC2:TGID_X_EN: 1
; COMPUTE_PGM_RSRC2:TGID_Y_EN: 0
; COMPUTE_PGM_RSRC2:TGID_Z_EN: 0
; COMPUTE_PGM_RSRC2:TIDIG_COMP_CNT: 0
; COMPUTE_PGM_RSRC3_GFX90A:ACCUM_OFFSET: 0
; COMPUTE_PGM_RSRC3_GFX90A:TG_SPLIT: 0
	.section	.text._ZN7rocprim17ROCPRIM_400000_NS6detail17trampoline_kernelINS0_14default_configENS1_20scan_config_selectorIfEEZZNS1_9scan_implILNS1_25lookback_scan_determinismE0ELb0ELb0ES3_PKfPffZZZN2at6native31launch_logcumsumexp_cuda_kernelERKNSB_10TensorBaseESF_lENKUlvE_clEvENKUlvE0_clEvEUlffE_fEEDaPvRmT3_T4_T5_mT6_P12ihipStream_tbENKUlT_T0_E_clISt17integral_constantIbLb0EESW_EEDaSR_SS_EUlSR_E0_NS1_11comp_targetILNS1_3genE0ELNS1_11target_archE4294967295ELNS1_3gpuE0ELNS1_3repE0EEENS1_30default_config_static_selectorELNS0_4arch9wavefront6targetE1EEEvT1_,"axG",@progbits,_ZN7rocprim17ROCPRIM_400000_NS6detail17trampoline_kernelINS0_14default_configENS1_20scan_config_selectorIfEEZZNS1_9scan_implILNS1_25lookback_scan_determinismE0ELb0ELb0ES3_PKfPffZZZN2at6native31launch_logcumsumexp_cuda_kernelERKNSB_10TensorBaseESF_lENKUlvE_clEvENKUlvE0_clEvEUlffE_fEEDaPvRmT3_T4_T5_mT6_P12ihipStream_tbENKUlT_T0_E_clISt17integral_constantIbLb0EESW_EEDaSR_SS_EUlSR_E0_NS1_11comp_targetILNS1_3genE0ELNS1_11target_archE4294967295ELNS1_3gpuE0ELNS1_3repE0EEENS1_30default_config_static_selectorELNS0_4arch9wavefront6targetE1EEEvT1_,comdat
	.globl	_ZN7rocprim17ROCPRIM_400000_NS6detail17trampoline_kernelINS0_14default_configENS1_20scan_config_selectorIfEEZZNS1_9scan_implILNS1_25lookback_scan_determinismE0ELb0ELb0ES3_PKfPffZZZN2at6native31launch_logcumsumexp_cuda_kernelERKNSB_10TensorBaseESF_lENKUlvE_clEvENKUlvE0_clEvEUlffE_fEEDaPvRmT3_T4_T5_mT6_P12ihipStream_tbENKUlT_T0_E_clISt17integral_constantIbLb0EESW_EEDaSR_SS_EUlSR_E0_NS1_11comp_targetILNS1_3genE0ELNS1_11target_archE4294967295ELNS1_3gpuE0ELNS1_3repE0EEENS1_30default_config_static_selectorELNS0_4arch9wavefront6targetE1EEEvT1_ ; -- Begin function _ZN7rocprim17ROCPRIM_400000_NS6detail17trampoline_kernelINS0_14default_configENS1_20scan_config_selectorIfEEZZNS1_9scan_implILNS1_25lookback_scan_determinismE0ELb0ELb0ES3_PKfPffZZZN2at6native31launch_logcumsumexp_cuda_kernelERKNSB_10TensorBaseESF_lENKUlvE_clEvENKUlvE0_clEvEUlffE_fEEDaPvRmT3_T4_T5_mT6_P12ihipStream_tbENKUlT_T0_E_clISt17integral_constantIbLb0EESW_EEDaSR_SS_EUlSR_E0_NS1_11comp_targetILNS1_3genE0ELNS1_11target_archE4294967295ELNS1_3gpuE0ELNS1_3repE0EEENS1_30default_config_static_selectorELNS0_4arch9wavefront6targetE1EEEvT1_
	.p2align	8
	.type	_ZN7rocprim17ROCPRIM_400000_NS6detail17trampoline_kernelINS0_14default_configENS1_20scan_config_selectorIfEEZZNS1_9scan_implILNS1_25lookback_scan_determinismE0ELb0ELb0ES3_PKfPffZZZN2at6native31launch_logcumsumexp_cuda_kernelERKNSB_10TensorBaseESF_lENKUlvE_clEvENKUlvE0_clEvEUlffE_fEEDaPvRmT3_T4_T5_mT6_P12ihipStream_tbENKUlT_T0_E_clISt17integral_constantIbLb0EESW_EEDaSR_SS_EUlSR_E0_NS1_11comp_targetILNS1_3genE0ELNS1_11target_archE4294967295ELNS1_3gpuE0ELNS1_3repE0EEENS1_30default_config_static_selectorELNS0_4arch9wavefront6targetE1EEEvT1_,@function
_ZN7rocprim17ROCPRIM_400000_NS6detail17trampoline_kernelINS0_14default_configENS1_20scan_config_selectorIfEEZZNS1_9scan_implILNS1_25lookback_scan_determinismE0ELb0ELb0ES3_PKfPffZZZN2at6native31launch_logcumsumexp_cuda_kernelERKNSB_10TensorBaseESF_lENKUlvE_clEvENKUlvE0_clEvEUlffE_fEEDaPvRmT3_T4_T5_mT6_P12ihipStream_tbENKUlT_T0_E_clISt17integral_constantIbLb0EESW_EEDaSR_SS_EUlSR_E0_NS1_11comp_targetILNS1_3genE0ELNS1_11target_archE4294967295ELNS1_3gpuE0ELNS1_3repE0EEENS1_30default_config_static_selectorELNS0_4arch9wavefront6targetE1EEEvT1_: ; @_ZN7rocprim17ROCPRIM_400000_NS6detail17trampoline_kernelINS0_14default_configENS1_20scan_config_selectorIfEEZZNS1_9scan_implILNS1_25lookback_scan_determinismE0ELb0ELb0ES3_PKfPffZZZN2at6native31launch_logcumsumexp_cuda_kernelERKNSB_10TensorBaseESF_lENKUlvE_clEvENKUlvE0_clEvEUlffE_fEEDaPvRmT3_T4_T5_mT6_P12ihipStream_tbENKUlT_T0_E_clISt17integral_constantIbLb0EESW_EEDaSR_SS_EUlSR_E0_NS1_11comp_targetILNS1_3genE0ELNS1_11target_archE4294967295ELNS1_3gpuE0ELNS1_3repE0EEENS1_30default_config_static_selectorELNS0_4arch9wavefront6targetE1EEEvT1_
; %bb.0:
	.section	.rodata,"a",@progbits
	.p2align	6, 0x0
	.amdhsa_kernel _ZN7rocprim17ROCPRIM_400000_NS6detail17trampoline_kernelINS0_14default_configENS1_20scan_config_selectorIfEEZZNS1_9scan_implILNS1_25lookback_scan_determinismE0ELb0ELb0ES3_PKfPffZZZN2at6native31launch_logcumsumexp_cuda_kernelERKNSB_10TensorBaseESF_lENKUlvE_clEvENKUlvE0_clEvEUlffE_fEEDaPvRmT3_T4_T5_mT6_P12ihipStream_tbENKUlT_T0_E_clISt17integral_constantIbLb0EESW_EEDaSR_SS_EUlSR_E0_NS1_11comp_targetILNS1_3genE0ELNS1_11target_archE4294967295ELNS1_3gpuE0ELNS1_3repE0EEENS1_30default_config_static_selectorELNS0_4arch9wavefront6targetE1EEEvT1_
		.amdhsa_group_segment_fixed_size 0
		.amdhsa_private_segment_fixed_size 0
		.amdhsa_kernarg_size 32
		.amdhsa_user_sgpr_count 6
		.amdhsa_user_sgpr_private_segment_buffer 1
		.amdhsa_user_sgpr_dispatch_ptr 0
		.amdhsa_user_sgpr_queue_ptr 0
		.amdhsa_user_sgpr_kernarg_segment_ptr 1
		.amdhsa_user_sgpr_dispatch_id 0
		.amdhsa_user_sgpr_flat_scratch_init 0
		.amdhsa_user_sgpr_kernarg_preload_length 0
		.amdhsa_user_sgpr_kernarg_preload_offset 0
		.amdhsa_user_sgpr_private_segment_size 0
		.amdhsa_uses_dynamic_stack 0
		.amdhsa_system_sgpr_private_segment_wavefront_offset 0
		.amdhsa_system_sgpr_workgroup_id_x 1
		.amdhsa_system_sgpr_workgroup_id_y 0
		.amdhsa_system_sgpr_workgroup_id_z 0
		.amdhsa_system_sgpr_workgroup_info 0
		.amdhsa_system_vgpr_workitem_id 0
		.amdhsa_next_free_vgpr 1
		.amdhsa_next_free_sgpr 0
		.amdhsa_accum_offset 4
		.amdhsa_reserve_vcc 0
		.amdhsa_reserve_flat_scratch 0
		.amdhsa_float_round_mode_32 0
		.amdhsa_float_round_mode_16_64 0
		.amdhsa_float_denorm_mode_32 3
		.amdhsa_float_denorm_mode_16_64 3
		.amdhsa_dx10_clamp 1
		.amdhsa_ieee_mode 1
		.amdhsa_fp16_overflow 0
		.amdhsa_tg_split 0
		.amdhsa_exception_fp_ieee_invalid_op 0
		.amdhsa_exception_fp_denorm_src 0
		.amdhsa_exception_fp_ieee_div_zero 0
		.amdhsa_exception_fp_ieee_overflow 0
		.amdhsa_exception_fp_ieee_underflow 0
		.amdhsa_exception_fp_ieee_inexact 0
		.amdhsa_exception_int_div_zero 0
	.end_amdhsa_kernel
	.section	.text._ZN7rocprim17ROCPRIM_400000_NS6detail17trampoline_kernelINS0_14default_configENS1_20scan_config_selectorIfEEZZNS1_9scan_implILNS1_25lookback_scan_determinismE0ELb0ELb0ES3_PKfPffZZZN2at6native31launch_logcumsumexp_cuda_kernelERKNSB_10TensorBaseESF_lENKUlvE_clEvENKUlvE0_clEvEUlffE_fEEDaPvRmT3_T4_T5_mT6_P12ihipStream_tbENKUlT_T0_E_clISt17integral_constantIbLb0EESW_EEDaSR_SS_EUlSR_E0_NS1_11comp_targetILNS1_3genE0ELNS1_11target_archE4294967295ELNS1_3gpuE0ELNS1_3repE0EEENS1_30default_config_static_selectorELNS0_4arch9wavefront6targetE1EEEvT1_,"axG",@progbits,_ZN7rocprim17ROCPRIM_400000_NS6detail17trampoline_kernelINS0_14default_configENS1_20scan_config_selectorIfEEZZNS1_9scan_implILNS1_25lookback_scan_determinismE0ELb0ELb0ES3_PKfPffZZZN2at6native31launch_logcumsumexp_cuda_kernelERKNSB_10TensorBaseESF_lENKUlvE_clEvENKUlvE0_clEvEUlffE_fEEDaPvRmT3_T4_T5_mT6_P12ihipStream_tbENKUlT_T0_E_clISt17integral_constantIbLb0EESW_EEDaSR_SS_EUlSR_E0_NS1_11comp_targetILNS1_3genE0ELNS1_11target_archE4294967295ELNS1_3gpuE0ELNS1_3repE0EEENS1_30default_config_static_selectorELNS0_4arch9wavefront6targetE1EEEvT1_,comdat
.Lfunc_end105:
	.size	_ZN7rocprim17ROCPRIM_400000_NS6detail17trampoline_kernelINS0_14default_configENS1_20scan_config_selectorIfEEZZNS1_9scan_implILNS1_25lookback_scan_determinismE0ELb0ELb0ES3_PKfPffZZZN2at6native31launch_logcumsumexp_cuda_kernelERKNSB_10TensorBaseESF_lENKUlvE_clEvENKUlvE0_clEvEUlffE_fEEDaPvRmT3_T4_T5_mT6_P12ihipStream_tbENKUlT_T0_E_clISt17integral_constantIbLb0EESW_EEDaSR_SS_EUlSR_E0_NS1_11comp_targetILNS1_3genE0ELNS1_11target_archE4294967295ELNS1_3gpuE0ELNS1_3repE0EEENS1_30default_config_static_selectorELNS0_4arch9wavefront6targetE1EEEvT1_, .Lfunc_end105-_ZN7rocprim17ROCPRIM_400000_NS6detail17trampoline_kernelINS0_14default_configENS1_20scan_config_selectorIfEEZZNS1_9scan_implILNS1_25lookback_scan_determinismE0ELb0ELb0ES3_PKfPffZZZN2at6native31launch_logcumsumexp_cuda_kernelERKNSB_10TensorBaseESF_lENKUlvE_clEvENKUlvE0_clEvEUlffE_fEEDaPvRmT3_T4_T5_mT6_P12ihipStream_tbENKUlT_T0_E_clISt17integral_constantIbLb0EESW_EEDaSR_SS_EUlSR_E0_NS1_11comp_targetILNS1_3genE0ELNS1_11target_archE4294967295ELNS1_3gpuE0ELNS1_3repE0EEENS1_30default_config_static_selectorELNS0_4arch9wavefront6targetE1EEEvT1_
                                        ; -- End function
	.section	.AMDGPU.csdata,"",@progbits
; Kernel info:
; codeLenInByte = 0
; NumSgprs: 4
; NumVgprs: 0
; NumAgprs: 0
; TotalNumVgprs: 0
; ScratchSize: 0
; MemoryBound: 0
; FloatMode: 240
; IeeeMode: 1
; LDSByteSize: 0 bytes/workgroup (compile time only)
; SGPRBlocks: 0
; VGPRBlocks: 0
; NumSGPRsForWavesPerEU: 4
; NumVGPRsForWavesPerEU: 1
; AccumOffset: 4
; Occupancy: 8
; WaveLimiterHint : 0
; COMPUTE_PGM_RSRC2:SCRATCH_EN: 0
; COMPUTE_PGM_RSRC2:USER_SGPR: 6
; COMPUTE_PGM_RSRC2:TRAP_HANDLER: 0
; COMPUTE_PGM_RSRC2:TGID_X_EN: 1
; COMPUTE_PGM_RSRC2:TGID_Y_EN: 0
; COMPUTE_PGM_RSRC2:TGID_Z_EN: 0
; COMPUTE_PGM_RSRC2:TIDIG_COMP_CNT: 0
; COMPUTE_PGM_RSRC3_GFX90A:ACCUM_OFFSET: 0
; COMPUTE_PGM_RSRC3_GFX90A:TG_SPLIT: 0
	.section	.text._ZN7rocprim17ROCPRIM_400000_NS6detail17trampoline_kernelINS0_14default_configENS1_20scan_config_selectorIfEEZZNS1_9scan_implILNS1_25lookback_scan_determinismE0ELb0ELb0ES3_PKfPffZZZN2at6native31launch_logcumsumexp_cuda_kernelERKNSB_10TensorBaseESF_lENKUlvE_clEvENKUlvE0_clEvEUlffE_fEEDaPvRmT3_T4_T5_mT6_P12ihipStream_tbENKUlT_T0_E_clISt17integral_constantIbLb0EESW_EEDaSR_SS_EUlSR_E0_NS1_11comp_targetILNS1_3genE5ELNS1_11target_archE942ELNS1_3gpuE9ELNS1_3repE0EEENS1_30default_config_static_selectorELNS0_4arch9wavefront6targetE1EEEvT1_,"axG",@progbits,_ZN7rocprim17ROCPRIM_400000_NS6detail17trampoline_kernelINS0_14default_configENS1_20scan_config_selectorIfEEZZNS1_9scan_implILNS1_25lookback_scan_determinismE0ELb0ELb0ES3_PKfPffZZZN2at6native31launch_logcumsumexp_cuda_kernelERKNSB_10TensorBaseESF_lENKUlvE_clEvENKUlvE0_clEvEUlffE_fEEDaPvRmT3_T4_T5_mT6_P12ihipStream_tbENKUlT_T0_E_clISt17integral_constantIbLb0EESW_EEDaSR_SS_EUlSR_E0_NS1_11comp_targetILNS1_3genE5ELNS1_11target_archE942ELNS1_3gpuE9ELNS1_3repE0EEENS1_30default_config_static_selectorELNS0_4arch9wavefront6targetE1EEEvT1_,comdat
	.globl	_ZN7rocprim17ROCPRIM_400000_NS6detail17trampoline_kernelINS0_14default_configENS1_20scan_config_selectorIfEEZZNS1_9scan_implILNS1_25lookback_scan_determinismE0ELb0ELb0ES3_PKfPffZZZN2at6native31launch_logcumsumexp_cuda_kernelERKNSB_10TensorBaseESF_lENKUlvE_clEvENKUlvE0_clEvEUlffE_fEEDaPvRmT3_T4_T5_mT6_P12ihipStream_tbENKUlT_T0_E_clISt17integral_constantIbLb0EESW_EEDaSR_SS_EUlSR_E0_NS1_11comp_targetILNS1_3genE5ELNS1_11target_archE942ELNS1_3gpuE9ELNS1_3repE0EEENS1_30default_config_static_selectorELNS0_4arch9wavefront6targetE1EEEvT1_ ; -- Begin function _ZN7rocprim17ROCPRIM_400000_NS6detail17trampoline_kernelINS0_14default_configENS1_20scan_config_selectorIfEEZZNS1_9scan_implILNS1_25lookback_scan_determinismE0ELb0ELb0ES3_PKfPffZZZN2at6native31launch_logcumsumexp_cuda_kernelERKNSB_10TensorBaseESF_lENKUlvE_clEvENKUlvE0_clEvEUlffE_fEEDaPvRmT3_T4_T5_mT6_P12ihipStream_tbENKUlT_T0_E_clISt17integral_constantIbLb0EESW_EEDaSR_SS_EUlSR_E0_NS1_11comp_targetILNS1_3genE5ELNS1_11target_archE942ELNS1_3gpuE9ELNS1_3repE0EEENS1_30default_config_static_selectorELNS0_4arch9wavefront6targetE1EEEvT1_
	.p2align	8
	.type	_ZN7rocprim17ROCPRIM_400000_NS6detail17trampoline_kernelINS0_14default_configENS1_20scan_config_selectorIfEEZZNS1_9scan_implILNS1_25lookback_scan_determinismE0ELb0ELb0ES3_PKfPffZZZN2at6native31launch_logcumsumexp_cuda_kernelERKNSB_10TensorBaseESF_lENKUlvE_clEvENKUlvE0_clEvEUlffE_fEEDaPvRmT3_T4_T5_mT6_P12ihipStream_tbENKUlT_T0_E_clISt17integral_constantIbLb0EESW_EEDaSR_SS_EUlSR_E0_NS1_11comp_targetILNS1_3genE5ELNS1_11target_archE942ELNS1_3gpuE9ELNS1_3repE0EEENS1_30default_config_static_selectorELNS0_4arch9wavefront6targetE1EEEvT1_,@function
_ZN7rocprim17ROCPRIM_400000_NS6detail17trampoline_kernelINS0_14default_configENS1_20scan_config_selectorIfEEZZNS1_9scan_implILNS1_25lookback_scan_determinismE0ELb0ELb0ES3_PKfPffZZZN2at6native31launch_logcumsumexp_cuda_kernelERKNSB_10TensorBaseESF_lENKUlvE_clEvENKUlvE0_clEvEUlffE_fEEDaPvRmT3_T4_T5_mT6_P12ihipStream_tbENKUlT_T0_E_clISt17integral_constantIbLb0EESW_EEDaSR_SS_EUlSR_E0_NS1_11comp_targetILNS1_3genE5ELNS1_11target_archE942ELNS1_3gpuE9ELNS1_3repE0EEENS1_30default_config_static_selectorELNS0_4arch9wavefront6targetE1EEEvT1_: ; @_ZN7rocprim17ROCPRIM_400000_NS6detail17trampoline_kernelINS0_14default_configENS1_20scan_config_selectorIfEEZZNS1_9scan_implILNS1_25lookback_scan_determinismE0ELb0ELb0ES3_PKfPffZZZN2at6native31launch_logcumsumexp_cuda_kernelERKNSB_10TensorBaseESF_lENKUlvE_clEvENKUlvE0_clEvEUlffE_fEEDaPvRmT3_T4_T5_mT6_P12ihipStream_tbENKUlT_T0_E_clISt17integral_constantIbLb0EESW_EEDaSR_SS_EUlSR_E0_NS1_11comp_targetILNS1_3genE5ELNS1_11target_archE942ELNS1_3gpuE9ELNS1_3repE0EEENS1_30default_config_static_selectorELNS0_4arch9wavefront6targetE1EEEvT1_
; %bb.0:
	.section	.rodata,"a",@progbits
	.p2align	6, 0x0
	.amdhsa_kernel _ZN7rocprim17ROCPRIM_400000_NS6detail17trampoline_kernelINS0_14default_configENS1_20scan_config_selectorIfEEZZNS1_9scan_implILNS1_25lookback_scan_determinismE0ELb0ELb0ES3_PKfPffZZZN2at6native31launch_logcumsumexp_cuda_kernelERKNSB_10TensorBaseESF_lENKUlvE_clEvENKUlvE0_clEvEUlffE_fEEDaPvRmT3_T4_T5_mT6_P12ihipStream_tbENKUlT_T0_E_clISt17integral_constantIbLb0EESW_EEDaSR_SS_EUlSR_E0_NS1_11comp_targetILNS1_3genE5ELNS1_11target_archE942ELNS1_3gpuE9ELNS1_3repE0EEENS1_30default_config_static_selectorELNS0_4arch9wavefront6targetE1EEEvT1_
		.amdhsa_group_segment_fixed_size 0
		.amdhsa_private_segment_fixed_size 0
		.amdhsa_kernarg_size 32
		.amdhsa_user_sgpr_count 6
		.amdhsa_user_sgpr_private_segment_buffer 1
		.amdhsa_user_sgpr_dispatch_ptr 0
		.amdhsa_user_sgpr_queue_ptr 0
		.amdhsa_user_sgpr_kernarg_segment_ptr 1
		.amdhsa_user_sgpr_dispatch_id 0
		.amdhsa_user_sgpr_flat_scratch_init 0
		.amdhsa_user_sgpr_kernarg_preload_length 0
		.amdhsa_user_sgpr_kernarg_preload_offset 0
		.amdhsa_user_sgpr_private_segment_size 0
		.amdhsa_uses_dynamic_stack 0
		.amdhsa_system_sgpr_private_segment_wavefront_offset 0
		.amdhsa_system_sgpr_workgroup_id_x 1
		.amdhsa_system_sgpr_workgroup_id_y 0
		.amdhsa_system_sgpr_workgroup_id_z 0
		.amdhsa_system_sgpr_workgroup_info 0
		.amdhsa_system_vgpr_workitem_id 0
		.amdhsa_next_free_vgpr 1
		.amdhsa_next_free_sgpr 0
		.amdhsa_accum_offset 4
		.amdhsa_reserve_vcc 0
		.amdhsa_reserve_flat_scratch 0
		.amdhsa_float_round_mode_32 0
		.amdhsa_float_round_mode_16_64 0
		.amdhsa_float_denorm_mode_32 3
		.amdhsa_float_denorm_mode_16_64 3
		.amdhsa_dx10_clamp 1
		.amdhsa_ieee_mode 1
		.amdhsa_fp16_overflow 0
		.amdhsa_tg_split 0
		.amdhsa_exception_fp_ieee_invalid_op 0
		.amdhsa_exception_fp_denorm_src 0
		.amdhsa_exception_fp_ieee_div_zero 0
		.amdhsa_exception_fp_ieee_overflow 0
		.amdhsa_exception_fp_ieee_underflow 0
		.amdhsa_exception_fp_ieee_inexact 0
		.amdhsa_exception_int_div_zero 0
	.end_amdhsa_kernel
	.section	.text._ZN7rocprim17ROCPRIM_400000_NS6detail17trampoline_kernelINS0_14default_configENS1_20scan_config_selectorIfEEZZNS1_9scan_implILNS1_25lookback_scan_determinismE0ELb0ELb0ES3_PKfPffZZZN2at6native31launch_logcumsumexp_cuda_kernelERKNSB_10TensorBaseESF_lENKUlvE_clEvENKUlvE0_clEvEUlffE_fEEDaPvRmT3_T4_T5_mT6_P12ihipStream_tbENKUlT_T0_E_clISt17integral_constantIbLb0EESW_EEDaSR_SS_EUlSR_E0_NS1_11comp_targetILNS1_3genE5ELNS1_11target_archE942ELNS1_3gpuE9ELNS1_3repE0EEENS1_30default_config_static_selectorELNS0_4arch9wavefront6targetE1EEEvT1_,"axG",@progbits,_ZN7rocprim17ROCPRIM_400000_NS6detail17trampoline_kernelINS0_14default_configENS1_20scan_config_selectorIfEEZZNS1_9scan_implILNS1_25lookback_scan_determinismE0ELb0ELb0ES3_PKfPffZZZN2at6native31launch_logcumsumexp_cuda_kernelERKNSB_10TensorBaseESF_lENKUlvE_clEvENKUlvE0_clEvEUlffE_fEEDaPvRmT3_T4_T5_mT6_P12ihipStream_tbENKUlT_T0_E_clISt17integral_constantIbLb0EESW_EEDaSR_SS_EUlSR_E0_NS1_11comp_targetILNS1_3genE5ELNS1_11target_archE942ELNS1_3gpuE9ELNS1_3repE0EEENS1_30default_config_static_selectorELNS0_4arch9wavefront6targetE1EEEvT1_,comdat
.Lfunc_end106:
	.size	_ZN7rocprim17ROCPRIM_400000_NS6detail17trampoline_kernelINS0_14default_configENS1_20scan_config_selectorIfEEZZNS1_9scan_implILNS1_25lookback_scan_determinismE0ELb0ELb0ES3_PKfPffZZZN2at6native31launch_logcumsumexp_cuda_kernelERKNSB_10TensorBaseESF_lENKUlvE_clEvENKUlvE0_clEvEUlffE_fEEDaPvRmT3_T4_T5_mT6_P12ihipStream_tbENKUlT_T0_E_clISt17integral_constantIbLb0EESW_EEDaSR_SS_EUlSR_E0_NS1_11comp_targetILNS1_3genE5ELNS1_11target_archE942ELNS1_3gpuE9ELNS1_3repE0EEENS1_30default_config_static_selectorELNS0_4arch9wavefront6targetE1EEEvT1_, .Lfunc_end106-_ZN7rocprim17ROCPRIM_400000_NS6detail17trampoline_kernelINS0_14default_configENS1_20scan_config_selectorIfEEZZNS1_9scan_implILNS1_25lookback_scan_determinismE0ELb0ELb0ES3_PKfPffZZZN2at6native31launch_logcumsumexp_cuda_kernelERKNSB_10TensorBaseESF_lENKUlvE_clEvENKUlvE0_clEvEUlffE_fEEDaPvRmT3_T4_T5_mT6_P12ihipStream_tbENKUlT_T0_E_clISt17integral_constantIbLb0EESW_EEDaSR_SS_EUlSR_E0_NS1_11comp_targetILNS1_3genE5ELNS1_11target_archE942ELNS1_3gpuE9ELNS1_3repE0EEENS1_30default_config_static_selectorELNS0_4arch9wavefront6targetE1EEEvT1_
                                        ; -- End function
	.section	.AMDGPU.csdata,"",@progbits
; Kernel info:
; codeLenInByte = 0
; NumSgprs: 4
; NumVgprs: 0
; NumAgprs: 0
; TotalNumVgprs: 0
; ScratchSize: 0
; MemoryBound: 0
; FloatMode: 240
; IeeeMode: 1
; LDSByteSize: 0 bytes/workgroup (compile time only)
; SGPRBlocks: 0
; VGPRBlocks: 0
; NumSGPRsForWavesPerEU: 4
; NumVGPRsForWavesPerEU: 1
; AccumOffset: 4
; Occupancy: 8
; WaveLimiterHint : 0
; COMPUTE_PGM_RSRC2:SCRATCH_EN: 0
; COMPUTE_PGM_RSRC2:USER_SGPR: 6
; COMPUTE_PGM_RSRC2:TRAP_HANDLER: 0
; COMPUTE_PGM_RSRC2:TGID_X_EN: 1
; COMPUTE_PGM_RSRC2:TGID_Y_EN: 0
; COMPUTE_PGM_RSRC2:TGID_Z_EN: 0
; COMPUTE_PGM_RSRC2:TIDIG_COMP_CNT: 0
; COMPUTE_PGM_RSRC3_GFX90A:ACCUM_OFFSET: 0
; COMPUTE_PGM_RSRC3_GFX90A:TG_SPLIT: 0
	.section	.text._ZN7rocprim17ROCPRIM_400000_NS6detail17trampoline_kernelINS0_14default_configENS1_20scan_config_selectorIfEEZZNS1_9scan_implILNS1_25lookback_scan_determinismE0ELb0ELb0ES3_PKfPffZZZN2at6native31launch_logcumsumexp_cuda_kernelERKNSB_10TensorBaseESF_lENKUlvE_clEvENKUlvE0_clEvEUlffE_fEEDaPvRmT3_T4_T5_mT6_P12ihipStream_tbENKUlT_T0_E_clISt17integral_constantIbLb0EESW_EEDaSR_SS_EUlSR_E0_NS1_11comp_targetILNS1_3genE4ELNS1_11target_archE910ELNS1_3gpuE8ELNS1_3repE0EEENS1_30default_config_static_selectorELNS0_4arch9wavefront6targetE1EEEvT1_,"axG",@progbits,_ZN7rocprim17ROCPRIM_400000_NS6detail17trampoline_kernelINS0_14default_configENS1_20scan_config_selectorIfEEZZNS1_9scan_implILNS1_25lookback_scan_determinismE0ELb0ELb0ES3_PKfPffZZZN2at6native31launch_logcumsumexp_cuda_kernelERKNSB_10TensorBaseESF_lENKUlvE_clEvENKUlvE0_clEvEUlffE_fEEDaPvRmT3_T4_T5_mT6_P12ihipStream_tbENKUlT_T0_E_clISt17integral_constantIbLb0EESW_EEDaSR_SS_EUlSR_E0_NS1_11comp_targetILNS1_3genE4ELNS1_11target_archE910ELNS1_3gpuE8ELNS1_3repE0EEENS1_30default_config_static_selectorELNS0_4arch9wavefront6targetE1EEEvT1_,comdat
	.globl	_ZN7rocprim17ROCPRIM_400000_NS6detail17trampoline_kernelINS0_14default_configENS1_20scan_config_selectorIfEEZZNS1_9scan_implILNS1_25lookback_scan_determinismE0ELb0ELb0ES3_PKfPffZZZN2at6native31launch_logcumsumexp_cuda_kernelERKNSB_10TensorBaseESF_lENKUlvE_clEvENKUlvE0_clEvEUlffE_fEEDaPvRmT3_T4_T5_mT6_P12ihipStream_tbENKUlT_T0_E_clISt17integral_constantIbLb0EESW_EEDaSR_SS_EUlSR_E0_NS1_11comp_targetILNS1_3genE4ELNS1_11target_archE910ELNS1_3gpuE8ELNS1_3repE0EEENS1_30default_config_static_selectorELNS0_4arch9wavefront6targetE1EEEvT1_ ; -- Begin function _ZN7rocprim17ROCPRIM_400000_NS6detail17trampoline_kernelINS0_14default_configENS1_20scan_config_selectorIfEEZZNS1_9scan_implILNS1_25lookback_scan_determinismE0ELb0ELb0ES3_PKfPffZZZN2at6native31launch_logcumsumexp_cuda_kernelERKNSB_10TensorBaseESF_lENKUlvE_clEvENKUlvE0_clEvEUlffE_fEEDaPvRmT3_T4_T5_mT6_P12ihipStream_tbENKUlT_T0_E_clISt17integral_constantIbLb0EESW_EEDaSR_SS_EUlSR_E0_NS1_11comp_targetILNS1_3genE4ELNS1_11target_archE910ELNS1_3gpuE8ELNS1_3repE0EEENS1_30default_config_static_selectorELNS0_4arch9wavefront6targetE1EEEvT1_
	.p2align	8
	.type	_ZN7rocprim17ROCPRIM_400000_NS6detail17trampoline_kernelINS0_14default_configENS1_20scan_config_selectorIfEEZZNS1_9scan_implILNS1_25lookback_scan_determinismE0ELb0ELb0ES3_PKfPffZZZN2at6native31launch_logcumsumexp_cuda_kernelERKNSB_10TensorBaseESF_lENKUlvE_clEvENKUlvE0_clEvEUlffE_fEEDaPvRmT3_T4_T5_mT6_P12ihipStream_tbENKUlT_T0_E_clISt17integral_constantIbLb0EESW_EEDaSR_SS_EUlSR_E0_NS1_11comp_targetILNS1_3genE4ELNS1_11target_archE910ELNS1_3gpuE8ELNS1_3repE0EEENS1_30default_config_static_selectorELNS0_4arch9wavefront6targetE1EEEvT1_,@function
_ZN7rocprim17ROCPRIM_400000_NS6detail17trampoline_kernelINS0_14default_configENS1_20scan_config_selectorIfEEZZNS1_9scan_implILNS1_25lookback_scan_determinismE0ELb0ELb0ES3_PKfPffZZZN2at6native31launch_logcumsumexp_cuda_kernelERKNSB_10TensorBaseESF_lENKUlvE_clEvENKUlvE0_clEvEUlffE_fEEDaPvRmT3_T4_T5_mT6_P12ihipStream_tbENKUlT_T0_E_clISt17integral_constantIbLb0EESW_EEDaSR_SS_EUlSR_E0_NS1_11comp_targetILNS1_3genE4ELNS1_11target_archE910ELNS1_3gpuE8ELNS1_3repE0EEENS1_30default_config_static_selectorELNS0_4arch9wavefront6targetE1EEEvT1_: ; @_ZN7rocprim17ROCPRIM_400000_NS6detail17trampoline_kernelINS0_14default_configENS1_20scan_config_selectorIfEEZZNS1_9scan_implILNS1_25lookback_scan_determinismE0ELb0ELb0ES3_PKfPffZZZN2at6native31launch_logcumsumexp_cuda_kernelERKNSB_10TensorBaseESF_lENKUlvE_clEvENKUlvE0_clEvEUlffE_fEEDaPvRmT3_T4_T5_mT6_P12ihipStream_tbENKUlT_T0_E_clISt17integral_constantIbLb0EESW_EEDaSR_SS_EUlSR_E0_NS1_11comp_targetILNS1_3genE4ELNS1_11target_archE910ELNS1_3gpuE8ELNS1_3repE0EEENS1_30default_config_static_selectorELNS0_4arch9wavefront6targetE1EEEvT1_
; %bb.0:
	s_load_dwordx4 s[28:31], s[4:5], 0x0
	v_lshlrev_b32_e32 v18, 2, v0
	s_waitcnt lgkmcnt(0)
	s_load_dword s26, s[28:29], 0x0
	v_cmp_gt_u32_e32 vcc, s30, v0
	s_waitcnt lgkmcnt(0)
	v_mov_b32_e32 v1, s26
	s_and_saveexec_b64 s[0:1], vcc
	s_cbranch_execz .LBB107_2
; %bb.1:
	global_load_dword v1, v18, s[28:29]
.LBB107_2:
	s_or_b64 exec, exec, s[0:1]
	v_or_b32_e32 v2, 0x80, v0
	v_cmp_gt_u32_e64 s[0:1], s30, v2
	v_mov_b32_e32 v2, s26
	s_and_saveexec_b64 s[2:3], s[0:1]
	s_cbranch_execz .LBB107_4
; %bb.3:
	global_load_dword v2, v18, s[28:29] offset:512
.LBB107_4:
	s_or_b64 exec, exec, s[2:3]
	v_or_b32_e32 v3, 0x100, v0
	v_cmp_gt_u32_e64 s[2:3], s30, v3
	v_mov_b32_e32 v3, s26
	s_and_saveexec_b64 s[6:7], s[2:3]
	s_cbranch_execz .LBB107_6
; %bb.5:
	global_load_dword v3, v18, s[28:29] offset:1024
.LBB107_6:
	;; [unrolled: 9-line block ×7, first 2 shown]
	s_or_b64 exec, exec, s[14:15]
	v_or_b32_e32 v10, 0x400, v0
	v_cmp_gt_u32_e64 s[14:15], s30, v10
	v_mov_b32_e32 v9, s26
	s_and_saveexec_b64 s[16:17], s[14:15]
	s_cbranch_execz .LBB107_18
; %bb.17:
	v_lshlrev_b32_e32 v9, 2, v10
	global_load_dword v9, v9, s[28:29]
.LBB107_18:
	s_or_b64 exec, exec, s[16:17]
	v_or_b32_e32 v11, 0x480, v0
	v_cmp_gt_u32_e64 s[16:17], s30, v11
	v_mov_b32_e32 v10, s26
	s_and_saveexec_b64 s[18:19], s[16:17]
	s_cbranch_execz .LBB107_20
; %bb.19:
	v_lshlrev_b32_e32 v10, 2, v11
	global_load_dword v10, v10, s[28:29]
.LBB107_20:
	;; [unrolled: 10-line block ×6, first 2 shown]
	s_or_b64 exec, exec, s[26:27]
	s_waitcnt vmcnt(0)
	ds_write2st64_b32 v18, v1, v2 offset1:2
	ds_write2st64_b32 v18, v3, v4 offset0:4 offset1:6
	ds_write2st64_b32 v18, v5, v6 offset0:8 offset1:10
	ds_write2st64_b32 v18, v7, v8 offset0:12 offset1:14
	ds_write2st64_b32 v18, v9, v10 offset0:16 offset1:18
	ds_write2st64_b32 v18, v11, v12 offset0:20 offset1:22
	ds_write2st64_b32 v18, v13, v14 offset0:24 offset1:26
	v_mad_u32_u24 v1, v0, 52, v18
	s_waitcnt lgkmcnt(0)
	s_barrier
	ds_read2_b64 v[2:5], v1 offset1:1
	ds_read2_b64 v[10:13], v1 offset0:2 offset1:3
	ds_read2_b64 v[6:9], v1 offset0:4 offset1:5
	ds_read_b64 v[14:15], v1 offset:48
	s_movk_i32 s33, 0x1f8
	s_waitcnt lgkmcnt(3)
	v_max_f32_e32 v24, v3, v3
	v_max_f32_e32 v33, v2, v2
	v_min_f32_e32 v31, v33, v24
	v_cmp_u_f32_e64 s[54:55], v2, v2
	v_cndmask_b32_e64 v1, v31, v2, s[54:55]
	v_cmp_u_f32_e64 s[26:27], v3, v3
	v_max_f32_e32 v32, v33, v24
	v_cndmask_b32_e64 v16, v1, v3, s[26:27]
	v_cndmask_b32_e64 v1, v32, v2, s[54:55]
	;; [unrolled: 1-line block ×3, first 2 shown]
	v_cmp_neq_f32_e64 s[28:29], v16, v1
	v_cmp_class_f32_e64 s[30:31], v16, s33
	s_or_b64 s[28:29], s[28:29], s[30:31]
	v_mov_b32_e32 v34, v2
	s_waitcnt lgkmcnt(0)
	s_barrier
	s_and_saveexec_b64 s[30:31], s[28:29]
	s_cbranch_execz .LBB107_30
; %bb.29:
	v_sub_f32_e32 v16, v16, v1
	s_mov_b32 s28, 0x3fb8aa3b
	v_mul_f32_e32 v17, 0x3fb8aa3b, v16
	v_fma_f32 v19, v16, s28, -v17
	v_rndne_f32_e32 v20, v17
	v_fmac_f32_e32 v19, 0x32a5705f, v16
	v_sub_f32_e32 v17, v17, v20
	v_add_f32_e32 v17, v17, v19
	v_exp_f32_e32 v17, v17
	v_cvt_i32_f32_e32 v19, v20
	s_mov_b32 s28, 0xc2ce8ed0
	v_cmp_ngt_f32_e64 s[28:29], s28, v16
	s_mov_b32 s34, 0x7f800000
	v_ldexp_f32 v17, v17, v19
	v_cndmask_b32_e64 v17, 0, v17, s[28:29]
	s_mov_b32 s28, 0x42b17218
	v_mov_b32_e32 v19, 0x7f800000
	v_cmp_nlt_f32_e64 s[28:29], s28, v16
	v_cndmask_b32_e64 v25, v19, v17, s[28:29]
	v_add_f32_e32 v19, 1.0, v25
	v_add_f32_e32 v16, -1.0, v19
	v_sub_f32_e32 v17, v16, v19
	v_add_f32_e32 v17, 1.0, v17
	v_sub_f32_e32 v16, v25, v16
	v_add_f32_e32 v20, v16, v17
	v_frexp_mant_f32_e32 v21, v19
	s_mov_b32 s28, 0x3f2aaaab
	v_cvt_f64_f32_e32 v[16:17], v19
	v_frexp_exp_i32_f64_e32 v16, v[16:17]
	v_cmp_gt_f32_e64 s[28:29], s28, v21
	v_subbrev_co_u32_e64 v28, s[28:29], 0, v16, s[28:29]
	v_sub_u32_e32 v16, 0, v28
	v_ldexp_f32 v17, v19, v16
	v_add_f32_e32 v19, -1.0, v17
	v_add_f32_e32 v21, 1.0, v17
	v_ldexp_f32 v16, v20, v16
	v_add_f32_e32 v20, 1.0, v19
	v_add_f32_e32 v22, -1.0, v21
	v_sub_f32_e32 v20, v17, v20
	v_sub_f32_e32 v17, v17, v22
	v_add_f32_e32 v20, v16, v20
	v_add_f32_e32 v16, v16, v17
	;; [unrolled: 1-line block ×3, first 2 shown]
	v_rcp_f32_e32 v34, v29
	v_sub_f32_e32 v17, v21, v29
	v_add_f32_e32 v30, v16, v17
	v_add_f32_e32 v17, v19, v20
	v_sub_f32_e32 v16, v19, v17
	v_mul_f32_e32 v35, v17, v34
	v_add_f32_e32 v19, v20, v16
	v_mul_f32_e32 v20, v29, v35
	v_fma_f32 v22, v35, v29, -v20
	v_fmac_f32_e32 v22, v35, v30
	v_add_f32_e32 v16, v20, v22
	v_sub_f32_e32 v21, v17, v16
	v_pk_add_f32 v[26:27], v[16:17], v[20:21] neg_lo:[0,1] neg_hi:[0,1]
	v_mov_b32_e32 v23, v16
	v_pk_add_f32 v[16:17], v[26:27], v[22:23] neg_lo:[0,1] neg_hi:[0,1]
	v_add_f32_e32 v17, v19, v17
	v_add_f32_e32 v16, v16, v17
	;; [unrolled: 1-line block ×3, first 2 shown]
	v_mul_f32_e32 v19, v34, v17
	v_mul_f32_e32 v20, v29, v19
	v_fma_f32 v22, v19, v29, -v20
	v_fmac_f32_e32 v22, v19, v30
	v_sub_f32_e32 v21, v21, v17
	v_add_f32_e32 v29, v16, v21
	v_add_f32_e32 v16, v20, v22
	v_sub_f32_e32 v21, v17, v16
	v_pk_add_f32 v[26:27], v[16:17], v[20:21] neg_lo:[0,1] neg_hi:[0,1]
	v_mov_b32_e32 v23, v16
	v_pk_add_f32 v[16:17], v[26:27], v[22:23] neg_lo:[0,1] neg_hi:[0,1]
	v_add_f32_e32 v17, v29, v17
	v_add_f32_e32 v16, v16, v17
	;; [unrolled: 1-line block ×4, first 2 shown]
	v_sub_f32_e32 v17, v21, v35
	v_mul_f32_e32 v16, v34, v16
	v_sub_f32_e32 v17, v19, v17
	v_add_f32_e32 v16, v17, v16
	v_add_f32_e32 v19, v21, v16
	v_mul_f32_e32 v22, v19, v19
	v_mov_b32_e32 v20, 0x3ecc95a3
	v_fmac_f32_e32 v20, 0x3e9b6dac, v22
	v_mov_b32_e32 v17, 0x3f2aaada
	v_fmac_f32_e32 v17, v22, v20
	v_cvt_f32_i32_e32 v20, v28
	v_sub_f32_e32 v21, v19, v21
	v_sub_f32_e32 v16, v16, v21
	v_ldexp_f32 v26, v16, 1
	v_mul_f32_e32 v21, v19, v22
	v_mov_b32_e32 v16, 0x3f317218
	s_mov_b32 s28, 0x3f317218
	v_pk_mul_f32 v[16:17], v[20:21], v[16:17]
	v_fma_f32 v22, v20, s28, -v16
	v_ldexp_f32 v23, v19, 1
	v_fmac_f32_e32 v22, 0xb102e308, v20
	v_pk_add_f32 v[20:21], v[16:17], v[22:23]
	v_sub_f32_e32 v19, v21, v23
	v_sub_f32_e32 v19, v17, v19
	v_add_f32_e32 v27, v26, v19
	v_mov_b32_e32 v26, v16
	v_pk_add_f32 v[16:17], v[20:21], v[16:17] neg_lo:[0,1] neg_hi:[0,1]
	v_pk_add_f32 v[28:29], v[20:21], v[26:27]
	v_mov_b32_e32 v17, v29
	v_mov_b32_e32 v23, v20
	v_pk_add_f32 v[34:35], v[22:23], v[16:17] neg_lo:[0,1] neg_hi:[0,1]
	v_pk_add_f32 v[16:17], v[22:23], v[16:17]
	v_mov_b32_e32 v22, v17
	v_pk_add_f32 v[36:37], v[22:23], v[20:21] neg_lo:[0,1] neg_hi:[0,1]
	v_mov_b32_e32 v19, v36
	v_pk_add_f32 v[38:39], v[28:29], v[18:19] neg_lo:[0,1] neg_hi:[0,1]
	v_mov_b32_e32 v16, v29
	v_mov_b32_e32 v28, v21
	;; [unrolled: 1-line block ×4, first 2 shown]
	v_pk_add_f32 v[16:17], v[16:17], v[28:29] neg_lo:[0,1] neg_hi:[0,1]
	v_mov_b32_e32 v26, v27
	v_mov_b32_e32 v27, v20
	v_pk_add_f32 v[16:17], v[26:27], v[16:17] neg_lo:[0,1] neg_hi:[0,1]
	v_mov_b32_e32 v38, v34
	v_pk_add_f32 v[20:21], v[38:39], v[16:17]
	v_mov_b32_e32 v26, v21
	v_pk_add_f32 v[26:27], v[20:21], v[26:27]
	v_pk_add_f32 v[22:23], v[22:23], v[26:27]
	v_mov_b32_e32 v21, v22
	v_pk_add_f32 v[28:29], v[20:21], v[34:35] neg_lo:[0,1] neg_hi:[0,1]
	v_mov_b32_e32 v17, v26
	v_sub_f32_e32 v19, v20, v28
	v_pk_add_f32 v[16:17], v[16:17], v[28:29] neg_lo:[0,1] neg_hi:[0,1]
	v_sub_f32_e32 v19, v34, v19
	v_add_f32_e32 v16, v16, v19
	v_cmp_eq_f32_e64 s[28:29], s34, v25
	s_mov_b32 s34, 0x33800000
	v_add_f32_e32 v16, v16, v17
	v_cmp_lt_f32_e64 s[34:35], |v25|, s34
	v_add_f32_e32 v16, v22, v16
	s_or_b64 s[28:29], s[28:29], s[34:35]
	v_cndmask_b32_e64 v16, v16, v25, s[28:29]
	v_add_f32_e32 v34, v1, v16
.LBB107_30:
	s_or_b64 exec, exec, s[30:31]
	v_max_f32_e32 v16, v34, v34
	v_max_f32_e32 v1, v4, v4
	v_min_f32_e32 v17, v16, v1
	v_cmp_u_f32_e64 s[30:31], v34, v34
	v_max_f32_e32 v16, v16, v1
	v_cndmask_b32_e64 v17, v17, v34, s[30:31]
	v_cmp_u_f32_e64 s[28:29], v4, v4
	v_cndmask_b32_e64 v16, v16, v34, s[30:31]
	v_cndmask_b32_e64 v17, v17, v4, s[28:29]
	;; [unrolled: 1-line block ×3, first 2 shown]
	v_cmp_neq_f32_e64 s[30:31], v17, v16
	v_cmp_class_f32_e64 s[34:35], v17, s33
	s_or_b64 s[30:31], s[30:31], s[34:35]
	s_and_saveexec_b64 s[34:35], s[30:31]
	s_cbranch_execz .LBB107_32
; %bb.31:
	v_sub_f32_e32 v17, v17, v16
	s_mov_b32 s30, 0x3fb8aa3b
	v_mul_f32_e32 v19, 0x3fb8aa3b, v17
	v_fma_f32 v20, v17, s30, -v19
	v_rndne_f32_e32 v21, v19
	v_fmac_f32_e32 v20, 0x32a5705f, v17
	v_sub_f32_e32 v19, v19, v21
	v_add_f32_e32 v19, v19, v20
	v_exp_f32_e32 v19, v19
	v_cvt_i32_f32_e32 v20, v21
	s_mov_b32 s30, 0xc2ce8ed0
	v_cmp_ngt_f32_e64 s[30:31], s30, v17
	s_mov_b32 s33, 0x7f800000
	v_ldexp_f32 v19, v19, v20
	v_cndmask_b32_e64 v19, 0, v19, s[30:31]
	s_mov_b32 s30, 0x42b17218
	v_mov_b32_e32 v20, 0x7f800000
	v_cmp_nlt_f32_e64 s[30:31], s30, v17
	v_cndmask_b32_e64 v19, v20, v19, s[30:31]
	v_add_f32_e32 v17, 1.0, v19
	v_add_f32_e32 v20, -1.0, v17
	v_sub_f32_e32 v21, v20, v17
	v_add_f32_e32 v21, 1.0, v21
	v_sub_f32_e32 v20, v19, v20
	v_add_f32_e32 v22, v20, v21
	v_frexp_mant_f32_e32 v23, v17
	s_mov_b32 s30, 0x3f2aaaab
	v_cvt_f64_f32_e32 v[20:21], v17
	v_frexp_exp_i32_f64_e32 v20, v[20:21]
	v_cmp_gt_f32_e64 s[30:31], s30, v23
	v_subbrev_co_u32_e64 v25, s[30:31], 0, v20, s[30:31]
	v_sub_u32_e32 v20, 0, v25
	v_ldexp_f32 v17, v17, v20
	v_ldexp_f32 v20, v22, v20
	v_add_f32_e32 v22, -1.0, v17
	v_add_f32_e32 v21, 1.0, v22
	v_sub_f32_e32 v21, v17, v21
	v_add_f32_e32 v23, v20, v21
	v_add_f32_e32 v21, 1.0, v17
	v_add_f32_e32 v26, -1.0, v21
	v_sub_f32_e32 v17, v17, v26
	v_add_f32_e32 v17, v20, v17
	v_add_f32_e32 v30, v21, v17
	v_rcp_f32_e32 v34, v30
	v_sub_f32_e32 v20, v21, v30
	v_add_f32_e32 v21, v22, v23
	v_add_f32_e32 v17, v17, v20
	v_mul_f32_e32 v36, v21, v34
	v_sub_f32_e32 v20, v22, v21
	v_mul_f32_e32 v22, v30, v36
	v_fma_f32 v26, v36, v30, -v22
	v_fmac_f32_e32 v26, v36, v17
	v_add_f32_e32 v35, v23, v20
	v_add_f32_e32 v20, v22, v26
	v_sub_f32_e32 v23, v21, v20
	v_pk_add_f32 v[28:29], v[20:21], v[22:23] neg_lo:[0,1] neg_hi:[0,1]
	v_mov_b32_e32 v27, v20
	v_pk_add_f32 v[20:21], v[28:29], v[26:27] neg_lo:[0,1] neg_hi:[0,1]
	v_add_f32_e32 v21, v35, v21
	v_add_f32_e32 v20, v20, v21
	;; [unrolled: 1-line block ×3, first 2 shown]
	v_mul_f32_e32 v35, v34, v21
	v_mul_f32_e32 v22, v30, v35
	v_fma_f32 v26, v35, v30, -v22
	v_fmac_f32_e32 v26, v35, v17
	v_sub_f32_e32 v17, v23, v21
	v_add_f32_e32 v17, v20, v17
	v_add_f32_e32 v20, v22, v26
	v_sub_f32_e32 v23, v21, v20
	v_pk_add_f32 v[28:29], v[20:21], v[22:23] neg_lo:[0,1] neg_hi:[0,1]
	v_mov_b32_e32 v27, v20
	v_pk_add_f32 v[20:21], v[28:29], v[26:27] neg_lo:[0,1] neg_hi:[0,1]
	v_add_f32_e32 v17, v17, v21
	v_add_f32_e32 v17, v20, v17
	;; [unrolled: 1-line block ×4, first 2 shown]
	v_sub_f32_e32 v21, v20, v36
	v_mul_f32_e32 v17, v34, v17
	v_sub_f32_e32 v21, v35, v21
	v_add_f32_e32 v17, v21, v17
	v_add_f32_e32 v23, v20, v17
	v_mul_f32_e32 v26, v23, v23
	v_mov_b32_e32 v22, 0x3ecc95a3
	v_fmac_f32_e32 v22, 0x3e9b6dac, v26
	v_mov_b32_e32 v21, 0x3f2aaada
	v_fmac_f32_e32 v21, v26, v22
	v_cvt_f32_i32_e32 v22, v25
	v_sub_f32_e32 v20, v23, v20
	v_sub_f32_e32 v17, v17, v20
	v_ldexp_f32 v27, v23, 1
	v_mul_f32_e32 v23, v23, v26
	v_mov_b32_e32 v20, 0x3f317218
	s_mov_b32 s30, 0x3f317218
	v_pk_mul_f32 v[20:21], v[22:23], v[20:21]
	v_fma_f32 v26, v22, s30, -v20
	v_fmac_f32_e32 v26, 0xb102e308, v22
	v_pk_add_f32 v[22:23], v[20:21], v[26:27]
	v_sub_f32_e32 v25, v23, v27
	v_ldexp_f32 v17, v17, 1
	v_sub_f32_e32 v25, v21, v25
	v_add_f32_e32 v29, v17, v25
	v_mov_b32_e32 v28, v20
	v_pk_add_f32 v[20:21], v[22:23], v[20:21] neg_lo:[0,1] neg_hi:[0,1]
	v_pk_add_f32 v[34:35], v[22:23], v[28:29]
	v_mov_b32_e32 v21, v35
	v_mov_b32_e32 v27, v22
	v_pk_add_f32 v[36:37], v[26:27], v[20:21] neg_lo:[0,1] neg_hi:[0,1]
	v_pk_add_f32 v[20:21], v[26:27], v[20:21]
	v_mov_b32_e32 v26, v21
	v_pk_add_f32 v[38:39], v[26:27], v[22:23] neg_lo:[0,1] neg_hi:[0,1]
	v_mov_b32_e32 v17, v38
	v_pk_add_f32 v[40:41], v[34:35], v[16:17] neg_lo:[0,1] neg_hi:[0,1]
	v_mov_b32_e32 v20, v35
	v_mov_b32_e32 v34, v23
	;; [unrolled: 1-line block ×4, first 2 shown]
	v_pk_add_f32 v[20:21], v[20:21], v[34:35] neg_lo:[0,1] neg_hi:[0,1]
	v_mov_b32_e32 v28, v29
	v_mov_b32_e32 v29, v22
	v_pk_add_f32 v[20:21], v[28:29], v[20:21] neg_lo:[0,1] neg_hi:[0,1]
	v_mov_b32_e32 v40, v36
	v_pk_add_f32 v[22:23], v[40:41], v[20:21]
	v_mov_b32_e32 v28, v23
	v_pk_add_f32 v[28:29], v[22:23], v[28:29]
	v_pk_add_f32 v[26:27], v[26:27], v[28:29]
	v_mov_b32_e32 v23, v26
	v_pk_add_f32 v[34:35], v[22:23], v[36:37] neg_lo:[0,1] neg_hi:[0,1]
	v_mov_b32_e32 v21, v28
	v_sub_f32_e32 v17, v22, v34
	v_pk_add_f32 v[20:21], v[20:21], v[34:35] neg_lo:[0,1] neg_hi:[0,1]
	v_sub_f32_e32 v17, v36, v17
	v_add_f32_e32 v17, v20, v17
	v_cmp_eq_f32_e64 s[30:31], s33, v19
	s_mov_b32 s33, 0x33800000
	v_add_f32_e32 v17, v17, v21
	v_cmp_lt_f32_e64 s[36:37], |v19|, s33
	v_add_f32_e32 v17, v26, v17
	s_or_b64 s[30:31], s[30:31], s[36:37]
	v_cndmask_b32_e64 v17, v17, v19, s[30:31]
	v_add_f32_e32 v34, v16, v17
.LBB107_32:
	s_or_b64 exec, exec, s[34:35]
	v_max_f32_e32 v16, v34, v34
	v_max_f32_e32 v19, v5, v5
	v_min_f32_e32 v17, v16, v19
	v_cmp_u_f32_e64 s[34:35], v34, v34
	v_max_f32_e32 v16, v16, v19
	v_cndmask_b32_e64 v17, v17, v34, s[34:35]
	v_cmp_u_f32_e64 s[30:31], v5, v5
	v_cndmask_b32_e64 v16, v16, v34, s[34:35]
	v_cndmask_b32_e64 v17, v17, v5, s[30:31]
	;; [unrolled: 1-line block ×3, first 2 shown]
	s_movk_i32 s33, 0x1f8
	v_cmp_neq_f32_e64 s[34:35], v17, v16
	v_cmp_class_f32_e64 s[36:37], v17, s33
	s_or_b64 s[34:35], s[34:35], s[36:37]
	s_and_saveexec_b64 s[36:37], s[34:35]
	s_cbranch_execz .LBB107_34
; %bb.33:
	v_sub_f32_e32 v17, v17, v16
	s_mov_b32 s34, 0x3fb8aa3b
	v_mul_f32_e32 v20, 0x3fb8aa3b, v17
	v_fma_f32 v21, v17, s34, -v20
	v_rndne_f32_e32 v22, v20
	v_fmac_f32_e32 v21, 0x32a5705f, v17
	v_sub_f32_e32 v20, v20, v22
	v_add_f32_e32 v20, v20, v21
	v_exp_f32_e32 v20, v20
	v_cvt_i32_f32_e32 v21, v22
	s_mov_b32 s34, 0xc2ce8ed0
	v_cmp_ngt_f32_e64 s[34:35], s34, v17
	s_mov_b32 s38, 0x7f800000
	v_ldexp_f32 v20, v20, v21
	v_cndmask_b32_e64 v20, 0, v20, s[34:35]
	s_mov_b32 s34, 0x42b17218
	v_mov_b32_e32 v21, 0x7f800000
	v_cmp_nlt_f32_e64 s[34:35], s34, v17
	v_cndmask_b32_e64 v25, v21, v20, s[34:35]
	v_add_f32_e32 v17, 1.0, v25
	v_add_f32_e32 v20, -1.0, v17
	v_sub_f32_e32 v21, v20, v17
	v_add_f32_e32 v21, 1.0, v21
	v_sub_f32_e32 v20, v25, v20
	v_add_f32_e32 v22, v20, v21
	v_frexp_mant_f32_e32 v23, v17
	s_mov_b32 s34, 0x3f2aaaab
	v_cvt_f64_f32_e32 v[20:21], v17
	v_frexp_exp_i32_f64_e32 v20, v[20:21]
	v_cmp_gt_f32_e64 s[34:35], s34, v23
	v_subbrev_co_u32_e64 v30, s[34:35], 0, v20, s[34:35]
	v_sub_u32_e32 v20, 0, v30
	v_ldexp_f32 v17, v17, v20
	v_ldexp_f32 v20, v22, v20
	v_add_f32_e32 v22, -1.0, v17
	v_add_f32_e32 v21, 1.0, v22
	v_sub_f32_e32 v21, v17, v21
	v_add_f32_e32 v23, v20, v21
	v_add_f32_e32 v21, 1.0, v17
	v_add_f32_e32 v26, -1.0, v21
	v_sub_f32_e32 v17, v17, v26
	v_add_f32_e32 v17, v20, v17
	v_add_f32_e32 v34, v21, v17
	v_rcp_f32_e32 v35, v34
	v_sub_f32_e32 v20, v21, v34
	v_add_f32_e32 v21, v22, v23
	v_add_f32_e32 v17, v17, v20
	v_mul_f32_e32 v37, v21, v35
	v_sub_f32_e32 v20, v22, v21
	v_mul_f32_e32 v22, v34, v37
	v_fma_f32 v26, v37, v34, -v22
	v_fmac_f32_e32 v26, v37, v17
	v_add_f32_e32 v36, v23, v20
	v_add_f32_e32 v20, v22, v26
	v_sub_f32_e32 v23, v21, v20
	v_pk_add_f32 v[28:29], v[20:21], v[22:23] neg_lo:[0,1] neg_hi:[0,1]
	v_mov_b32_e32 v27, v20
	v_pk_add_f32 v[20:21], v[28:29], v[26:27] neg_lo:[0,1] neg_hi:[0,1]
	v_add_f32_e32 v21, v36, v21
	v_add_f32_e32 v20, v20, v21
	;; [unrolled: 1-line block ×3, first 2 shown]
	v_mul_f32_e32 v36, v35, v21
	v_mul_f32_e32 v22, v34, v36
	v_fma_f32 v26, v36, v34, -v22
	v_fmac_f32_e32 v26, v36, v17
	v_sub_f32_e32 v17, v23, v21
	v_add_f32_e32 v17, v20, v17
	v_add_f32_e32 v20, v22, v26
	v_sub_f32_e32 v23, v21, v20
	v_pk_add_f32 v[28:29], v[20:21], v[22:23] neg_lo:[0,1] neg_hi:[0,1]
	v_mov_b32_e32 v27, v20
	v_pk_add_f32 v[20:21], v[28:29], v[26:27] neg_lo:[0,1] neg_hi:[0,1]
	v_add_f32_e32 v17, v17, v21
	v_add_f32_e32 v17, v20, v17
	;; [unrolled: 1-line block ×4, first 2 shown]
	v_sub_f32_e32 v21, v20, v37
	v_mul_f32_e32 v17, v35, v17
	v_sub_f32_e32 v21, v36, v21
	v_add_f32_e32 v17, v21, v17
	v_add_f32_e32 v23, v20, v17
	v_mul_f32_e32 v26, v23, v23
	v_mov_b32_e32 v22, 0x3ecc95a3
	v_fmac_f32_e32 v22, 0x3e9b6dac, v26
	v_mov_b32_e32 v21, 0x3f2aaada
	v_fmac_f32_e32 v21, v26, v22
	v_cvt_f32_i32_e32 v22, v30
	v_sub_f32_e32 v20, v23, v20
	v_sub_f32_e32 v17, v17, v20
	v_ldexp_f32 v27, v23, 1
	v_mul_f32_e32 v23, v23, v26
	v_mov_b32_e32 v20, 0x3f317218
	s_mov_b32 s34, 0x3f317218
	v_pk_mul_f32 v[20:21], v[22:23], v[20:21]
	v_fma_f32 v26, v22, s34, -v20
	v_fmac_f32_e32 v26, 0xb102e308, v22
	v_pk_add_f32 v[22:23], v[20:21], v[26:27]
	v_sub_f32_e32 v27, v23, v27
	v_ldexp_f32 v17, v17, 1
	v_sub_f32_e32 v27, v21, v27
	v_add_f32_e32 v29, v17, v27
	v_mov_b32_e32 v28, v20
	v_pk_add_f32 v[20:21], v[22:23], v[20:21] neg_lo:[0,1] neg_hi:[0,1]
	v_pk_add_f32 v[34:35], v[22:23], v[28:29]
	v_mov_b32_e32 v21, v35
	v_mov_b32_e32 v27, v22
	v_pk_add_f32 v[36:37], v[26:27], v[20:21] neg_lo:[0,1] neg_hi:[0,1]
	v_pk_add_f32 v[20:21], v[26:27], v[20:21]
	v_mov_b32_e32 v26, v21
	v_pk_add_f32 v[38:39], v[26:27], v[22:23] neg_lo:[0,1] neg_hi:[0,1]
	v_mov_b32_e32 v17, v38
	v_pk_add_f32 v[40:41], v[34:35], v[16:17] neg_lo:[0,1] neg_hi:[0,1]
	v_mov_b32_e32 v20, v35
	v_mov_b32_e32 v34, v23
	;; [unrolled: 1-line block ×4, first 2 shown]
	v_pk_add_f32 v[20:21], v[20:21], v[34:35] neg_lo:[0,1] neg_hi:[0,1]
	v_mov_b32_e32 v28, v29
	v_mov_b32_e32 v29, v22
	v_pk_add_f32 v[20:21], v[28:29], v[20:21] neg_lo:[0,1] neg_hi:[0,1]
	v_mov_b32_e32 v40, v36
	v_pk_add_f32 v[22:23], v[40:41], v[20:21]
	v_mov_b32_e32 v28, v23
	v_pk_add_f32 v[28:29], v[22:23], v[28:29]
	v_pk_add_f32 v[26:27], v[26:27], v[28:29]
	v_mov_b32_e32 v23, v26
	v_pk_add_f32 v[34:35], v[22:23], v[36:37] neg_lo:[0,1] neg_hi:[0,1]
	v_mov_b32_e32 v21, v28
	v_sub_f32_e32 v17, v22, v34
	v_pk_add_f32 v[20:21], v[20:21], v[34:35] neg_lo:[0,1] neg_hi:[0,1]
	v_sub_f32_e32 v17, v36, v17
	v_add_f32_e32 v17, v20, v17
	v_cmp_eq_f32_e64 s[34:35], s38, v25
	s_mov_b32 s38, 0x33800000
	v_add_f32_e32 v17, v17, v21
	v_cmp_lt_f32_e64 s[38:39], |v25|, s38
	v_add_f32_e32 v17, v26, v17
	s_or_b64 s[34:35], s[34:35], s[38:39]
	v_cndmask_b32_e64 v17, v17, v25, s[34:35]
	v_add_f32_e32 v34, v16, v17
.LBB107_34:
	s_or_b64 exec, exec, s[36:37]
	v_max_f32_e32 v16, v34, v34
	v_max_f32_e32 v20, v10, v10
	v_min_f32_e32 v17, v16, v20
	v_cmp_u_f32_e64 s[36:37], v34, v34
	v_max_f32_e32 v16, v16, v20
	v_cndmask_b32_e64 v17, v17, v34, s[36:37]
	v_cmp_u_f32_e64 s[34:35], v10, v10
	v_cndmask_b32_e64 v16, v16, v34, s[36:37]
	v_cndmask_b32_e64 v17, v17, v10, s[34:35]
	;; [unrolled: 1-line block ×3, first 2 shown]
	v_cmp_neq_f32_e64 s[36:37], v17, v16
	v_cmp_class_f32_e64 s[38:39], v17, s33
	s_or_b64 s[36:37], s[36:37], s[38:39]
	s_and_saveexec_b64 s[38:39], s[36:37]
	s_cbranch_execz .LBB107_36
; %bb.35:
	v_sub_f32_e32 v17, v17, v16
	s_mov_b32 s33, 0x3fb8aa3b
	v_mul_f32_e32 v21, 0x3fb8aa3b, v17
	v_fma_f32 v22, v17, s33, -v21
	v_rndne_f32_e32 v23, v21
	v_fmac_f32_e32 v22, 0x32a5705f, v17
	v_sub_f32_e32 v21, v21, v23
	v_add_f32_e32 v21, v21, v22
	v_exp_f32_e32 v21, v21
	v_cvt_i32_f32_e32 v22, v23
	s_mov_b32 s33, 0xc2ce8ed0
	v_cmp_ngt_f32_e64 s[36:37], s33, v17
	s_mov_b32 s33, 0x42b17218
	v_ldexp_f32 v21, v21, v22
	v_cndmask_b32_e64 v21, 0, v21, s[36:37]
	v_mov_b32_e32 v22, 0x7f800000
	v_cmp_nlt_f32_e64 s[36:37], s33, v17
	v_cndmask_b32_e64 v21, v22, v21, s[36:37]
	v_add_f32_e32 v17, 1.0, v21
	v_add_f32_e32 v22, -1.0, v17
	v_sub_f32_e32 v23, v22, v17
	v_add_f32_e32 v23, 1.0, v23
	v_sub_f32_e32 v22, v21, v22
	v_add_f32_e32 v25, v22, v23
	v_frexp_mant_f32_e32 v26, v17
	s_mov_b32 s33, 0x3f2aaaab
	v_cvt_f64_f32_e32 v[22:23], v17
	v_frexp_exp_i32_f64_e32 v22, v[22:23]
	v_cmp_gt_f32_e64 s[36:37], s33, v26
	v_subbrev_co_u32_e64 v30, s[36:37], 0, v22, s[36:37]
	v_sub_u32_e32 v22, 0, v30
	v_ldexp_f32 v17, v17, v22
	v_ldexp_f32 v22, v25, v22
	v_add_f32_e32 v25, -1.0, v17
	v_add_f32_e32 v23, 1.0, v25
	v_sub_f32_e32 v23, v17, v23
	v_add_f32_e32 v26, v22, v23
	v_add_f32_e32 v23, 1.0, v17
	v_add_f32_e32 v27, -1.0, v23
	v_sub_f32_e32 v17, v17, v27
	v_add_f32_e32 v17, v22, v17
	v_add_f32_e32 v36, v23, v17
	v_rcp_f32_e32 v37, v36
	v_sub_f32_e32 v22, v23, v36
	v_add_f32_e32 v23, v25, v26
	v_add_f32_e32 v17, v17, v22
	v_sub_f32_e32 v22, v25, v23
	v_mul_f32_e32 v38, v23, v37
	v_add_f32_e32 v25, v26, v22
	v_mul_f32_e32 v26, v36, v38
	v_fma_f32 v28, v38, v36, -v26
	v_fmac_f32_e32 v28, v38, v17
	v_add_f32_e32 v22, v26, v28
	v_sub_f32_e32 v27, v23, v22
	v_pk_add_f32 v[34:35], v[22:23], v[26:27] neg_lo:[0,1] neg_hi:[0,1]
	v_mov_b32_e32 v29, v22
	v_pk_add_f32 v[22:23], v[34:35], v[28:29] neg_lo:[0,1] neg_hi:[0,1]
	v_add_f32_e32 v23, v25, v23
	v_add_f32_e32 v22, v22, v23
	;; [unrolled: 1-line block ×3, first 2 shown]
	v_mul_f32_e32 v25, v37, v23
	v_mul_f32_e32 v26, v36, v25
	v_fma_f32 v28, v25, v36, -v26
	v_fmac_f32_e32 v28, v25, v17
	v_sub_f32_e32 v17, v27, v23
	v_add_f32_e32 v17, v22, v17
	v_add_f32_e32 v22, v26, v28
	v_sub_f32_e32 v27, v23, v22
	v_pk_add_f32 v[34:35], v[22:23], v[26:27] neg_lo:[0,1] neg_hi:[0,1]
	v_mov_b32_e32 v29, v22
	v_pk_add_f32 v[22:23], v[34:35], v[28:29] neg_lo:[0,1] neg_hi:[0,1]
	v_add_f32_e32 v17, v17, v23
	v_add_f32_e32 v17, v22, v17
	;; [unrolled: 1-line block ×4, first 2 shown]
	v_sub_f32_e32 v23, v22, v38
	v_mul_f32_e32 v17, v37, v17
	v_sub_f32_e32 v23, v25, v23
	v_add_f32_e32 v17, v23, v17
	v_add_f32_e32 v25, v22, v17
	v_mul_f32_e32 v27, v25, v25
	v_mov_b32_e32 v26, 0x3ecc95a3
	v_fmac_f32_e32 v26, 0x3e9b6dac, v27
	v_mov_b32_e32 v23, 0x3f2aaada
	v_fmac_f32_e32 v23, v27, v26
	v_cvt_f32_i32_e32 v26, v30
	v_sub_f32_e32 v22, v25, v22
	v_sub_f32_e32 v17, v17, v22
	v_mul_f32_e32 v27, v25, v27
	v_mov_b32_e32 v22, 0x3f317218
	s_mov_b32 s33, 0x3f317218
	v_pk_mul_f32 v[22:23], v[26:27], v[22:23]
	v_fma_f32 v28, v26, s33, -v22
	v_ldexp_f32 v29, v25, 1
	v_fmac_f32_e32 v28, 0xb102e308, v26
	v_pk_add_f32 v[26:27], v[22:23], v[28:29]
	v_sub_f32_e32 v25, v27, v29
	v_ldexp_f32 v17, v17, 1
	v_sub_f32_e32 v25, v23, v25
	v_add_f32_e32 v35, v17, v25
	v_mov_b32_e32 v34, v22
	v_pk_add_f32 v[22:23], v[26:27], v[22:23] neg_lo:[0,1] neg_hi:[0,1]
	v_pk_add_f32 v[36:37], v[26:27], v[34:35]
	v_mov_b32_e32 v23, v37
	v_mov_b32_e32 v29, v26
	v_pk_add_f32 v[38:39], v[28:29], v[22:23] neg_lo:[0,1] neg_hi:[0,1]
	v_pk_add_f32 v[22:23], v[28:29], v[22:23]
	v_mov_b32_e32 v28, v23
	v_pk_add_f32 v[40:41], v[28:29], v[26:27] neg_lo:[0,1] neg_hi:[0,1]
	v_mov_b32_e32 v17, v40
	v_pk_add_f32 v[42:43], v[36:37], v[16:17] neg_lo:[0,1] neg_hi:[0,1]
	v_mov_b32_e32 v22, v37
	v_mov_b32_e32 v36, v27
	;; [unrolled: 1-line block ×4, first 2 shown]
	v_pk_add_f32 v[22:23], v[22:23], v[36:37] neg_lo:[0,1] neg_hi:[0,1]
	v_mov_b32_e32 v34, v35
	v_mov_b32_e32 v35, v26
	v_pk_add_f32 v[22:23], v[34:35], v[22:23] neg_lo:[0,1] neg_hi:[0,1]
	v_mov_b32_e32 v42, v38
	v_pk_add_f32 v[26:27], v[42:43], v[22:23]
	v_mov_b32_e32 v30, v27
	v_pk_add_f32 v[34:35], v[26:27], v[30:31]
	v_pk_add_f32 v[28:29], v[28:29], v[34:35]
	v_mov_b32_e32 v27, v28
	v_pk_add_f32 v[36:37], v[26:27], v[38:39] neg_lo:[0,1] neg_hi:[0,1]
	v_mov_b32_e32 v23, v34
	v_sub_f32_e32 v17, v26, v36
	v_pk_add_f32 v[22:23], v[22:23], v[36:37] neg_lo:[0,1] neg_hi:[0,1]
	v_sub_f32_e32 v17, v38, v17
	s_mov_b32 s40, 0x7f800000
	v_add_f32_e32 v17, v22, v17
	s_mov_b32 s33, 0x33800000
	v_add_f32_e32 v17, v17, v23
	v_cmp_eq_f32_e64 s[36:37], s40, v21
	v_cmp_lt_f32_e64 s[40:41], |v21|, s33
	v_add_f32_e32 v17, v28, v17
	s_or_b64 s[36:37], s[36:37], s[40:41]
	v_cndmask_b32_e64 v17, v17, v21, s[36:37]
	v_add_f32_e32 v34, v16, v17
.LBB107_36:
	s_or_b64 exec, exec, s[38:39]
	v_max_f32_e32 v16, v34, v34
	v_max_f32_e32 v21, v11, v11
	v_min_f32_e32 v17, v16, v21
	v_cmp_u_f32_e64 s[38:39], v34, v34
	v_max_f32_e32 v16, v16, v21
	v_cndmask_b32_e64 v17, v17, v34, s[38:39]
	v_cmp_u_f32_e64 s[36:37], v11, v11
	v_cndmask_b32_e64 v16, v16, v34, s[38:39]
	v_cndmask_b32_e64 v17, v17, v11, s[36:37]
	;; [unrolled: 1-line block ×3, first 2 shown]
	s_movk_i32 s33, 0x1f8
	v_cmp_neq_f32_e64 s[38:39], v17, v16
	v_cmp_class_f32_e64 s[40:41], v17, s33
	s_or_b64 s[38:39], s[38:39], s[40:41]
	s_and_saveexec_b64 s[40:41], s[38:39]
	s_cbranch_execz .LBB107_38
; %bb.37:
	v_sub_f32_e32 v17, v17, v16
	s_mov_b32 s38, 0x3fb8aa3b
	v_mul_f32_e32 v22, 0x3fb8aa3b, v17
	v_fma_f32 v23, v17, s38, -v22
	v_rndne_f32_e32 v25, v22
	v_fmac_f32_e32 v23, 0x32a5705f, v17
	v_sub_f32_e32 v22, v22, v25
	v_add_f32_e32 v22, v22, v23
	v_exp_f32_e32 v22, v22
	v_cvt_i32_f32_e32 v23, v25
	s_mov_b32 s38, 0xc2ce8ed0
	v_cmp_ngt_f32_e64 s[38:39], s38, v17
	s_mov_b32 s42, 0x7f800000
	v_ldexp_f32 v22, v22, v23
	v_cndmask_b32_e64 v22, 0, v22, s[38:39]
	s_mov_b32 s38, 0x42b17218
	v_mov_b32_e32 v23, 0x7f800000
	v_cmp_nlt_f32_e64 s[38:39], s38, v17
	v_cndmask_b32_e64 v25, v23, v22, s[38:39]
	v_add_f32_e32 v17, 1.0, v25
	v_add_f32_e32 v22, -1.0, v17
	v_sub_f32_e32 v23, v22, v17
	v_add_f32_e32 v23, 1.0, v23
	v_sub_f32_e32 v22, v25, v22
	v_add_f32_e32 v26, v22, v23
	v_frexp_mant_f32_e32 v27, v17
	s_mov_b32 s38, 0x3f2aaaab
	v_cvt_f64_f32_e32 v[22:23], v17
	v_frexp_exp_i32_f64_e32 v22, v[22:23]
	v_cmp_gt_f32_e64 s[38:39], s38, v27
	v_subbrev_co_u32_e64 v30, s[38:39], 0, v22, s[38:39]
	v_sub_u32_e32 v22, 0, v30
	v_ldexp_f32 v17, v17, v22
	v_ldexp_f32 v22, v26, v22
	v_add_f32_e32 v26, -1.0, v17
	v_add_f32_e32 v23, 1.0, v26
	v_sub_f32_e32 v23, v17, v23
	v_add_f32_e32 v27, v22, v23
	v_add_f32_e32 v23, 1.0, v17
	v_add_f32_e32 v28, -1.0, v23
	v_sub_f32_e32 v17, v17, v28
	v_add_f32_e32 v17, v22, v17
	v_add_f32_e32 v36, v23, v17
	v_rcp_f32_e32 v37, v36
	v_sub_f32_e32 v22, v23, v36
	v_add_f32_e32 v23, v26, v27
	v_add_f32_e32 v17, v17, v22
	v_mul_f32_e32 v39, v23, v37
	v_sub_f32_e32 v22, v26, v23
	v_mul_f32_e32 v26, v36, v39
	v_fma_f32 v28, v39, v36, -v26
	v_fmac_f32_e32 v28, v39, v17
	v_add_f32_e32 v38, v27, v22
	v_add_f32_e32 v22, v26, v28
	v_sub_f32_e32 v27, v23, v22
	v_pk_add_f32 v[34:35], v[22:23], v[26:27] neg_lo:[0,1] neg_hi:[0,1]
	v_mov_b32_e32 v29, v22
	v_pk_add_f32 v[22:23], v[34:35], v[28:29] neg_lo:[0,1] neg_hi:[0,1]
	v_add_f32_e32 v23, v38, v23
	v_add_f32_e32 v22, v22, v23
	;; [unrolled: 1-line block ×3, first 2 shown]
	v_mul_f32_e32 v38, v37, v23
	v_mul_f32_e32 v26, v36, v38
	v_fma_f32 v28, v38, v36, -v26
	v_fmac_f32_e32 v28, v38, v17
	v_sub_f32_e32 v17, v27, v23
	v_add_f32_e32 v17, v22, v17
	v_add_f32_e32 v22, v26, v28
	v_sub_f32_e32 v27, v23, v22
	v_pk_add_f32 v[34:35], v[22:23], v[26:27] neg_lo:[0,1] neg_hi:[0,1]
	v_mov_b32_e32 v29, v22
	v_pk_add_f32 v[22:23], v[34:35], v[28:29] neg_lo:[0,1] neg_hi:[0,1]
	v_add_f32_e32 v17, v17, v23
	v_add_f32_e32 v17, v22, v17
	;; [unrolled: 1-line block ×4, first 2 shown]
	v_sub_f32_e32 v23, v22, v39
	v_mul_f32_e32 v17, v37, v17
	v_sub_f32_e32 v23, v38, v23
	v_add_f32_e32 v17, v23, v17
	v_add_f32_e32 v27, v22, v17
	v_mul_f32_e32 v28, v27, v27
	v_mov_b32_e32 v26, 0x3ecc95a3
	v_fmac_f32_e32 v26, 0x3e9b6dac, v28
	v_mov_b32_e32 v23, 0x3f2aaada
	v_fmac_f32_e32 v23, v28, v26
	v_cvt_f32_i32_e32 v26, v30
	v_sub_f32_e32 v22, v27, v22
	v_sub_f32_e32 v17, v17, v22
	v_ldexp_f32 v29, v27, 1
	v_mul_f32_e32 v27, v27, v28
	v_mov_b32_e32 v22, 0x3f317218
	s_mov_b32 s38, 0x3f317218
	v_pk_mul_f32 v[22:23], v[26:27], v[22:23]
	v_fma_f32 v28, v26, s38, -v22
	v_fmac_f32_e32 v28, 0xb102e308, v26
	v_pk_add_f32 v[26:27], v[22:23], v[28:29]
	v_sub_f32_e32 v29, v27, v29
	v_ldexp_f32 v17, v17, 1
	v_sub_f32_e32 v29, v23, v29
	v_add_f32_e32 v35, v17, v29
	v_mov_b32_e32 v34, v22
	v_pk_add_f32 v[22:23], v[26:27], v[22:23] neg_lo:[0,1] neg_hi:[0,1]
	v_pk_add_f32 v[36:37], v[26:27], v[34:35]
	v_mov_b32_e32 v23, v37
	v_mov_b32_e32 v29, v26
	v_pk_add_f32 v[38:39], v[28:29], v[22:23] neg_lo:[0,1] neg_hi:[0,1]
	v_pk_add_f32 v[22:23], v[28:29], v[22:23]
	v_mov_b32_e32 v28, v23
	v_pk_add_f32 v[40:41], v[28:29], v[26:27] neg_lo:[0,1] neg_hi:[0,1]
	v_mov_b32_e32 v17, v40
	v_pk_add_f32 v[42:43], v[36:37], v[16:17] neg_lo:[0,1] neg_hi:[0,1]
	v_mov_b32_e32 v22, v37
	v_mov_b32_e32 v36, v27
	;; [unrolled: 1-line block ×4, first 2 shown]
	v_pk_add_f32 v[22:23], v[22:23], v[36:37] neg_lo:[0,1] neg_hi:[0,1]
	v_mov_b32_e32 v34, v35
	v_mov_b32_e32 v35, v26
	v_pk_add_f32 v[22:23], v[34:35], v[22:23] neg_lo:[0,1] neg_hi:[0,1]
	v_mov_b32_e32 v42, v38
	v_pk_add_f32 v[26:27], v[42:43], v[22:23]
	v_mov_b32_e32 v30, v27
	v_pk_add_f32 v[34:35], v[26:27], v[30:31]
	v_pk_add_f32 v[28:29], v[28:29], v[34:35]
	v_mov_b32_e32 v27, v28
	v_pk_add_f32 v[36:37], v[26:27], v[38:39] neg_lo:[0,1] neg_hi:[0,1]
	v_mov_b32_e32 v23, v34
	v_sub_f32_e32 v17, v26, v36
	v_pk_add_f32 v[22:23], v[22:23], v[36:37] neg_lo:[0,1] neg_hi:[0,1]
	v_sub_f32_e32 v17, v38, v17
	v_add_f32_e32 v17, v22, v17
	v_cmp_eq_f32_e64 s[38:39], s42, v25
	s_mov_b32 s42, 0x33800000
	v_add_f32_e32 v17, v17, v23
	v_cmp_lt_f32_e64 s[42:43], |v25|, s42
	v_add_f32_e32 v17, v28, v17
	s_or_b64 s[38:39], s[38:39], s[42:43]
	v_cndmask_b32_e64 v17, v17, v25, s[38:39]
	v_add_f32_e32 v34, v16, v17
.LBB107_38:
	s_or_b64 exec, exec, s[40:41]
	v_max_f32_e32 v16, v34, v34
	v_max_f32_e32 v22, v12, v12
	v_min_f32_e32 v17, v16, v22
	v_cmp_u_f32_e64 s[40:41], v34, v34
	v_max_f32_e32 v16, v16, v22
	v_cndmask_b32_e64 v17, v17, v34, s[40:41]
	v_cmp_u_f32_e64 s[38:39], v12, v12
	v_cndmask_b32_e64 v16, v16, v34, s[40:41]
	v_cndmask_b32_e64 v17, v17, v12, s[38:39]
	;; [unrolled: 1-line block ×3, first 2 shown]
	v_cmp_neq_f32_e64 s[40:41], v17, v16
	v_cmp_class_f32_e64 s[42:43], v17, s33
	s_or_b64 s[40:41], s[40:41], s[42:43]
	s_and_saveexec_b64 s[42:43], s[40:41]
	s_cbranch_execz .LBB107_40
; %bb.39:
	v_sub_f32_e32 v17, v17, v16
	s_mov_b32 s33, 0x3fb8aa3b
	v_mul_f32_e32 v23, 0x3fb8aa3b, v17
	v_fma_f32 v25, v17, s33, -v23
	v_rndne_f32_e32 v26, v23
	v_fmac_f32_e32 v25, 0x32a5705f, v17
	v_sub_f32_e32 v23, v23, v26
	v_add_f32_e32 v23, v23, v25
	v_exp_f32_e32 v23, v23
	v_cvt_i32_f32_e32 v25, v26
	s_mov_b32 s33, 0xc2ce8ed0
	v_cmp_ngt_f32_e64 s[40:41], s33, v17
	s_mov_b32 s33, 0x42b17218
	v_ldexp_f32 v23, v23, v25
	v_cndmask_b32_e64 v23, 0, v23, s[40:41]
	v_mov_b32_e32 v25, 0x7f800000
	v_cmp_nlt_f32_e64 s[40:41], s33, v17
	v_cndmask_b32_e64 v23, v25, v23, s[40:41]
	v_add_f32_e32 v17, 1.0, v23
	v_add_f32_e32 v25, -1.0, v17
	v_sub_f32_e32 v26, v25, v17
	v_add_f32_e32 v26, 1.0, v26
	v_sub_f32_e32 v25, v23, v25
	v_add_f32_e32 v25, v25, v26
	v_frexp_mant_f32_e32 v28, v17
	s_mov_b32 s33, 0x3f2aaaab
	v_cvt_f64_f32_e32 v[26:27], v17
	v_frexp_exp_i32_f64_e32 v26, v[26:27]
	v_cmp_gt_f32_e64 s[40:41], s33, v28
	v_subbrev_co_u32_e64 v30, s[40:41], 0, v26, s[40:41]
	v_sub_u32_e32 v26, 0, v30
	v_ldexp_f32 v17, v17, v26
	v_ldexp_f32 v25, v25, v26
	v_add_f32_e32 v26, -1.0, v17
	v_add_f32_e32 v27, 1.0, v26
	v_sub_f32_e32 v27, v17, v27
	v_add_f32_e32 v28, v25, v27
	v_add_f32_e32 v27, 1.0, v17
	v_add_f32_e32 v29, -1.0, v27
	v_sub_f32_e32 v17, v17, v29
	v_add_f32_e32 v17, v25, v17
	v_add_f32_e32 v25, v27, v17
	v_rcp_f32_e32 v38, v25
	v_sub_f32_e32 v27, v27, v25
	v_add_f32_e32 v17, v17, v27
	v_add_f32_e32 v27, v26, v28
	v_sub_f32_e32 v26, v26, v27
	v_mul_f32_e32 v40, v27, v38
	v_add_f32_e32 v39, v28, v26
	v_mul_f32_e32 v28, v25, v40
	v_fma_f32 v34, v40, v25, -v28
	v_fmac_f32_e32 v34, v40, v17
	v_add_f32_e32 v26, v28, v34
	v_sub_f32_e32 v29, v27, v26
	v_pk_add_f32 v[36:37], v[26:27], v[28:29] neg_lo:[0,1] neg_hi:[0,1]
	v_mov_b32_e32 v35, v26
	v_pk_add_f32 v[26:27], v[36:37], v[34:35] neg_lo:[0,1] neg_hi:[0,1]
	v_add_f32_e32 v27, v39, v27
	v_add_f32_e32 v26, v26, v27
	;; [unrolled: 1-line block ×3, first 2 shown]
	v_mul_f32_e32 v39, v38, v27
	v_mul_f32_e32 v28, v25, v39
	v_fma_f32 v34, v39, v25, -v28
	v_fmac_f32_e32 v34, v39, v17
	v_sub_f32_e32 v17, v29, v27
	v_add_f32_e32 v17, v26, v17
	v_add_f32_e32 v26, v28, v34
	v_sub_f32_e32 v29, v27, v26
	v_pk_add_f32 v[36:37], v[26:27], v[28:29] neg_lo:[0,1] neg_hi:[0,1]
	v_mov_b32_e32 v35, v26
	v_pk_add_f32 v[26:27], v[36:37], v[34:35] neg_lo:[0,1] neg_hi:[0,1]
	v_add_f32_e32 v17, v17, v27
	v_add_f32_e32 v17, v26, v17
	;; [unrolled: 1-line block ×4, first 2 shown]
	v_sub_f32_e32 v26, v25, v40
	v_mul_f32_e32 v17, v38, v17
	v_sub_f32_e32 v26, v39, v26
	v_add_f32_e32 v17, v26, v17
	v_add_f32_e32 v26, v25, v17
	v_mul_f32_e32 v29, v26, v26
	v_mov_b32_e32 v28, 0x3ecc95a3
	v_fmac_f32_e32 v28, 0x3e9b6dac, v29
	v_mov_b32_e32 v27, 0x3f2aaada
	v_fmac_f32_e32 v27, v29, v28
	v_cvt_f32_i32_e32 v28, v30
	v_sub_f32_e32 v25, v26, v25
	v_ldexp_f32 v35, v26, 1
	v_mul_f32_e32 v29, v26, v29
	v_mov_b32_e32 v26, 0x3f317218
	s_mov_b32 s33, 0x3f317218
	v_pk_mul_f32 v[26:27], v[28:29], v[26:27]
	v_fma_f32 v34, v28, s33, -v26
	v_fmac_f32_e32 v34, 0xb102e308, v28
	v_pk_add_f32 v[28:29], v[26:27], v[34:35]
	v_sub_f32_e32 v17, v17, v25
	v_sub_f32_e32 v25, v29, v35
	v_ldexp_f32 v17, v17, 1
	v_sub_f32_e32 v25, v27, v25
	v_add_f32_e32 v37, v17, v25
	v_mov_b32_e32 v36, v26
	v_pk_add_f32 v[26:27], v[28:29], v[26:27] neg_lo:[0,1] neg_hi:[0,1]
	v_pk_add_f32 v[38:39], v[28:29], v[36:37]
	v_mov_b32_e32 v27, v39
	v_mov_b32_e32 v35, v28
	v_pk_add_f32 v[40:41], v[34:35], v[26:27] neg_lo:[0,1] neg_hi:[0,1]
	v_pk_add_f32 v[26:27], v[34:35], v[26:27]
	v_mov_b32_e32 v30, v27
	v_pk_add_f32 v[34:35], v[30:31], v[28:29] neg_lo:[0,1] neg_hi:[0,1]
	v_mov_b32_e32 v17, v34
	v_pk_add_f32 v[42:43], v[38:39], v[16:17] neg_lo:[0,1] neg_hi:[0,1]
	v_mov_b32_e32 v26, v39
	v_mov_b32_e32 v38, v29
	;; [unrolled: 1-line block ×4, first 2 shown]
	v_pk_add_f32 v[26:27], v[26:27], v[38:39] neg_lo:[0,1] neg_hi:[0,1]
	v_mov_b32_e32 v34, v37
	v_mov_b32_e32 v35, v28
	v_pk_add_f32 v[26:27], v[34:35], v[26:27] neg_lo:[0,1] neg_hi:[0,1]
	v_mov_b32_e32 v42, v40
	v_pk_add_f32 v[28:29], v[42:43], v[26:27]
	v_mov_b32_e32 v34, v29
	v_pk_add_f32 v[34:35], v[28:29], v[34:35]
	v_pk_add_f32 v[36:37], v[30:31], v[34:35]
	v_mov_b32_e32 v29, v36
	v_pk_add_f32 v[38:39], v[28:29], v[40:41] neg_lo:[0,1] neg_hi:[0,1]
	v_mov_b32_e32 v27, v34
	v_sub_f32_e32 v17, v28, v38
	v_pk_add_f32 v[26:27], v[26:27], v[38:39] neg_lo:[0,1] neg_hi:[0,1]
	v_sub_f32_e32 v17, v40, v17
	s_mov_b32 s44, 0x7f800000
	v_add_f32_e32 v17, v26, v17
	s_mov_b32 s33, 0x33800000
	v_add_f32_e32 v17, v17, v27
	v_cmp_eq_f32_e64 s[40:41], s44, v23
	v_cmp_lt_f32_e64 s[44:45], |v23|, s33
	v_add_f32_e32 v17, v36, v17
	s_or_b64 s[40:41], s[40:41], s[44:45]
	v_cndmask_b32_e64 v17, v17, v23, s[40:41]
	v_add_f32_e32 v34, v16, v17
.LBB107_40:
	s_or_b64 exec, exec, s[42:43]
	v_max_f32_e32 v16, v34, v34
	v_max_f32_e32 v23, v13, v13
	v_min_f32_e32 v17, v16, v23
	v_cmp_u_f32_e64 s[42:43], v34, v34
	v_max_f32_e32 v16, v16, v23
	v_cndmask_b32_e64 v17, v17, v34, s[42:43]
	v_cmp_u_f32_e64 s[40:41], v13, v13
	v_cndmask_b32_e64 v16, v16, v34, s[42:43]
	v_cndmask_b32_e64 v17, v17, v13, s[40:41]
	;; [unrolled: 1-line block ×3, first 2 shown]
	s_movk_i32 s33, 0x1f8
	v_cmp_neq_f32_e64 s[42:43], v17, v16
	v_cmp_class_f32_e64 s[44:45], v17, s33
	s_or_b64 s[42:43], s[42:43], s[44:45]
	s_and_saveexec_b64 s[44:45], s[42:43]
	s_cbranch_execz .LBB107_42
; %bb.41:
	v_sub_f32_e32 v17, v17, v16
	s_mov_b32 s42, 0x3fb8aa3b
	v_mul_f32_e32 v25, 0x3fb8aa3b, v17
	v_fma_f32 v26, v17, s42, -v25
	v_rndne_f32_e32 v27, v25
	v_fmac_f32_e32 v26, 0x32a5705f, v17
	v_sub_f32_e32 v25, v25, v27
	v_add_f32_e32 v25, v25, v26
	v_exp_f32_e32 v25, v25
	v_cvt_i32_f32_e32 v26, v27
	s_mov_b32 s42, 0xc2ce8ed0
	v_cmp_ngt_f32_e64 s[42:43], s42, v17
	s_mov_b32 s46, 0x7f800000
	v_ldexp_f32 v25, v25, v26
	v_cndmask_b32_e64 v25, 0, v25, s[42:43]
	s_mov_b32 s42, 0x42b17218
	v_mov_b32_e32 v26, 0x7f800000
	v_cmp_nlt_f32_e64 s[42:43], s42, v17
	v_cndmask_b32_e64 v25, v26, v25, s[42:43]
	v_add_f32_e32 v17, 1.0, v25
	v_add_f32_e32 v26, -1.0, v17
	v_sub_f32_e32 v27, v26, v17
	v_add_f32_e32 v27, 1.0, v27
	v_sub_f32_e32 v26, v25, v26
	v_add_f32_e32 v28, v26, v27
	v_frexp_mant_f32_e32 v29, v17
	s_mov_b32 s42, 0x3f2aaaab
	v_cvt_f64_f32_e32 v[26:27], v17
	v_frexp_exp_i32_f64_e32 v26, v[26:27]
	v_cmp_gt_f32_e64 s[42:43], s42, v29
	v_subbrev_co_u32_e64 v30, s[42:43], 0, v26, s[42:43]
	v_sub_u32_e32 v26, 0, v30
	v_ldexp_f32 v17, v17, v26
	v_ldexp_f32 v26, v28, v26
	v_add_f32_e32 v28, -1.0, v17
	v_add_f32_e32 v27, 1.0, v28
	v_sub_f32_e32 v27, v17, v27
	v_add_f32_e32 v29, v26, v27
	v_add_f32_e32 v27, 1.0, v17
	v_add_f32_e32 v34, -1.0, v27
	v_sub_f32_e32 v17, v17, v34
	v_add_f32_e32 v17, v26, v17
	v_add_f32_e32 v38, v27, v17
	v_rcp_f32_e32 v39, v38
	v_sub_f32_e32 v26, v27, v38
	v_add_f32_e32 v27, v28, v29
	v_add_f32_e32 v17, v17, v26
	v_mul_f32_e32 v41, v27, v39
	v_sub_f32_e32 v26, v28, v27
	v_mul_f32_e32 v28, v38, v41
	v_fma_f32 v34, v41, v38, -v28
	v_fmac_f32_e32 v34, v41, v17
	v_add_f32_e32 v40, v29, v26
	v_add_f32_e32 v26, v28, v34
	v_sub_f32_e32 v29, v27, v26
	v_pk_add_f32 v[36:37], v[26:27], v[28:29] neg_lo:[0,1] neg_hi:[0,1]
	v_mov_b32_e32 v35, v26
	v_pk_add_f32 v[26:27], v[36:37], v[34:35] neg_lo:[0,1] neg_hi:[0,1]
	v_add_f32_e32 v27, v40, v27
	v_add_f32_e32 v26, v26, v27
	;; [unrolled: 1-line block ×3, first 2 shown]
	v_mul_f32_e32 v40, v39, v27
	v_mul_f32_e32 v28, v38, v40
	v_fma_f32 v34, v40, v38, -v28
	v_fmac_f32_e32 v34, v40, v17
	v_sub_f32_e32 v17, v29, v27
	v_add_f32_e32 v17, v26, v17
	v_add_f32_e32 v26, v28, v34
	v_sub_f32_e32 v29, v27, v26
	v_pk_add_f32 v[36:37], v[26:27], v[28:29] neg_lo:[0,1] neg_hi:[0,1]
	v_mov_b32_e32 v35, v26
	v_pk_add_f32 v[26:27], v[36:37], v[34:35] neg_lo:[0,1] neg_hi:[0,1]
	v_add_f32_e32 v17, v17, v27
	v_add_f32_e32 v17, v26, v17
	;; [unrolled: 1-line block ×4, first 2 shown]
	v_sub_f32_e32 v27, v26, v41
	v_mul_f32_e32 v17, v39, v17
	v_sub_f32_e32 v27, v40, v27
	v_add_f32_e32 v17, v27, v17
	v_add_f32_e32 v29, v26, v17
	v_mul_f32_e32 v34, v29, v29
	v_mov_b32_e32 v28, 0x3ecc95a3
	v_fmac_f32_e32 v28, 0x3e9b6dac, v34
	v_mov_b32_e32 v27, 0x3f2aaada
	v_fmac_f32_e32 v27, v34, v28
	v_cvt_f32_i32_e32 v28, v30
	v_sub_f32_e32 v26, v29, v26
	v_sub_f32_e32 v17, v17, v26
	v_ldexp_f32 v35, v29, 1
	v_mul_f32_e32 v29, v29, v34
	v_mov_b32_e32 v26, 0x3f317218
	s_mov_b32 s42, 0x3f317218
	v_pk_mul_f32 v[26:27], v[28:29], v[26:27]
	v_fma_f32 v34, v28, s42, -v26
	v_fmac_f32_e32 v34, 0xb102e308, v28
	v_pk_add_f32 v[28:29], v[26:27], v[34:35]
	v_sub_f32_e32 v30, v29, v35
	v_ldexp_f32 v17, v17, 1
	v_sub_f32_e32 v30, v27, v30
	v_add_f32_e32 v37, v17, v30
	v_mov_b32_e32 v36, v26
	v_pk_add_f32 v[26:27], v[28:29], v[26:27] neg_lo:[0,1] neg_hi:[0,1]
	v_pk_add_f32 v[38:39], v[28:29], v[36:37]
	v_mov_b32_e32 v27, v39
	v_mov_b32_e32 v35, v28
	v_pk_add_f32 v[40:41], v[34:35], v[26:27] neg_lo:[0,1] neg_hi:[0,1]
	v_pk_add_f32 v[26:27], v[34:35], v[26:27]
	v_mov_b32_e32 v30, v27
	v_pk_add_f32 v[34:35], v[30:31], v[28:29] neg_lo:[0,1] neg_hi:[0,1]
	v_mov_b32_e32 v17, v34
	v_pk_add_f32 v[42:43], v[38:39], v[16:17] neg_lo:[0,1] neg_hi:[0,1]
	v_mov_b32_e32 v26, v39
	v_mov_b32_e32 v38, v29
	;; [unrolled: 1-line block ×4, first 2 shown]
	v_pk_add_f32 v[26:27], v[26:27], v[38:39] neg_lo:[0,1] neg_hi:[0,1]
	v_mov_b32_e32 v34, v37
	v_mov_b32_e32 v35, v28
	v_pk_add_f32 v[26:27], v[34:35], v[26:27] neg_lo:[0,1] neg_hi:[0,1]
	v_mov_b32_e32 v42, v40
	v_pk_add_f32 v[28:29], v[42:43], v[26:27]
	v_mov_b32_e32 v34, v29
	v_pk_add_f32 v[34:35], v[28:29], v[34:35]
	v_pk_add_f32 v[36:37], v[30:31], v[34:35]
	v_mov_b32_e32 v29, v36
	v_pk_add_f32 v[38:39], v[28:29], v[40:41] neg_lo:[0,1] neg_hi:[0,1]
	v_mov_b32_e32 v27, v34
	v_sub_f32_e32 v17, v28, v38
	v_pk_add_f32 v[26:27], v[26:27], v[38:39] neg_lo:[0,1] neg_hi:[0,1]
	v_sub_f32_e32 v17, v40, v17
	v_add_f32_e32 v17, v26, v17
	v_cmp_eq_f32_e64 s[42:43], s46, v25
	s_mov_b32 s46, 0x33800000
	v_add_f32_e32 v17, v17, v27
	v_cmp_lt_f32_e64 s[46:47], |v25|, s46
	v_add_f32_e32 v17, v36, v17
	s_or_b64 s[42:43], s[42:43], s[46:47]
	v_cndmask_b32_e64 v17, v17, v25, s[42:43]
	v_add_f32_e32 v34, v16, v17
.LBB107_42:
	s_or_b64 exec, exec, s[44:45]
	v_max_f32_e32 v16, v34, v34
	v_max_f32_e32 v25, v6, v6
	v_min_f32_e32 v17, v16, v25
	v_cmp_u_f32_e64 s[44:45], v34, v34
	v_max_f32_e32 v16, v16, v25
	v_cndmask_b32_e64 v17, v17, v34, s[44:45]
	v_cmp_u_f32_e64 s[42:43], v6, v6
	v_cndmask_b32_e64 v16, v16, v34, s[44:45]
	v_cndmask_b32_e64 v17, v17, v6, s[42:43]
	;; [unrolled: 1-line block ×3, first 2 shown]
	v_cmp_neq_f32_e64 s[44:45], v17, v16
	v_cmp_class_f32_e64 s[46:47], v17, s33
	s_or_b64 s[44:45], s[44:45], s[46:47]
	s_and_saveexec_b64 s[46:47], s[44:45]
	s_cbranch_execz .LBB107_44
; %bb.43:
	v_sub_f32_e32 v17, v17, v16
	s_mov_b32 s33, 0x3fb8aa3b
	v_mul_f32_e32 v26, 0x3fb8aa3b, v17
	v_fma_f32 v27, v17, s33, -v26
	v_rndne_f32_e32 v28, v26
	v_fmac_f32_e32 v27, 0x32a5705f, v17
	v_sub_f32_e32 v26, v26, v28
	v_add_f32_e32 v26, v26, v27
	v_exp_f32_e32 v26, v26
	v_cvt_i32_f32_e32 v27, v28
	s_mov_b32 s33, 0xc2ce8ed0
	v_cmp_ngt_f32_e64 s[44:45], s33, v17
	s_mov_b32 s33, 0x42b17218
	v_ldexp_f32 v26, v26, v27
	v_cndmask_b32_e64 v26, 0, v26, s[44:45]
	v_mov_b32_e32 v27, 0x7f800000
	v_cmp_nlt_f32_e64 s[44:45], s33, v17
	v_cndmask_b32_e64 v44, v27, v26, s[44:45]
	v_add_f32_e32 v17, 1.0, v44
	v_add_f32_e32 v26, -1.0, v17
	v_sub_f32_e32 v27, v26, v17
	v_add_f32_e32 v27, 1.0, v27
	v_sub_f32_e32 v26, v44, v26
	v_add_f32_e32 v28, v26, v27
	v_frexp_mant_f32_e32 v29, v17
	s_mov_b32 s33, 0x3f2aaaab
	v_cvt_f64_f32_e32 v[26:27], v17
	v_frexp_exp_i32_f64_e32 v26, v[26:27]
	v_cmp_gt_f32_e64 s[44:45], s33, v29
	v_subbrev_co_u32_e64 v30, s[44:45], 0, v26, s[44:45]
	v_sub_u32_e32 v26, 0, v30
	v_ldexp_f32 v17, v17, v26
	v_ldexp_f32 v26, v28, v26
	v_add_f32_e32 v28, -1.0, v17
	v_add_f32_e32 v27, 1.0, v28
	v_sub_f32_e32 v27, v17, v27
	v_add_f32_e32 v29, v26, v27
	v_add_f32_e32 v27, 1.0, v17
	v_add_f32_e32 v34, -1.0, v27
	v_sub_f32_e32 v17, v17, v34
	v_add_f32_e32 v17, v26, v17
	v_add_f32_e32 v38, v27, v17
	v_rcp_f32_e32 v39, v38
	v_sub_f32_e32 v26, v27, v38
	v_add_f32_e32 v27, v28, v29
	v_add_f32_e32 v17, v17, v26
	v_mul_f32_e32 v41, v27, v39
	v_sub_f32_e32 v26, v28, v27
	v_mul_f32_e32 v28, v38, v41
	v_fma_f32 v34, v41, v38, -v28
	v_fmac_f32_e32 v34, v41, v17
	v_add_f32_e32 v40, v29, v26
	v_add_f32_e32 v26, v28, v34
	v_sub_f32_e32 v29, v27, v26
	v_pk_add_f32 v[36:37], v[26:27], v[28:29] neg_lo:[0,1] neg_hi:[0,1]
	v_mov_b32_e32 v35, v26
	v_pk_add_f32 v[26:27], v[36:37], v[34:35] neg_lo:[0,1] neg_hi:[0,1]
	v_add_f32_e32 v27, v40, v27
	v_add_f32_e32 v26, v26, v27
	;; [unrolled: 1-line block ×3, first 2 shown]
	v_mul_f32_e32 v40, v39, v27
	v_mul_f32_e32 v28, v38, v40
	v_fma_f32 v34, v40, v38, -v28
	v_fmac_f32_e32 v34, v40, v17
	v_sub_f32_e32 v17, v29, v27
	v_add_f32_e32 v17, v26, v17
	v_add_f32_e32 v26, v28, v34
	v_sub_f32_e32 v29, v27, v26
	v_pk_add_f32 v[36:37], v[26:27], v[28:29] neg_lo:[0,1] neg_hi:[0,1]
	v_mov_b32_e32 v35, v26
	v_pk_add_f32 v[26:27], v[36:37], v[34:35] neg_lo:[0,1] neg_hi:[0,1]
	v_add_f32_e32 v17, v17, v27
	v_add_f32_e32 v17, v26, v17
	;; [unrolled: 1-line block ×4, first 2 shown]
	v_sub_f32_e32 v27, v26, v41
	v_mul_f32_e32 v17, v39, v17
	v_sub_f32_e32 v27, v40, v27
	v_add_f32_e32 v17, v27, v17
	v_add_f32_e32 v29, v26, v17
	v_mul_f32_e32 v34, v29, v29
	v_mov_b32_e32 v28, 0x3ecc95a3
	v_fmac_f32_e32 v28, 0x3e9b6dac, v34
	v_mov_b32_e32 v27, 0x3f2aaada
	v_fmac_f32_e32 v27, v34, v28
	v_cvt_f32_i32_e32 v28, v30
	v_sub_f32_e32 v26, v29, v26
	v_sub_f32_e32 v17, v17, v26
	v_ldexp_f32 v35, v29, 1
	v_mul_f32_e32 v29, v29, v34
	v_mov_b32_e32 v26, 0x3f317218
	s_mov_b32 s33, 0x3f317218
	v_pk_mul_f32 v[26:27], v[28:29], v[26:27]
	v_fma_f32 v34, v28, s33, -v26
	v_fmac_f32_e32 v34, 0xb102e308, v28
	v_pk_add_f32 v[28:29], v[26:27], v[34:35]
	v_sub_f32_e32 v30, v29, v35
	v_ldexp_f32 v17, v17, 1
	v_sub_f32_e32 v30, v27, v30
	v_add_f32_e32 v37, v17, v30
	v_mov_b32_e32 v36, v26
	v_pk_add_f32 v[26:27], v[28:29], v[26:27] neg_lo:[0,1] neg_hi:[0,1]
	v_pk_add_f32 v[38:39], v[28:29], v[36:37]
	v_mov_b32_e32 v27, v39
	v_mov_b32_e32 v35, v28
	v_pk_add_f32 v[40:41], v[34:35], v[26:27] neg_lo:[0,1] neg_hi:[0,1]
	v_pk_add_f32 v[26:27], v[34:35], v[26:27]
	v_mov_b32_e32 v30, v27
	v_pk_add_f32 v[34:35], v[30:31], v[28:29] neg_lo:[0,1] neg_hi:[0,1]
	v_mov_b32_e32 v17, v34
	v_pk_add_f32 v[42:43], v[38:39], v[16:17] neg_lo:[0,1] neg_hi:[0,1]
	v_mov_b32_e32 v26, v39
	v_mov_b32_e32 v38, v29
	;; [unrolled: 1-line block ×4, first 2 shown]
	v_pk_add_f32 v[26:27], v[26:27], v[38:39] neg_lo:[0,1] neg_hi:[0,1]
	v_mov_b32_e32 v34, v37
	v_mov_b32_e32 v35, v28
	v_pk_add_f32 v[26:27], v[34:35], v[26:27] neg_lo:[0,1] neg_hi:[0,1]
	v_mov_b32_e32 v42, v40
	v_pk_add_f32 v[28:29], v[42:43], v[26:27]
	v_mov_b32_e32 v34, v29
	v_pk_add_f32 v[34:35], v[28:29], v[34:35]
	v_pk_add_f32 v[36:37], v[30:31], v[34:35]
	v_mov_b32_e32 v29, v36
	v_pk_add_f32 v[38:39], v[28:29], v[40:41] neg_lo:[0,1] neg_hi:[0,1]
	v_mov_b32_e32 v27, v34
	v_sub_f32_e32 v17, v28, v38
	v_pk_add_f32 v[26:27], v[26:27], v[38:39] neg_lo:[0,1] neg_hi:[0,1]
	v_sub_f32_e32 v17, v40, v17
	s_mov_b32 s48, 0x7f800000
	v_add_f32_e32 v17, v26, v17
	s_mov_b32 s33, 0x33800000
	v_add_f32_e32 v17, v17, v27
	v_cmp_eq_f32_e64 s[44:45], s48, v44
	v_cmp_lt_f32_e64 s[48:49], |v44|, s33
	v_add_f32_e32 v17, v36, v17
	s_or_b64 s[44:45], s[44:45], s[48:49]
	v_cndmask_b32_e64 v17, v17, v44, s[44:45]
	v_add_f32_e32 v34, v16, v17
.LBB107_44:
	s_or_b64 exec, exec, s[46:47]
	v_max_f32_e32 v16, v34, v34
	v_max_f32_e32 v26, v7, v7
	v_min_f32_e32 v17, v16, v26
	v_cmp_u_f32_e64 s[46:47], v34, v34
	v_max_f32_e32 v16, v16, v26
	v_cndmask_b32_e64 v17, v17, v34, s[46:47]
	v_cmp_u_f32_e64 s[44:45], v7, v7
	v_cndmask_b32_e64 v16, v16, v34, s[46:47]
	v_cndmask_b32_e64 v17, v17, v7, s[44:45]
	;; [unrolled: 1-line block ×3, first 2 shown]
	s_movk_i32 s33, 0x1f8
	v_cmp_neq_f32_e64 s[46:47], v17, v16
	v_cmp_class_f32_e64 s[48:49], v17, s33
	s_or_b64 s[46:47], s[46:47], s[48:49]
	s_and_saveexec_b64 s[48:49], s[46:47]
	s_cbranch_execz .LBB107_46
; %bb.45:
	v_sub_f32_e32 v17, v17, v16
	s_mov_b32 s46, 0x3fb8aa3b
	v_mul_f32_e32 v27, 0x3fb8aa3b, v17
	v_fma_f32 v28, v17, s46, -v27
	v_rndne_f32_e32 v29, v27
	v_fmac_f32_e32 v28, 0x32a5705f, v17
	v_sub_f32_e32 v27, v27, v29
	v_add_f32_e32 v27, v27, v28
	v_exp_f32_e32 v27, v27
	v_cvt_i32_f32_e32 v28, v29
	s_mov_b32 s46, 0xc2ce8ed0
	v_cmp_ngt_f32_e64 s[46:47], s46, v17
	s_mov_b32 s50, 0x7f800000
	v_ldexp_f32 v27, v27, v28
	v_cndmask_b32_e64 v27, 0, v27, s[46:47]
	s_mov_b32 s46, 0x42b17218
	v_mov_b32_e32 v28, 0x7f800000
	v_cmp_nlt_f32_e64 s[46:47], s46, v17
	v_cndmask_b32_e64 v27, v28, v27, s[46:47]
	v_add_f32_e32 v17, 1.0, v27
	v_add_f32_e32 v28, -1.0, v17
	v_sub_f32_e32 v29, v28, v17
	v_add_f32_e32 v29, 1.0, v29
	v_sub_f32_e32 v28, v27, v28
	v_add_f32_e32 v30, v28, v29
	v_frexp_mant_f32_e32 v34, v17
	s_mov_b32 s46, 0x3f2aaaab
	v_cvt_f64_f32_e32 v[28:29], v17
	v_frexp_exp_i32_f64_e32 v28, v[28:29]
	v_cmp_gt_f32_e64 s[46:47], s46, v34
	v_subbrev_co_u32_e64 v40, s[46:47], 0, v28, s[46:47]
	v_sub_u32_e32 v28, 0, v40
	v_ldexp_f32 v17, v17, v28
	v_ldexp_f32 v28, v30, v28
	v_add_f32_e32 v30, -1.0, v17
	v_add_f32_e32 v29, 1.0, v30
	v_sub_f32_e32 v29, v17, v29
	v_add_f32_e32 v34, v28, v29
	v_add_f32_e32 v29, 1.0, v17
	v_add_f32_e32 v35, -1.0, v29
	v_sub_f32_e32 v17, v17, v35
	v_add_f32_e32 v17, v28, v17
	v_add_f32_e32 v41, v29, v17
	v_rcp_f32_e32 v42, v41
	v_sub_f32_e32 v28, v29, v41
	v_add_f32_e32 v29, v30, v34
	v_add_f32_e32 v17, v17, v28
	v_sub_f32_e32 v28, v30, v29
	v_mul_f32_e32 v43, v29, v42
	v_add_f32_e32 v30, v34, v28
	v_mul_f32_e32 v34, v41, v43
	v_fma_f32 v36, v43, v41, -v34
	v_fmac_f32_e32 v36, v43, v17
	v_add_f32_e32 v28, v34, v36
	v_sub_f32_e32 v35, v29, v28
	v_pk_add_f32 v[38:39], v[28:29], v[34:35] neg_lo:[0,1] neg_hi:[0,1]
	v_mov_b32_e32 v37, v28
	v_pk_add_f32 v[28:29], v[38:39], v[36:37] neg_lo:[0,1] neg_hi:[0,1]
	v_add_f32_e32 v29, v30, v29
	v_add_f32_e32 v28, v28, v29
	;; [unrolled: 1-line block ×3, first 2 shown]
	v_mul_f32_e32 v30, v42, v29
	v_mul_f32_e32 v34, v41, v30
	v_fma_f32 v36, v30, v41, -v34
	v_fmac_f32_e32 v36, v30, v17
	v_sub_f32_e32 v17, v35, v29
	v_add_f32_e32 v17, v28, v17
	v_add_f32_e32 v28, v34, v36
	v_sub_f32_e32 v35, v29, v28
	v_pk_add_f32 v[38:39], v[28:29], v[34:35] neg_lo:[0,1] neg_hi:[0,1]
	v_mov_b32_e32 v37, v28
	v_pk_add_f32 v[28:29], v[38:39], v[36:37] neg_lo:[0,1] neg_hi:[0,1]
	v_add_f32_e32 v17, v17, v29
	v_add_f32_e32 v17, v28, v17
	;; [unrolled: 1-line block ×4, first 2 shown]
	v_sub_f32_e32 v29, v28, v43
	v_mul_f32_e32 v17, v42, v17
	v_sub_f32_e32 v29, v30, v29
	v_add_f32_e32 v17, v29, v17
	v_add_f32_e32 v30, v28, v17
	v_mul_f32_e32 v35, v30, v30
	v_mov_b32_e32 v34, 0x3ecc95a3
	v_fmac_f32_e32 v34, 0x3e9b6dac, v35
	v_mov_b32_e32 v29, 0x3f2aaada
	v_fmac_f32_e32 v29, v35, v34
	v_cvt_f32_i32_e32 v34, v40
	v_sub_f32_e32 v28, v30, v28
	v_sub_f32_e32 v17, v17, v28
	v_mul_f32_e32 v35, v30, v35
	v_mov_b32_e32 v28, 0x3f317218
	s_mov_b32 s46, 0x3f317218
	v_pk_mul_f32 v[28:29], v[34:35], v[28:29]
	v_fma_f32 v36, v34, s46, -v28
	v_ldexp_f32 v37, v30, 1
	v_fmac_f32_e32 v36, 0xb102e308, v34
	v_pk_add_f32 v[34:35], v[28:29], v[36:37]
	v_sub_f32_e32 v30, v35, v37
	v_ldexp_f32 v17, v17, 1
	v_sub_f32_e32 v30, v29, v30
	v_add_f32_e32 v39, v17, v30
	v_mov_b32_e32 v38, v28
	v_pk_add_f32 v[28:29], v[34:35], v[28:29] neg_lo:[0,1] neg_hi:[0,1]
	v_pk_add_f32 v[40:41], v[34:35], v[38:39]
	v_mov_b32_e32 v29, v41
	v_mov_b32_e32 v37, v34
	v_pk_add_f32 v[42:43], v[36:37], v[28:29] neg_lo:[0,1] neg_hi:[0,1]
	v_pk_add_f32 v[28:29], v[36:37], v[28:29]
	v_mov_b32_e32 v30, v29
	v_pk_add_f32 v[36:37], v[30:31], v[34:35] neg_lo:[0,1] neg_hi:[0,1]
	v_mov_b32_e32 v17, v36
	v_pk_add_f32 v[44:45], v[40:41], v[16:17] neg_lo:[0,1] neg_hi:[0,1]
	v_mov_b32_e32 v28, v41
	v_mov_b32_e32 v40, v35
	;; [unrolled: 1-line block ×4, first 2 shown]
	v_pk_add_f32 v[28:29], v[28:29], v[40:41] neg_lo:[0,1] neg_hi:[0,1]
	v_mov_b32_e32 v36, v39
	v_mov_b32_e32 v37, v34
	v_pk_add_f32 v[28:29], v[36:37], v[28:29] neg_lo:[0,1] neg_hi:[0,1]
	v_mov_b32_e32 v44, v42
	v_pk_add_f32 v[34:35], v[44:45], v[28:29]
	v_mov_b32_e32 v36, v35
	v_pk_add_f32 v[36:37], v[34:35], v[36:37]
	v_pk_add_f32 v[38:39], v[30:31], v[36:37]
	v_mov_b32_e32 v35, v38
	v_pk_add_f32 v[40:41], v[34:35], v[42:43] neg_lo:[0,1] neg_hi:[0,1]
	v_mov_b32_e32 v29, v36
	v_sub_f32_e32 v17, v34, v40
	v_pk_add_f32 v[28:29], v[28:29], v[40:41] neg_lo:[0,1] neg_hi:[0,1]
	v_sub_f32_e32 v17, v42, v17
	v_add_f32_e32 v17, v28, v17
	v_cmp_eq_f32_e64 s[46:47], s50, v27
	s_mov_b32 s50, 0x33800000
	v_add_f32_e32 v17, v17, v29
	v_cmp_lt_f32_e64 s[50:51], |v27|, s50
	v_add_f32_e32 v17, v38, v17
	s_or_b64 s[46:47], s[46:47], s[50:51]
	v_cndmask_b32_e64 v17, v17, v27, s[46:47]
	v_add_f32_e32 v34, v16, v17
.LBB107_46:
	s_or_b64 exec, exec, s[48:49]
	v_max_f32_e32 v16, v34, v34
	v_max_f32_e32 v27, v8, v8
	v_min_f32_e32 v17, v16, v27
	v_cmp_u_f32_e64 s[48:49], v34, v34
	v_max_f32_e32 v16, v16, v27
	v_cndmask_b32_e64 v17, v17, v34, s[48:49]
	v_cmp_u_f32_e64 s[46:47], v8, v8
	v_cndmask_b32_e64 v16, v16, v34, s[48:49]
	v_cndmask_b32_e64 v17, v17, v8, s[46:47]
	v_cndmask_b32_e64 v16, v16, v8, s[46:47]
	v_cmp_neq_f32_e64 s[48:49], v17, v16
	v_cmp_class_f32_e64 s[50:51], v17, s33
	s_or_b64 s[48:49], s[48:49], s[50:51]
	s_and_saveexec_b64 s[50:51], s[48:49]
	s_cbranch_execz .LBB107_48
; %bb.47:
	v_sub_f32_e32 v17, v17, v16
	s_mov_b32 s33, 0x3fb8aa3b
	v_mul_f32_e32 v28, 0x3fb8aa3b, v17
	v_fma_f32 v29, v17, s33, -v28
	v_rndne_f32_e32 v30, v28
	v_fmac_f32_e32 v29, 0x32a5705f, v17
	v_sub_f32_e32 v28, v28, v30
	v_add_f32_e32 v28, v28, v29
	v_exp_f32_e32 v28, v28
	v_cvt_i32_f32_e32 v29, v30
	s_mov_b32 s33, 0xc2ce8ed0
	v_cmp_ngt_f32_e64 s[48:49], s33, v17
	s_mov_b32 s33, 0x42b17218
	v_ldexp_f32 v28, v28, v29
	v_cndmask_b32_e64 v28, 0, v28, s[48:49]
	v_mov_b32_e32 v29, 0x7f800000
	v_cmp_nlt_f32_e64 s[48:49], s33, v17
	v_cndmask_b32_e64 v46, v29, v28, s[48:49]
	v_add_f32_e32 v17, 1.0, v46
	v_add_f32_e32 v28, -1.0, v17
	v_sub_f32_e32 v29, v28, v17
	v_add_f32_e32 v29, 1.0, v29
	v_sub_f32_e32 v28, v46, v28
	v_add_f32_e32 v30, v28, v29
	v_frexp_mant_f32_e32 v34, v17
	s_mov_b32 s33, 0x3f2aaaab
	v_cvt_f64_f32_e32 v[28:29], v17
	v_frexp_exp_i32_f64_e32 v28, v[28:29]
	v_cmp_gt_f32_e64 s[48:49], s33, v34
	v_subbrev_co_u32_e64 v40, s[48:49], 0, v28, s[48:49]
	v_sub_u32_e32 v28, 0, v40
	v_ldexp_f32 v17, v17, v28
	v_ldexp_f32 v28, v30, v28
	v_add_f32_e32 v30, -1.0, v17
	v_add_f32_e32 v29, 1.0, v30
	v_sub_f32_e32 v29, v17, v29
	v_add_f32_e32 v34, v28, v29
	v_add_f32_e32 v29, 1.0, v17
	v_add_f32_e32 v35, -1.0, v29
	v_sub_f32_e32 v17, v17, v35
	v_add_f32_e32 v17, v28, v17
	v_add_f32_e32 v41, v29, v17
	v_rcp_f32_e32 v42, v41
	v_sub_f32_e32 v28, v29, v41
	v_add_f32_e32 v29, v30, v34
	v_add_f32_e32 v17, v17, v28
	v_sub_f32_e32 v28, v30, v29
	v_mul_f32_e32 v43, v29, v42
	v_add_f32_e32 v30, v34, v28
	v_mul_f32_e32 v34, v41, v43
	v_fma_f32 v36, v43, v41, -v34
	v_fmac_f32_e32 v36, v43, v17
	v_add_f32_e32 v28, v34, v36
	v_sub_f32_e32 v35, v29, v28
	v_pk_add_f32 v[38:39], v[28:29], v[34:35] neg_lo:[0,1] neg_hi:[0,1]
	v_mov_b32_e32 v37, v28
	v_pk_add_f32 v[28:29], v[38:39], v[36:37] neg_lo:[0,1] neg_hi:[0,1]
	v_add_f32_e32 v29, v30, v29
	v_add_f32_e32 v28, v28, v29
	v_add_f32_e32 v29, v35, v28
	v_mul_f32_e32 v30, v42, v29
	v_mul_f32_e32 v34, v41, v30
	v_fma_f32 v36, v30, v41, -v34
	v_fmac_f32_e32 v36, v30, v17
	v_sub_f32_e32 v17, v35, v29
	v_add_f32_e32 v17, v28, v17
	v_add_f32_e32 v28, v34, v36
	v_sub_f32_e32 v35, v29, v28
	v_pk_add_f32 v[38:39], v[28:29], v[34:35] neg_lo:[0,1] neg_hi:[0,1]
	v_mov_b32_e32 v37, v28
	v_pk_add_f32 v[28:29], v[38:39], v[36:37] neg_lo:[0,1] neg_hi:[0,1]
	v_add_f32_e32 v17, v17, v29
	v_add_f32_e32 v17, v28, v17
	;; [unrolled: 1-line block ×4, first 2 shown]
	v_sub_f32_e32 v29, v28, v43
	v_mul_f32_e32 v17, v42, v17
	v_sub_f32_e32 v29, v30, v29
	v_add_f32_e32 v17, v29, v17
	v_add_f32_e32 v30, v28, v17
	v_mul_f32_e32 v35, v30, v30
	v_mov_b32_e32 v34, 0x3ecc95a3
	v_fmac_f32_e32 v34, 0x3e9b6dac, v35
	v_mov_b32_e32 v29, 0x3f2aaada
	v_fmac_f32_e32 v29, v35, v34
	v_cvt_f32_i32_e32 v34, v40
	v_sub_f32_e32 v28, v30, v28
	v_sub_f32_e32 v17, v17, v28
	v_mul_f32_e32 v35, v30, v35
	v_mov_b32_e32 v28, 0x3f317218
	s_mov_b32 s33, 0x3f317218
	v_pk_mul_f32 v[28:29], v[34:35], v[28:29]
	v_fma_f32 v36, v34, s33, -v28
	v_ldexp_f32 v37, v30, 1
	v_fmac_f32_e32 v36, 0xb102e308, v34
	v_pk_add_f32 v[34:35], v[28:29], v[36:37]
	v_sub_f32_e32 v30, v35, v37
	v_ldexp_f32 v17, v17, 1
	v_sub_f32_e32 v30, v29, v30
	v_add_f32_e32 v39, v17, v30
	v_mov_b32_e32 v38, v28
	v_pk_add_f32 v[28:29], v[34:35], v[28:29] neg_lo:[0,1] neg_hi:[0,1]
	v_pk_add_f32 v[40:41], v[34:35], v[38:39]
	v_mov_b32_e32 v29, v41
	v_mov_b32_e32 v37, v34
	v_pk_add_f32 v[42:43], v[36:37], v[28:29] neg_lo:[0,1] neg_hi:[0,1]
	v_pk_add_f32 v[28:29], v[36:37], v[28:29]
	v_mov_b32_e32 v30, v29
	v_pk_add_f32 v[36:37], v[30:31], v[34:35] neg_lo:[0,1] neg_hi:[0,1]
	v_mov_b32_e32 v17, v36
	v_pk_add_f32 v[44:45], v[40:41], v[16:17] neg_lo:[0,1] neg_hi:[0,1]
	v_mov_b32_e32 v28, v41
	v_mov_b32_e32 v40, v35
	;; [unrolled: 1-line block ×4, first 2 shown]
	v_pk_add_f32 v[28:29], v[28:29], v[40:41] neg_lo:[0,1] neg_hi:[0,1]
	v_mov_b32_e32 v36, v39
	v_mov_b32_e32 v37, v34
	v_pk_add_f32 v[28:29], v[36:37], v[28:29] neg_lo:[0,1] neg_hi:[0,1]
	v_mov_b32_e32 v44, v42
	v_pk_add_f32 v[34:35], v[44:45], v[28:29]
	v_mov_b32_e32 v36, v35
	v_pk_add_f32 v[36:37], v[34:35], v[36:37]
	v_pk_add_f32 v[38:39], v[30:31], v[36:37]
	v_mov_b32_e32 v35, v38
	v_pk_add_f32 v[40:41], v[34:35], v[42:43] neg_lo:[0,1] neg_hi:[0,1]
	v_mov_b32_e32 v29, v36
	v_sub_f32_e32 v17, v34, v40
	v_pk_add_f32 v[28:29], v[28:29], v[40:41] neg_lo:[0,1] neg_hi:[0,1]
	v_sub_f32_e32 v17, v42, v17
	s_mov_b32 s52, 0x7f800000
	v_add_f32_e32 v17, v28, v17
	s_mov_b32 s33, 0x33800000
	v_add_f32_e32 v17, v17, v29
	v_cmp_eq_f32_e64 s[48:49], s52, v46
	v_cmp_lt_f32_e64 s[52:53], |v46|, s33
	v_add_f32_e32 v17, v38, v17
	s_or_b64 s[48:49], s[48:49], s[52:53]
	v_cndmask_b32_e64 v17, v17, v46, s[48:49]
	v_add_f32_e32 v34, v16, v17
.LBB107_48:
	s_or_b64 exec, exec, s[50:51]
	v_max_f32_e32 v16, v34, v34
	v_max_f32_e32 v28, v9, v9
	v_min_f32_e32 v17, v16, v28
	v_cmp_u_f32_e64 s[50:51], v34, v34
	v_max_f32_e32 v16, v16, v28
	v_cndmask_b32_e64 v17, v17, v34, s[50:51]
	v_cmp_u_f32_e64 s[48:49], v9, v9
	v_cndmask_b32_e64 v16, v16, v34, s[50:51]
	v_cndmask_b32_e64 v17, v17, v9, s[48:49]
	v_cndmask_b32_e64 v16, v16, v9, s[48:49]
	s_movk_i32 s33, 0x1f8
	v_cmp_neq_f32_e64 s[50:51], v17, v16
	v_cmp_class_f32_e64 s[52:53], v17, s33
	s_or_b64 s[50:51], s[50:51], s[52:53]
	s_and_saveexec_b64 s[52:53], s[50:51]
	s_cbranch_execz .LBB107_50
; %bb.49:
	v_sub_f32_e32 v17, v17, v16
	s_mov_b32 s50, 0x3fb8aa3b
	v_mul_f32_e32 v29, 0x3fb8aa3b, v17
	v_fma_f32 v30, v17, s50, -v29
	v_rndne_f32_e32 v34, v29
	v_fmac_f32_e32 v30, 0x32a5705f, v17
	v_sub_f32_e32 v29, v29, v34
	v_add_f32_e32 v29, v29, v30
	v_exp_f32_e32 v29, v29
	v_cvt_i32_f32_e32 v30, v34
	s_mov_b32 s50, 0xc2ce8ed0
	v_cmp_ngt_f32_e64 s[50:51], s50, v17
	s_mov_b32 s58, 0x7f800000
	v_ldexp_f32 v29, v29, v30
	v_cndmask_b32_e64 v29, 0, v29, s[50:51]
	s_mov_b32 s50, 0x42b17218
	v_mov_b32_e32 v30, 0x7f800000
	v_cmp_nlt_f32_e64 s[50:51], s50, v17
	v_cndmask_b32_e64 v29, v30, v29, s[50:51]
	v_add_f32_e32 v17, 1.0, v29
	v_add_f32_e32 v30, -1.0, v17
	v_sub_f32_e32 v34, v30, v17
	v_add_f32_e32 v34, 1.0, v34
	v_sub_f32_e32 v30, v29, v30
	v_add_f32_e32 v30, v30, v34
	v_frexp_mant_f32_e32 v36, v17
	s_mov_b32 s50, 0x3f2aaaab
	v_cvt_f64_f32_e32 v[34:35], v17
	v_frexp_exp_i32_f64_e32 v34, v[34:35]
	v_cmp_gt_f32_e64 s[50:51], s50, v36
	v_subbrev_co_u32_e64 v42, s[50:51], 0, v34, s[50:51]
	v_sub_u32_e32 v34, 0, v42
	v_ldexp_f32 v17, v17, v34
	v_ldexp_f32 v30, v30, v34
	v_add_f32_e32 v34, -1.0, v17
	v_add_f32_e32 v35, 1.0, v34
	v_sub_f32_e32 v35, v17, v35
	v_add_f32_e32 v36, v30, v35
	v_add_f32_e32 v35, 1.0, v17
	v_add_f32_e32 v37, -1.0, v35
	v_sub_f32_e32 v17, v17, v37
	v_add_f32_e32 v17, v30, v17
	v_add_f32_e32 v30, v35, v17
	v_rcp_f32_e32 v43, v30
	v_sub_f32_e32 v35, v35, v30
	v_add_f32_e32 v17, v17, v35
	v_add_f32_e32 v35, v34, v36
	v_sub_f32_e32 v34, v34, v35
	v_mul_f32_e32 v45, v35, v43
	v_add_f32_e32 v44, v36, v34
	v_mul_f32_e32 v36, v30, v45
	v_fma_f32 v38, v45, v30, -v36
	v_fmac_f32_e32 v38, v45, v17
	v_add_f32_e32 v34, v36, v38
	v_sub_f32_e32 v37, v35, v34
	v_pk_add_f32 v[40:41], v[34:35], v[36:37] neg_lo:[0,1] neg_hi:[0,1]
	v_mov_b32_e32 v39, v34
	v_pk_add_f32 v[34:35], v[40:41], v[38:39] neg_lo:[0,1] neg_hi:[0,1]
	v_add_f32_e32 v35, v44, v35
	v_add_f32_e32 v34, v34, v35
	;; [unrolled: 1-line block ×3, first 2 shown]
	v_mul_f32_e32 v44, v43, v35
	v_mul_f32_e32 v36, v30, v44
	v_fma_f32 v38, v44, v30, -v36
	v_fmac_f32_e32 v38, v44, v17
	v_sub_f32_e32 v17, v37, v35
	v_add_f32_e32 v17, v34, v17
	v_add_f32_e32 v34, v36, v38
	v_sub_f32_e32 v37, v35, v34
	v_pk_add_f32 v[40:41], v[34:35], v[36:37] neg_lo:[0,1] neg_hi:[0,1]
	v_mov_b32_e32 v39, v34
	v_pk_add_f32 v[34:35], v[40:41], v[38:39] neg_lo:[0,1] neg_hi:[0,1]
	v_add_f32_e32 v17, v17, v35
	v_add_f32_e32 v17, v34, v17
	;; [unrolled: 1-line block ×4, first 2 shown]
	v_sub_f32_e32 v34, v30, v45
	v_mul_f32_e32 v17, v43, v17
	v_sub_f32_e32 v34, v44, v34
	v_add_f32_e32 v17, v34, v17
	v_add_f32_e32 v34, v30, v17
	v_mul_f32_e32 v37, v34, v34
	v_mov_b32_e32 v36, 0x3ecc95a3
	v_fmac_f32_e32 v36, 0x3e9b6dac, v37
	v_mov_b32_e32 v35, 0x3f2aaada
	v_fmac_f32_e32 v35, v37, v36
	v_cvt_f32_i32_e32 v36, v42
	v_sub_f32_e32 v30, v34, v30
	v_ldexp_f32 v39, v34, 1
	v_mul_f32_e32 v37, v34, v37
	v_mov_b32_e32 v34, 0x3f317218
	s_mov_b32 s50, 0x3f317218
	v_pk_mul_f32 v[34:35], v[36:37], v[34:35]
	v_fma_f32 v38, v36, s50, -v34
	v_fmac_f32_e32 v38, 0xb102e308, v36
	v_pk_add_f32 v[36:37], v[34:35], v[38:39]
	v_sub_f32_e32 v17, v17, v30
	v_sub_f32_e32 v30, v37, v39
	v_ldexp_f32 v17, v17, 1
	v_sub_f32_e32 v30, v35, v30
	v_add_f32_e32 v41, v17, v30
	v_mov_b32_e32 v40, v34
	v_pk_add_f32 v[34:35], v[36:37], v[34:35] neg_lo:[0,1] neg_hi:[0,1]
	v_pk_add_f32 v[42:43], v[36:37], v[40:41]
	v_mov_b32_e32 v35, v43
	v_mov_b32_e32 v39, v36
	v_pk_add_f32 v[44:45], v[38:39], v[34:35] neg_lo:[0,1] neg_hi:[0,1]
	v_pk_add_f32 v[34:35], v[38:39], v[34:35]
	v_mov_b32_e32 v30, v35
	v_pk_add_f32 v[38:39], v[30:31], v[36:37] neg_lo:[0,1] neg_hi:[0,1]
	v_mov_b32_e32 v17, v38
	v_pk_add_f32 v[46:47], v[42:43], v[16:17] neg_lo:[0,1] neg_hi:[0,1]
	v_mov_b32_e32 v34, v43
	v_mov_b32_e32 v42, v37
	v_mov_b32_e32 v43, v38
	v_mov_b32_e32 v45, v35
	v_pk_add_f32 v[34:35], v[34:35], v[42:43] neg_lo:[0,1] neg_hi:[0,1]
	v_mov_b32_e32 v38, v41
	v_mov_b32_e32 v39, v36
	v_pk_add_f32 v[34:35], v[38:39], v[34:35] neg_lo:[0,1] neg_hi:[0,1]
	v_mov_b32_e32 v46, v44
	v_pk_add_f32 v[36:37], v[46:47], v[34:35]
	v_mov_b32_e32 v38, v37
	v_pk_add_f32 v[38:39], v[36:37], v[38:39]
	v_pk_add_f32 v[40:41], v[30:31], v[38:39]
	v_mov_b32_e32 v37, v40
	v_pk_add_f32 v[42:43], v[36:37], v[44:45] neg_lo:[0,1] neg_hi:[0,1]
	v_mov_b32_e32 v35, v38
	v_sub_f32_e32 v17, v36, v42
	v_pk_add_f32 v[34:35], v[34:35], v[42:43] neg_lo:[0,1] neg_hi:[0,1]
	v_sub_f32_e32 v17, v44, v17
	v_add_f32_e32 v17, v34, v17
	v_cmp_eq_f32_e64 s[50:51], s58, v29
	s_mov_b32 s58, 0x33800000
	v_add_f32_e32 v17, v17, v35
	v_cmp_lt_f32_e64 s[58:59], |v29|, s58
	v_add_f32_e32 v17, v40, v17
	s_or_b64 s[50:51], s[50:51], s[58:59]
	v_cndmask_b32_e64 v17, v17, v29, s[50:51]
	v_add_f32_e32 v34, v16, v17
.LBB107_50:
	s_or_b64 exec, exec, s[52:53]
	v_max_f32_e32 v16, v34, v34
	v_max_f32_e32 v29, v14, v14
	v_min_f32_e32 v17, v16, v29
	v_cmp_u_f32_e64 s[52:53], v34, v34
	v_max_f32_e32 v16, v16, v29
	v_cndmask_b32_e64 v17, v17, v34, s[52:53]
	v_cmp_u_f32_e64 s[50:51], v14, v14
	v_cndmask_b32_e64 v16, v16, v34, s[52:53]
	v_cndmask_b32_e64 v17, v17, v14, s[50:51]
	;; [unrolled: 1-line block ×3, first 2 shown]
	v_cmp_neq_f32_e64 s[52:53], v17, v16
	v_cmp_class_f32_e64 s[58:59], v17, s33
	s_or_b64 s[52:53], s[52:53], s[58:59]
	s_and_saveexec_b64 s[58:59], s[52:53]
	s_cbranch_execz .LBB107_52
; %bb.51:
	v_sub_f32_e32 v17, v17, v16
	s_mov_b32 s33, 0x3fb8aa3b
	v_mul_f32_e32 v30, 0x3fb8aa3b, v17
	v_fma_f32 v34, v17, s33, -v30
	v_rndne_f32_e32 v35, v30
	v_fmac_f32_e32 v34, 0x32a5705f, v17
	v_sub_f32_e32 v30, v30, v35
	v_add_f32_e32 v30, v30, v34
	v_exp_f32_e32 v30, v30
	v_cvt_i32_f32_e32 v34, v35
	s_mov_b32 s33, 0xc2ce8ed0
	v_cmp_ngt_f32_e64 s[52:53], s33, v17
	s_mov_b32 s33, 0x42b17218
	v_ldexp_f32 v30, v30, v34
	v_cndmask_b32_e64 v30, 0, v30, s[52:53]
	v_mov_b32_e32 v34, 0x7f800000
	v_cmp_nlt_f32_e64 s[52:53], s33, v17
	v_cndmask_b32_e64 v48, v34, v30, s[52:53]
	v_add_f32_e32 v17, 1.0, v48
	v_add_f32_e32 v30, -1.0, v17
	v_sub_f32_e32 v34, v30, v17
	v_add_f32_e32 v34, 1.0, v34
	v_sub_f32_e32 v30, v48, v30
	v_add_f32_e32 v30, v30, v34
	v_frexp_mant_f32_e32 v36, v17
	s_mov_b32 s33, 0x3f2aaaab
	v_cvt_f64_f32_e32 v[34:35], v17
	v_frexp_exp_i32_f64_e32 v34, v[34:35]
	v_cmp_gt_f32_e64 s[52:53], s33, v36
	v_subbrev_co_u32_e64 v42, s[52:53], 0, v34, s[52:53]
	v_sub_u32_e32 v34, 0, v42
	v_ldexp_f32 v17, v17, v34
	v_ldexp_f32 v30, v30, v34
	v_add_f32_e32 v34, -1.0, v17
	v_add_f32_e32 v35, 1.0, v34
	v_sub_f32_e32 v35, v17, v35
	v_add_f32_e32 v36, v30, v35
	v_add_f32_e32 v35, 1.0, v17
	v_add_f32_e32 v37, -1.0, v35
	v_sub_f32_e32 v17, v17, v37
	v_add_f32_e32 v17, v30, v17
	v_add_f32_e32 v30, v35, v17
	v_rcp_f32_e32 v43, v30
	v_sub_f32_e32 v35, v35, v30
	v_add_f32_e32 v17, v17, v35
	v_add_f32_e32 v35, v34, v36
	v_sub_f32_e32 v34, v34, v35
	v_mul_f32_e32 v45, v35, v43
	v_add_f32_e32 v44, v36, v34
	v_mul_f32_e32 v36, v30, v45
	v_fma_f32 v38, v45, v30, -v36
	v_fmac_f32_e32 v38, v45, v17
	v_add_f32_e32 v34, v36, v38
	v_sub_f32_e32 v37, v35, v34
	v_pk_add_f32 v[40:41], v[34:35], v[36:37] neg_lo:[0,1] neg_hi:[0,1]
	v_mov_b32_e32 v39, v34
	v_pk_add_f32 v[34:35], v[40:41], v[38:39] neg_lo:[0,1] neg_hi:[0,1]
	v_add_f32_e32 v35, v44, v35
	v_add_f32_e32 v34, v34, v35
	;; [unrolled: 1-line block ×3, first 2 shown]
	v_mul_f32_e32 v44, v43, v35
	v_mul_f32_e32 v36, v30, v44
	v_fma_f32 v38, v44, v30, -v36
	v_fmac_f32_e32 v38, v44, v17
	v_sub_f32_e32 v17, v37, v35
	v_add_f32_e32 v17, v34, v17
	v_add_f32_e32 v34, v36, v38
	v_sub_f32_e32 v37, v35, v34
	v_pk_add_f32 v[40:41], v[34:35], v[36:37] neg_lo:[0,1] neg_hi:[0,1]
	v_mov_b32_e32 v39, v34
	v_pk_add_f32 v[34:35], v[40:41], v[38:39] neg_lo:[0,1] neg_hi:[0,1]
	v_add_f32_e32 v17, v17, v35
	v_add_f32_e32 v17, v34, v17
	;; [unrolled: 1-line block ×4, first 2 shown]
	v_sub_f32_e32 v34, v30, v45
	v_mul_f32_e32 v17, v43, v17
	v_sub_f32_e32 v34, v44, v34
	v_add_f32_e32 v17, v34, v17
	v_add_f32_e32 v34, v30, v17
	v_mul_f32_e32 v37, v34, v34
	v_mov_b32_e32 v36, 0x3ecc95a3
	v_fmac_f32_e32 v36, 0x3e9b6dac, v37
	v_mov_b32_e32 v35, 0x3f2aaada
	v_fmac_f32_e32 v35, v37, v36
	v_cvt_f32_i32_e32 v36, v42
	v_sub_f32_e32 v30, v34, v30
	v_ldexp_f32 v39, v34, 1
	v_mul_f32_e32 v37, v34, v37
	v_mov_b32_e32 v34, 0x3f317218
	s_mov_b32 s33, 0x3f317218
	v_pk_mul_f32 v[34:35], v[36:37], v[34:35]
	v_fma_f32 v38, v36, s33, -v34
	v_fmac_f32_e32 v38, 0xb102e308, v36
	v_pk_add_f32 v[36:37], v[34:35], v[38:39]
	v_sub_f32_e32 v17, v17, v30
	v_sub_f32_e32 v30, v37, v39
	v_ldexp_f32 v17, v17, 1
	v_sub_f32_e32 v30, v35, v30
	v_add_f32_e32 v41, v17, v30
	v_mov_b32_e32 v40, v34
	v_pk_add_f32 v[34:35], v[36:37], v[34:35] neg_lo:[0,1] neg_hi:[0,1]
	v_pk_add_f32 v[42:43], v[36:37], v[40:41]
	v_mov_b32_e32 v35, v43
	v_mov_b32_e32 v39, v36
	v_pk_add_f32 v[44:45], v[38:39], v[34:35] neg_lo:[0,1] neg_hi:[0,1]
	v_pk_add_f32 v[34:35], v[38:39], v[34:35]
	v_mov_b32_e32 v30, v35
	v_pk_add_f32 v[38:39], v[30:31], v[36:37] neg_lo:[0,1] neg_hi:[0,1]
	v_mov_b32_e32 v17, v38
	v_pk_add_f32 v[46:47], v[42:43], v[16:17] neg_lo:[0,1] neg_hi:[0,1]
	v_mov_b32_e32 v34, v43
	v_mov_b32_e32 v42, v37
	;; [unrolled: 1-line block ×4, first 2 shown]
	v_pk_add_f32 v[34:35], v[34:35], v[42:43] neg_lo:[0,1] neg_hi:[0,1]
	v_mov_b32_e32 v38, v41
	v_mov_b32_e32 v39, v36
	v_pk_add_f32 v[34:35], v[38:39], v[34:35] neg_lo:[0,1] neg_hi:[0,1]
	v_mov_b32_e32 v46, v44
	v_pk_add_f32 v[36:37], v[46:47], v[34:35]
	v_mov_b32_e32 v38, v37
	v_pk_add_f32 v[38:39], v[36:37], v[38:39]
	v_pk_add_f32 v[40:41], v[30:31], v[38:39]
	v_mov_b32_e32 v37, v40
	v_pk_add_f32 v[42:43], v[36:37], v[44:45] neg_lo:[0,1] neg_hi:[0,1]
	v_mov_b32_e32 v35, v38
	v_sub_f32_e32 v17, v36, v42
	v_pk_add_f32 v[34:35], v[34:35], v[42:43] neg_lo:[0,1] neg_hi:[0,1]
	v_sub_f32_e32 v17, v44, v17
	s_mov_b32 s60, 0x7f800000
	v_add_f32_e32 v17, v34, v17
	s_mov_b32 s33, 0x33800000
	v_add_f32_e32 v17, v17, v35
	v_cmp_eq_f32_e64 s[52:53], s60, v48
	v_cmp_lt_f32_e64 s[60:61], |v48|, s33
	v_add_f32_e32 v17, v40, v17
	s_or_b64 s[52:53], s[52:53], s[60:61]
	v_cndmask_b32_e64 v17, v17, v48, s[52:53]
	v_add_f32_e32 v34, v16, v17
.LBB107_52:
	s_or_b64 exec, exec, s[58:59]
	v_max_f32_e32 v16, v34, v34
	v_max_f32_e32 v30, v15, v15
	v_min_f32_e32 v17, v16, v30
	v_cmp_u_f32_e64 s[58:59], v34, v34
	v_max_f32_e32 v16, v16, v30
	v_cndmask_b32_e64 v17, v17, v34, s[58:59]
	v_cmp_u_f32_e64 s[52:53], v15, v15
	v_cndmask_b32_e64 v16, v16, v34, s[58:59]
	v_cndmask_b32_e64 v17, v17, v15, s[52:53]
	;; [unrolled: 1-line block ×3, first 2 shown]
	s_movk_i32 s33, 0x1f8
	v_cmp_neq_f32_e64 s[58:59], v17, v16
	v_cmp_class_f32_e64 s[60:61], v17, s33
	s_or_b64 s[58:59], s[58:59], s[60:61]
	s_and_saveexec_b64 s[60:61], s[58:59]
	s_cbranch_execz .LBB107_54
; %bb.53:
	v_sub_f32_e32 v17, v17, v16
	s_mov_b32 s33, 0x3fb8aa3b
	v_mul_f32_e32 v34, 0x3fb8aa3b, v17
	v_fma_f32 v35, v17, s33, -v34
	v_rndne_f32_e32 v36, v34
	v_fmac_f32_e32 v35, 0x32a5705f, v17
	v_sub_f32_e32 v34, v34, v36
	v_add_f32_e32 v34, v34, v35
	v_exp_f32_e32 v34, v34
	v_cvt_i32_f32_e32 v35, v36
	s_mov_b32 s33, 0xc2ce8ed0
	v_cmp_ngt_f32_e64 s[58:59], s33, v17
	s_mov_b32 s33, 0x42b17218
	v_ldexp_f32 v34, v34, v35
	v_cndmask_b32_e64 v34, 0, v34, s[58:59]
	v_mov_b32_e32 v35, 0x7f800000
	v_cmp_nlt_f32_e64 s[58:59], s33, v17
	v_cndmask_b32_e64 v50, v35, v34, s[58:59]
	v_add_f32_e32 v17, 1.0, v50
	v_add_f32_e32 v34, -1.0, v17
	v_sub_f32_e32 v35, v34, v17
	v_add_f32_e32 v35, 1.0, v35
	v_sub_f32_e32 v34, v50, v34
	v_add_f32_e32 v36, v34, v35
	v_frexp_mant_f32_e32 v37, v17
	s_mov_b32 s33, 0x3f2aaaab
	v_cvt_f64_f32_e32 v[34:35], v17
	v_frexp_exp_i32_f64_e32 v34, v[34:35]
	v_cmp_gt_f32_e64 s[58:59], s33, v37
	v_subbrev_co_u32_e64 v42, s[58:59], 0, v34, s[58:59]
	v_sub_u32_e32 v34, 0, v42
	v_ldexp_f32 v17, v17, v34
	v_ldexp_f32 v34, v36, v34
	v_add_f32_e32 v36, -1.0, v17
	v_add_f32_e32 v35, 1.0, v36
	v_sub_f32_e32 v35, v17, v35
	v_add_f32_e32 v37, v34, v35
	v_add_f32_e32 v35, 1.0, v17
	v_add_f32_e32 v38, -1.0, v35
	v_sub_f32_e32 v17, v17, v38
	v_add_f32_e32 v17, v34, v17
	v_add_f32_e32 v43, v35, v17
	v_rcp_f32_e32 v44, v43
	v_sub_f32_e32 v34, v35, v43
	v_add_f32_e32 v35, v36, v37
	v_add_f32_e32 v17, v17, v34
	v_mul_f32_e32 v46, v35, v44
	v_sub_f32_e32 v34, v36, v35
	v_mul_f32_e32 v36, v43, v46
	v_fma_f32 v38, v46, v43, -v36
	v_fmac_f32_e32 v38, v46, v17
	v_add_f32_e32 v45, v37, v34
	v_add_f32_e32 v34, v36, v38
	v_sub_f32_e32 v37, v35, v34
	v_pk_add_f32 v[40:41], v[34:35], v[36:37] neg_lo:[0,1] neg_hi:[0,1]
	v_mov_b32_e32 v39, v34
	v_pk_add_f32 v[34:35], v[40:41], v[38:39] neg_lo:[0,1] neg_hi:[0,1]
	v_add_f32_e32 v35, v45, v35
	v_add_f32_e32 v34, v34, v35
	;; [unrolled: 1-line block ×3, first 2 shown]
	v_mul_f32_e32 v45, v44, v35
	v_mul_f32_e32 v36, v43, v45
	v_fma_f32 v38, v45, v43, -v36
	v_fmac_f32_e32 v38, v45, v17
	v_sub_f32_e32 v17, v37, v35
	v_add_f32_e32 v17, v34, v17
	v_add_f32_e32 v34, v36, v38
	v_sub_f32_e32 v37, v35, v34
	v_pk_add_f32 v[40:41], v[34:35], v[36:37] neg_lo:[0,1] neg_hi:[0,1]
	v_mov_b32_e32 v39, v34
	v_pk_add_f32 v[34:35], v[40:41], v[38:39] neg_lo:[0,1] neg_hi:[0,1]
	v_add_f32_e32 v17, v17, v35
	v_add_f32_e32 v17, v34, v17
	;; [unrolled: 1-line block ×4, first 2 shown]
	v_sub_f32_e32 v35, v34, v46
	v_mul_f32_e32 v17, v44, v17
	v_sub_f32_e32 v35, v45, v35
	v_add_f32_e32 v17, v35, v17
	v_add_f32_e32 v37, v34, v17
	v_mul_f32_e32 v38, v37, v37
	v_mov_b32_e32 v36, 0x3ecc95a3
	v_fmac_f32_e32 v36, 0x3e9b6dac, v38
	v_mov_b32_e32 v35, 0x3f2aaada
	v_fmac_f32_e32 v35, v38, v36
	v_cvt_f32_i32_e32 v36, v42
	v_sub_f32_e32 v34, v37, v34
	v_sub_f32_e32 v17, v17, v34
	v_ldexp_f32 v39, v37, 1
	v_mul_f32_e32 v37, v37, v38
	v_mov_b32_e32 v34, 0x3f317218
	s_mov_b32 s33, 0x3f317218
	v_pk_mul_f32 v[34:35], v[36:37], v[34:35]
	v_fma_f32 v38, v36, s33, -v34
	v_fmac_f32_e32 v38, 0xb102e308, v36
	v_pk_add_f32 v[36:37], v[34:35], v[38:39]
	v_sub_f32_e32 v39, v37, v39
	v_ldexp_f32 v17, v17, 1
	v_sub_f32_e32 v39, v35, v39
	v_add_f32_e32 v41, v17, v39
	v_mov_b32_e32 v40, v34
	v_pk_add_f32 v[34:35], v[36:37], v[34:35] neg_lo:[0,1] neg_hi:[0,1]
	v_pk_add_f32 v[42:43], v[36:37], v[40:41]
	v_mov_b32_e32 v35, v43
	v_mov_b32_e32 v39, v36
	v_pk_add_f32 v[44:45], v[38:39], v[34:35] neg_lo:[0,1] neg_hi:[0,1]
	v_pk_add_f32 v[34:35], v[38:39], v[34:35]
	v_mov_b32_e32 v38, v35
	v_pk_add_f32 v[46:47], v[38:39], v[36:37] neg_lo:[0,1] neg_hi:[0,1]
	v_mov_b32_e32 v17, v46
	v_pk_add_f32 v[48:49], v[42:43], v[16:17] neg_lo:[0,1] neg_hi:[0,1]
	v_mov_b32_e32 v34, v43
	v_mov_b32_e32 v42, v37
	;; [unrolled: 1-line block ×4, first 2 shown]
	v_pk_add_f32 v[34:35], v[34:35], v[42:43] neg_lo:[0,1] neg_hi:[0,1]
	v_mov_b32_e32 v40, v41
	v_mov_b32_e32 v41, v36
	v_pk_add_f32 v[34:35], v[40:41], v[34:35] neg_lo:[0,1] neg_hi:[0,1]
	v_mov_b32_e32 v48, v44
	v_pk_add_f32 v[36:37], v[48:49], v[34:35]
	v_mov_b32_e32 v40, v37
	v_pk_add_f32 v[40:41], v[36:37], v[40:41]
	v_pk_add_f32 v[38:39], v[38:39], v[40:41]
	v_mov_b32_e32 v37, v38
	v_pk_add_f32 v[42:43], v[36:37], v[44:45] neg_lo:[0,1] neg_hi:[0,1]
	v_mov_b32_e32 v35, v40
	v_sub_f32_e32 v17, v36, v42
	v_pk_add_f32 v[34:35], v[34:35], v[42:43] neg_lo:[0,1] neg_hi:[0,1]
	v_sub_f32_e32 v17, v44, v17
	s_mov_b32 s62, 0x7f800000
	v_add_f32_e32 v17, v34, v17
	s_mov_b32 s33, 0x33800000
	v_add_f32_e32 v17, v17, v35
	v_cmp_eq_f32_e64 s[58:59], s62, v50
	v_cmp_lt_f32_e64 s[62:63], |v50|, s33
	v_add_f32_e32 v17, v38, v17
	s_or_b64 s[58:59], s[58:59], s[62:63]
	v_cndmask_b32_e64 v17, v17, v50, s[58:59]
	v_add_f32_e32 v34, v16, v17
.LBB107_54:
	s_or_b64 exec, exec, s[60:61]
	s_load_dwordx2 s[62:63], s[4:5], 0x18
	v_lshrrev_b32_e32 v16, 3, v0
	v_and_b32_e32 v16, 12, v16
	v_add_u32_e32 v16, v18, v16
	v_cmp_gt_u32_e64 s[4:5], 64, v0
	ds_write_b32 v16, v34
	s_waitcnt lgkmcnt(0)
	s_barrier
	s_and_saveexec_b64 s[64:65], s[4:5]
	s_cbranch_execz .LBB107_86
; %bb.55:
	v_lshlrev_b32_e32 v16, 1, v0
	v_lshrrev_b32_e32 v17, 4, v0
	v_add_lshl_u32 v35, v17, v16, 2
	ds_read2_b32 v[16:17], v35 offset1:1
	s_movk_i32 s33, 0x1f8
	s_waitcnt lgkmcnt(0)
	v_max_f32_e32 v38, v17, v17
	v_max_f32_e32 v36, v16, v16
	v_min_f32_e32 v37, v36, v38
	v_cmp_u_f32_e64 s[4:5], v16, v16
	v_max_f32_e32 v38, v36, v38
	v_cndmask_b32_e64 v37, v37, v16, s[4:5]
	v_cmp_u_f32_e64 s[58:59], v17, v17
	v_cndmask_b32_e64 v38, v38, v16, s[4:5]
	v_cndmask_b32_e64 v37, v37, v17, s[58:59]
	;; [unrolled: 1-line block ×3, first 2 shown]
	v_cmp_neq_f32_e64 s[58:59], v37, v17
	v_cmp_class_f32_e64 s[60:61], v37, s33
	s_or_b64 s[58:59], s[58:59], s[60:61]
	v_mov_b32_e32 v38, v16
	s_and_saveexec_b64 s[60:61], s[58:59]
	s_cbranch_execz .LBB107_57
; %bb.56:
	v_sub_f32_e32 v37, v37, v17
	s_mov_b32 s33, 0x3fb8aa3b
	v_mul_f32_e32 v38, 0x3fb8aa3b, v37
	v_fma_f32 v39, v37, s33, -v38
	v_rndne_f32_e32 v40, v38
	v_fmac_f32_e32 v39, 0x32a5705f, v37
	v_sub_f32_e32 v38, v38, v40
	v_add_f32_e32 v38, v38, v39
	v_exp_f32_e32 v38, v38
	v_cvt_i32_f32_e32 v39, v40
	s_mov_b32 s33, 0xc2ce8ed0
	v_cmp_ngt_f32_e64 s[58:59], s33, v37
	s_mov_b32 s33, 0x42b17218
	v_ldexp_f32 v38, v38, v39
	v_cndmask_b32_e64 v38, 0, v38, s[58:59]
	v_mov_b32_e32 v39, 0x7f800000
	v_cmp_nlt_f32_e64 s[58:59], s33, v37
	v_cndmask_b32_e64 v54, v39, v38, s[58:59]
	v_add_f32_e32 v37, 1.0, v54
	v_add_f32_e32 v38, -1.0, v37
	v_sub_f32_e32 v39, v38, v37
	v_add_f32_e32 v39, 1.0, v39
	v_sub_f32_e32 v38, v54, v38
	v_add_f32_e32 v40, v38, v39
	v_frexp_mant_f32_e32 v41, v37
	s_mov_b32 s33, 0x3f2aaaab
	v_cvt_f64_f32_e32 v[38:39], v37
	v_frexp_exp_i32_f64_e32 v38, v[38:39]
	v_cmp_gt_f32_e64 s[58:59], s33, v41
	v_subbrev_co_u32_e64 v46, s[58:59], 0, v38, s[58:59]
	v_sub_u32_e32 v38, 0, v46
	v_ldexp_f32 v37, v37, v38
	v_ldexp_f32 v38, v40, v38
	v_add_f32_e32 v40, -1.0, v37
	v_add_f32_e32 v39, 1.0, v40
	v_sub_f32_e32 v39, v37, v39
	v_add_f32_e32 v41, v38, v39
	v_add_f32_e32 v39, 1.0, v37
	v_add_f32_e32 v42, -1.0, v39
	v_sub_f32_e32 v37, v37, v42
	v_add_f32_e32 v37, v38, v37
	v_add_f32_e32 v47, v39, v37
	v_rcp_f32_e32 v48, v47
	v_sub_f32_e32 v38, v39, v47
	v_add_f32_e32 v39, v40, v41
	v_add_f32_e32 v37, v37, v38
	v_mul_f32_e32 v50, v39, v48
	v_sub_f32_e32 v38, v40, v39
	v_mul_f32_e32 v40, v47, v50
	v_fma_f32 v42, v50, v47, -v40
	v_fmac_f32_e32 v42, v50, v37
	v_add_f32_e32 v49, v41, v38
	v_add_f32_e32 v38, v40, v42
	v_sub_f32_e32 v41, v39, v38
	v_pk_add_f32 v[44:45], v[38:39], v[40:41] neg_lo:[0,1] neg_hi:[0,1]
	v_mov_b32_e32 v43, v38
	v_pk_add_f32 v[38:39], v[44:45], v[42:43] neg_lo:[0,1] neg_hi:[0,1]
	v_add_f32_e32 v39, v49, v39
	v_add_f32_e32 v38, v38, v39
	;; [unrolled: 1-line block ×3, first 2 shown]
	v_mul_f32_e32 v49, v48, v39
	v_mul_f32_e32 v40, v47, v49
	v_fma_f32 v42, v49, v47, -v40
	v_fmac_f32_e32 v42, v49, v37
	v_sub_f32_e32 v37, v41, v39
	v_add_f32_e32 v37, v38, v37
	v_add_f32_e32 v38, v40, v42
	v_sub_f32_e32 v41, v39, v38
	v_pk_add_f32 v[44:45], v[38:39], v[40:41] neg_lo:[0,1] neg_hi:[0,1]
	v_mov_b32_e32 v43, v38
	v_pk_add_f32 v[38:39], v[44:45], v[42:43] neg_lo:[0,1] neg_hi:[0,1]
	v_add_f32_e32 v37, v37, v39
	v_add_f32_e32 v37, v38, v37
	;; [unrolled: 1-line block ×4, first 2 shown]
	v_sub_f32_e32 v39, v38, v50
	v_mul_f32_e32 v37, v48, v37
	v_sub_f32_e32 v39, v49, v39
	v_add_f32_e32 v37, v39, v37
	v_add_f32_e32 v41, v38, v37
	v_mul_f32_e32 v42, v41, v41
	v_mov_b32_e32 v40, 0x3ecc95a3
	v_fmac_f32_e32 v40, 0x3e9b6dac, v42
	v_mov_b32_e32 v39, 0x3f2aaada
	v_fmac_f32_e32 v39, v42, v40
	v_cvt_f32_i32_e32 v40, v46
	v_sub_f32_e32 v38, v41, v38
	v_sub_f32_e32 v37, v37, v38
	v_ldexp_f32 v43, v41, 1
	v_mul_f32_e32 v41, v41, v42
	v_mov_b32_e32 v38, 0x3f317218
	s_mov_b32 s33, 0x3f317218
	v_pk_mul_f32 v[38:39], v[40:41], v[38:39]
	v_fma_f32 v42, v40, s33, -v38
	v_fmac_f32_e32 v42, 0xb102e308, v40
	v_pk_add_f32 v[40:41], v[38:39], v[42:43]
	v_sub_f32_e32 v43, v41, v43
	v_ldexp_f32 v37, v37, 1
	v_sub_f32_e32 v43, v39, v43
	v_add_f32_e32 v45, v37, v43
	v_mov_b32_e32 v44, v38
	v_pk_add_f32 v[38:39], v[40:41], v[38:39] neg_lo:[0,1] neg_hi:[0,1]
	v_pk_add_f32 v[46:47], v[40:41], v[44:45]
	v_mov_b32_e32 v39, v47
	v_mov_b32_e32 v43, v40
	v_pk_add_f32 v[48:49], v[42:43], v[38:39] neg_lo:[0,1] neg_hi:[0,1]
	v_pk_add_f32 v[38:39], v[42:43], v[38:39]
	v_mov_b32_e32 v42, v39
	v_pk_add_f32 v[50:51], v[42:43], v[40:41] neg_lo:[0,1] neg_hi:[0,1]
	v_mov_b32_e32 v37, v50
	v_pk_add_f32 v[52:53], v[46:47], v[36:37] neg_lo:[0,1] neg_hi:[0,1]
	v_mov_b32_e32 v38, v47
	v_mov_b32_e32 v46, v41
	;; [unrolled: 1-line block ×4, first 2 shown]
	v_pk_add_f32 v[38:39], v[38:39], v[46:47] neg_lo:[0,1] neg_hi:[0,1]
	v_mov_b32_e32 v44, v45
	v_mov_b32_e32 v45, v40
	v_pk_add_f32 v[38:39], v[44:45], v[38:39] neg_lo:[0,1] neg_hi:[0,1]
	v_mov_b32_e32 v52, v48
	v_pk_add_f32 v[40:41], v[52:53], v[38:39]
	v_mov_b32_e32 v44, v41
	v_pk_add_f32 v[44:45], v[40:41], v[44:45]
	v_pk_add_f32 v[42:43], v[42:43], v[44:45]
	v_mov_b32_e32 v41, v42
	v_pk_add_f32 v[46:47], v[40:41], v[48:49] neg_lo:[0,1] neg_hi:[0,1]
	v_mov_b32_e32 v39, v44
	v_sub_f32_e32 v37, v40, v46
	v_pk_add_f32 v[38:39], v[38:39], v[46:47] neg_lo:[0,1] neg_hi:[0,1]
	v_sub_f32_e32 v37, v48, v37
	s_mov_b32 s66, 0x7f800000
	v_add_f32_e32 v37, v38, v37
	s_mov_b32 s33, 0x33800000
	v_add_f32_e32 v37, v37, v39
	v_cmp_eq_f32_e64 s[58:59], s66, v54
	v_cmp_lt_f32_e64 s[66:67], |v54|, s33
	v_add_f32_e32 v37, v42, v37
	s_or_b64 s[58:59], s[58:59], s[66:67]
	v_cndmask_b32_e64 v37, v37, v54, s[58:59]
	v_add_f32_e32 v38, v17, v37
.LBB107_57:
	s_or_b64 exec, exec, s[60:61]
	v_mbcnt_lo_u32_b32 v17, -1, 0
	v_mbcnt_hi_u32_b32 v17, -1, v17
	v_and_b32_e32 v37, 15, v17
	v_mov_b32_dpp v39, v38 row_shr:1 row_mask:0xf bank_mask:0xf
	v_cmp_ne_u32_e64 s[58:59], 0, v37
	s_and_saveexec_b64 s[66:67], s[58:59]
	s_cbranch_execz .LBB107_61
; %bb.58:
	v_max_f32_e32 v41, v38, v38
	v_max_f32_e32 v42, v39, v39
	v_min_f32_e32 v40, v42, v41
	v_cmp_u_f32_e64 s[58:59], v39, v39
	v_max_f32_e32 v41, v42, v41
	v_cndmask_b32_e64 v40, v40, v39, s[58:59]
	v_cmp_u_f32_e64 s[60:61], v38, v38
	v_cndmask_b32_e64 v41, v41, v39, s[58:59]
	v_cndmask_b32_e64 v40, v40, v38, s[60:61]
	;; [unrolled: 1-line block ×3, first 2 shown]
	s_movk_i32 s33, 0x1f8
	v_cmp_neq_f32_e64 s[58:59], v40, v38
	v_cmp_class_f32_e64 s[60:61], v40, s33
	s_or_b64 s[58:59], s[58:59], s[60:61]
	s_and_saveexec_b64 s[60:61], s[58:59]
	s_cbranch_execz .LBB107_60
; %bb.59:
	v_sub_f32_e32 v39, v40, v38
	s_mov_b32 s33, 0x3fb8aa3b
	v_mul_f32_e32 v40, 0x3fb8aa3b, v39
	v_fma_f32 v41, v39, s33, -v40
	v_rndne_f32_e32 v42, v40
	v_fmac_f32_e32 v41, 0x32a5705f, v39
	v_sub_f32_e32 v40, v40, v42
	v_add_f32_e32 v40, v40, v41
	v_exp_f32_e32 v40, v40
	v_cvt_i32_f32_e32 v41, v42
	s_mov_b32 s33, 0xc2ce8ed0
	v_cmp_ngt_f32_e64 s[58:59], s33, v39
	s_mov_b32 s33, 0x42b17218
	v_ldexp_f32 v40, v40, v41
	v_cndmask_b32_e64 v40, 0, v40, s[58:59]
	v_mov_b32_e32 v41, 0x7f800000
	v_cmp_nlt_f32_e64 s[58:59], s33, v39
	v_cndmask_b32_e64 v56, v41, v40, s[58:59]
	v_add_f32_e32 v39, 1.0, v56
	v_add_f32_e32 v40, -1.0, v39
	v_sub_f32_e32 v41, v40, v39
	v_add_f32_e32 v41, 1.0, v41
	v_sub_f32_e32 v40, v56, v40
	v_add_f32_e32 v42, v40, v41
	v_frexp_mant_f32_e32 v43, v39
	s_mov_b32 s33, 0x3f2aaaab
	v_cvt_f64_f32_e32 v[40:41], v39
	v_frexp_exp_i32_f64_e32 v40, v[40:41]
	v_cmp_gt_f32_e64 s[58:59], s33, v43
	v_subbrev_co_u32_e64 v48, s[58:59], 0, v40, s[58:59]
	v_sub_u32_e32 v40, 0, v48
	v_ldexp_f32 v39, v39, v40
	v_ldexp_f32 v40, v42, v40
	v_add_f32_e32 v42, -1.0, v39
	v_add_f32_e32 v41, 1.0, v42
	v_sub_f32_e32 v41, v39, v41
	v_add_f32_e32 v43, v40, v41
	v_add_f32_e32 v41, 1.0, v39
	v_add_f32_e32 v44, -1.0, v41
	v_sub_f32_e32 v39, v39, v44
	v_add_f32_e32 v39, v40, v39
	v_add_f32_e32 v49, v41, v39
	v_rcp_f32_e32 v50, v49
	v_sub_f32_e32 v40, v41, v49
	v_add_f32_e32 v41, v42, v43
	v_add_f32_e32 v39, v39, v40
	v_mul_f32_e32 v52, v41, v50
	v_sub_f32_e32 v40, v42, v41
	v_mul_f32_e32 v42, v49, v52
	v_fma_f32 v44, v52, v49, -v42
	v_fmac_f32_e32 v44, v52, v39
	v_add_f32_e32 v51, v43, v40
	v_add_f32_e32 v40, v42, v44
	v_sub_f32_e32 v43, v41, v40
	v_pk_add_f32 v[46:47], v[40:41], v[42:43] neg_lo:[0,1] neg_hi:[0,1]
	v_mov_b32_e32 v45, v40
	v_pk_add_f32 v[40:41], v[46:47], v[44:45] neg_lo:[0,1] neg_hi:[0,1]
	v_add_f32_e32 v41, v51, v41
	v_add_f32_e32 v40, v40, v41
	v_add_f32_e32 v41, v43, v40
	v_mul_f32_e32 v51, v50, v41
	v_mul_f32_e32 v42, v49, v51
	v_fma_f32 v44, v51, v49, -v42
	v_fmac_f32_e32 v44, v51, v39
	v_sub_f32_e32 v39, v43, v41
	v_add_f32_e32 v39, v40, v39
	v_add_f32_e32 v40, v42, v44
	v_sub_f32_e32 v43, v41, v40
	v_pk_add_f32 v[46:47], v[40:41], v[42:43] neg_lo:[0,1] neg_hi:[0,1]
	v_mov_b32_e32 v45, v40
	v_pk_add_f32 v[40:41], v[46:47], v[44:45] neg_lo:[0,1] neg_hi:[0,1]
	v_add_f32_e32 v39, v39, v41
	v_add_f32_e32 v39, v40, v39
	;; [unrolled: 1-line block ×4, first 2 shown]
	v_sub_f32_e32 v41, v40, v52
	v_mul_f32_e32 v39, v50, v39
	v_sub_f32_e32 v41, v51, v41
	v_add_f32_e32 v39, v41, v39
	v_add_f32_e32 v43, v40, v39
	v_mul_f32_e32 v44, v43, v43
	v_mov_b32_e32 v42, 0x3ecc95a3
	v_fmac_f32_e32 v42, 0x3e9b6dac, v44
	v_mov_b32_e32 v41, 0x3f2aaada
	v_fmac_f32_e32 v41, v44, v42
	v_cvt_f32_i32_e32 v42, v48
	v_sub_f32_e32 v40, v43, v40
	v_sub_f32_e32 v39, v39, v40
	v_ldexp_f32 v45, v43, 1
	v_mul_f32_e32 v43, v43, v44
	v_mov_b32_e32 v40, 0x3f317218
	s_mov_b32 s33, 0x3f317218
	v_pk_mul_f32 v[40:41], v[42:43], v[40:41]
	v_fma_f32 v44, v42, s33, -v40
	v_fmac_f32_e32 v44, 0xb102e308, v42
	v_pk_add_f32 v[42:43], v[40:41], v[44:45]
	v_sub_f32_e32 v45, v43, v45
	v_ldexp_f32 v39, v39, 1
	v_sub_f32_e32 v45, v41, v45
	v_add_f32_e32 v47, v39, v45
	v_mov_b32_e32 v46, v40
	v_pk_add_f32 v[40:41], v[42:43], v[40:41] neg_lo:[0,1] neg_hi:[0,1]
	v_pk_add_f32 v[48:49], v[42:43], v[46:47]
	v_mov_b32_e32 v41, v49
	v_mov_b32_e32 v45, v42
	v_pk_add_f32 v[50:51], v[44:45], v[40:41] neg_lo:[0,1] neg_hi:[0,1]
	v_pk_add_f32 v[40:41], v[44:45], v[40:41]
	v_mov_b32_e32 v44, v41
	v_pk_add_f32 v[52:53], v[44:45], v[42:43] neg_lo:[0,1] neg_hi:[0,1]
	v_mov_b32_e32 v39, v52
	v_pk_add_f32 v[54:55], v[48:49], v[38:39] neg_lo:[0,1] neg_hi:[0,1]
	v_mov_b32_e32 v40, v49
	v_mov_b32_e32 v48, v43
	;; [unrolled: 1-line block ×4, first 2 shown]
	v_pk_add_f32 v[40:41], v[40:41], v[48:49] neg_lo:[0,1] neg_hi:[0,1]
	v_mov_b32_e32 v46, v47
	v_mov_b32_e32 v47, v42
	v_pk_add_f32 v[40:41], v[46:47], v[40:41] neg_lo:[0,1] neg_hi:[0,1]
	v_mov_b32_e32 v54, v50
	v_pk_add_f32 v[42:43], v[54:55], v[40:41]
	v_mov_b32_e32 v46, v43
	v_pk_add_f32 v[46:47], v[42:43], v[46:47]
	v_pk_add_f32 v[44:45], v[44:45], v[46:47]
	v_mov_b32_e32 v43, v44
	v_pk_add_f32 v[48:49], v[42:43], v[50:51] neg_lo:[0,1] neg_hi:[0,1]
	v_mov_b32_e32 v41, v46
	v_sub_f32_e32 v39, v42, v48
	v_pk_add_f32 v[40:41], v[40:41], v[48:49] neg_lo:[0,1] neg_hi:[0,1]
	v_sub_f32_e32 v39, v50, v39
	s_mov_b32 s68, 0x7f800000
	v_add_f32_e32 v39, v40, v39
	s_mov_b32 s33, 0x33800000
	v_add_f32_e32 v39, v39, v41
	v_cmp_eq_f32_e64 s[58:59], s68, v56
	v_cmp_lt_f32_e64 s[68:69], |v56|, s33
	v_add_f32_e32 v39, v44, v39
	s_or_b64 s[58:59], s[58:59], s[68:69]
	v_cndmask_b32_e64 v39, v39, v56, s[58:59]
	v_add_f32_e32 v39, v38, v39
.LBB107_60:
	s_or_b64 exec, exec, s[60:61]
	v_mov_b32_e32 v38, v39
.LBB107_61:
	s_or_b64 exec, exec, s[66:67]
	s_nop 0
	v_mov_b32_dpp v39, v38 row_shr:2 row_mask:0xf bank_mask:0xf
	v_cmp_lt_u32_e64 s[58:59], 1, v37
	s_and_saveexec_b64 s[66:67], s[58:59]
	s_cbranch_execz .LBB107_65
; %bb.62:
	v_max_f32_e32 v41, v38, v38
	v_max_f32_e32 v42, v39, v39
	v_min_f32_e32 v40, v42, v41
	v_cmp_u_f32_e64 s[58:59], v39, v39
	v_max_f32_e32 v41, v42, v41
	v_cndmask_b32_e64 v40, v40, v39, s[58:59]
	v_cmp_u_f32_e64 s[60:61], v38, v38
	v_cndmask_b32_e64 v41, v41, v39, s[58:59]
	v_cndmask_b32_e64 v40, v40, v38, s[60:61]
	;; [unrolled: 1-line block ×3, first 2 shown]
	s_movk_i32 s33, 0x1f8
	v_cmp_neq_f32_e64 s[58:59], v40, v38
	v_cmp_class_f32_e64 s[60:61], v40, s33
	s_or_b64 s[58:59], s[58:59], s[60:61]
	s_and_saveexec_b64 s[60:61], s[58:59]
	s_cbranch_execz .LBB107_64
; %bb.63:
	v_sub_f32_e32 v39, v40, v38
	s_mov_b32 s33, 0x3fb8aa3b
	v_mul_f32_e32 v40, 0x3fb8aa3b, v39
	v_fma_f32 v41, v39, s33, -v40
	v_rndne_f32_e32 v42, v40
	v_fmac_f32_e32 v41, 0x32a5705f, v39
	v_sub_f32_e32 v40, v40, v42
	v_add_f32_e32 v40, v40, v41
	v_exp_f32_e32 v40, v40
	v_cvt_i32_f32_e32 v41, v42
	s_mov_b32 s33, 0xc2ce8ed0
	v_cmp_ngt_f32_e64 s[58:59], s33, v39
	s_mov_b32 s33, 0x42b17218
	v_ldexp_f32 v40, v40, v41
	v_cndmask_b32_e64 v40, 0, v40, s[58:59]
	v_mov_b32_e32 v41, 0x7f800000
	v_cmp_nlt_f32_e64 s[58:59], s33, v39
	v_cndmask_b32_e64 v56, v41, v40, s[58:59]
	v_add_f32_e32 v39, 1.0, v56
	v_add_f32_e32 v40, -1.0, v39
	v_sub_f32_e32 v41, v40, v39
	v_add_f32_e32 v41, 1.0, v41
	v_sub_f32_e32 v40, v56, v40
	v_add_f32_e32 v42, v40, v41
	v_frexp_mant_f32_e32 v43, v39
	s_mov_b32 s33, 0x3f2aaaab
	v_cvt_f64_f32_e32 v[40:41], v39
	v_frexp_exp_i32_f64_e32 v40, v[40:41]
	v_cmp_gt_f32_e64 s[58:59], s33, v43
	v_subbrev_co_u32_e64 v48, s[58:59], 0, v40, s[58:59]
	v_sub_u32_e32 v40, 0, v48
	v_ldexp_f32 v39, v39, v40
	v_ldexp_f32 v40, v42, v40
	v_add_f32_e32 v42, -1.0, v39
	v_add_f32_e32 v41, 1.0, v42
	v_sub_f32_e32 v41, v39, v41
	v_add_f32_e32 v43, v40, v41
	v_add_f32_e32 v41, 1.0, v39
	v_add_f32_e32 v44, -1.0, v41
	v_sub_f32_e32 v39, v39, v44
	v_add_f32_e32 v39, v40, v39
	v_add_f32_e32 v49, v41, v39
	v_rcp_f32_e32 v50, v49
	v_sub_f32_e32 v40, v41, v49
	v_add_f32_e32 v41, v42, v43
	v_add_f32_e32 v39, v39, v40
	v_mul_f32_e32 v52, v41, v50
	v_sub_f32_e32 v40, v42, v41
	v_mul_f32_e32 v42, v49, v52
	v_fma_f32 v44, v52, v49, -v42
	v_fmac_f32_e32 v44, v52, v39
	v_add_f32_e32 v51, v43, v40
	v_add_f32_e32 v40, v42, v44
	v_sub_f32_e32 v43, v41, v40
	v_pk_add_f32 v[46:47], v[40:41], v[42:43] neg_lo:[0,1] neg_hi:[0,1]
	v_mov_b32_e32 v45, v40
	v_pk_add_f32 v[40:41], v[46:47], v[44:45] neg_lo:[0,1] neg_hi:[0,1]
	v_add_f32_e32 v41, v51, v41
	v_add_f32_e32 v40, v40, v41
	;; [unrolled: 1-line block ×3, first 2 shown]
	v_mul_f32_e32 v51, v50, v41
	v_mul_f32_e32 v42, v49, v51
	v_fma_f32 v44, v51, v49, -v42
	v_fmac_f32_e32 v44, v51, v39
	v_sub_f32_e32 v39, v43, v41
	v_add_f32_e32 v39, v40, v39
	v_add_f32_e32 v40, v42, v44
	v_sub_f32_e32 v43, v41, v40
	v_pk_add_f32 v[46:47], v[40:41], v[42:43] neg_lo:[0,1] neg_hi:[0,1]
	v_mov_b32_e32 v45, v40
	v_pk_add_f32 v[40:41], v[46:47], v[44:45] neg_lo:[0,1] neg_hi:[0,1]
	v_add_f32_e32 v39, v39, v41
	v_add_f32_e32 v39, v40, v39
	;; [unrolled: 1-line block ×4, first 2 shown]
	v_sub_f32_e32 v41, v40, v52
	v_mul_f32_e32 v39, v50, v39
	v_sub_f32_e32 v41, v51, v41
	v_add_f32_e32 v39, v41, v39
	v_add_f32_e32 v43, v40, v39
	v_mul_f32_e32 v44, v43, v43
	v_mov_b32_e32 v42, 0x3ecc95a3
	v_fmac_f32_e32 v42, 0x3e9b6dac, v44
	v_mov_b32_e32 v41, 0x3f2aaada
	v_fmac_f32_e32 v41, v44, v42
	v_cvt_f32_i32_e32 v42, v48
	v_sub_f32_e32 v40, v43, v40
	v_sub_f32_e32 v39, v39, v40
	v_ldexp_f32 v45, v43, 1
	v_mul_f32_e32 v43, v43, v44
	v_mov_b32_e32 v40, 0x3f317218
	s_mov_b32 s33, 0x3f317218
	v_pk_mul_f32 v[40:41], v[42:43], v[40:41]
	v_fma_f32 v44, v42, s33, -v40
	v_fmac_f32_e32 v44, 0xb102e308, v42
	v_pk_add_f32 v[42:43], v[40:41], v[44:45]
	v_sub_f32_e32 v45, v43, v45
	v_ldexp_f32 v39, v39, 1
	v_sub_f32_e32 v45, v41, v45
	v_add_f32_e32 v47, v39, v45
	v_mov_b32_e32 v46, v40
	v_pk_add_f32 v[40:41], v[42:43], v[40:41] neg_lo:[0,1] neg_hi:[0,1]
	v_pk_add_f32 v[48:49], v[42:43], v[46:47]
	v_mov_b32_e32 v41, v49
	v_mov_b32_e32 v45, v42
	v_pk_add_f32 v[50:51], v[44:45], v[40:41] neg_lo:[0,1] neg_hi:[0,1]
	v_pk_add_f32 v[40:41], v[44:45], v[40:41]
	v_mov_b32_e32 v44, v41
	v_pk_add_f32 v[52:53], v[44:45], v[42:43] neg_lo:[0,1] neg_hi:[0,1]
	v_mov_b32_e32 v39, v52
	v_pk_add_f32 v[54:55], v[48:49], v[38:39] neg_lo:[0,1] neg_hi:[0,1]
	v_mov_b32_e32 v40, v49
	v_mov_b32_e32 v48, v43
	;; [unrolled: 1-line block ×4, first 2 shown]
	v_pk_add_f32 v[40:41], v[40:41], v[48:49] neg_lo:[0,1] neg_hi:[0,1]
	v_mov_b32_e32 v46, v47
	v_mov_b32_e32 v47, v42
	v_pk_add_f32 v[40:41], v[46:47], v[40:41] neg_lo:[0,1] neg_hi:[0,1]
	v_mov_b32_e32 v54, v50
	v_pk_add_f32 v[42:43], v[54:55], v[40:41]
	v_mov_b32_e32 v46, v43
	v_pk_add_f32 v[46:47], v[42:43], v[46:47]
	v_pk_add_f32 v[44:45], v[44:45], v[46:47]
	v_mov_b32_e32 v43, v44
	v_pk_add_f32 v[48:49], v[42:43], v[50:51] neg_lo:[0,1] neg_hi:[0,1]
	v_mov_b32_e32 v41, v46
	v_sub_f32_e32 v39, v42, v48
	v_pk_add_f32 v[40:41], v[40:41], v[48:49] neg_lo:[0,1] neg_hi:[0,1]
	v_sub_f32_e32 v39, v50, v39
	s_mov_b32 s68, 0x7f800000
	v_add_f32_e32 v39, v40, v39
	s_mov_b32 s33, 0x33800000
	v_add_f32_e32 v39, v39, v41
	v_cmp_eq_f32_e64 s[58:59], s68, v56
	v_cmp_lt_f32_e64 s[68:69], |v56|, s33
	v_add_f32_e32 v39, v44, v39
	s_or_b64 s[58:59], s[58:59], s[68:69]
	v_cndmask_b32_e64 v39, v39, v56, s[58:59]
	v_add_f32_e32 v39, v38, v39
.LBB107_64:
	s_or_b64 exec, exec, s[60:61]
	v_mov_b32_e32 v38, v39
.LBB107_65:
	s_or_b64 exec, exec, s[66:67]
	s_nop 0
	v_mov_b32_dpp v39, v38 row_shr:4 row_mask:0xf bank_mask:0xf
	v_cmp_lt_u32_e64 s[58:59], 3, v37
	s_and_saveexec_b64 s[66:67], s[58:59]
	s_cbranch_execz .LBB107_69
; %bb.66:
	v_max_f32_e32 v41, v38, v38
	v_max_f32_e32 v42, v39, v39
	v_min_f32_e32 v40, v42, v41
	v_cmp_u_f32_e64 s[58:59], v39, v39
	v_max_f32_e32 v41, v42, v41
	v_cndmask_b32_e64 v40, v40, v39, s[58:59]
	v_cmp_u_f32_e64 s[60:61], v38, v38
	v_cndmask_b32_e64 v41, v41, v39, s[58:59]
	v_cndmask_b32_e64 v40, v40, v38, s[60:61]
	;; [unrolled: 1-line block ×3, first 2 shown]
	s_movk_i32 s33, 0x1f8
	v_cmp_neq_f32_e64 s[58:59], v40, v38
	v_cmp_class_f32_e64 s[60:61], v40, s33
	s_or_b64 s[58:59], s[58:59], s[60:61]
	s_and_saveexec_b64 s[60:61], s[58:59]
	s_cbranch_execz .LBB107_68
; %bb.67:
	v_sub_f32_e32 v39, v40, v38
	s_mov_b32 s33, 0x3fb8aa3b
	v_mul_f32_e32 v40, 0x3fb8aa3b, v39
	v_fma_f32 v41, v39, s33, -v40
	v_rndne_f32_e32 v42, v40
	v_fmac_f32_e32 v41, 0x32a5705f, v39
	v_sub_f32_e32 v40, v40, v42
	v_add_f32_e32 v40, v40, v41
	v_exp_f32_e32 v40, v40
	v_cvt_i32_f32_e32 v41, v42
	s_mov_b32 s33, 0xc2ce8ed0
	v_cmp_ngt_f32_e64 s[58:59], s33, v39
	s_mov_b32 s33, 0x42b17218
	v_ldexp_f32 v40, v40, v41
	v_cndmask_b32_e64 v40, 0, v40, s[58:59]
	v_mov_b32_e32 v41, 0x7f800000
	v_cmp_nlt_f32_e64 s[58:59], s33, v39
	v_cndmask_b32_e64 v56, v41, v40, s[58:59]
	v_add_f32_e32 v39, 1.0, v56
	v_add_f32_e32 v40, -1.0, v39
	v_sub_f32_e32 v41, v40, v39
	v_add_f32_e32 v41, 1.0, v41
	v_sub_f32_e32 v40, v56, v40
	v_add_f32_e32 v42, v40, v41
	v_frexp_mant_f32_e32 v43, v39
	s_mov_b32 s33, 0x3f2aaaab
	v_cvt_f64_f32_e32 v[40:41], v39
	v_frexp_exp_i32_f64_e32 v40, v[40:41]
	v_cmp_gt_f32_e64 s[58:59], s33, v43
	v_subbrev_co_u32_e64 v48, s[58:59], 0, v40, s[58:59]
	v_sub_u32_e32 v40, 0, v48
	v_ldexp_f32 v39, v39, v40
	v_ldexp_f32 v40, v42, v40
	v_add_f32_e32 v42, -1.0, v39
	v_add_f32_e32 v41, 1.0, v42
	v_sub_f32_e32 v41, v39, v41
	v_add_f32_e32 v43, v40, v41
	v_add_f32_e32 v41, 1.0, v39
	v_add_f32_e32 v44, -1.0, v41
	v_sub_f32_e32 v39, v39, v44
	v_add_f32_e32 v39, v40, v39
	v_add_f32_e32 v49, v41, v39
	v_rcp_f32_e32 v50, v49
	v_sub_f32_e32 v40, v41, v49
	v_add_f32_e32 v41, v42, v43
	v_add_f32_e32 v39, v39, v40
	v_mul_f32_e32 v52, v41, v50
	v_sub_f32_e32 v40, v42, v41
	v_mul_f32_e32 v42, v49, v52
	v_fma_f32 v44, v52, v49, -v42
	v_fmac_f32_e32 v44, v52, v39
	v_add_f32_e32 v51, v43, v40
	v_add_f32_e32 v40, v42, v44
	v_sub_f32_e32 v43, v41, v40
	v_pk_add_f32 v[46:47], v[40:41], v[42:43] neg_lo:[0,1] neg_hi:[0,1]
	v_mov_b32_e32 v45, v40
	v_pk_add_f32 v[40:41], v[46:47], v[44:45] neg_lo:[0,1] neg_hi:[0,1]
	v_add_f32_e32 v41, v51, v41
	v_add_f32_e32 v40, v40, v41
	;; [unrolled: 1-line block ×3, first 2 shown]
	v_mul_f32_e32 v51, v50, v41
	v_mul_f32_e32 v42, v49, v51
	v_fma_f32 v44, v51, v49, -v42
	v_fmac_f32_e32 v44, v51, v39
	v_sub_f32_e32 v39, v43, v41
	v_add_f32_e32 v39, v40, v39
	v_add_f32_e32 v40, v42, v44
	v_sub_f32_e32 v43, v41, v40
	v_pk_add_f32 v[46:47], v[40:41], v[42:43] neg_lo:[0,1] neg_hi:[0,1]
	v_mov_b32_e32 v45, v40
	v_pk_add_f32 v[40:41], v[46:47], v[44:45] neg_lo:[0,1] neg_hi:[0,1]
	v_add_f32_e32 v39, v39, v41
	v_add_f32_e32 v39, v40, v39
	;; [unrolled: 1-line block ×4, first 2 shown]
	v_sub_f32_e32 v41, v40, v52
	v_mul_f32_e32 v39, v50, v39
	v_sub_f32_e32 v41, v51, v41
	v_add_f32_e32 v39, v41, v39
	v_add_f32_e32 v43, v40, v39
	v_mul_f32_e32 v44, v43, v43
	v_mov_b32_e32 v42, 0x3ecc95a3
	v_fmac_f32_e32 v42, 0x3e9b6dac, v44
	v_mov_b32_e32 v41, 0x3f2aaada
	v_fmac_f32_e32 v41, v44, v42
	v_cvt_f32_i32_e32 v42, v48
	v_sub_f32_e32 v40, v43, v40
	v_sub_f32_e32 v39, v39, v40
	v_ldexp_f32 v45, v43, 1
	v_mul_f32_e32 v43, v43, v44
	v_mov_b32_e32 v40, 0x3f317218
	s_mov_b32 s33, 0x3f317218
	v_pk_mul_f32 v[40:41], v[42:43], v[40:41]
	v_fma_f32 v44, v42, s33, -v40
	v_fmac_f32_e32 v44, 0xb102e308, v42
	v_pk_add_f32 v[42:43], v[40:41], v[44:45]
	v_sub_f32_e32 v45, v43, v45
	v_ldexp_f32 v39, v39, 1
	v_sub_f32_e32 v45, v41, v45
	v_add_f32_e32 v47, v39, v45
	v_mov_b32_e32 v46, v40
	v_pk_add_f32 v[40:41], v[42:43], v[40:41] neg_lo:[0,1] neg_hi:[0,1]
	v_pk_add_f32 v[48:49], v[42:43], v[46:47]
	v_mov_b32_e32 v41, v49
	v_mov_b32_e32 v45, v42
	v_pk_add_f32 v[50:51], v[44:45], v[40:41] neg_lo:[0,1] neg_hi:[0,1]
	v_pk_add_f32 v[40:41], v[44:45], v[40:41]
	v_mov_b32_e32 v44, v41
	v_pk_add_f32 v[52:53], v[44:45], v[42:43] neg_lo:[0,1] neg_hi:[0,1]
	v_mov_b32_e32 v39, v52
	v_pk_add_f32 v[54:55], v[48:49], v[38:39] neg_lo:[0,1] neg_hi:[0,1]
	v_mov_b32_e32 v40, v49
	v_mov_b32_e32 v48, v43
	;; [unrolled: 1-line block ×4, first 2 shown]
	v_pk_add_f32 v[40:41], v[40:41], v[48:49] neg_lo:[0,1] neg_hi:[0,1]
	v_mov_b32_e32 v46, v47
	v_mov_b32_e32 v47, v42
	v_pk_add_f32 v[40:41], v[46:47], v[40:41] neg_lo:[0,1] neg_hi:[0,1]
	v_mov_b32_e32 v54, v50
	v_pk_add_f32 v[42:43], v[54:55], v[40:41]
	v_mov_b32_e32 v46, v43
	v_pk_add_f32 v[46:47], v[42:43], v[46:47]
	v_pk_add_f32 v[44:45], v[44:45], v[46:47]
	v_mov_b32_e32 v43, v44
	v_pk_add_f32 v[48:49], v[42:43], v[50:51] neg_lo:[0,1] neg_hi:[0,1]
	v_mov_b32_e32 v41, v46
	v_sub_f32_e32 v39, v42, v48
	v_pk_add_f32 v[40:41], v[40:41], v[48:49] neg_lo:[0,1] neg_hi:[0,1]
	v_sub_f32_e32 v39, v50, v39
	s_mov_b32 s68, 0x7f800000
	v_add_f32_e32 v39, v40, v39
	s_mov_b32 s33, 0x33800000
	v_add_f32_e32 v39, v39, v41
	v_cmp_eq_f32_e64 s[58:59], s68, v56
	v_cmp_lt_f32_e64 s[68:69], |v56|, s33
	v_add_f32_e32 v39, v44, v39
	s_or_b64 s[58:59], s[58:59], s[68:69]
	v_cndmask_b32_e64 v39, v39, v56, s[58:59]
	v_add_f32_e32 v39, v38, v39
.LBB107_68:
	s_or_b64 exec, exec, s[60:61]
	v_mov_b32_e32 v38, v39
.LBB107_69:
	s_or_b64 exec, exec, s[66:67]
	s_nop 0
	v_mov_b32_dpp v39, v38 row_shr:8 row_mask:0xf bank_mask:0xf
	v_cmp_lt_u32_e64 s[58:59], 7, v37
	s_and_saveexec_b64 s[66:67], s[58:59]
	s_cbranch_execz .LBB107_73
; %bb.70:
	v_max_f32_e32 v37, v38, v38
	v_max_f32_e32 v41, v39, v39
	v_min_f32_e32 v40, v41, v37
	v_cmp_u_f32_e64 s[58:59], v39, v39
	v_max_f32_e32 v37, v41, v37
	v_cndmask_b32_e64 v40, v40, v39, s[58:59]
	v_cmp_u_f32_e64 s[60:61], v38, v38
	v_cndmask_b32_e64 v37, v37, v39, s[58:59]
	v_cndmask_b32_e64 v40, v40, v38, s[60:61]
	;; [unrolled: 1-line block ×3, first 2 shown]
	s_movk_i32 s33, 0x1f8
	v_cmp_neq_f32_e64 s[58:59], v40, v37
	v_cmp_class_f32_e64 s[60:61], v40, s33
	s_or_b64 s[58:59], s[58:59], s[60:61]
	s_and_saveexec_b64 s[60:61], s[58:59]
	s_cbranch_execz .LBB107_72
; %bb.71:
	v_sub_f32_e32 v38, v40, v37
	s_mov_b32 s33, 0x3fb8aa3b
	v_mul_f32_e32 v39, 0x3fb8aa3b, v38
	v_fma_f32 v40, v38, s33, -v39
	v_rndne_f32_e32 v41, v39
	v_fmac_f32_e32 v40, 0x32a5705f, v38
	v_sub_f32_e32 v39, v39, v41
	v_add_f32_e32 v39, v39, v40
	v_exp_f32_e32 v39, v39
	v_cvt_i32_f32_e32 v40, v41
	s_mov_b32 s33, 0xc2ce8ed0
	v_cmp_ngt_f32_e64 s[58:59], s33, v38
	s_mov_b32 s33, 0x42b17218
	v_ldexp_f32 v39, v39, v40
	v_cndmask_b32_e64 v39, 0, v39, s[58:59]
	v_mov_b32_e32 v40, 0x7f800000
	v_cmp_nlt_f32_e64 s[58:59], s33, v38
	v_cndmask_b32_e64 v54, v40, v39, s[58:59]
	v_add_f32_e32 v40, 1.0, v54
	v_add_f32_e32 v38, -1.0, v40
	v_sub_f32_e32 v39, v38, v40
	v_add_f32_e32 v39, 1.0, v39
	v_sub_f32_e32 v38, v54, v38
	v_add_f32_e32 v41, v38, v39
	v_frexp_mant_f32_e32 v42, v40
	s_mov_b32 s33, 0x3f2aaaab
	v_cvt_f64_f32_e32 v[38:39], v40
	v_frexp_exp_i32_f64_e32 v38, v[38:39]
	v_cmp_gt_f32_e64 s[58:59], s33, v42
	v_subbrev_co_u32_e64 v46, s[58:59], 0, v38, s[58:59]
	v_sub_u32_e32 v38, 0, v46
	v_ldexp_f32 v39, v40, v38
	v_add_f32_e32 v40, -1.0, v39
	v_add_f32_e32 v42, 1.0, v39
	v_ldexp_f32 v38, v41, v38
	v_add_f32_e32 v41, 1.0, v40
	v_add_f32_e32 v43, -1.0, v42
	v_sub_f32_e32 v41, v39, v41
	v_sub_f32_e32 v39, v39, v43
	v_add_f32_e32 v41, v38, v41
	v_add_f32_e32 v38, v38, v39
	;; [unrolled: 1-line block ×3, first 2 shown]
	v_rcp_f32_e32 v49, v47
	v_sub_f32_e32 v39, v42, v47
	v_add_f32_e32 v48, v38, v39
	v_add_f32_e32 v39, v40, v41
	v_mul_f32_e32 v51, v39, v49
	v_sub_f32_e32 v38, v40, v39
	v_mul_f32_e32 v40, v47, v51
	v_fma_f32 v42, v51, v47, -v40
	v_fmac_f32_e32 v42, v51, v48
	v_add_f32_e32 v50, v41, v38
	v_add_f32_e32 v38, v40, v42
	v_sub_f32_e32 v41, v39, v38
	v_pk_add_f32 v[44:45], v[38:39], v[40:41] neg_lo:[0,1] neg_hi:[0,1]
	v_mov_b32_e32 v43, v38
	v_pk_add_f32 v[38:39], v[44:45], v[42:43] neg_lo:[0,1] neg_hi:[0,1]
	v_add_f32_e32 v39, v50, v39
	v_add_f32_e32 v38, v38, v39
	;; [unrolled: 1-line block ×3, first 2 shown]
	v_mul_f32_e32 v50, v49, v39
	v_mul_f32_e32 v40, v47, v50
	v_fma_f32 v42, v50, v47, -v40
	v_fmac_f32_e32 v42, v50, v48
	v_sub_f32_e32 v41, v41, v39
	v_add_f32_e32 v47, v38, v41
	v_add_f32_e32 v38, v40, v42
	v_sub_f32_e32 v41, v39, v38
	v_pk_add_f32 v[44:45], v[38:39], v[40:41] neg_lo:[0,1] neg_hi:[0,1]
	v_mov_b32_e32 v43, v38
	v_pk_add_f32 v[38:39], v[44:45], v[42:43] neg_lo:[0,1] neg_hi:[0,1]
	v_add_f32_e32 v39, v47, v39
	v_add_f32_e32 v38, v38, v39
	;; [unrolled: 1-line block ×4, first 2 shown]
	v_sub_f32_e32 v39, v41, v51
	v_mul_f32_e32 v38, v49, v38
	v_sub_f32_e32 v39, v50, v39
	v_add_f32_e32 v38, v39, v38
	v_add_f32_e32 v42, v41, v38
	v_mul_f32_e32 v44, v42, v42
	v_mov_b32_e32 v40, 0x3ecc95a3
	v_fmac_f32_e32 v40, 0x3e9b6dac, v44
	v_mov_b32_e32 v39, 0x3f2aaada
	v_fmac_f32_e32 v39, v44, v40
	v_cvt_f32_i32_e32 v40, v46
	v_sub_f32_e32 v41, v42, v41
	v_sub_f32_e32 v38, v38, v41
	v_ldexp_f32 v45, v38, 1
	v_mul_f32_e32 v41, v42, v44
	v_mov_b32_e32 v38, 0x3f317218
	s_mov_b32 s33, 0x3f317218
	v_pk_mul_f32 v[38:39], v[40:41], v[38:39]
	v_ldexp_f32 v43, v42, 1
	v_fma_f32 v42, v40, s33, -v38
	v_fmac_f32_e32 v42, 0xb102e308, v40
	v_pk_add_f32 v[40:41], v[38:39], v[42:43]
	v_sub_f32_e32 v43, v41, v43
	v_sub_f32_e32 v43, v39, v43
	v_add_f32_e32 v45, v45, v43
	v_mov_b32_e32 v44, v38
	v_pk_add_f32 v[38:39], v[40:41], v[38:39] neg_lo:[0,1] neg_hi:[0,1]
	v_pk_add_f32 v[46:47], v[40:41], v[44:45]
	v_mov_b32_e32 v39, v47
	v_mov_b32_e32 v43, v40
	v_pk_add_f32 v[48:49], v[42:43], v[38:39] neg_lo:[0,1] neg_hi:[0,1]
	v_pk_add_f32 v[38:39], v[42:43], v[38:39]
	v_mov_b32_e32 v42, v39
	v_pk_add_f32 v[50:51], v[42:43], v[40:41] neg_lo:[0,1] neg_hi:[0,1]
	v_mov_b32_e32 v43, v50
	v_pk_add_f32 v[52:53], v[46:47], v[42:43] neg_lo:[0,1] neg_hi:[0,1]
	v_mov_b32_e32 v38, v47
	v_mov_b32_e32 v46, v41
	v_mov_b32_e32 v47, v50
	v_mov_b32_e32 v49, v39
	v_pk_add_f32 v[38:39], v[38:39], v[46:47] neg_lo:[0,1] neg_hi:[0,1]
	v_mov_b32_e32 v44, v45
	v_mov_b32_e32 v45, v40
	v_pk_add_f32 v[38:39], v[44:45], v[38:39] neg_lo:[0,1] neg_hi:[0,1]
	v_mov_b32_e32 v52, v48
	v_pk_add_f32 v[40:41], v[52:53], v[38:39]
	v_mov_b32_e32 v44, v41
	v_pk_add_f32 v[44:45], v[40:41], v[44:45]
	v_pk_add_f32 v[42:43], v[42:43], v[44:45]
	v_mov_b32_e32 v41, v42
	v_pk_add_f32 v[46:47], v[40:41], v[48:49] neg_lo:[0,1] neg_hi:[0,1]
	v_mov_b32_e32 v39, v44
	v_sub_f32_e32 v40, v40, v46
	v_pk_add_f32 v[38:39], v[38:39], v[46:47] neg_lo:[0,1] neg_hi:[0,1]
	v_sub_f32_e32 v40, v48, v40
	s_mov_b32 s68, 0x7f800000
	v_add_f32_e32 v38, v38, v40
	s_mov_b32 s33, 0x33800000
	v_add_f32_e32 v38, v38, v39
	v_cmp_eq_f32_e64 s[58:59], s68, v54
	v_cmp_lt_f32_e64 s[68:69], |v54|, s33
	v_add_f32_e32 v38, v42, v38
	s_or_b64 s[58:59], s[58:59], s[68:69]
	v_cndmask_b32_e64 v38, v38, v54, s[58:59]
	v_add_f32_e32 v39, v37, v38
.LBB107_72:
	s_or_b64 exec, exec, s[60:61]
	v_mov_b32_e32 v38, v39
.LBB107_73:
	s_or_b64 exec, exec, s[66:67]
	v_and_b32_e32 v37, 16, v17
	v_mov_b32_dpp v39, v38 row_bcast:15 row_mask:0xf bank_mask:0xf
	v_cmp_ne_u32_e64 s[58:59], 0, v37
	s_and_saveexec_b64 s[66:67], s[58:59]
	s_cbranch_execz .LBB107_77
; %bb.74:
	v_max_f32_e32 v37, v38, v38
	v_max_f32_e32 v41, v39, v39
	v_min_f32_e32 v40, v41, v37
	v_cmp_u_f32_e64 s[58:59], v39, v39
	v_max_f32_e32 v37, v41, v37
	v_cndmask_b32_e64 v40, v40, v39, s[58:59]
	v_cmp_u_f32_e64 s[60:61], v38, v38
	v_cndmask_b32_e64 v37, v37, v39, s[58:59]
	v_cndmask_b32_e64 v40, v40, v38, s[60:61]
	;; [unrolled: 1-line block ×3, first 2 shown]
	s_movk_i32 s33, 0x1f8
	v_cmp_neq_f32_e64 s[58:59], v40, v37
	v_cmp_class_f32_e64 s[60:61], v40, s33
	s_or_b64 s[58:59], s[58:59], s[60:61]
	s_and_saveexec_b64 s[60:61], s[58:59]
	s_cbranch_execz .LBB107_76
; %bb.75:
	v_sub_f32_e32 v38, v40, v37
	s_mov_b32 s33, 0x3fb8aa3b
	v_mul_f32_e32 v39, 0x3fb8aa3b, v38
	v_fma_f32 v40, v38, s33, -v39
	v_rndne_f32_e32 v41, v39
	v_fmac_f32_e32 v40, 0x32a5705f, v38
	v_sub_f32_e32 v39, v39, v41
	v_add_f32_e32 v39, v39, v40
	v_exp_f32_e32 v39, v39
	v_cvt_i32_f32_e32 v40, v41
	s_mov_b32 s33, 0xc2ce8ed0
	v_cmp_ngt_f32_e64 s[58:59], s33, v38
	s_mov_b32 s33, 0x42b17218
	v_ldexp_f32 v39, v39, v40
	v_cndmask_b32_e64 v39, 0, v39, s[58:59]
	v_mov_b32_e32 v40, 0x7f800000
	v_cmp_nlt_f32_e64 s[58:59], s33, v38
	v_cndmask_b32_e64 v54, v40, v39, s[58:59]
	v_add_f32_e32 v40, 1.0, v54
	v_add_f32_e32 v38, -1.0, v40
	v_sub_f32_e32 v39, v38, v40
	v_add_f32_e32 v39, 1.0, v39
	v_sub_f32_e32 v38, v54, v38
	v_add_f32_e32 v41, v38, v39
	v_frexp_mant_f32_e32 v42, v40
	s_mov_b32 s33, 0x3f2aaaab
	v_cvt_f64_f32_e32 v[38:39], v40
	v_frexp_exp_i32_f64_e32 v38, v[38:39]
	v_cmp_gt_f32_e64 s[58:59], s33, v42
	v_subbrev_co_u32_e64 v46, s[58:59], 0, v38, s[58:59]
	v_sub_u32_e32 v38, 0, v46
	v_ldexp_f32 v39, v40, v38
	v_add_f32_e32 v40, -1.0, v39
	v_add_f32_e32 v42, 1.0, v39
	v_ldexp_f32 v38, v41, v38
	v_add_f32_e32 v41, 1.0, v40
	v_add_f32_e32 v43, -1.0, v42
	v_sub_f32_e32 v41, v39, v41
	v_sub_f32_e32 v39, v39, v43
	v_add_f32_e32 v41, v38, v41
	v_add_f32_e32 v38, v38, v39
	v_add_f32_e32 v47, v42, v38
	v_rcp_f32_e32 v49, v47
	v_sub_f32_e32 v39, v42, v47
	v_add_f32_e32 v48, v38, v39
	v_add_f32_e32 v39, v40, v41
	v_mul_f32_e32 v51, v39, v49
	v_sub_f32_e32 v38, v40, v39
	v_mul_f32_e32 v40, v47, v51
	v_fma_f32 v42, v51, v47, -v40
	v_fmac_f32_e32 v42, v51, v48
	v_add_f32_e32 v50, v41, v38
	v_add_f32_e32 v38, v40, v42
	v_sub_f32_e32 v41, v39, v38
	v_pk_add_f32 v[44:45], v[38:39], v[40:41] neg_lo:[0,1] neg_hi:[0,1]
	v_mov_b32_e32 v43, v38
	v_pk_add_f32 v[38:39], v[44:45], v[42:43] neg_lo:[0,1] neg_hi:[0,1]
	v_add_f32_e32 v39, v50, v39
	v_add_f32_e32 v38, v38, v39
	;; [unrolled: 1-line block ×3, first 2 shown]
	v_mul_f32_e32 v50, v49, v39
	v_mul_f32_e32 v40, v47, v50
	v_fma_f32 v42, v50, v47, -v40
	v_fmac_f32_e32 v42, v50, v48
	v_sub_f32_e32 v41, v41, v39
	v_add_f32_e32 v47, v38, v41
	v_add_f32_e32 v38, v40, v42
	v_sub_f32_e32 v41, v39, v38
	v_pk_add_f32 v[44:45], v[38:39], v[40:41] neg_lo:[0,1] neg_hi:[0,1]
	v_mov_b32_e32 v43, v38
	v_pk_add_f32 v[38:39], v[44:45], v[42:43] neg_lo:[0,1] neg_hi:[0,1]
	v_add_f32_e32 v39, v47, v39
	v_add_f32_e32 v38, v38, v39
	;; [unrolled: 1-line block ×4, first 2 shown]
	v_sub_f32_e32 v39, v41, v51
	v_mul_f32_e32 v38, v49, v38
	v_sub_f32_e32 v39, v50, v39
	v_add_f32_e32 v38, v39, v38
	v_add_f32_e32 v42, v41, v38
	v_mul_f32_e32 v44, v42, v42
	v_mov_b32_e32 v40, 0x3ecc95a3
	v_fmac_f32_e32 v40, 0x3e9b6dac, v44
	v_mov_b32_e32 v39, 0x3f2aaada
	v_fmac_f32_e32 v39, v44, v40
	v_cvt_f32_i32_e32 v40, v46
	v_sub_f32_e32 v41, v42, v41
	v_sub_f32_e32 v38, v38, v41
	v_ldexp_f32 v45, v38, 1
	v_mul_f32_e32 v41, v42, v44
	v_mov_b32_e32 v38, 0x3f317218
	s_mov_b32 s33, 0x3f317218
	v_pk_mul_f32 v[38:39], v[40:41], v[38:39]
	v_ldexp_f32 v43, v42, 1
	v_fma_f32 v42, v40, s33, -v38
	v_fmac_f32_e32 v42, 0xb102e308, v40
	v_pk_add_f32 v[40:41], v[38:39], v[42:43]
	v_sub_f32_e32 v43, v41, v43
	v_sub_f32_e32 v43, v39, v43
	v_add_f32_e32 v45, v45, v43
	v_mov_b32_e32 v44, v38
	v_pk_add_f32 v[38:39], v[40:41], v[38:39] neg_lo:[0,1] neg_hi:[0,1]
	v_pk_add_f32 v[46:47], v[40:41], v[44:45]
	v_mov_b32_e32 v39, v47
	v_mov_b32_e32 v43, v40
	v_pk_add_f32 v[48:49], v[42:43], v[38:39] neg_lo:[0,1] neg_hi:[0,1]
	v_pk_add_f32 v[38:39], v[42:43], v[38:39]
	v_mov_b32_e32 v42, v39
	v_pk_add_f32 v[50:51], v[42:43], v[40:41] neg_lo:[0,1] neg_hi:[0,1]
	v_mov_b32_e32 v43, v50
	v_pk_add_f32 v[52:53], v[46:47], v[42:43] neg_lo:[0,1] neg_hi:[0,1]
	v_mov_b32_e32 v38, v47
	v_mov_b32_e32 v46, v41
	;; [unrolled: 1-line block ×4, first 2 shown]
	v_pk_add_f32 v[38:39], v[38:39], v[46:47] neg_lo:[0,1] neg_hi:[0,1]
	v_mov_b32_e32 v44, v45
	v_mov_b32_e32 v45, v40
	v_pk_add_f32 v[38:39], v[44:45], v[38:39] neg_lo:[0,1] neg_hi:[0,1]
	v_mov_b32_e32 v52, v48
	v_pk_add_f32 v[40:41], v[52:53], v[38:39]
	v_mov_b32_e32 v44, v41
	v_pk_add_f32 v[44:45], v[40:41], v[44:45]
	v_pk_add_f32 v[42:43], v[42:43], v[44:45]
	v_mov_b32_e32 v41, v42
	v_pk_add_f32 v[46:47], v[40:41], v[48:49] neg_lo:[0,1] neg_hi:[0,1]
	v_mov_b32_e32 v39, v44
	v_sub_f32_e32 v40, v40, v46
	v_pk_add_f32 v[38:39], v[38:39], v[46:47] neg_lo:[0,1] neg_hi:[0,1]
	v_sub_f32_e32 v40, v48, v40
	s_mov_b32 s68, 0x7f800000
	v_add_f32_e32 v38, v38, v40
	s_mov_b32 s33, 0x33800000
	v_add_f32_e32 v38, v38, v39
	v_cmp_eq_f32_e64 s[58:59], s68, v54
	v_cmp_lt_f32_e64 s[68:69], |v54|, s33
	v_add_f32_e32 v38, v42, v38
	s_or_b64 s[58:59], s[58:59], s[68:69]
	v_cndmask_b32_e64 v38, v38, v54, s[58:59]
	v_add_f32_e32 v39, v37, v38
.LBB107_76:
	s_or_b64 exec, exec, s[60:61]
	v_mov_b32_e32 v38, v39
.LBB107_77:
	s_or_b64 exec, exec, s[66:67]
	s_nop 0
	v_mov_b32_dpp v39, v38 row_bcast:31 row_mask:0xf bank_mask:0xf
	v_cmp_lt_u32_e64 s[58:59], 31, v17
	s_and_saveexec_b64 s[66:67], s[58:59]
	s_cbranch_execz .LBB107_81
; %bb.78:
	v_max_f32_e32 v37, v38, v38
	v_max_f32_e32 v41, v39, v39
	v_min_f32_e32 v40, v41, v37
	v_cmp_u_f32_e64 s[58:59], v39, v39
	v_max_f32_e32 v37, v41, v37
	v_cndmask_b32_e64 v40, v40, v39, s[58:59]
	v_cmp_u_f32_e64 s[60:61], v38, v38
	v_cndmask_b32_e64 v37, v37, v39, s[58:59]
	v_cndmask_b32_e64 v40, v40, v38, s[60:61]
	;; [unrolled: 1-line block ×3, first 2 shown]
	s_movk_i32 s33, 0x1f8
	v_cmp_neq_f32_e64 s[58:59], v40, v37
	v_cmp_class_f32_e64 s[60:61], v40, s33
	s_or_b64 s[58:59], s[58:59], s[60:61]
	s_and_saveexec_b64 s[60:61], s[58:59]
	s_cbranch_execz .LBB107_80
; %bb.79:
	v_sub_f32_e32 v38, v40, v37
	s_mov_b32 s33, 0x3fb8aa3b
	v_mul_f32_e32 v39, 0x3fb8aa3b, v38
	v_fma_f32 v40, v38, s33, -v39
	v_rndne_f32_e32 v41, v39
	v_fmac_f32_e32 v40, 0x32a5705f, v38
	v_sub_f32_e32 v39, v39, v41
	v_add_f32_e32 v39, v39, v40
	v_exp_f32_e32 v39, v39
	v_cvt_i32_f32_e32 v40, v41
	s_mov_b32 s33, 0xc2ce8ed0
	v_cmp_ngt_f32_e64 s[58:59], s33, v38
	s_mov_b32 s33, 0x42b17218
	v_ldexp_f32 v39, v39, v40
	v_cndmask_b32_e64 v39, 0, v39, s[58:59]
	v_mov_b32_e32 v40, 0x7f800000
	v_cmp_nlt_f32_e64 s[58:59], s33, v38
	v_cndmask_b32_e64 v54, v40, v39, s[58:59]
	v_add_f32_e32 v40, 1.0, v54
	v_add_f32_e32 v38, -1.0, v40
	v_sub_f32_e32 v39, v38, v40
	v_add_f32_e32 v39, 1.0, v39
	v_sub_f32_e32 v38, v54, v38
	v_add_f32_e32 v41, v38, v39
	v_frexp_mant_f32_e32 v42, v40
	s_mov_b32 s33, 0x3f2aaaab
	v_cvt_f64_f32_e32 v[38:39], v40
	v_frexp_exp_i32_f64_e32 v38, v[38:39]
	v_cmp_gt_f32_e64 s[58:59], s33, v42
	v_subbrev_co_u32_e64 v46, s[58:59], 0, v38, s[58:59]
	v_sub_u32_e32 v38, 0, v46
	v_ldexp_f32 v39, v40, v38
	v_add_f32_e32 v40, -1.0, v39
	v_add_f32_e32 v42, 1.0, v39
	v_ldexp_f32 v38, v41, v38
	v_add_f32_e32 v41, 1.0, v40
	v_add_f32_e32 v43, -1.0, v42
	v_sub_f32_e32 v41, v39, v41
	v_sub_f32_e32 v39, v39, v43
	v_add_f32_e32 v41, v38, v41
	v_add_f32_e32 v38, v38, v39
	;; [unrolled: 1-line block ×3, first 2 shown]
	v_rcp_f32_e32 v49, v47
	v_sub_f32_e32 v39, v42, v47
	v_add_f32_e32 v48, v38, v39
	v_add_f32_e32 v39, v40, v41
	v_mul_f32_e32 v51, v39, v49
	v_sub_f32_e32 v38, v40, v39
	v_mul_f32_e32 v40, v47, v51
	v_fma_f32 v42, v51, v47, -v40
	v_fmac_f32_e32 v42, v51, v48
	v_add_f32_e32 v50, v41, v38
	v_add_f32_e32 v38, v40, v42
	v_sub_f32_e32 v41, v39, v38
	v_pk_add_f32 v[44:45], v[38:39], v[40:41] neg_lo:[0,1] neg_hi:[0,1]
	v_mov_b32_e32 v43, v38
	v_pk_add_f32 v[38:39], v[44:45], v[42:43] neg_lo:[0,1] neg_hi:[0,1]
	v_add_f32_e32 v39, v50, v39
	v_add_f32_e32 v38, v38, v39
	;; [unrolled: 1-line block ×3, first 2 shown]
	v_mul_f32_e32 v50, v49, v39
	v_mul_f32_e32 v40, v47, v50
	v_fma_f32 v42, v50, v47, -v40
	v_fmac_f32_e32 v42, v50, v48
	v_sub_f32_e32 v41, v41, v39
	v_add_f32_e32 v47, v38, v41
	v_add_f32_e32 v38, v40, v42
	v_sub_f32_e32 v41, v39, v38
	v_pk_add_f32 v[44:45], v[38:39], v[40:41] neg_lo:[0,1] neg_hi:[0,1]
	v_mov_b32_e32 v43, v38
	v_pk_add_f32 v[38:39], v[44:45], v[42:43] neg_lo:[0,1] neg_hi:[0,1]
	v_add_f32_e32 v39, v47, v39
	v_add_f32_e32 v38, v38, v39
	;; [unrolled: 1-line block ×4, first 2 shown]
	v_sub_f32_e32 v39, v41, v51
	v_mul_f32_e32 v38, v49, v38
	v_sub_f32_e32 v39, v50, v39
	v_add_f32_e32 v38, v39, v38
	v_add_f32_e32 v42, v41, v38
	v_mul_f32_e32 v44, v42, v42
	v_mov_b32_e32 v40, 0x3ecc95a3
	v_fmac_f32_e32 v40, 0x3e9b6dac, v44
	v_mov_b32_e32 v39, 0x3f2aaada
	v_fmac_f32_e32 v39, v44, v40
	v_cvt_f32_i32_e32 v40, v46
	v_sub_f32_e32 v41, v42, v41
	v_sub_f32_e32 v38, v38, v41
	v_ldexp_f32 v45, v38, 1
	v_mul_f32_e32 v41, v42, v44
	v_mov_b32_e32 v38, 0x3f317218
	s_mov_b32 s33, 0x3f317218
	v_pk_mul_f32 v[38:39], v[40:41], v[38:39]
	v_ldexp_f32 v43, v42, 1
	v_fma_f32 v42, v40, s33, -v38
	v_fmac_f32_e32 v42, 0xb102e308, v40
	v_pk_add_f32 v[40:41], v[38:39], v[42:43]
	v_sub_f32_e32 v43, v41, v43
	v_sub_f32_e32 v43, v39, v43
	v_add_f32_e32 v45, v45, v43
	v_mov_b32_e32 v44, v38
	v_pk_add_f32 v[38:39], v[40:41], v[38:39] neg_lo:[0,1] neg_hi:[0,1]
	v_pk_add_f32 v[46:47], v[40:41], v[44:45]
	v_mov_b32_e32 v39, v47
	v_mov_b32_e32 v43, v40
	v_pk_add_f32 v[48:49], v[42:43], v[38:39] neg_lo:[0,1] neg_hi:[0,1]
	v_pk_add_f32 v[38:39], v[42:43], v[38:39]
	v_mov_b32_e32 v42, v39
	v_pk_add_f32 v[50:51], v[42:43], v[40:41] neg_lo:[0,1] neg_hi:[0,1]
	v_mov_b32_e32 v43, v50
	v_pk_add_f32 v[52:53], v[46:47], v[42:43] neg_lo:[0,1] neg_hi:[0,1]
	v_mov_b32_e32 v38, v47
	v_mov_b32_e32 v46, v41
	;; [unrolled: 1-line block ×4, first 2 shown]
	v_pk_add_f32 v[38:39], v[38:39], v[46:47] neg_lo:[0,1] neg_hi:[0,1]
	v_mov_b32_e32 v44, v45
	v_mov_b32_e32 v45, v40
	v_pk_add_f32 v[38:39], v[44:45], v[38:39] neg_lo:[0,1] neg_hi:[0,1]
	v_mov_b32_e32 v52, v48
	v_pk_add_f32 v[40:41], v[52:53], v[38:39]
	v_mov_b32_e32 v44, v41
	v_pk_add_f32 v[44:45], v[40:41], v[44:45]
	v_pk_add_f32 v[42:43], v[42:43], v[44:45]
	v_mov_b32_e32 v41, v42
	v_pk_add_f32 v[46:47], v[40:41], v[48:49] neg_lo:[0,1] neg_hi:[0,1]
	v_mov_b32_e32 v39, v44
	v_sub_f32_e32 v40, v40, v46
	v_pk_add_f32 v[38:39], v[38:39], v[46:47] neg_lo:[0,1] neg_hi:[0,1]
	v_sub_f32_e32 v40, v48, v40
	s_mov_b32 s68, 0x7f800000
	v_add_f32_e32 v38, v38, v40
	s_mov_b32 s33, 0x33800000
	v_add_f32_e32 v38, v38, v39
	v_cmp_eq_f32_e64 s[58:59], s68, v54
	v_cmp_lt_f32_e64 s[68:69], |v54|, s33
	v_add_f32_e32 v38, v42, v38
	s_or_b64 s[58:59], s[58:59], s[68:69]
	v_cndmask_b32_e64 v38, v38, v54, s[58:59]
	v_add_f32_e32 v39, v37, v38
.LBB107_80:
	s_or_b64 exec, exec, s[60:61]
	v_mov_b32_e32 v38, v39
.LBB107_81:
	s_or_b64 exec, exec, s[66:67]
	v_add_u32_e32 v37, -1, v17
	v_and_b32_e32 v39, 64, v17
	v_cmp_lt_i32_e64 s[58:59], v37, v39
	v_cndmask_b32_e64 v17, v37, v17, s[58:59]
	v_lshlrev_b32_e32 v17, 2, v17
	ds_bpermute_b32 v17, v17, v38
	s_movk_i32 s33, 0x1f8
	s_waitcnt lgkmcnt(0)
	v_max_f32_e32 v37, v17, v17
	v_min_f32_e32 v38, v37, v36
	v_max_f32_e32 v37, v37, v36
	v_cmp_u_f32_e64 s[58:59], v17, v17
	v_cndmask_b32_e64 v36, v38, v17, s[58:59]
	v_cndmask_b32_e64 v37, v37, v17, s[58:59]
	;; [unrolled: 1-line block ×4, first 2 shown]
	v_cmp_neq_f32_e64 s[4:5], v36, v16
	v_cmp_class_f32_e64 s[58:59], v36, s33
	s_or_b64 s[4:5], s[4:5], s[58:59]
	s_and_saveexec_b64 s[58:59], s[4:5]
	s_cbranch_execz .LBB107_83
; %bb.82:
	v_sub_f32_e32 v17, v36, v16
	s_mov_b32 s4, 0x3fb8aa3b
	v_mul_f32_e32 v36, 0x3fb8aa3b, v17
	v_fma_f32 v37, v17, s4, -v36
	v_rndne_f32_e32 v38, v36
	v_fmac_f32_e32 v37, 0x32a5705f, v17
	v_sub_f32_e32 v36, v36, v38
	v_add_f32_e32 v36, v36, v37
	v_exp_f32_e32 v36, v36
	v_cvt_i32_f32_e32 v37, v38
	s_mov_b32 s4, 0xc2ce8ed0
	v_cmp_ngt_f32_e64 s[4:5], s4, v17
	s_mov_b32 s60, 0x7f800000
	v_ldexp_f32 v36, v36, v37
	v_cndmask_b32_e64 v36, 0, v36, s[4:5]
	s_mov_b32 s4, 0x42b17218
	v_mov_b32_e32 v37, 0x7f800000
	v_cmp_nlt_f32_e64 s[4:5], s4, v17
	v_cndmask_b32_e64 v52, v37, v36, s[4:5]
	v_add_f32_e32 v17, 1.0, v52
	v_add_f32_e32 v36, -1.0, v17
	v_sub_f32_e32 v37, v36, v17
	v_add_f32_e32 v37, 1.0, v37
	v_sub_f32_e32 v36, v52, v36
	v_add_f32_e32 v38, v36, v37
	v_frexp_mant_f32_e32 v39, v17
	s_mov_b32 s4, 0x3f2aaaab
	v_cvt_f64_f32_e32 v[36:37], v17
	v_frexp_exp_i32_f64_e32 v36, v[36:37]
	v_cmp_gt_f32_e64 s[4:5], s4, v39
	v_subbrev_co_u32_e64 v44, s[4:5], 0, v36, s[4:5]
	v_sub_u32_e32 v36, 0, v44
	v_ldexp_f32 v17, v17, v36
	v_ldexp_f32 v36, v38, v36
	v_add_f32_e32 v38, -1.0, v17
	v_add_f32_e32 v37, 1.0, v38
	v_sub_f32_e32 v37, v17, v37
	v_add_f32_e32 v39, v36, v37
	v_add_f32_e32 v37, 1.0, v17
	v_add_f32_e32 v40, -1.0, v37
	v_sub_f32_e32 v17, v17, v40
	v_add_f32_e32 v17, v36, v17
	v_add_f32_e32 v45, v37, v17
	v_rcp_f32_e32 v46, v45
	v_sub_f32_e32 v36, v37, v45
	v_add_f32_e32 v37, v38, v39
	v_add_f32_e32 v17, v17, v36
	v_mul_f32_e32 v48, v37, v46
	v_sub_f32_e32 v36, v38, v37
	v_mul_f32_e32 v38, v45, v48
	v_fma_f32 v40, v48, v45, -v38
	v_fmac_f32_e32 v40, v48, v17
	v_add_f32_e32 v47, v39, v36
	v_add_f32_e32 v36, v38, v40
	v_sub_f32_e32 v39, v37, v36
	v_pk_add_f32 v[42:43], v[36:37], v[38:39] neg_lo:[0,1] neg_hi:[0,1]
	v_mov_b32_e32 v41, v36
	v_pk_add_f32 v[36:37], v[42:43], v[40:41] neg_lo:[0,1] neg_hi:[0,1]
	v_add_f32_e32 v37, v47, v37
	v_add_f32_e32 v36, v36, v37
	;; [unrolled: 1-line block ×3, first 2 shown]
	v_mul_f32_e32 v47, v46, v37
	v_mul_f32_e32 v38, v45, v47
	v_fma_f32 v40, v47, v45, -v38
	v_fmac_f32_e32 v40, v47, v17
	v_sub_f32_e32 v17, v39, v37
	v_add_f32_e32 v17, v36, v17
	v_add_f32_e32 v36, v38, v40
	v_sub_f32_e32 v39, v37, v36
	v_pk_add_f32 v[42:43], v[36:37], v[38:39] neg_lo:[0,1] neg_hi:[0,1]
	v_mov_b32_e32 v41, v36
	v_pk_add_f32 v[36:37], v[42:43], v[40:41] neg_lo:[0,1] neg_hi:[0,1]
	v_add_f32_e32 v17, v17, v37
	v_add_f32_e32 v17, v36, v17
	;; [unrolled: 1-line block ×4, first 2 shown]
	v_sub_f32_e32 v37, v36, v48
	v_mul_f32_e32 v17, v46, v17
	v_sub_f32_e32 v37, v47, v37
	v_add_f32_e32 v17, v37, v17
	v_add_f32_e32 v39, v36, v17
	v_mul_f32_e32 v40, v39, v39
	v_mov_b32_e32 v38, 0x3ecc95a3
	v_fmac_f32_e32 v38, 0x3e9b6dac, v40
	v_mov_b32_e32 v37, 0x3f2aaada
	v_fmac_f32_e32 v37, v40, v38
	v_cvt_f32_i32_e32 v38, v44
	v_sub_f32_e32 v36, v39, v36
	v_sub_f32_e32 v17, v17, v36
	v_ldexp_f32 v41, v39, 1
	v_mul_f32_e32 v39, v39, v40
	v_mov_b32_e32 v36, 0x3f317218
	s_mov_b32 s4, 0x3f317218
	v_pk_mul_f32 v[36:37], v[38:39], v[36:37]
	v_fma_f32 v40, v38, s4, -v36
	v_fmac_f32_e32 v40, 0xb102e308, v38
	v_pk_add_f32 v[38:39], v[36:37], v[40:41]
	v_sub_f32_e32 v41, v39, v41
	v_ldexp_f32 v17, v17, 1
	v_sub_f32_e32 v41, v37, v41
	v_add_f32_e32 v43, v17, v41
	v_mov_b32_e32 v42, v36
	v_pk_add_f32 v[36:37], v[38:39], v[36:37] neg_lo:[0,1] neg_hi:[0,1]
	v_pk_add_f32 v[44:45], v[38:39], v[42:43]
	v_mov_b32_e32 v37, v45
	v_mov_b32_e32 v41, v38
	v_pk_add_f32 v[46:47], v[40:41], v[36:37] neg_lo:[0,1] neg_hi:[0,1]
	v_pk_add_f32 v[36:37], v[40:41], v[36:37]
	v_mov_b32_e32 v40, v37
	v_pk_add_f32 v[48:49], v[40:41], v[38:39] neg_lo:[0,1] neg_hi:[0,1]
	v_mov_b32_e32 v17, v48
	v_pk_add_f32 v[50:51], v[44:45], v[16:17] neg_lo:[0,1] neg_hi:[0,1]
	v_mov_b32_e32 v36, v45
	v_mov_b32_e32 v44, v39
	;; [unrolled: 1-line block ×4, first 2 shown]
	v_pk_add_f32 v[36:37], v[36:37], v[44:45] neg_lo:[0,1] neg_hi:[0,1]
	v_mov_b32_e32 v42, v43
	v_mov_b32_e32 v43, v38
	v_pk_add_f32 v[36:37], v[42:43], v[36:37] neg_lo:[0,1] neg_hi:[0,1]
	v_mov_b32_e32 v50, v46
	v_pk_add_f32 v[38:39], v[50:51], v[36:37]
	v_mov_b32_e32 v42, v39
	v_pk_add_f32 v[42:43], v[38:39], v[42:43]
	v_pk_add_f32 v[40:41], v[40:41], v[42:43]
	v_mov_b32_e32 v39, v40
	v_pk_add_f32 v[44:45], v[38:39], v[46:47] neg_lo:[0,1] neg_hi:[0,1]
	v_mov_b32_e32 v37, v42
	v_sub_f32_e32 v17, v38, v44
	v_pk_add_f32 v[36:37], v[36:37], v[44:45] neg_lo:[0,1] neg_hi:[0,1]
	v_sub_f32_e32 v17, v46, v17
	v_add_f32_e32 v17, v36, v17
	v_cmp_eq_f32_e64 s[4:5], s60, v52
	s_mov_b32 s60, 0x33800000
	v_add_f32_e32 v17, v17, v37
	v_cmp_lt_f32_e64 s[60:61], |v52|, s60
	v_add_f32_e32 v17, v40, v17
	s_or_b64 s[4:5], s[4:5], s[60:61]
	v_cndmask_b32_e64 v17, v17, v52, s[4:5]
	v_add_f32_e32 v17, v16, v17
.LBB107_83:
	s_or_b64 exec, exec, s[58:59]
	v_cmp_eq_u32_e64 s[4:5], 0, v0
	v_cndmask_b32_e64 v17, v17, v34, s[4:5]
	; wave barrier
	ds_write_b32 v35, v17
	; wave barrier
	ds_read_b32 v16, v35 offset:4
	v_max_f32_e32 v37, v17, v17
	v_cmp_u_f32_e64 s[4:5], v17, v17
	s_waitcnt lgkmcnt(0)
	v_max_f32_e32 v38, v16, v16
	v_min_f32_e32 v36, v37, v38
	v_max_f32_e32 v37, v37, v38
	v_cndmask_b32_e64 v36, v36, v17, s[4:5]
	v_cmp_u_f32_e64 s[58:59], v16, v16
	v_cndmask_b32_e64 v37, v37, v17, s[4:5]
	v_cndmask_b32_e64 v36, v36, v16, s[58:59]
	v_cndmask_b32_e64 v16, v37, v16, s[58:59]
	v_cmp_neq_f32_e64 s[4:5], v36, v16
	v_cmp_class_f32_e64 s[58:59], v36, s33
	s_or_b64 s[4:5], s[4:5], s[58:59]
	s_and_saveexec_b64 s[58:59], s[4:5]
	s_cbranch_execz .LBB107_85
; %bb.84:
	v_sub_f32_e32 v17, v36, v16
	s_mov_b32 s4, 0x3fb8aa3b
	v_mul_f32_e32 v36, 0x3fb8aa3b, v17
	v_fma_f32 v37, v17, s4, -v36
	v_rndne_f32_e32 v38, v36
	v_fmac_f32_e32 v37, 0x32a5705f, v17
	v_sub_f32_e32 v36, v36, v38
	v_add_f32_e32 v36, v36, v37
	v_exp_f32_e32 v36, v36
	v_cvt_i32_f32_e32 v37, v38
	s_mov_b32 s4, 0xc2ce8ed0
	v_cmp_ngt_f32_e64 s[4:5], s4, v17
	s_mov_b32 s33, 0x7f800000
	v_ldexp_f32 v36, v36, v37
	v_cndmask_b32_e64 v36, 0, v36, s[4:5]
	s_mov_b32 s4, 0x42b17218
	v_mov_b32_e32 v37, 0x7f800000
	v_cmp_nlt_f32_e64 s[4:5], s4, v17
	v_cndmask_b32_e64 v52, v37, v36, s[4:5]
	v_add_f32_e32 v17, 1.0, v52
	v_add_f32_e32 v36, -1.0, v17
	v_sub_f32_e32 v37, v36, v17
	v_add_f32_e32 v37, 1.0, v37
	v_sub_f32_e32 v36, v52, v36
	v_add_f32_e32 v38, v36, v37
	v_frexp_mant_f32_e32 v39, v17
	s_mov_b32 s4, 0x3f2aaaab
	v_cvt_f64_f32_e32 v[36:37], v17
	v_frexp_exp_i32_f64_e32 v36, v[36:37]
	v_cmp_gt_f32_e64 s[4:5], s4, v39
	v_subbrev_co_u32_e64 v44, s[4:5], 0, v36, s[4:5]
	v_sub_u32_e32 v36, 0, v44
	v_ldexp_f32 v17, v17, v36
	v_ldexp_f32 v36, v38, v36
	v_add_f32_e32 v38, -1.0, v17
	v_add_f32_e32 v37, 1.0, v38
	v_sub_f32_e32 v37, v17, v37
	v_add_f32_e32 v39, v36, v37
	v_add_f32_e32 v37, 1.0, v17
	v_add_f32_e32 v40, -1.0, v37
	v_sub_f32_e32 v17, v17, v40
	v_add_f32_e32 v17, v36, v17
	v_add_f32_e32 v45, v37, v17
	v_rcp_f32_e32 v46, v45
	v_sub_f32_e32 v36, v37, v45
	v_add_f32_e32 v37, v38, v39
	v_add_f32_e32 v17, v17, v36
	v_mul_f32_e32 v48, v37, v46
	v_sub_f32_e32 v36, v38, v37
	v_mul_f32_e32 v38, v45, v48
	v_fma_f32 v40, v48, v45, -v38
	v_fmac_f32_e32 v40, v48, v17
	v_add_f32_e32 v47, v39, v36
	v_add_f32_e32 v36, v38, v40
	v_sub_f32_e32 v39, v37, v36
	v_pk_add_f32 v[42:43], v[36:37], v[38:39] neg_lo:[0,1] neg_hi:[0,1]
	v_mov_b32_e32 v41, v36
	v_pk_add_f32 v[36:37], v[42:43], v[40:41] neg_lo:[0,1] neg_hi:[0,1]
	v_add_f32_e32 v37, v47, v37
	v_add_f32_e32 v36, v36, v37
	;; [unrolled: 1-line block ×3, first 2 shown]
	v_mul_f32_e32 v47, v46, v37
	v_mul_f32_e32 v38, v45, v47
	v_fma_f32 v40, v47, v45, -v38
	v_fmac_f32_e32 v40, v47, v17
	v_sub_f32_e32 v17, v39, v37
	v_add_f32_e32 v17, v36, v17
	v_add_f32_e32 v36, v38, v40
	v_sub_f32_e32 v39, v37, v36
	v_pk_add_f32 v[42:43], v[36:37], v[38:39] neg_lo:[0,1] neg_hi:[0,1]
	v_mov_b32_e32 v41, v36
	v_pk_add_f32 v[36:37], v[42:43], v[40:41] neg_lo:[0,1] neg_hi:[0,1]
	v_add_f32_e32 v17, v17, v37
	v_add_f32_e32 v17, v36, v17
	;; [unrolled: 1-line block ×4, first 2 shown]
	v_sub_f32_e32 v37, v36, v48
	v_mul_f32_e32 v17, v46, v17
	v_sub_f32_e32 v37, v47, v37
	v_add_f32_e32 v17, v37, v17
	v_add_f32_e32 v39, v36, v17
	v_mul_f32_e32 v40, v39, v39
	v_mov_b32_e32 v38, 0x3ecc95a3
	v_fmac_f32_e32 v38, 0x3e9b6dac, v40
	v_mov_b32_e32 v37, 0x3f2aaada
	v_fmac_f32_e32 v37, v40, v38
	v_cvt_f32_i32_e32 v38, v44
	v_sub_f32_e32 v36, v39, v36
	v_sub_f32_e32 v17, v17, v36
	v_ldexp_f32 v41, v39, 1
	v_mul_f32_e32 v39, v39, v40
	v_mov_b32_e32 v36, 0x3f317218
	s_mov_b32 s4, 0x3f317218
	v_pk_mul_f32 v[36:37], v[38:39], v[36:37]
	v_fma_f32 v40, v38, s4, -v36
	v_fmac_f32_e32 v40, 0xb102e308, v38
	v_pk_add_f32 v[38:39], v[36:37], v[40:41]
	v_sub_f32_e32 v41, v39, v41
	v_ldexp_f32 v17, v17, 1
	v_sub_f32_e32 v41, v37, v41
	v_add_f32_e32 v43, v17, v41
	v_mov_b32_e32 v42, v36
	v_pk_add_f32 v[36:37], v[38:39], v[36:37] neg_lo:[0,1] neg_hi:[0,1]
	v_pk_add_f32 v[44:45], v[38:39], v[42:43]
	v_mov_b32_e32 v37, v45
	v_mov_b32_e32 v41, v38
	v_pk_add_f32 v[46:47], v[40:41], v[36:37] neg_lo:[0,1] neg_hi:[0,1]
	v_pk_add_f32 v[36:37], v[40:41], v[36:37]
	v_mov_b32_e32 v40, v37
	v_pk_add_f32 v[48:49], v[40:41], v[38:39] neg_lo:[0,1] neg_hi:[0,1]
	v_mov_b32_e32 v17, v48
	v_pk_add_f32 v[50:51], v[44:45], v[16:17] neg_lo:[0,1] neg_hi:[0,1]
	v_mov_b32_e32 v36, v45
	v_mov_b32_e32 v44, v39
	;; [unrolled: 1-line block ×4, first 2 shown]
	v_pk_add_f32 v[36:37], v[36:37], v[44:45] neg_lo:[0,1] neg_hi:[0,1]
	v_mov_b32_e32 v42, v43
	v_mov_b32_e32 v43, v38
	v_pk_add_f32 v[36:37], v[42:43], v[36:37] neg_lo:[0,1] neg_hi:[0,1]
	v_mov_b32_e32 v50, v46
	v_pk_add_f32 v[38:39], v[50:51], v[36:37]
	v_mov_b32_e32 v42, v39
	v_pk_add_f32 v[42:43], v[38:39], v[42:43]
	v_pk_add_f32 v[40:41], v[40:41], v[42:43]
	v_mov_b32_e32 v39, v40
	v_pk_add_f32 v[44:45], v[38:39], v[46:47] neg_lo:[0,1] neg_hi:[0,1]
	v_mov_b32_e32 v37, v42
	v_sub_f32_e32 v17, v38, v44
	v_pk_add_f32 v[36:37], v[36:37], v[44:45] neg_lo:[0,1] neg_hi:[0,1]
	v_sub_f32_e32 v17, v46, v17
	v_add_f32_e32 v17, v36, v17
	v_cmp_eq_f32_e64 s[4:5], s33, v52
	s_mov_b32 s33, 0x33800000
	v_add_f32_e32 v17, v17, v37
	v_cmp_lt_f32_e64 s[60:61], |v52|, s33
	v_add_f32_e32 v17, v40, v17
	s_or_b64 s[4:5], s[4:5], s[60:61]
	v_cndmask_b32_e64 v17, v17, v52, s[4:5]
	v_add_f32_e32 v17, v16, v17
.LBB107_85:
	s_or_b64 exec, exec, s[58:59]
	ds_write_b32 v35, v17 offset:4
.LBB107_86:
	s_or_b64 exec, exec, s[64:65]
	v_mul_u32_u24_e32 v16, 52, v0
	v_cmp_ne_u32_e64 s[4:5], 0, v0
	s_waitcnt lgkmcnt(0)
	s_barrier
	s_and_saveexec_b64 s[58:59], s[4:5]
	s_cbranch_execz .LBB107_88
; %bb.87:
	v_add_u32_e32 v0, -1, v0
	v_lshrrev_b32_e32 v17, 5, v0
	v_add_lshl_u32 v0, v17, v0, 2
	ds_read_b32 v34, v0
.LBB107_88:
	s_or_b64 exec, exec, s[58:59]
	s_and_saveexec_b64 s[58:59], s[4:5]
	s_cbranch_execz .LBB107_92
; %bb.89:
	s_waitcnt lgkmcnt(0)
	v_max_f32_e32 v0, v34, v34
	v_min_f32_e32 v17, v0, v33
	v_cmp_u_f32_e64 s[4:5], v34, v34
	v_max_f32_e32 v0, v0, v33
	v_cndmask_b32_e64 v17, v17, v34, s[4:5]
	v_cndmask_b32_e64 v0, v0, v34, s[4:5]
	;; [unrolled: 1-line block ×4, first 2 shown]
	s_movk_i32 s33, 0x1f8
	v_cmp_neq_f32_e64 s[4:5], v17, v0
	v_cmp_class_f32_e64 s[54:55], v17, s33
	s_or_b64 s[4:5], s[4:5], s[54:55]
	s_and_saveexec_b64 s[54:55], s[4:5]
	s_cbranch_execz .LBB107_91
; %bb.90:
	v_sub_f32_e32 v2, v17, v0
	s_mov_b32 s4, 0x3fb8aa3b
	v_mul_f32_e32 v17, 0x3fb8aa3b, v2
	v_fma_f32 v31, v2, s4, -v17
	v_rndne_f32_e32 v32, v17
	v_fmac_f32_e32 v31, 0x32a5705f, v2
	v_sub_f32_e32 v17, v17, v32
	v_add_f32_e32 v17, v17, v31
	v_exp_f32_e32 v17, v17
	v_cvt_i32_f32_e32 v31, v32
	s_mov_b32 s4, 0xc2ce8ed0
	v_cmp_ngt_f32_e64 s[4:5], s4, v2
	s_mov_b32 s33, 0x7f800000
	v_ldexp_f32 v17, v17, v31
	v_cndmask_b32_e64 v17, 0, v17, s[4:5]
	s_mov_b32 s4, 0x42b17218
	v_mov_b32_e32 v31, 0x7f800000
	v_cmp_nlt_f32_e64 s[4:5], s4, v2
	v_cndmask_b32_e64 v31, v31, v17, s[4:5]
	v_add_f32_e32 v2, 1.0, v31
	v_add_f32_e32 v17, -1.0, v2
	v_sub_f32_e32 v32, v17, v2
	v_add_f32_e32 v32, 1.0, v32
	v_sub_f32_e32 v17, v31, v17
	v_add_f32_e32 v17, v17, v32
	v_frexp_mant_f32_e32 v34, v2
	s_mov_b32 s4, 0x3f2aaaab
	v_cvt_f64_f32_e32 v[32:33], v2
	v_frexp_exp_i32_f64_e32 v32, v[32:33]
	v_cmp_gt_f32_e64 s[4:5], s4, v34
	v_subbrev_co_u32_e64 v40, s[4:5], 0, v32, s[4:5]
	v_sub_u32_e32 v32, 0, v40
	v_ldexp_f32 v2, v2, v32
	v_ldexp_f32 v17, v17, v32
	v_add_f32_e32 v32, -1.0, v2
	v_add_f32_e32 v33, 1.0, v32
	v_sub_f32_e32 v33, v2, v33
	v_add_f32_e32 v34, v17, v33
	v_add_f32_e32 v33, 1.0, v2
	v_add_f32_e32 v35, -1.0, v33
	v_sub_f32_e32 v2, v2, v35
	v_add_f32_e32 v2, v17, v2
	v_add_f32_e32 v17, v33, v2
	v_rcp_f32_e32 v41, v17
	v_sub_f32_e32 v33, v33, v17
	v_add_f32_e32 v2, v2, v33
	v_add_f32_e32 v33, v32, v34
	v_sub_f32_e32 v32, v32, v33
	v_mul_f32_e32 v43, v33, v41
	v_add_f32_e32 v42, v34, v32
	v_mul_f32_e32 v34, v17, v43
	v_fma_f32 v36, v43, v17, -v34
	v_fmac_f32_e32 v36, v43, v2
	v_add_f32_e32 v32, v34, v36
	v_sub_f32_e32 v35, v33, v32
	v_pk_add_f32 v[38:39], v[32:33], v[34:35] neg_lo:[0,1] neg_hi:[0,1]
	v_mov_b32_e32 v37, v32
	v_pk_add_f32 v[32:33], v[38:39], v[36:37] neg_lo:[0,1] neg_hi:[0,1]
	v_add_f32_e32 v33, v42, v33
	v_add_f32_e32 v32, v32, v33
	;; [unrolled: 1-line block ×3, first 2 shown]
	v_mul_f32_e32 v42, v41, v33
	v_mul_f32_e32 v34, v17, v42
	v_fma_f32 v36, v42, v17, -v34
	v_fmac_f32_e32 v36, v42, v2
	v_sub_f32_e32 v2, v35, v33
	v_add_f32_e32 v2, v32, v2
	v_add_f32_e32 v32, v34, v36
	v_sub_f32_e32 v35, v33, v32
	v_pk_add_f32 v[38:39], v[32:33], v[34:35] neg_lo:[0,1] neg_hi:[0,1]
	v_mov_b32_e32 v37, v32
	v_pk_add_f32 v[32:33], v[38:39], v[36:37] neg_lo:[0,1] neg_hi:[0,1]
	v_add_f32_e32 v2, v2, v33
	v_add_f32_e32 v2, v32, v2
	v_add_f32_e32 v17, v43, v42
	v_add_f32_e32 v2, v35, v2
	v_sub_f32_e32 v32, v17, v43
	v_mul_f32_e32 v2, v41, v2
	v_sub_f32_e32 v32, v42, v32
	v_add_f32_e32 v2, v32, v2
	v_add_f32_e32 v32, v17, v2
	v_mul_f32_e32 v35, v32, v32
	v_mov_b32_e32 v34, 0x3ecc95a3
	v_fmac_f32_e32 v34, 0x3e9b6dac, v35
	v_mov_b32_e32 v33, 0x3f2aaada
	v_fmac_f32_e32 v33, v35, v34
	v_cvt_f32_i32_e32 v34, v40
	v_sub_f32_e32 v17, v32, v17
	v_ldexp_f32 v37, v32, 1
	v_mul_f32_e32 v35, v32, v35
	v_mov_b32_e32 v32, 0x3f317218
	s_mov_b32 s4, 0x3f317218
	v_pk_mul_f32 v[32:33], v[34:35], v[32:33]
	v_fma_f32 v36, v34, s4, -v32
	v_fmac_f32_e32 v36, 0xb102e308, v34
	v_pk_add_f32 v[34:35], v[32:33], v[36:37]
	v_sub_f32_e32 v2, v2, v17
	v_sub_f32_e32 v17, v35, v37
	v_ldexp_f32 v2, v2, 1
	v_sub_f32_e32 v17, v33, v17
	v_add_f32_e32 v39, v2, v17
	v_mov_b32_e32 v38, v32
	v_pk_add_f32 v[32:33], v[34:35], v[32:33] neg_lo:[0,1] neg_hi:[0,1]
	v_pk_add_f32 v[40:41], v[34:35], v[38:39]
	v_mov_b32_e32 v33, v41
	v_mov_b32_e32 v37, v34
	v_pk_add_f32 v[42:43], v[36:37], v[32:33] neg_lo:[0,1] neg_hi:[0,1]
	v_pk_add_f32 v[32:33], v[36:37], v[32:33]
	v_mov_b32_e32 v2, v33
	v_pk_add_f32 v[36:37], v[2:3], v[34:35] neg_lo:[0,1] neg_hi:[0,1]
	v_mov_b32_e32 v17, v36
	v_pk_add_f32 v[44:45], v[40:41], v[16:17] neg_lo:[0,1] neg_hi:[0,1]
	v_mov_b32_e32 v32, v41
	v_mov_b32_e32 v40, v35
	;; [unrolled: 1-line block ×4, first 2 shown]
	v_pk_add_f32 v[32:33], v[32:33], v[40:41] neg_lo:[0,1] neg_hi:[0,1]
	v_mov_b32_e32 v36, v39
	v_mov_b32_e32 v37, v34
	v_pk_add_f32 v[32:33], v[36:37], v[32:33] neg_lo:[0,1] neg_hi:[0,1]
	v_mov_b32_e32 v44, v42
	v_pk_add_f32 v[34:35], v[44:45], v[32:33]
	v_mov_b32_e32 v36, v35
	v_pk_add_f32 v[36:37], v[34:35], v[36:37]
	v_pk_add_f32 v[38:39], v[2:3], v[36:37]
	v_mov_b32_e32 v35, v38
	v_pk_add_f32 v[40:41], v[34:35], v[42:43] neg_lo:[0,1] neg_hi:[0,1]
	v_mov_b32_e32 v33, v36
	v_sub_f32_e32 v2, v34, v40
	v_pk_add_f32 v[32:33], v[32:33], v[40:41] neg_lo:[0,1] neg_hi:[0,1]
	v_sub_f32_e32 v2, v42, v2
	v_add_f32_e32 v2, v32, v2
	v_cmp_eq_f32_e64 s[4:5], s33, v31
	s_mov_b32 s33, 0x33800000
	v_add_f32_e32 v2, v2, v33
	v_cmp_lt_f32_e64 s[60:61], |v31|, s33
	v_add_f32_e32 v2, v38, v2
	s_or_b64 s[4:5], s[4:5], s[60:61]
	v_cndmask_b32_e64 v2, v2, v31, s[4:5]
	v_add_f32_e32 v34, v0, v2
.LBB107_91:
	s_or_b64 exec, exec, s[54:55]
	v_max_f32_e32 v0, v34, v34
	v_min_f32_e32 v31, v0, v24
	v_max_f32_e32 v32, v0, v24
	v_mov_b32_e32 v2, v34
	;;#ASMSTART
	;;#ASMEND
.LBB107_92:
	s_or_b64 exec, exec, s[58:59]
	v_cmp_u_f32_e64 s[4:5], v2, v2
	v_cndmask_b32_e64 v0, v31, v2, s[4:5]
	v_cndmask_b32_e64 v17, v0, v3, s[26:27]
	;; [unrolled: 1-line block ×4, first 2 shown]
	s_movk_i32 s33, 0x1f8
	v_cmp_neq_f32_e64 s[4:5], v17, v0
	v_cmp_class_f32_e64 s[26:27], v17, s33
	s_or_b64 s[4:5], s[4:5], s[26:27]
	v_mov_b32_e32 v3, v2
	s_and_saveexec_b64 s[26:27], s[4:5]
	s_cbranch_execz .LBB107_94
; %bb.93:
	v_sub_f32_e32 v3, v17, v0
	s_mov_b32 s4, 0x3fb8aa3b
	v_mul_f32_e32 v17, 0x3fb8aa3b, v3
	v_fma_f32 v24, v3, s4, -v17
	v_rndne_f32_e32 v31, v17
	v_fmac_f32_e32 v24, 0x32a5705f, v3
	v_sub_f32_e32 v17, v17, v31
	v_add_f32_e32 v17, v17, v24
	v_exp_f32_e32 v17, v17
	v_cvt_i32_f32_e32 v24, v31
	s_mov_b32 s4, 0xc2ce8ed0
	v_cmp_ngt_f32_e64 s[4:5], s4, v3
	s_mov_b32 s54, 0x7f800000
	v_ldexp_f32 v17, v17, v24
	v_cndmask_b32_e64 v17, 0, v17, s[4:5]
	s_mov_b32 s4, 0x42b17218
	v_mov_b32_e32 v24, 0x7f800000
	v_cmp_nlt_f32_e64 s[4:5], s4, v3
	v_cndmask_b32_e64 v17, v24, v17, s[4:5]
	v_add_f32_e32 v3, 1.0, v17
	v_add_f32_e32 v24, -1.0, v3
	v_sub_f32_e32 v31, v24, v3
	v_add_f32_e32 v31, 1.0, v31
	v_sub_f32_e32 v24, v17, v24
	v_add_f32_e32 v24, v24, v31
	v_frexp_mant_f32_e32 v31, v3
	s_mov_b32 s4, 0x3f2aaaab
	v_cvt_f64_f32_e32 v[32:33], v3
	v_frexp_exp_i32_f64_e32 v32, v[32:33]
	v_cmp_gt_f32_e64 s[4:5], s4, v31
	v_subbrev_co_u32_e64 v31, s[4:5], 0, v32, s[4:5]
	v_sub_u32_e32 v32, 0, v31
	v_ldexp_f32 v3, v3, v32
	v_ldexp_f32 v24, v24, v32
	v_add_f32_e32 v32, -1.0, v3
	v_add_f32_e32 v33, 1.0, v32
	v_sub_f32_e32 v33, v3, v33
	s_waitcnt lgkmcnt(0)
	v_add_f32_e32 v34, v24, v33
	v_add_f32_e32 v33, 1.0, v3
	v_add_f32_e32 v35, -1.0, v33
	v_sub_f32_e32 v3, v3, v35
	v_add_f32_e32 v3, v24, v3
	v_add_f32_e32 v24, v33, v3
	v_rcp_f32_e32 v40, v24
	v_sub_f32_e32 v33, v33, v24
	v_add_f32_e32 v3, v3, v33
	v_add_f32_e32 v33, v32, v34
	v_sub_f32_e32 v32, v32, v33
	v_mul_f32_e32 v42, v33, v40
	v_add_f32_e32 v41, v34, v32
	v_mul_f32_e32 v34, v24, v42
	v_fma_f32 v36, v42, v24, -v34
	v_fmac_f32_e32 v36, v42, v3
	v_add_f32_e32 v32, v34, v36
	v_sub_f32_e32 v35, v33, v32
	v_pk_add_f32 v[38:39], v[32:33], v[34:35] neg_lo:[0,1] neg_hi:[0,1]
	v_mov_b32_e32 v37, v32
	v_pk_add_f32 v[32:33], v[38:39], v[36:37] neg_lo:[0,1] neg_hi:[0,1]
	v_add_f32_e32 v33, v41, v33
	v_add_f32_e32 v32, v32, v33
	;; [unrolled: 1-line block ×3, first 2 shown]
	v_mul_f32_e32 v41, v40, v33
	v_mul_f32_e32 v34, v24, v41
	v_fma_f32 v36, v41, v24, -v34
	v_fmac_f32_e32 v36, v41, v3
	v_sub_f32_e32 v3, v35, v33
	v_add_f32_e32 v3, v32, v3
	v_add_f32_e32 v32, v34, v36
	v_sub_f32_e32 v35, v33, v32
	v_pk_add_f32 v[38:39], v[32:33], v[34:35] neg_lo:[0,1] neg_hi:[0,1]
	v_mov_b32_e32 v37, v32
	v_pk_add_f32 v[32:33], v[38:39], v[36:37] neg_lo:[0,1] neg_hi:[0,1]
	v_add_f32_e32 v3, v3, v33
	v_add_f32_e32 v3, v32, v3
	;; [unrolled: 1-line block ×4, first 2 shown]
	v_sub_f32_e32 v32, v24, v42
	v_mul_f32_e32 v3, v40, v3
	v_sub_f32_e32 v32, v41, v32
	v_add_f32_e32 v3, v32, v3
	v_add_f32_e32 v32, v24, v3
	v_mul_f32_e32 v35, v32, v32
	v_mov_b32_e32 v34, 0x3ecc95a3
	v_fmac_f32_e32 v34, 0x3e9b6dac, v35
	v_mov_b32_e32 v33, 0x3f2aaada
	v_fmac_f32_e32 v33, v35, v34
	v_cvt_f32_i32_e32 v34, v31
	v_sub_f32_e32 v24, v32, v24
	v_ldexp_f32 v37, v32, 1
	v_mul_f32_e32 v35, v32, v35
	v_mov_b32_e32 v32, 0x3f317218
	s_mov_b32 s4, 0x3f317218
	v_pk_mul_f32 v[32:33], v[34:35], v[32:33]
	v_fma_f32 v36, v34, s4, -v32
	v_fmac_f32_e32 v36, 0xb102e308, v34
	v_pk_add_f32 v[34:35], v[32:33], v[36:37]
	v_sub_f32_e32 v3, v3, v24
	v_sub_f32_e32 v24, v35, v37
	v_ldexp_f32 v3, v3, 1
	v_sub_f32_e32 v24, v33, v24
	v_add_f32_e32 v39, v3, v24
	v_mov_b32_e32 v38, v32
	v_pk_add_f32 v[32:33], v[34:35], v[32:33] neg_lo:[0,1] neg_hi:[0,1]
	v_pk_add_f32 v[40:41], v[34:35], v[38:39]
	v_mov_b32_e32 v33, v41
	v_mov_b32_e32 v37, v34
	v_pk_add_f32 v[42:43], v[36:37], v[32:33] neg_lo:[0,1] neg_hi:[0,1]
	v_pk_add_f32 v[32:33], v[36:37], v[32:33]
	v_mov_b32_e32 v24, v33
	v_pk_add_f32 v[36:37], v[24:25], v[34:35] neg_lo:[0,1] neg_hi:[0,1]
	v_mov_b32_e32 v3, v36
	v_pk_add_f32 v[44:45], v[40:41], v[2:3] neg_lo:[0,1] neg_hi:[0,1]
	v_mov_b32_e32 v32, v41
	v_mov_b32_e32 v40, v35
	;; [unrolled: 1-line block ×4, first 2 shown]
	v_pk_add_f32 v[32:33], v[32:33], v[40:41] neg_lo:[0,1] neg_hi:[0,1]
	v_mov_b32_e32 v36, v39
	v_mov_b32_e32 v37, v34
	v_pk_add_f32 v[32:33], v[36:37], v[32:33] neg_lo:[0,1] neg_hi:[0,1]
	v_mov_b32_e32 v44, v42
	v_pk_add_f32 v[34:35], v[44:45], v[32:33]
	v_mov_b32_e32 v36, v35
	v_pk_add_f32 v[36:37], v[34:35], v[36:37]
	v_pk_add_f32 v[38:39], v[24:25], v[36:37]
	v_mov_b32_e32 v35, v38
	v_pk_add_f32 v[40:41], v[34:35], v[42:43] neg_lo:[0,1] neg_hi:[0,1]
	v_mov_b32_e32 v33, v36
	v_sub_f32_e32 v3, v34, v40
	v_pk_add_f32 v[32:33], v[32:33], v[40:41] neg_lo:[0,1] neg_hi:[0,1]
	v_sub_f32_e32 v3, v42, v3
	v_add_f32_e32 v3, v32, v3
	v_cmp_eq_f32_e64 s[4:5], s54, v17
	s_mov_b32 s54, 0x33800000
	v_add_f32_e32 v3, v3, v33
	v_cmp_lt_f32_e64 s[54:55], |v17|, s54
	v_add_f32_e32 v3, v38, v3
	s_or_b64 s[4:5], s[4:5], s[54:55]
	v_cndmask_b32_e64 v3, v3, v17, s[4:5]
	v_add_f32_e32 v3, v0, v3
.LBB107_94:
	s_or_b64 exec, exec, s[26:27]
	v_max_f32_e32 v0, v3, v3
	v_min_f32_e32 v17, v0, v1
	v_cmp_u_f32_e64 s[4:5], v3, v3
	v_max_f32_e32 v0, v0, v1
	v_cndmask_b32_e64 v17, v17, v3, s[4:5]
	v_cndmask_b32_e64 v0, v0, v3, s[4:5]
	;; [unrolled: 1-line block ×4, first 2 shown]
	v_cmp_neq_f32_e64 s[4:5], v17, v1
	v_cmp_class_f32_e64 s[26:27], v17, s33
	s_or_b64 s[4:5], s[4:5], s[26:27]
	v_mov_b32_e32 v0, v3
	s_and_saveexec_b64 s[26:27], s[4:5]
	s_cbranch_execz .LBB107_96
; %bb.95:
	v_sub_f32_e32 v0, v17, v1
	s_mov_b32 s4, 0x3fb8aa3b
	v_mul_f32_e32 v4, 0x3fb8aa3b, v0
	v_fma_f32 v17, v0, s4, -v4
	v_rndne_f32_e32 v24, v4
	v_fmac_f32_e32 v17, 0x32a5705f, v0
	v_sub_f32_e32 v4, v4, v24
	v_add_f32_e32 v4, v4, v17
	v_exp_f32_e32 v4, v4
	v_cvt_i32_f32_e32 v17, v24
	s_mov_b32 s4, 0xc2ce8ed0
	v_cmp_ngt_f32_e64 s[4:5], s4, v0
	s_mov_b32 s28, 0x7f800000
	v_ldexp_f32 v4, v4, v17
	v_cndmask_b32_e64 v4, 0, v4, s[4:5]
	s_mov_b32 s4, 0x42b17218
	v_mov_b32_e32 v17, 0x7f800000
	v_cmp_nlt_f32_e64 s[4:5], s4, v0
	v_cndmask_b32_e64 v24, v17, v4, s[4:5]
	v_add_f32_e32 v0, 1.0, v24
	v_add_f32_e32 v4, -1.0, v0
	v_sub_f32_e32 v17, v4, v0
	v_add_f32_e32 v17, 1.0, v17
	v_sub_f32_e32 v4, v24, v4
	v_add_f32_e32 v4, v4, v17
	v_frexp_mant_f32_e32 v17, v0
	s_mov_b32 s4, 0x3f2aaaab
	v_cvt_f64_f32_e32 v[32:33], v0
	v_frexp_exp_i32_f64_e32 v31, v[32:33]
	v_cmp_gt_f32_e64 s[4:5], s4, v17
	v_subbrev_co_u32_e64 v17, s[4:5], 0, v31, s[4:5]
	v_sub_u32_e32 v31, 0, v17
	v_ldexp_f32 v0, v0, v31
	v_ldexp_f32 v4, v4, v31
	v_add_f32_e32 v31, -1.0, v0
	v_add_f32_e32 v33, 1.0, v0
	v_add_f32_e32 v32, 1.0, v31
	s_waitcnt lgkmcnt(0)
	v_add_f32_e32 v34, -1.0, v33
	v_sub_f32_e32 v32, v0, v32
	v_sub_f32_e32 v0, v0, v34
	v_add_f32_e32 v0, v4, v0
	v_add_f32_e32 v32, v4, v32
	;; [unrolled: 1-line block ×3, first 2 shown]
	v_rcp_f32_e32 v40, v4
	v_sub_f32_e32 v33, v33, v4
	v_add_f32_e32 v0, v0, v33
	v_add_f32_e32 v33, v31, v32
	v_mul_f32_e32 v41, v33, v40
	v_mul_f32_e32 v34, v4, v41
	v_fma_f32 v36, v41, v4, -v34
	v_sub_f32_e32 v31, v31, v33
	v_fmac_f32_e32 v36, v41, v0
	v_add_f32_e32 v31, v32, v31
	v_add_f32_e32 v32, v34, v36
	v_sub_f32_e32 v35, v33, v32
	v_pk_add_f32 v[38:39], v[32:33], v[34:35] neg_lo:[0,1] neg_hi:[0,1]
	v_mov_b32_e32 v37, v32
	v_pk_add_f32 v[32:33], v[38:39], v[36:37] neg_lo:[0,1] neg_hi:[0,1]
	v_add_f32_e32 v31, v31, v33
	v_add_f32_e32 v31, v32, v31
	;; [unrolled: 1-line block ×3, first 2 shown]
	v_mul_f32_e32 v42, v40, v33
	v_mul_f32_e32 v34, v4, v42
	v_fma_f32 v36, v42, v4, -v34
	v_fmac_f32_e32 v36, v42, v0
	v_add_f32_e32 v32, v34, v36
	v_sub_f32_e32 v0, v35, v33
	v_sub_f32_e32 v35, v33, v32
	v_pk_add_f32 v[38:39], v[32:33], v[34:35] neg_lo:[0,1] neg_hi:[0,1]
	v_mov_b32_e32 v37, v32
	v_add_f32_e32 v0, v31, v0
	v_pk_add_f32 v[32:33], v[38:39], v[36:37] neg_lo:[0,1] neg_hi:[0,1]
	v_add_f32_e32 v0, v0, v33
	v_add_f32_e32 v0, v32, v0
	;; [unrolled: 1-line block ×4, first 2 shown]
	v_sub_f32_e32 v31, v4, v41
	v_mul_f32_e32 v0, v40, v0
	v_sub_f32_e32 v31, v42, v31
	v_add_f32_e32 v0, v31, v0
	v_add_f32_e32 v31, v4, v0
	v_mul_f32_e32 v32, v31, v31
	v_mov_b32_e32 v34, 0x3ecc95a3
	v_fmac_f32_e32 v34, 0x3e9b6dac, v32
	v_mov_b32_e32 v33, 0x3f2aaada
	v_fmac_f32_e32 v33, v32, v34
	v_cvt_f32_i32_e32 v34, v17
	v_mul_f32_e32 v35, v31, v32
	v_mov_b32_e32 v32, 0x3f317218
	s_mov_b32 s4, 0x3f317218
	v_pk_mul_f32 v[32:33], v[34:35], v[32:33]
	v_fma_f32 v36, v34, s4, -v32
	v_ldexp_f32 v37, v31, 1
	v_fmac_f32_e32 v36, 0xb102e308, v34
	v_sub_f32_e32 v4, v31, v4
	v_pk_add_f32 v[34:35], v[32:33], v[36:37]
	v_sub_f32_e32 v0, v0, v4
	v_sub_f32_e32 v4, v35, v37
	v_ldexp_f32 v0, v0, 1
	v_sub_f32_e32 v4, v33, v4
	v_add_f32_e32 v39, v0, v4
	v_mov_b32_e32 v38, v32
	v_pk_add_f32 v[32:33], v[34:35], v[32:33] neg_lo:[0,1] neg_hi:[0,1]
	v_pk_add_f32 v[40:41], v[34:35], v[38:39]
	v_mov_b32_e32 v33, v41
	v_mov_b32_e32 v37, v34
	v_pk_add_f32 v[42:43], v[36:37], v[32:33] neg_lo:[0,1] neg_hi:[0,1]
	v_pk_add_f32 v[32:33], v[36:37], v[32:33]
	v_mov_b32_e32 v0, v33
	v_pk_add_f32 v[36:37], v[0:1], v[34:35] neg_lo:[0,1] neg_hi:[0,1]
	v_mov_b32_e32 v17, v36
	v_pk_add_f32 v[44:45], v[40:41], v[16:17] neg_lo:[0,1] neg_hi:[0,1]
	v_mov_b32_e32 v32, v41
	v_mov_b32_e32 v40, v35
	;; [unrolled: 1-line block ×4, first 2 shown]
	v_pk_add_f32 v[32:33], v[32:33], v[40:41] neg_lo:[0,1] neg_hi:[0,1]
	v_mov_b32_e32 v36, v39
	v_mov_b32_e32 v37, v34
	v_pk_add_f32 v[32:33], v[36:37], v[32:33] neg_lo:[0,1] neg_hi:[0,1]
	v_mov_b32_e32 v44, v42
	v_pk_add_f32 v[34:35], v[44:45], v[32:33]
	v_mov_b32_e32 v4, v35
	v_pk_add_f32 v[36:37], v[34:35], v[4:5]
	v_pk_add_f32 v[38:39], v[0:1], v[36:37]
	v_mov_b32_e32 v35, v38
	v_pk_add_f32 v[40:41], v[34:35], v[42:43] neg_lo:[0,1] neg_hi:[0,1]
	v_mov_b32_e32 v33, v36
	v_sub_f32_e32 v0, v34, v40
	v_pk_add_f32 v[32:33], v[32:33], v[40:41] neg_lo:[0,1] neg_hi:[0,1]
	v_sub_f32_e32 v0, v42, v0
	v_add_f32_e32 v0, v32, v0
	v_cmp_eq_f32_e64 s[4:5], s28, v24
	s_mov_b32 s28, 0x33800000
	v_add_f32_e32 v0, v0, v33
	v_cmp_lt_f32_e64 s[28:29], |v24|, s28
	v_add_f32_e32 v0, v38, v0
	s_or_b64 s[4:5], s[4:5], s[28:29]
	v_cndmask_b32_e64 v0, v0, v24, s[4:5]
	v_add_f32_e32 v0, v1, v0
.LBB107_96:
	s_or_b64 exec, exec, s[26:27]
	v_max_f32_e32 v1, v0, v0
	v_min_f32_e32 v4, v1, v19
	v_cmp_u_f32_e64 s[4:5], v0, v0
	v_max_f32_e32 v1, v1, v19
	v_cndmask_b32_e64 v4, v4, v0, s[4:5]
	v_cndmask_b32_e64 v1, v1, v0, s[4:5]
	;; [unrolled: 1-line block ×4, first 2 shown]
	s_movk_i32 s28, 0x1f8
	v_cmp_neq_f32_e64 s[4:5], v17, v4
	v_cmp_class_f32_e64 s[26:27], v17, s28
	s_or_b64 s[4:5], s[4:5], s[26:27]
	v_mov_b32_e32 v1, v0
	s_and_saveexec_b64 s[26:27], s[4:5]
	s_cbranch_execz .LBB107_98
; %bb.97:
	v_sub_f32_e32 v1, v17, v4
	s_mov_b32 s4, 0x3fb8aa3b
	v_mul_f32_e32 v5, 0x3fb8aa3b, v1
	v_fma_f32 v17, v1, s4, -v5
	v_rndne_f32_e32 v19, v5
	v_fmac_f32_e32 v17, 0x32a5705f, v1
	v_sub_f32_e32 v5, v5, v19
	v_add_f32_e32 v5, v5, v17
	v_exp_f32_e32 v5, v5
	v_cvt_i32_f32_e32 v17, v19
	s_mov_b32 s4, 0xc2ce8ed0
	v_cmp_ngt_f32_e64 s[4:5], s4, v1
	s_mov_b32 s29, 0x7f800000
	v_ldexp_f32 v5, v5, v17
	v_cndmask_b32_e64 v5, 0, v5, s[4:5]
	s_mov_b32 s4, 0x42b17218
	v_mov_b32_e32 v17, 0x7f800000
	v_cmp_nlt_f32_e64 s[4:5], s4, v1
	v_cndmask_b32_e64 v5, v17, v5, s[4:5]
	v_add_f32_e32 v1, 1.0, v5
	v_add_f32_e32 v17, -1.0, v1
	v_sub_f32_e32 v19, v17, v1
	v_add_f32_e32 v19, 1.0, v19
	v_sub_f32_e32 v17, v5, v17
	v_add_f32_e32 v17, v17, v19
	v_frexp_mant_f32_e32 v19, v1
	s_mov_b32 s4, 0x3f2aaaab
	v_cvt_f64_f32_e32 v[32:33], v1
	v_frexp_exp_i32_f64_e32 v24, v[32:33]
	v_cmp_gt_f32_e64 s[4:5], s4, v19
	v_subbrev_co_u32_e64 v19, s[4:5], 0, v24, s[4:5]
	v_sub_u32_e32 v24, 0, v19
	v_ldexp_f32 v1, v1, v24
	v_ldexp_f32 v17, v17, v24
	v_add_f32_e32 v24, -1.0, v1
	v_add_f32_e32 v32, 1.0, v1
	v_add_f32_e32 v31, 1.0, v24
	v_add_f32_e32 v33, -1.0, v32
	v_sub_f32_e32 v31, v1, v31
	v_sub_f32_e32 v1, v1, v33
	v_add_f32_e32 v1, v17, v1
	v_add_f32_e32 v31, v17, v31
	;; [unrolled: 1-line block ×3, first 2 shown]
	v_rcp_f32_e32 v40, v17
	v_add_f32_e32 v33, v24, v31
	v_sub_f32_e32 v24, v24, v33
	v_add_f32_e32 v24, v31, v24
	v_mul_f32_e32 v31, v33, v40
	v_sub_f32_e32 v32, v32, v17
	s_waitcnt lgkmcnt(0)
	v_mul_f32_e32 v34, v17, v31
	v_add_f32_e32 v1, v1, v32
	v_fma_f32 v36, v31, v17, -v34
	v_fmac_f32_e32 v36, v31, v1
	v_add_f32_e32 v32, v34, v36
	v_sub_f32_e32 v35, v33, v32
	v_pk_add_f32 v[38:39], v[32:33], v[34:35] neg_lo:[0,1] neg_hi:[0,1]
	v_mov_b32_e32 v37, v32
	v_pk_add_f32 v[32:33], v[38:39], v[36:37] neg_lo:[0,1] neg_hi:[0,1]
	v_add_f32_e32 v24, v24, v33
	v_add_f32_e32 v24, v32, v24
	;; [unrolled: 1-line block ×3, first 2 shown]
	v_mul_f32_e32 v41, v40, v33
	v_mul_f32_e32 v34, v17, v41
	v_fma_f32 v36, v41, v17, -v34
	v_fmac_f32_e32 v36, v41, v1
	v_add_f32_e32 v32, v34, v36
	v_sub_f32_e32 v1, v35, v33
	v_sub_f32_e32 v35, v33, v32
	v_pk_add_f32 v[38:39], v[32:33], v[34:35] neg_lo:[0,1] neg_hi:[0,1]
	v_mov_b32_e32 v37, v32
	v_add_f32_e32 v1, v24, v1
	v_pk_add_f32 v[32:33], v[38:39], v[36:37] neg_lo:[0,1] neg_hi:[0,1]
	v_add_f32_e32 v1, v1, v33
	v_add_f32_e32 v1, v32, v1
	;; [unrolled: 1-line block ×4, first 2 shown]
	v_sub_f32_e32 v24, v17, v31
	v_mul_f32_e32 v1, v40, v1
	v_sub_f32_e32 v24, v41, v24
	v_add_f32_e32 v1, v24, v1
	v_add_f32_e32 v24, v17, v1
	v_cvt_f32_i32_e32 v34, v19
	v_mul_f32_e32 v31, v24, v24
	v_mov_b32_e32 v32, 0x3ecc95a3
	v_fmac_f32_e32 v32, 0x3e9b6dac, v31
	v_mov_b32_e32 v33, 0x3f2aaada
	v_fmac_f32_e32 v33, v31, v32
	v_mul_f32_e32 v35, v24, v31
	v_mov_b32_e32 v32, 0x3f317218
	s_mov_b32 s4, 0x3f317218
	v_pk_mul_f32 v[32:33], v[34:35], v[32:33]
	v_fma_f32 v36, v34, s4, -v32
	v_ldexp_f32 v37, v24, 1
	v_fmac_f32_e32 v36, 0xb102e308, v34
	v_sub_f32_e32 v17, v24, v17
	v_pk_add_f32 v[34:35], v[32:33], v[36:37]
	v_sub_f32_e32 v1, v1, v17
	v_sub_f32_e32 v17, v35, v37
	v_ldexp_f32 v1, v1, 1
	v_sub_f32_e32 v17, v33, v17
	v_add_f32_e32 v39, v1, v17
	v_mov_b32_e32 v38, v32
	v_pk_add_f32 v[32:33], v[34:35], v[32:33] neg_lo:[0,1] neg_hi:[0,1]
	v_pk_add_f32 v[40:41], v[34:35], v[38:39]
	v_mov_b32_e32 v33, v41
	v_mov_b32_e32 v37, v34
	v_pk_add_f32 v[42:43], v[36:37], v[32:33] neg_lo:[0,1] neg_hi:[0,1]
	v_pk_add_f32 v[32:33], v[36:37], v[32:33]
	v_mov_b32_e32 v24, v33
	v_pk_add_f32 v[36:37], v[24:25], v[34:35] neg_lo:[0,1] neg_hi:[0,1]
	v_mov_b32_e32 v1, v36
	v_pk_add_f32 v[44:45], v[40:41], v[0:1] neg_lo:[0,1] neg_hi:[0,1]
	v_mov_b32_e32 v32, v41
	v_mov_b32_e32 v40, v35
	;; [unrolled: 1-line block ×4, first 2 shown]
	v_pk_add_f32 v[32:33], v[32:33], v[40:41] neg_lo:[0,1] neg_hi:[0,1]
	v_mov_b32_e32 v36, v39
	v_mov_b32_e32 v37, v34
	v_pk_add_f32 v[32:33], v[36:37], v[32:33] neg_lo:[0,1] neg_hi:[0,1]
	v_mov_b32_e32 v44, v42
	v_pk_add_f32 v[34:35], v[44:45], v[32:33]
	v_mov_b32_e32 v36, v35
	v_pk_add_f32 v[36:37], v[34:35], v[36:37]
	v_pk_add_f32 v[38:39], v[24:25], v[36:37]
	v_mov_b32_e32 v35, v38
	v_pk_add_f32 v[40:41], v[34:35], v[42:43] neg_lo:[0,1] neg_hi:[0,1]
	v_mov_b32_e32 v33, v36
	v_sub_f32_e32 v1, v34, v40
	v_pk_add_f32 v[32:33], v[32:33], v[40:41] neg_lo:[0,1] neg_hi:[0,1]
	v_sub_f32_e32 v1, v42, v1
	v_add_f32_e32 v1, v32, v1
	v_cmp_eq_f32_e64 s[4:5], s29, v5
	s_mov_b32 s29, 0x33800000
	v_add_f32_e32 v1, v1, v33
	v_cmp_lt_f32_e64 s[30:31], |v5|, s29
	v_add_f32_e32 v1, v38, v1
	s_or_b64 s[4:5], s[4:5], s[30:31]
	v_cndmask_b32_e64 v1, v1, v5, s[4:5]
	v_add_f32_e32 v1, v4, v1
.LBB107_98:
	s_or_b64 exec, exec, s[26:27]
	v_max_f32_e32 v4, v1, v1
	v_min_f32_e32 v5, v4, v20
	v_cmp_u_f32_e64 s[4:5], v1, v1
	v_max_f32_e32 v4, v4, v20
	v_cndmask_b32_e64 v5, v5, v1, s[4:5]
	v_cndmask_b32_e64 v4, v4, v1, s[4:5]
	;; [unrolled: 1-line block ×4, first 2 shown]
	v_cmp_neq_f32_e64 s[4:5], v17, v5
	v_cmp_class_f32_e64 s[26:27], v17, s28
	s_or_b64 s[4:5], s[4:5], s[26:27]
	v_mov_b32_e32 v4, v1
	s_and_saveexec_b64 s[26:27], s[4:5]
	s_cbranch_execz .LBB107_100
; %bb.99:
	v_sub_f32_e32 v4, v17, v5
	s_mov_b32 s4, 0x3fb8aa3b
	v_mul_f32_e32 v10, 0x3fb8aa3b, v4
	v_fma_f32 v17, v4, s4, -v10
	v_rndne_f32_e32 v19, v10
	v_fmac_f32_e32 v17, 0x32a5705f, v4
	v_sub_f32_e32 v10, v10, v19
	v_add_f32_e32 v10, v10, v17
	v_exp_f32_e32 v10, v10
	v_cvt_i32_f32_e32 v17, v19
	s_mov_b32 s4, 0xc2ce8ed0
	v_cmp_ngt_f32_e64 s[4:5], s4, v4
	s_mov_b32 s28, 0x7f800000
	v_ldexp_f32 v10, v10, v17
	v_cndmask_b32_e64 v10, 0, v10, s[4:5]
	s_mov_b32 s4, 0x42b17218
	v_mov_b32_e32 v17, 0x7f800000
	v_cmp_nlt_f32_e64 s[4:5], s4, v4
	v_cndmask_b32_e64 v19, v17, v10, s[4:5]
	v_add_f32_e32 v4, 1.0, v19
	v_add_f32_e32 v10, -1.0, v4
	v_sub_f32_e32 v17, v10, v4
	v_add_f32_e32 v17, 1.0, v17
	v_sub_f32_e32 v10, v19, v10
	v_add_f32_e32 v10, v10, v17
	v_frexp_mant_f32_e32 v17, v4
	s_mov_b32 s4, 0x3f2aaaab
	v_cvt_f64_f32_e32 v[32:33], v4
	v_frexp_exp_i32_f64_e32 v20, v[32:33]
	v_cmp_gt_f32_e64 s[4:5], s4, v17
	v_subbrev_co_u32_e64 v17, s[4:5], 0, v20, s[4:5]
	v_sub_u32_e32 v20, 0, v17
	v_ldexp_f32 v4, v4, v20
	v_ldexp_f32 v10, v10, v20
	v_add_f32_e32 v20, -1.0, v4
	v_add_f32_e32 v31, 1.0, v4
	v_add_f32_e32 v24, 1.0, v20
	v_add_f32_e32 v32, -1.0, v31
	v_sub_f32_e32 v24, v4, v24
	v_sub_f32_e32 v4, v4, v32
	v_add_f32_e32 v4, v10, v4
	v_add_f32_e32 v24, v10, v24
	;; [unrolled: 1-line block ×3, first 2 shown]
	v_sub_f32_e32 v31, v31, v10
	v_add_f32_e32 v4, v4, v31
	v_rcp_f32_e32 v31, v10
	v_add_f32_e32 v33, v20, v24
	v_sub_f32_e32 v20, v20, v33
	v_add_f32_e32 v20, v24, v20
	v_mul_f32_e32 v24, v33, v31
	s_waitcnt lgkmcnt(0)
	v_mul_f32_e32 v34, v10, v24
	v_fma_f32 v36, v24, v10, -v34
	v_fmac_f32_e32 v36, v24, v4
	v_add_f32_e32 v32, v34, v36
	v_sub_f32_e32 v35, v33, v32
	v_pk_add_f32 v[38:39], v[32:33], v[34:35] neg_lo:[0,1] neg_hi:[0,1]
	v_mov_b32_e32 v37, v32
	v_pk_add_f32 v[32:33], v[38:39], v[36:37] neg_lo:[0,1] neg_hi:[0,1]
	v_add_f32_e32 v20, v20, v33
	v_add_f32_e32 v20, v32, v20
	;; [unrolled: 1-line block ×3, first 2 shown]
	v_mul_f32_e32 v40, v31, v33
	v_mul_f32_e32 v34, v10, v40
	v_fma_f32 v36, v40, v10, -v34
	v_fmac_f32_e32 v36, v40, v4
	v_add_f32_e32 v32, v34, v36
	v_sub_f32_e32 v4, v35, v33
	v_sub_f32_e32 v35, v33, v32
	v_pk_add_f32 v[38:39], v[32:33], v[34:35] neg_lo:[0,1] neg_hi:[0,1]
	v_mov_b32_e32 v37, v32
	v_add_f32_e32 v4, v20, v4
	v_pk_add_f32 v[32:33], v[38:39], v[36:37] neg_lo:[0,1] neg_hi:[0,1]
	v_add_f32_e32 v4, v4, v33
	v_add_f32_e32 v4, v32, v4
	;; [unrolled: 1-line block ×4, first 2 shown]
	v_sub_f32_e32 v20, v10, v24
	v_mul_f32_e32 v4, v31, v4
	v_sub_f32_e32 v20, v40, v20
	v_add_f32_e32 v4, v20, v4
	v_add_f32_e32 v20, v10, v4
	v_cvt_f32_i32_e32 v34, v17
	v_mul_f32_e32 v24, v20, v20
	v_mov_b32_e32 v31, 0x3ecc95a3
	v_fmac_f32_e32 v31, 0x3e9b6dac, v24
	v_mov_b32_e32 v33, 0x3f2aaada
	v_fmac_f32_e32 v33, v24, v31
	v_mul_f32_e32 v35, v20, v24
	v_mov_b32_e32 v32, 0x3f317218
	s_mov_b32 s4, 0x3f317218
	v_pk_mul_f32 v[32:33], v[34:35], v[32:33]
	v_fma_f32 v36, v34, s4, -v32
	v_ldexp_f32 v37, v20, 1
	v_fmac_f32_e32 v36, 0xb102e308, v34
	v_sub_f32_e32 v10, v20, v10
	v_pk_add_f32 v[34:35], v[32:33], v[36:37]
	v_sub_f32_e32 v4, v4, v10
	v_sub_f32_e32 v10, v35, v37
	v_ldexp_f32 v4, v4, 1
	v_sub_f32_e32 v10, v33, v10
	v_add_f32_e32 v39, v4, v10
	v_mov_b32_e32 v38, v32
	v_pk_add_f32 v[32:33], v[34:35], v[32:33] neg_lo:[0,1] neg_hi:[0,1]
	v_pk_add_f32 v[40:41], v[34:35], v[38:39]
	v_mov_b32_e32 v33, v41
	v_mov_b32_e32 v37, v34
	v_pk_add_f32 v[42:43], v[36:37], v[32:33] neg_lo:[0,1] neg_hi:[0,1]
	v_pk_add_f32 v[32:33], v[36:37], v[32:33]
	v_mov_b32_e32 v4, v33
	v_pk_add_f32 v[36:37], v[4:5], v[34:35] neg_lo:[0,1] neg_hi:[0,1]
	v_mov_b32_e32 v17, v36
	v_pk_add_f32 v[44:45], v[40:41], v[16:17] neg_lo:[0,1] neg_hi:[0,1]
	v_mov_b32_e32 v32, v41
	v_mov_b32_e32 v40, v35
	;; [unrolled: 1-line block ×4, first 2 shown]
	v_pk_add_f32 v[32:33], v[32:33], v[40:41] neg_lo:[0,1] neg_hi:[0,1]
	v_mov_b32_e32 v36, v39
	v_mov_b32_e32 v37, v34
	v_pk_add_f32 v[32:33], v[36:37], v[32:33] neg_lo:[0,1] neg_hi:[0,1]
	v_mov_b32_e32 v44, v42
	v_pk_add_f32 v[34:35], v[44:45], v[32:33]
	v_mov_b32_e32 v10, v35
	v_pk_add_f32 v[36:37], v[34:35], v[10:11]
	v_pk_add_f32 v[38:39], v[4:5], v[36:37]
	v_mov_b32_e32 v35, v38
	v_pk_add_f32 v[40:41], v[34:35], v[42:43] neg_lo:[0,1] neg_hi:[0,1]
	v_mov_b32_e32 v33, v36
	v_sub_f32_e32 v4, v34, v40
	v_pk_add_f32 v[32:33], v[32:33], v[40:41] neg_lo:[0,1] neg_hi:[0,1]
	v_sub_f32_e32 v4, v42, v4
	v_add_f32_e32 v4, v32, v4
	v_cmp_eq_f32_e64 s[4:5], s28, v19
	s_mov_b32 s28, 0x33800000
	v_add_f32_e32 v4, v4, v33
	v_cmp_lt_f32_e64 s[28:29], |v19|, s28
	v_add_f32_e32 v4, v38, v4
	s_or_b64 s[4:5], s[4:5], s[28:29]
	v_cndmask_b32_e64 v4, v4, v19, s[4:5]
	v_add_f32_e32 v4, v5, v4
.LBB107_100:
	s_or_b64 exec, exec, s[26:27]
	v_max_f32_e32 v5, v4, v4
	v_min_f32_e32 v10, v5, v21
	v_cmp_u_f32_e64 s[4:5], v4, v4
	v_max_f32_e32 v5, v5, v21
	v_cndmask_b32_e64 v10, v10, v4, s[4:5]
	v_cndmask_b32_e64 v5, v5, v4, s[4:5]
	;; [unrolled: 1-line block ×4, first 2 shown]
	s_movk_i32 s28, 0x1f8
	v_cmp_neq_f32_e64 s[4:5], v17, v10
	v_cmp_class_f32_e64 s[26:27], v17, s28
	s_or_b64 s[4:5], s[4:5], s[26:27]
	v_mov_b32_e32 v5, v4
	s_and_saveexec_b64 s[26:27], s[4:5]
	s_cbranch_execz .LBB107_102
; %bb.101:
	v_sub_f32_e32 v5, v17, v10
	s_mov_b32 s4, 0x3fb8aa3b
	v_mul_f32_e32 v11, 0x3fb8aa3b, v5
	v_fma_f32 v17, v5, s4, -v11
	v_rndne_f32_e32 v19, v11
	v_fmac_f32_e32 v17, 0x32a5705f, v5
	v_sub_f32_e32 v11, v11, v19
	v_add_f32_e32 v11, v11, v17
	v_exp_f32_e32 v11, v11
	v_cvt_i32_f32_e32 v17, v19
	s_mov_b32 s4, 0xc2ce8ed0
	v_cmp_ngt_f32_e64 s[4:5], s4, v5
	s_mov_b32 s29, 0x7f800000
	v_ldexp_f32 v11, v11, v17
	v_cndmask_b32_e64 v11, 0, v11, s[4:5]
	s_mov_b32 s4, 0x42b17218
	v_mov_b32_e32 v17, 0x7f800000
	v_cmp_nlt_f32_e64 s[4:5], s4, v5
	v_cndmask_b32_e64 v11, v17, v11, s[4:5]
	v_add_f32_e32 v5, 1.0, v11
	v_add_f32_e32 v17, -1.0, v5
	v_sub_f32_e32 v19, v17, v5
	v_add_f32_e32 v19, 1.0, v19
	v_sub_f32_e32 v17, v11, v17
	v_add_f32_e32 v17, v17, v19
	v_frexp_mant_f32_e32 v19, v5
	s_mov_b32 s4, 0x3f2aaaab
	v_cvt_f64_f32_e32 v[20:21], v5
	v_frexp_exp_i32_f64_e32 v20, v[20:21]
	v_cmp_gt_f32_e64 s[4:5], s4, v19
	v_subbrev_co_u32_e64 v19, s[4:5], 0, v20, s[4:5]
	v_sub_u32_e32 v20, 0, v19
	v_ldexp_f32 v5, v5, v20
	v_ldexp_f32 v17, v17, v20
	v_add_f32_e32 v20, -1.0, v5
	v_add_f32_e32 v21, 1.0, v20
	v_sub_f32_e32 v21, v5, v21
	v_add_f32_e32 v24, v17, v21
	v_add_f32_e32 v21, 1.0, v5
	v_add_f32_e32 v31, -1.0, v21
	v_sub_f32_e32 v5, v5, v31
	v_add_f32_e32 v5, v17, v5
	v_add_f32_e32 v17, v21, v5
	v_rcp_f32_e32 v31, v17
	v_sub_f32_e32 v21, v21, v17
	v_add_f32_e32 v5, v5, v21
	v_add_f32_e32 v21, v20, v24
	v_mul_f32_e32 v38, v21, v31
	v_mul_f32_e32 v32, v17, v38
	s_waitcnt lgkmcnt(0)
	v_fma_f32 v34, v38, v17, -v32
	v_sub_f32_e32 v20, v20, v21
	v_fmac_f32_e32 v34, v38, v5
	v_add_f32_e32 v24, v24, v20
	v_add_f32_e32 v20, v32, v34
	v_sub_f32_e32 v33, v21, v20
	v_pk_add_f32 v[36:37], v[20:21], v[32:33] neg_lo:[0,1] neg_hi:[0,1]
	v_mov_b32_e32 v35, v20
	v_pk_add_f32 v[20:21], v[36:37], v[34:35] neg_lo:[0,1] neg_hi:[0,1]
	v_add_f32_e32 v21, v24, v21
	v_add_f32_e32 v20, v20, v21
	;; [unrolled: 1-line block ×3, first 2 shown]
	v_mul_f32_e32 v24, v31, v21
	v_mul_f32_e32 v32, v17, v24
	v_fma_f32 v34, v24, v17, -v32
	v_fmac_f32_e32 v34, v24, v5
	v_sub_f32_e32 v5, v33, v21
	v_add_f32_e32 v5, v20, v5
	v_add_f32_e32 v20, v32, v34
	v_sub_f32_e32 v33, v21, v20
	v_pk_add_f32 v[36:37], v[20:21], v[32:33] neg_lo:[0,1] neg_hi:[0,1]
	v_mov_b32_e32 v35, v20
	v_pk_add_f32 v[20:21], v[36:37], v[34:35] neg_lo:[0,1] neg_hi:[0,1]
	v_add_f32_e32 v5, v5, v21
	v_add_f32_e32 v5, v20, v5
	;; [unrolled: 1-line block ×4, first 2 shown]
	v_sub_f32_e32 v20, v17, v38
	v_mul_f32_e32 v5, v31, v5
	v_sub_f32_e32 v20, v24, v20
	v_add_f32_e32 v5, v20, v5
	v_add_f32_e32 v20, v17, v5
	v_cvt_f32_i32_e32 v32, v19
	v_mul_f32_e32 v24, v20, v20
	v_mov_b32_e32 v31, 0x3ecc95a3
	v_fmac_f32_e32 v31, 0x3e9b6dac, v24
	v_mov_b32_e32 v21, 0x3f2aaada
	v_fmac_f32_e32 v21, v24, v31
	v_sub_f32_e32 v17, v20, v17
	v_ldexp_f32 v35, v20, 1
	v_mul_f32_e32 v33, v20, v24
	v_mov_b32_e32 v20, 0x3f317218
	s_mov_b32 s4, 0x3f317218
	v_pk_mul_f32 v[20:21], v[32:33], v[20:21]
	v_fma_f32 v34, v32, s4, -v20
	v_fmac_f32_e32 v34, 0xb102e308, v32
	v_pk_add_f32 v[32:33], v[20:21], v[34:35]
	v_sub_f32_e32 v5, v5, v17
	v_sub_f32_e32 v17, v33, v35
	v_ldexp_f32 v5, v5, 1
	v_sub_f32_e32 v17, v21, v17
	v_add_f32_e32 v37, v5, v17
	v_mov_b32_e32 v36, v20
	v_pk_add_f32 v[20:21], v[32:33], v[20:21] neg_lo:[0,1] neg_hi:[0,1]
	v_pk_add_f32 v[38:39], v[32:33], v[36:37]
	v_mov_b32_e32 v21, v39
	v_mov_b32_e32 v35, v32
	v_pk_add_f32 v[40:41], v[34:35], v[20:21] neg_lo:[0,1] neg_hi:[0,1]
	v_pk_add_f32 v[20:21], v[34:35], v[20:21]
	v_mov_b32_e32 v24, v21
	v_pk_add_f32 v[34:35], v[24:25], v[32:33] neg_lo:[0,1] neg_hi:[0,1]
	v_mov_b32_e32 v5, v34
	v_pk_add_f32 v[42:43], v[38:39], v[4:5] neg_lo:[0,1] neg_hi:[0,1]
	v_mov_b32_e32 v20, v39
	v_mov_b32_e32 v38, v33
	;; [unrolled: 1-line block ×4, first 2 shown]
	v_pk_add_f32 v[20:21], v[20:21], v[38:39] neg_lo:[0,1] neg_hi:[0,1]
	v_mov_b32_e32 v34, v37
	v_mov_b32_e32 v35, v32
	v_pk_add_f32 v[20:21], v[34:35], v[20:21] neg_lo:[0,1] neg_hi:[0,1]
	v_mov_b32_e32 v42, v40
	v_pk_add_f32 v[32:33], v[42:43], v[20:21]
	v_mov_b32_e32 v34, v33
	v_pk_add_f32 v[34:35], v[32:33], v[34:35]
	v_pk_add_f32 v[36:37], v[24:25], v[34:35]
	v_mov_b32_e32 v33, v36
	v_pk_add_f32 v[38:39], v[32:33], v[40:41] neg_lo:[0,1] neg_hi:[0,1]
	v_mov_b32_e32 v21, v34
	v_sub_f32_e32 v5, v32, v38
	v_pk_add_f32 v[20:21], v[20:21], v[38:39] neg_lo:[0,1] neg_hi:[0,1]
	v_sub_f32_e32 v5, v40, v5
	v_add_f32_e32 v5, v20, v5
	v_cmp_eq_f32_e64 s[4:5], s29, v11
	s_mov_b32 s29, 0x33800000
	v_add_f32_e32 v5, v5, v21
	v_cmp_lt_f32_e64 s[30:31], |v11|, s29
	v_add_f32_e32 v5, v36, v5
	s_or_b64 s[4:5], s[4:5], s[30:31]
	v_cndmask_b32_e64 v5, v5, v11, s[4:5]
	v_add_f32_e32 v5, v10, v5
.LBB107_102:
	s_or_b64 exec, exec, s[26:27]
	v_max_f32_e32 v10, v5, v5
	v_min_f32_e32 v11, v10, v22
	v_cmp_u_f32_e64 s[4:5], v5, v5
	v_max_f32_e32 v10, v10, v22
	v_cndmask_b32_e64 v11, v11, v5, s[4:5]
	v_cndmask_b32_e64 v10, v10, v5, s[4:5]
	;; [unrolled: 1-line block ×4, first 2 shown]
	v_cmp_neq_f32_e64 s[4:5], v17, v11
	v_cmp_class_f32_e64 s[26:27], v17, s28
	s_or_b64 s[4:5], s[4:5], s[26:27]
	v_mov_b32_e32 v10, v5
	s_and_saveexec_b64 s[26:27], s[4:5]
	s_cbranch_execz .LBB107_104
; %bb.103:
	v_sub_f32_e32 v10, v17, v11
	s_mov_b32 s4, 0x3fb8aa3b
	v_mul_f32_e32 v12, 0x3fb8aa3b, v10
	v_fma_f32 v17, v10, s4, -v12
	v_rndne_f32_e32 v19, v12
	v_fmac_f32_e32 v17, 0x32a5705f, v10
	v_sub_f32_e32 v12, v12, v19
	v_add_f32_e32 v12, v12, v17
	v_exp_f32_e32 v12, v12
	v_cvt_i32_f32_e32 v17, v19
	s_mov_b32 s4, 0xc2ce8ed0
	v_cmp_ngt_f32_e64 s[4:5], s4, v10
	s_mov_b32 s28, 0x7f800000
	v_ldexp_f32 v12, v12, v17
	v_cndmask_b32_e64 v12, 0, v12, s[4:5]
	s_mov_b32 s4, 0x42b17218
	v_mov_b32_e32 v17, 0x7f800000
	v_cmp_nlt_f32_e64 s[4:5], s4, v10
	v_cndmask_b32_e64 v19, v17, v12, s[4:5]
	v_add_f32_e32 v10, 1.0, v19
	v_add_f32_e32 v12, -1.0, v10
	v_sub_f32_e32 v17, v12, v10
	v_add_f32_e32 v17, 1.0, v17
	v_sub_f32_e32 v12, v19, v12
	v_add_f32_e32 v12, v12, v17
	v_frexp_mant_f32_e32 v17, v10
	s_mov_b32 s4, 0x3f2aaaab
	v_cvt_f64_f32_e32 v[20:21], v10
	v_frexp_exp_i32_f64_e32 v20, v[20:21]
	v_cmp_gt_f32_e64 s[4:5], s4, v17
	v_subbrev_co_u32_e64 v17, s[4:5], 0, v20, s[4:5]
	v_sub_u32_e32 v20, 0, v17
	v_ldexp_f32 v10, v10, v20
	v_ldexp_f32 v12, v12, v20
	v_add_f32_e32 v20, -1.0, v10
	v_add_f32_e32 v21, 1.0, v20
	v_sub_f32_e32 v21, v10, v21
	v_add_f32_e32 v22, v12, v21
	v_add_f32_e32 v21, 1.0, v10
	v_add_f32_e32 v24, -1.0, v21
	v_sub_f32_e32 v10, v10, v24
	v_add_f32_e32 v10, v12, v10
	v_add_f32_e32 v12, v21, v10
	v_rcp_f32_e32 v24, v12
	v_sub_f32_e32 v21, v21, v12
	v_add_f32_e32 v10, v10, v21
	v_add_f32_e32 v21, v20, v22
	v_mul_f32_e32 v31, v21, v24
	v_mul_f32_e32 v32, v12, v31
	s_waitcnt lgkmcnt(0)
	v_fma_f32 v34, v31, v12, -v32
	v_sub_f32_e32 v20, v20, v21
	v_fmac_f32_e32 v34, v31, v10
	v_add_f32_e32 v22, v22, v20
	v_add_f32_e32 v20, v32, v34
	v_sub_f32_e32 v33, v21, v20
	v_pk_add_f32 v[36:37], v[20:21], v[32:33] neg_lo:[0,1] neg_hi:[0,1]
	v_mov_b32_e32 v35, v20
	v_pk_add_f32 v[20:21], v[36:37], v[34:35] neg_lo:[0,1] neg_hi:[0,1]
	v_add_f32_e32 v21, v22, v21
	v_add_f32_e32 v20, v20, v21
	v_add_f32_e32 v21, v33, v20
	v_mul_f32_e32 v22, v24, v21
	v_mul_f32_e32 v32, v12, v22
	v_fma_f32 v34, v22, v12, -v32
	v_fmac_f32_e32 v34, v22, v10
	v_sub_f32_e32 v10, v33, v21
	v_add_f32_e32 v10, v20, v10
	v_add_f32_e32 v20, v32, v34
	v_sub_f32_e32 v33, v21, v20
	v_pk_add_f32 v[36:37], v[20:21], v[32:33] neg_lo:[0,1] neg_hi:[0,1]
	v_mov_b32_e32 v35, v20
	v_pk_add_f32 v[20:21], v[36:37], v[34:35] neg_lo:[0,1] neg_hi:[0,1]
	v_add_f32_e32 v10, v10, v21
	v_add_f32_e32 v10, v20, v10
	;; [unrolled: 1-line block ×4, first 2 shown]
	v_sub_f32_e32 v20, v12, v31
	v_mul_f32_e32 v10, v24, v10
	v_sub_f32_e32 v20, v22, v20
	v_add_f32_e32 v10, v20, v10
	v_add_f32_e32 v20, v12, v10
	v_cvt_f32_i32_e32 v32, v17
	v_mul_f32_e32 v22, v20, v20
	v_mov_b32_e32 v24, 0x3ecc95a3
	v_fmac_f32_e32 v24, 0x3e9b6dac, v22
	v_mov_b32_e32 v21, 0x3f2aaada
	v_fmac_f32_e32 v21, v22, v24
	v_sub_f32_e32 v12, v20, v12
	v_ldexp_f32 v35, v20, 1
	v_mul_f32_e32 v33, v20, v22
	v_mov_b32_e32 v20, 0x3f317218
	s_mov_b32 s4, 0x3f317218
	v_pk_mul_f32 v[20:21], v[32:33], v[20:21]
	v_fma_f32 v34, v32, s4, -v20
	v_fmac_f32_e32 v34, 0xb102e308, v32
	v_pk_add_f32 v[32:33], v[20:21], v[34:35]
	v_sub_f32_e32 v10, v10, v12
	v_sub_f32_e32 v12, v33, v35
	v_ldexp_f32 v10, v10, 1
	v_sub_f32_e32 v12, v21, v12
	v_add_f32_e32 v37, v10, v12
	v_mov_b32_e32 v36, v20
	v_pk_add_f32 v[20:21], v[32:33], v[20:21] neg_lo:[0,1] neg_hi:[0,1]
	v_pk_add_f32 v[38:39], v[32:33], v[36:37]
	v_mov_b32_e32 v21, v39
	v_mov_b32_e32 v35, v32
	v_pk_add_f32 v[40:41], v[34:35], v[20:21] neg_lo:[0,1] neg_hi:[0,1]
	v_pk_add_f32 v[20:21], v[34:35], v[20:21]
	v_mov_b32_e32 v10, v21
	v_pk_add_f32 v[34:35], v[10:11], v[32:33] neg_lo:[0,1] neg_hi:[0,1]
	v_mov_b32_e32 v17, v34
	v_pk_add_f32 v[42:43], v[38:39], v[16:17] neg_lo:[0,1] neg_hi:[0,1]
	v_mov_b32_e32 v20, v39
	v_mov_b32_e32 v38, v33
	;; [unrolled: 1-line block ×4, first 2 shown]
	v_pk_add_f32 v[20:21], v[20:21], v[38:39] neg_lo:[0,1] neg_hi:[0,1]
	v_mov_b32_e32 v34, v37
	v_mov_b32_e32 v35, v32
	v_pk_add_f32 v[20:21], v[34:35], v[20:21] neg_lo:[0,1] neg_hi:[0,1]
	v_mov_b32_e32 v42, v40
	v_pk_add_f32 v[32:33], v[42:43], v[20:21]
	v_mov_b32_e32 v12, v33
	v_pk_add_f32 v[34:35], v[32:33], v[12:13]
	v_pk_add_f32 v[36:37], v[10:11], v[34:35]
	v_mov_b32_e32 v33, v36
	v_pk_add_f32 v[38:39], v[32:33], v[40:41] neg_lo:[0,1] neg_hi:[0,1]
	v_mov_b32_e32 v21, v34
	v_sub_f32_e32 v10, v32, v38
	v_pk_add_f32 v[20:21], v[20:21], v[38:39] neg_lo:[0,1] neg_hi:[0,1]
	v_sub_f32_e32 v10, v40, v10
	v_add_f32_e32 v10, v20, v10
	v_cmp_eq_f32_e64 s[4:5], s28, v19
	s_mov_b32 s28, 0x33800000
	v_add_f32_e32 v10, v10, v21
	v_cmp_lt_f32_e64 s[28:29], |v19|, s28
	v_add_f32_e32 v10, v36, v10
	s_or_b64 s[4:5], s[4:5], s[28:29]
	v_cndmask_b32_e64 v10, v10, v19, s[4:5]
	v_add_f32_e32 v10, v11, v10
.LBB107_104:
	s_or_b64 exec, exec, s[26:27]
	v_max_f32_e32 v11, v10, v10
	v_min_f32_e32 v12, v11, v23
	v_cmp_u_f32_e64 s[4:5], v10, v10
	v_max_f32_e32 v11, v11, v23
	v_cndmask_b32_e64 v12, v12, v10, s[4:5]
	v_cndmask_b32_e64 v11, v11, v10, s[4:5]
	v_cndmask_b32_e64 v17, v12, v13, s[40:41]
	v_cndmask_b32_e64 v12, v11, v13, s[40:41]
	s_movk_i32 s28, 0x1f8
	v_cmp_neq_f32_e64 s[4:5], v17, v12
	v_cmp_class_f32_e64 s[26:27], v17, s28
	s_or_b64 s[4:5], s[4:5], s[26:27]
	v_mov_b32_e32 v11, v10
	s_and_saveexec_b64 s[26:27], s[4:5]
	s_cbranch_execz .LBB107_106
; %bb.105:
	v_sub_f32_e32 v11, v17, v12
	s_mov_b32 s4, 0x3fb8aa3b
	v_mul_f32_e32 v13, 0x3fb8aa3b, v11
	v_fma_f32 v17, v11, s4, -v13
	v_rndne_f32_e32 v19, v13
	v_fmac_f32_e32 v17, 0x32a5705f, v11
	v_sub_f32_e32 v13, v13, v19
	v_add_f32_e32 v13, v13, v17
	v_exp_f32_e32 v13, v13
	v_cvt_i32_f32_e32 v17, v19
	s_mov_b32 s4, 0xc2ce8ed0
	v_cmp_ngt_f32_e64 s[4:5], s4, v11
	s_mov_b32 s29, 0x7f800000
	v_ldexp_f32 v13, v13, v17
	v_cndmask_b32_e64 v13, 0, v13, s[4:5]
	s_mov_b32 s4, 0x42b17218
	v_mov_b32_e32 v17, 0x7f800000
	v_cmp_nlt_f32_e64 s[4:5], s4, v11
	v_cndmask_b32_e64 v13, v17, v13, s[4:5]
	v_add_f32_e32 v11, 1.0, v13
	v_add_f32_e32 v17, -1.0, v11
	v_sub_f32_e32 v19, v17, v11
	v_add_f32_e32 v19, 1.0, v19
	v_sub_f32_e32 v17, v13, v17
	v_add_f32_e32 v17, v17, v19
	v_frexp_mant_f32_e32 v19, v11
	s_mov_b32 s4, 0x3f2aaaab
	v_cvt_f64_f32_e32 v[20:21], v11
	v_frexp_exp_i32_f64_e32 v20, v[20:21]
	v_cmp_gt_f32_e64 s[4:5], s4, v19
	v_subbrev_co_u32_e64 v19, s[4:5], 0, v20, s[4:5]
	v_sub_u32_e32 v20, 0, v19
	v_ldexp_f32 v11, v11, v20
	v_ldexp_f32 v17, v17, v20
	v_add_f32_e32 v20, -1.0, v11
	v_add_f32_e32 v21, 1.0, v20
	v_sub_f32_e32 v21, v11, v21
	v_add_f32_e32 v22, v17, v21
	v_add_f32_e32 v21, 1.0, v11
	v_add_f32_e32 v23, -1.0, v21
	v_sub_f32_e32 v11, v11, v23
	v_add_f32_e32 v11, v17, v11
	v_add_f32_e32 v17, v21, v11
	v_rcp_f32_e32 v24, v17
	v_sub_f32_e32 v21, v21, v17
	v_add_f32_e32 v11, v11, v21
	v_add_f32_e32 v21, v20, v22
	v_sub_f32_e32 v20, v20, v21
	v_mul_f32_e32 v36, v21, v24
	v_add_f32_e32 v31, v22, v20
	v_mul_f32_e32 v22, v17, v36
	v_fma_f32 v32, v36, v17, -v22
	v_fmac_f32_e32 v32, v36, v11
	v_add_f32_e32 v20, v22, v32
	v_sub_f32_e32 v23, v21, v20
	s_waitcnt lgkmcnt(0)
	v_pk_add_f32 v[34:35], v[20:21], v[22:23] neg_lo:[0,1] neg_hi:[0,1]
	v_mov_b32_e32 v33, v20
	v_pk_add_f32 v[20:21], v[34:35], v[32:33] neg_lo:[0,1] neg_hi:[0,1]
	v_add_f32_e32 v21, v31, v21
	v_add_f32_e32 v20, v20, v21
	;; [unrolled: 1-line block ×3, first 2 shown]
	v_mul_f32_e32 v31, v24, v21
	v_mul_f32_e32 v22, v17, v31
	v_fma_f32 v32, v31, v17, -v22
	v_fmac_f32_e32 v32, v31, v11
	v_sub_f32_e32 v11, v23, v21
	v_add_f32_e32 v11, v20, v11
	v_add_f32_e32 v20, v22, v32
	v_sub_f32_e32 v23, v21, v20
	v_pk_add_f32 v[34:35], v[20:21], v[22:23] neg_lo:[0,1] neg_hi:[0,1]
	v_mov_b32_e32 v33, v20
	v_pk_add_f32 v[20:21], v[34:35], v[32:33] neg_lo:[0,1] neg_hi:[0,1]
	v_add_f32_e32 v11, v11, v21
	v_add_f32_e32 v11, v20, v11
	;; [unrolled: 1-line block ×4, first 2 shown]
	v_sub_f32_e32 v20, v17, v36
	v_mul_f32_e32 v11, v24, v11
	v_sub_f32_e32 v20, v31, v20
	v_add_f32_e32 v11, v20, v11
	v_add_f32_e32 v20, v17, v11
	v_mul_f32_e32 v23, v20, v20
	v_mov_b32_e32 v22, 0x3ecc95a3
	v_fmac_f32_e32 v22, 0x3e9b6dac, v23
	v_mov_b32_e32 v21, 0x3f2aaada
	v_fmac_f32_e32 v21, v23, v22
	v_cvt_f32_i32_e32 v22, v19
	v_sub_f32_e32 v17, v20, v17
	v_ldexp_f32 v33, v20, 1
	v_mul_f32_e32 v23, v20, v23
	v_mov_b32_e32 v20, 0x3f317218
	s_mov_b32 s4, 0x3f317218
	v_pk_mul_f32 v[20:21], v[22:23], v[20:21]
	v_fma_f32 v32, v22, s4, -v20
	v_fmac_f32_e32 v32, 0xb102e308, v22
	v_pk_add_f32 v[22:23], v[20:21], v[32:33]
	v_sub_f32_e32 v11, v11, v17
	v_sub_f32_e32 v17, v23, v33
	v_ldexp_f32 v11, v11, 1
	v_sub_f32_e32 v17, v21, v17
	v_add_f32_e32 v35, v11, v17
	v_mov_b32_e32 v34, v20
	v_pk_add_f32 v[20:21], v[22:23], v[20:21] neg_lo:[0,1] neg_hi:[0,1]
	v_pk_add_f32 v[36:37], v[22:23], v[34:35]
	v_mov_b32_e32 v21, v37
	v_mov_b32_e32 v33, v22
	v_pk_add_f32 v[38:39], v[32:33], v[20:21] neg_lo:[0,1] neg_hi:[0,1]
	v_pk_add_f32 v[20:21], v[32:33], v[20:21]
	v_mov_b32_e32 v24, v21
	v_pk_add_f32 v[32:33], v[24:25], v[22:23] neg_lo:[0,1] neg_hi:[0,1]
	v_mov_b32_e32 v11, v32
	v_pk_add_f32 v[40:41], v[36:37], v[10:11] neg_lo:[0,1] neg_hi:[0,1]
	v_mov_b32_e32 v20, v37
	v_mov_b32_e32 v36, v23
	;; [unrolled: 1-line block ×4, first 2 shown]
	v_pk_add_f32 v[20:21], v[20:21], v[36:37] neg_lo:[0,1] neg_hi:[0,1]
	v_mov_b32_e32 v32, v35
	v_mov_b32_e32 v33, v22
	v_pk_add_f32 v[20:21], v[32:33], v[20:21] neg_lo:[0,1] neg_hi:[0,1]
	v_mov_b32_e32 v40, v38
	v_pk_add_f32 v[22:23], v[40:41], v[20:21]
	v_mov_b32_e32 v32, v23
	v_pk_add_f32 v[32:33], v[22:23], v[32:33]
	v_pk_add_f32 v[34:35], v[24:25], v[32:33]
	v_mov_b32_e32 v23, v34
	v_pk_add_f32 v[36:37], v[22:23], v[38:39] neg_lo:[0,1] neg_hi:[0,1]
	v_mov_b32_e32 v21, v32
	v_sub_f32_e32 v11, v22, v36
	v_pk_add_f32 v[20:21], v[20:21], v[36:37] neg_lo:[0,1] neg_hi:[0,1]
	v_sub_f32_e32 v11, v38, v11
	v_add_f32_e32 v11, v20, v11
	v_cmp_eq_f32_e64 s[4:5], s29, v13
	s_mov_b32 s29, 0x33800000
	v_add_f32_e32 v11, v11, v21
	v_cmp_lt_f32_e64 s[30:31], |v13|, s29
	v_add_f32_e32 v11, v34, v11
	s_or_b64 s[4:5], s[4:5], s[30:31]
	v_cndmask_b32_e64 v11, v11, v13, s[4:5]
	v_add_f32_e32 v11, v12, v11
.LBB107_106:
	s_or_b64 exec, exec, s[26:27]
	v_max_f32_e32 v12, v11, v11
	v_min_f32_e32 v13, v12, v25
	v_cmp_u_f32_e64 s[4:5], v11, v11
	v_max_f32_e32 v12, v12, v25
	v_cndmask_b32_e64 v13, v13, v11, s[4:5]
	v_cndmask_b32_e64 v12, v12, v11, s[4:5]
	;; [unrolled: 1-line block ×4, first 2 shown]
	v_cmp_neq_f32_e64 s[4:5], v13, v12
	v_cmp_class_f32_e64 s[26:27], v13, s28
	s_or_b64 s[4:5], s[4:5], s[26:27]
	v_mov_b32_e32 v6, v11
	s_and_saveexec_b64 s[26:27], s[4:5]
	s_cbranch_execz .LBB107_108
; %bb.107:
	v_sub_f32_e32 v6, v13, v12
	s_mov_b32 s4, 0x3fb8aa3b
	v_mul_f32_e32 v13, 0x3fb8aa3b, v6
	v_fma_f32 v17, v6, s4, -v13
	v_rndne_f32_e32 v19, v13
	v_fmac_f32_e32 v17, 0x32a5705f, v6
	v_sub_f32_e32 v13, v13, v19
	v_add_f32_e32 v13, v13, v17
	v_exp_f32_e32 v13, v13
	v_cvt_i32_f32_e32 v17, v19
	s_mov_b32 s4, 0xc2ce8ed0
	v_cmp_ngt_f32_e64 s[4:5], s4, v6
	s_mov_b32 s28, 0x7f800000
	v_ldexp_f32 v13, v13, v17
	v_cndmask_b32_e64 v13, 0, v13, s[4:5]
	s_mov_b32 s4, 0x42b17218
	v_mov_b32_e32 v17, 0x7f800000
	v_cmp_nlt_f32_e64 s[4:5], s4, v6
	v_cndmask_b32_e64 v17, v17, v13, s[4:5]
	v_add_f32_e32 v6, 1.0, v17
	v_add_f32_e32 v13, -1.0, v6
	v_sub_f32_e32 v19, v13, v6
	v_add_f32_e32 v19, 1.0, v19
	v_sub_f32_e32 v13, v17, v13
	v_add_f32_e32 v13, v13, v19
	v_frexp_mant_f32_e32 v19, v6
	s_mov_b32 s4, 0x3f2aaaab
	v_cvt_f64_f32_e32 v[20:21], v6
	v_frexp_exp_i32_f64_e32 v20, v[20:21]
	v_cmp_gt_f32_e64 s[4:5], s4, v19
	v_subbrev_co_u32_e64 v19, s[4:5], 0, v20, s[4:5]
	v_sub_u32_e32 v20, 0, v19
	v_ldexp_f32 v6, v6, v20
	v_ldexp_f32 v13, v13, v20
	v_add_f32_e32 v20, -1.0, v6
	v_add_f32_e32 v21, 1.0, v20
	v_sub_f32_e32 v21, v6, v21
	v_add_f32_e32 v22, v13, v21
	v_add_f32_e32 v21, 1.0, v6
	v_add_f32_e32 v23, -1.0, v21
	v_sub_f32_e32 v6, v6, v23
	v_add_f32_e32 v6, v13, v6
	v_add_f32_e32 v13, v21, v6
	v_rcp_f32_e32 v31, v13
	v_sub_f32_e32 v21, v21, v13
	v_add_f32_e32 v6, v6, v21
	v_add_f32_e32 v21, v20, v22
	v_sub_f32_e32 v20, v20, v21
	v_mul_f32_e32 v35, v21, v31
	s_waitcnt lgkmcnt(0)
	v_add_f32_e32 v34, v22, v20
	v_mul_f32_e32 v22, v13, v35
	v_fma_f32 v24, v35, v13, -v22
	v_fmac_f32_e32 v24, v35, v6
	v_add_f32_e32 v20, v22, v24
	v_sub_f32_e32 v23, v21, v20
	v_pk_add_f32 v[32:33], v[20:21], v[22:23] neg_lo:[0,1] neg_hi:[0,1]
	v_mov_b32_e32 v25, v20
	v_pk_add_f32 v[20:21], v[32:33], v[24:25] neg_lo:[0,1] neg_hi:[0,1]
	v_add_f32_e32 v21, v34, v21
	v_add_f32_e32 v20, v20, v21
	;; [unrolled: 1-line block ×3, first 2 shown]
	v_mul_f32_e32 v34, v31, v21
	v_mul_f32_e32 v22, v13, v34
	v_fma_f32 v24, v34, v13, -v22
	v_fmac_f32_e32 v24, v34, v6
	v_sub_f32_e32 v6, v23, v21
	v_add_f32_e32 v6, v20, v6
	v_add_f32_e32 v20, v22, v24
	v_sub_f32_e32 v23, v21, v20
	v_pk_add_f32 v[32:33], v[20:21], v[22:23] neg_lo:[0,1] neg_hi:[0,1]
	v_mov_b32_e32 v25, v20
	v_pk_add_f32 v[20:21], v[32:33], v[24:25] neg_lo:[0,1] neg_hi:[0,1]
	v_add_f32_e32 v6, v6, v21
	v_add_f32_e32 v6, v20, v6
	;; [unrolled: 1-line block ×4, first 2 shown]
	v_sub_f32_e32 v20, v13, v35
	v_mul_f32_e32 v6, v31, v6
	v_sub_f32_e32 v20, v34, v20
	v_add_f32_e32 v6, v20, v6
	v_add_f32_e32 v20, v13, v6
	v_mul_f32_e32 v23, v20, v20
	v_mov_b32_e32 v22, 0x3ecc95a3
	v_fmac_f32_e32 v22, 0x3e9b6dac, v23
	v_mov_b32_e32 v21, 0x3f2aaada
	v_fmac_f32_e32 v21, v23, v22
	v_cvt_f32_i32_e32 v22, v19
	v_sub_f32_e32 v13, v20, v13
	v_ldexp_f32 v25, v20, 1
	v_mul_f32_e32 v23, v20, v23
	v_mov_b32_e32 v20, 0x3f317218
	s_mov_b32 s4, 0x3f317218
	v_pk_mul_f32 v[20:21], v[22:23], v[20:21]
	v_fma_f32 v24, v22, s4, -v20
	v_fmac_f32_e32 v24, 0xb102e308, v22
	v_pk_add_f32 v[22:23], v[20:21], v[24:25]
	v_sub_f32_e32 v6, v6, v13
	v_sub_f32_e32 v13, v23, v25
	v_ldexp_f32 v6, v6, 1
	v_sub_f32_e32 v13, v21, v13
	v_add_f32_e32 v33, v6, v13
	v_mov_b32_e32 v32, v20
	v_pk_add_f32 v[20:21], v[22:23], v[20:21] neg_lo:[0,1] neg_hi:[0,1]
	v_pk_add_f32 v[34:35], v[22:23], v[32:33]
	v_mov_b32_e32 v21, v35
	v_mov_b32_e32 v25, v22
	v_pk_add_f32 v[36:37], v[24:25], v[20:21] neg_lo:[0,1] neg_hi:[0,1]
	v_pk_add_f32 v[20:21], v[24:25], v[20:21]
	v_mov_b32_e32 v6, v21
	v_pk_add_f32 v[24:25], v[6:7], v[22:23] neg_lo:[0,1] neg_hi:[0,1]
	v_mov_b32_e32 v13, v24
	v_pk_add_f32 v[38:39], v[34:35], v[12:13] neg_lo:[0,1] neg_hi:[0,1]
	v_mov_b32_e32 v20, v35
	v_mov_b32_e32 v34, v23
	;; [unrolled: 1-line block ×4, first 2 shown]
	v_pk_add_f32 v[20:21], v[20:21], v[34:35] neg_lo:[0,1] neg_hi:[0,1]
	v_mov_b32_e32 v24, v33
	v_mov_b32_e32 v25, v22
	v_pk_add_f32 v[20:21], v[24:25], v[20:21] neg_lo:[0,1] neg_hi:[0,1]
	v_mov_b32_e32 v38, v36
	v_pk_add_f32 v[22:23], v[38:39], v[20:21]
	v_mov_b32_e32 v24, v23
	v_pk_add_f32 v[24:25], v[22:23], v[24:25]
	v_pk_add_f32 v[32:33], v[6:7], v[24:25]
	v_mov_b32_e32 v23, v32
	v_pk_add_f32 v[34:35], v[22:23], v[36:37] neg_lo:[0,1] neg_hi:[0,1]
	v_mov_b32_e32 v21, v24
	v_sub_f32_e32 v6, v22, v34
	v_pk_add_f32 v[20:21], v[20:21], v[34:35] neg_lo:[0,1] neg_hi:[0,1]
	v_sub_f32_e32 v6, v36, v6
	v_add_f32_e32 v6, v20, v6
	v_cmp_eq_f32_e64 s[4:5], s28, v17
	s_mov_b32 s28, 0x33800000
	v_add_f32_e32 v6, v6, v21
	v_cmp_lt_f32_e64 s[28:29], |v17|, s28
	v_add_f32_e32 v6, v32, v6
	s_or_b64 s[4:5], s[4:5], s[28:29]
	v_cndmask_b32_e64 v6, v6, v17, s[4:5]
	v_add_f32_e32 v6, v12, v6
.LBB107_108:
	s_or_b64 exec, exec, s[26:27]
	v_max_f32_e32 v12, v6, v6
	v_min_f32_e32 v13, v12, v26
	v_cmp_u_f32_e64 s[4:5], v6, v6
	v_max_f32_e32 v12, v12, v26
	v_cndmask_b32_e64 v13, v13, v6, s[4:5]
	v_cndmask_b32_e64 v12, v12, v6, s[4:5]
	;; [unrolled: 1-line block ×4, first 2 shown]
	s_movk_i32 s28, 0x1f8
	v_cmp_neq_f32_e64 s[4:5], v13, v12
	v_cmp_class_f32_e64 s[26:27], v13, s28
	s_or_b64 s[4:5], s[4:5], s[26:27]
	v_mov_b32_e32 v7, v6
	s_and_saveexec_b64 s[26:27], s[4:5]
	s_cbranch_execz .LBB107_110
; %bb.109:
	v_sub_f32_e32 v7, v13, v12
	s_mov_b32 s4, 0x3fb8aa3b
	v_mul_f32_e32 v13, 0x3fb8aa3b, v7
	v_fma_f32 v17, v7, s4, -v13
	v_rndne_f32_e32 v19, v13
	v_fmac_f32_e32 v17, 0x32a5705f, v7
	v_sub_f32_e32 v13, v13, v19
	v_add_f32_e32 v13, v13, v17
	v_exp_f32_e32 v13, v13
	v_cvt_i32_f32_e32 v17, v19
	s_mov_b32 s4, 0xc2ce8ed0
	v_cmp_ngt_f32_e64 s[4:5], s4, v7
	s_mov_b32 s29, 0x7f800000
	v_ldexp_f32 v13, v13, v17
	v_cndmask_b32_e64 v13, 0, v13, s[4:5]
	s_mov_b32 s4, 0x42b17218
	v_mov_b32_e32 v17, 0x7f800000
	v_cmp_nlt_f32_e64 s[4:5], s4, v7
	v_cndmask_b32_e64 v13, v17, v13, s[4:5]
	v_add_f32_e32 v7, 1.0, v13
	v_add_f32_e32 v17, -1.0, v7
	v_sub_f32_e32 v19, v17, v7
	v_add_f32_e32 v19, 1.0, v19
	v_sub_f32_e32 v17, v13, v17
	v_add_f32_e32 v17, v17, v19
	v_frexp_mant_f32_e32 v19, v7
	s_mov_b32 s4, 0x3f2aaaab
	v_cvt_f64_f32_e32 v[20:21], v7
	v_frexp_exp_i32_f64_e32 v20, v[20:21]
	v_cmp_gt_f32_e64 s[4:5], s4, v19
	v_subbrev_co_u32_e64 v19, s[4:5], 0, v20, s[4:5]
	v_sub_u32_e32 v20, 0, v19
	v_ldexp_f32 v7, v7, v20
	v_ldexp_f32 v17, v17, v20
	v_add_f32_e32 v20, -1.0, v7
	v_add_f32_e32 v21, 1.0, v20
	v_sub_f32_e32 v21, v7, v21
	v_add_f32_e32 v22, v17, v21
	v_add_f32_e32 v21, 1.0, v7
	v_add_f32_e32 v23, -1.0, v21
	v_sub_f32_e32 v7, v7, v23
	v_add_f32_e32 v7, v17, v7
	v_add_f32_e32 v17, v21, v7
	v_rcp_f32_e32 v26, v17
	v_sub_f32_e32 v21, v21, v17
	v_add_f32_e32 v7, v7, v21
	v_add_f32_e32 v21, v20, v22
	v_sub_f32_e32 v20, v20, v21
	s_waitcnt lgkmcnt(0)
	v_mul_f32_e32 v34, v21, v26
	v_add_f32_e32 v31, v22, v20
	v_mul_f32_e32 v22, v17, v34
	v_fma_f32 v24, v34, v17, -v22
	v_fmac_f32_e32 v24, v34, v7
	v_add_f32_e32 v20, v22, v24
	v_sub_f32_e32 v23, v21, v20
	v_pk_add_f32 v[32:33], v[20:21], v[22:23] neg_lo:[0,1] neg_hi:[0,1]
	v_mov_b32_e32 v25, v20
	v_pk_add_f32 v[20:21], v[32:33], v[24:25] neg_lo:[0,1] neg_hi:[0,1]
	v_add_f32_e32 v21, v31, v21
	v_add_f32_e32 v20, v20, v21
	;; [unrolled: 1-line block ×3, first 2 shown]
	v_mul_f32_e32 v31, v26, v21
	v_mul_f32_e32 v22, v17, v31
	v_fma_f32 v24, v31, v17, -v22
	v_fmac_f32_e32 v24, v31, v7
	v_sub_f32_e32 v7, v23, v21
	v_add_f32_e32 v7, v20, v7
	v_add_f32_e32 v20, v22, v24
	v_sub_f32_e32 v23, v21, v20
	v_pk_add_f32 v[32:33], v[20:21], v[22:23] neg_lo:[0,1] neg_hi:[0,1]
	v_mov_b32_e32 v25, v20
	v_pk_add_f32 v[20:21], v[32:33], v[24:25] neg_lo:[0,1] neg_hi:[0,1]
	v_add_f32_e32 v7, v7, v21
	v_add_f32_e32 v7, v20, v7
	v_add_f32_e32 v17, v34, v31
	v_add_f32_e32 v7, v23, v7
	v_sub_f32_e32 v20, v17, v34
	v_mul_f32_e32 v7, v26, v7
	v_sub_f32_e32 v20, v31, v20
	v_add_f32_e32 v7, v20, v7
	v_add_f32_e32 v20, v17, v7
	v_mul_f32_e32 v23, v20, v20
	v_mov_b32_e32 v22, 0x3ecc95a3
	v_fmac_f32_e32 v22, 0x3e9b6dac, v23
	v_mov_b32_e32 v21, 0x3f2aaada
	v_fmac_f32_e32 v21, v23, v22
	v_cvt_f32_i32_e32 v22, v19
	v_sub_f32_e32 v17, v20, v17
	v_ldexp_f32 v25, v20, 1
	v_mul_f32_e32 v23, v20, v23
	v_mov_b32_e32 v20, 0x3f317218
	s_mov_b32 s4, 0x3f317218
	v_pk_mul_f32 v[20:21], v[22:23], v[20:21]
	v_fma_f32 v24, v22, s4, -v20
	v_fmac_f32_e32 v24, 0xb102e308, v22
	v_pk_add_f32 v[22:23], v[20:21], v[24:25]
	v_sub_f32_e32 v7, v7, v17
	v_sub_f32_e32 v17, v23, v25
	v_ldexp_f32 v7, v7, 1
	v_sub_f32_e32 v17, v21, v17
	v_add_f32_e32 v33, v7, v17
	v_mov_b32_e32 v32, v20
	v_pk_add_f32 v[20:21], v[22:23], v[20:21] neg_lo:[0,1] neg_hi:[0,1]
	v_pk_add_f32 v[34:35], v[22:23], v[32:33]
	v_mov_b32_e32 v21, v35
	v_mov_b32_e32 v25, v22
	v_pk_add_f32 v[36:37], v[24:25], v[20:21] neg_lo:[0,1] neg_hi:[0,1]
	v_pk_add_f32 v[20:21], v[24:25], v[20:21]
	v_mov_b32_e32 v24, v21
	v_pk_add_f32 v[38:39], v[24:25], v[22:23] neg_lo:[0,1] neg_hi:[0,1]
	v_mov_b32_e32 v7, v38
	v_pk_add_f32 v[40:41], v[34:35], v[6:7] neg_lo:[0,1] neg_hi:[0,1]
	v_mov_b32_e32 v20, v35
	v_mov_b32_e32 v34, v23
	;; [unrolled: 1-line block ×4, first 2 shown]
	v_pk_add_f32 v[20:21], v[20:21], v[34:35] neg_lo:[0,1] neg_hi:[0,1]
	v_mov_b32_e32 v32, v33
	v_mov_b32_e32 v33, v22
	v_pk_add_f32 v[20:21], v[32:33], v[20:21] neg_lo:[0,1] neg_hi:[0,1]
	v_mov_b32_e32 v40, v36
	v_pk_add_f32 v[22:23], v[40:41], v[20:21]
	v_mov_b32_e32 v26, v23
	v_pk_add_f32 v[32:33], v[22:23], v[26:27]
	v_pk_add_f32 v[24:25], v[24:25], v[32:33]
	v_mov_b32_e32 v23, v24
	v_pk_add_f32 v[34:35], v[22:23], v[36:37] neg_lo:[0,1] neg_hi:[0,1]
	v_mov_b32_e32 v21, v32
	v_sub_f32_e32 v7, v22, v34
	v_pk_add_f32 v[20:21], v[20:21], v[34:35] neg_lo:[0,1] neg_hi:[0,1]
	v_sub_f32_e32 v7, v36, v7
	v_add_f32_e32 v7, v20, v7
	v_cmp_eq_f32_e64 s[4:5], s29, v13
	s_mov_b32 s29, 0x33800000
	v_add_f32_e32 v7, v7, v21
	v_cmp_lt_f32_e64 s[30:31], |v13|, s29
	v_add_f32_e32 v7, v24, v7
	s_or_b64 s[4:5], s[4:5], s[30:31]
	v_cndmask_b32_e64 v7, v7, v13, s[4:5]
	v_add_f32_e32 v7, v12, v7
.LBB107_110:
	s_or_b64 exec, exec, s[26:27]
	v_max_f32_e32 v12, v7, v7
	v_min_f32_e32 v13, v12, v27
	v_cmp_u_f32_e64 s[4:5], v7, v7
	v_max_f32_e32 v12, v12, v27
	v_cndmask_b32_e64 v13, v13, v7, s[4:5]
	v_cndmask_b32_e64 v12, v12, v7, s[4:5]
	v_cndmask_b32_e64 v13, v13, v8, s[46:47]
	v_cndmask_b32_e64 v12, v12, v8, s[46:47]
	v_cmp_neq_f32_e64 s[4:5], v13, v12
	v_cmp_class_f32_e64 s[26:27], v13, s28
	s_or_b64 s[4:5], s[4:5], s[26:27]
	v_mov_b32_e32 v8, v7
	s_and_saveexec_b64 s[26:27], s[4:5]
	s_cbranch_execz .LBB107_112
; %bb.111:
	v_sub_f32_e32 v8, v13, v12
	s_mov_b32 s4, 0x3fb8aa3b
	v_mul_f32_e32 v13, 0x3fb8aa3b, v8
	v_fma_f32 v17, v8, s4, -v13
	v_rndne_f32_e32 v19, v13
	v_fmac_f32_e32 v17, 0x32a5705f, v8
	v_sub_f32_e32 v13, v13, v19
	v_add_f32_e32 v13, v13, v17
	v_exp_f32_e32 v13, v13
	v_cvt_i32_f32_e32 v17, v19
	s_mov_b32 s4, 0xc2ce8ed0
	v_cmp_ngt_f32_e64 s[4:5], s4, v8
	s_mov_b32 s28, 0x7f800000
	v_ldexp_f32 v13, v13, v17
	v_cndmask_b32_e64 v13, 0, v13, s[4:5]
	s_mov_b32 s4, 0x42b17218
	v_mov_b32_e32 v17, 0x7f800000
	v_cmp_nlt_f32_e64 s[4:5], s4, v8
	v_cndmask_b32_e64 v17, v17, v13, s[4:5]
	v_add_f32_e32 v8, 1.0, v17
	v_add_f32_e32 v13, -1.0, v8
	v_sub_f32_e32 v19, v13, v8
	v_add_f32_e32 v19, 1.0, v19
	v_sub_f32_e32 v13, v17, v13
	v_add_f32_e32 v13, v13, v19
	v_frexp_mant_f32_e32 v19, v8
	s_mov_b32 s4, 0x3f2aaaab
	v_cvt_f64_f32_e32 v[20:21], v8
	v_frexp_exp_i32_f64_e32 v20, v[20:21]
	v_cmp_gt_f32_e64 s[4:5], s4, v19
	v_subbrev_co_u32_e64 v19, s[4:5], 0, v20, s[4:5]
	v_sub_u32_e32 v20, 0, v19
	v_ldexp_f32 v8, v8, v20
	v_ldexp_f32 v13, v13, v20
	v_add_f32_e32 v20, -1.0, v8
	v_add_f32_e32 v21, 1.0, v20
	v_sub_f32_e32 v21, v8, v21
	v_add_f32_e32 v22, v13, v21
	v_add_f32_e32 v21, 1.0, v8
	v_add_f32_e32 v23, -1.0, v21
	v_sub_f32_e32 v8, v8, v23
	v_add_f32_e32 v8, v13, v8
	v_add_f32_e32 v13, v21, v8
	v_rcp_f32_e32 v31, v13
	v_sub_f32_e32 v21, v21, v13
	v_add_f32_e32 v8, v8, v21
	v_add_f32_e32 v21, v20, v22
	v_sub_f32_e32 v20, v20, v21
	v_mul_f32_e32 v33, v21, v31
	v_add_f32_e32 v32, v22, v20
	v_mul_f32_e32 v22, v13, v33
	v_fma_f32 v24, v33, v13, -v22
	v_fmac_f32_e32 v24, v33, v8
	v_add_f32_e32 v20, v22, v24
	v_sub_f32_e32 v23, v21, v20
	v_pk_add_f32 v[26:27], v[20:21], v[22:23] neg_lo:[0,1] neg_hi:[0,1]
	v_mov_b32_e32 v25, v20
	v_pk_add_f32 v[20:21], v[26:27], v[24:25] neg_lo:[0,1] neg_hi:[0,1]
	v_add_f32_e32 v21, v32, v21
	v_add_f32_e32 v20, v20, v21
	v_add_f32_e32 v21, v23, v20
	v_mul_f32_e32 v32, v31, v21
	v_mul_f32_e32 v22, v13, v32
	v_fma_f32 v24, v32, v13, -v22
	v_fmac_f32_e32 v24, v32, v8
	v_sub_f32_e32 v8, v23, v21
	v_add_f32_e32 v8, v20, v8
	v_add_f32_e32 v20, v22, v24
	v_sub_f32_e32 v23, v21, v20
	v_pk_add_f32 v[26:27], v[20:21], v[22:23] neg_lo:[0,1] neg_hi:[0,1]
	v_mov_b32_e32 v25, v20
	v_pk_add_f32 v[20:21], v[26:27], v[24:25] neg_lo:[0,1] neg_hi:[0,1]
	v_add_f32_e32 v8, v8, v21
	v_add_f32_e32 v8, v20, v8
	;; [unrolled: 1-line block ×4, first 2 shown]
	v_sub_f32_e32 v20, v13, v33
	v_mul_f32_e32 v8, v31, v8
	v_sub_f32_e32 v20, v32, v20
	v_add_f32_e32 v8, v20, v8
	v_add_f32_e32 v20, v13, v8
	v_mul_f32_e32 v23, v20, v20
	v_mov_b32_e32 v22, 0x3ecc95a3
	v_fmac_f32_e32 v22, 0x3e9b6dac, v23
	v_mov_b32_e32 v21, 0x3f2aaada
	v_fmac_f32_e32 v21, v23, v22
	v_cvt_f32_i32_e32 v22, v19
	v_sub_f32_e32 v13, v20, v13
	v_ldexp_f32 v25, v20, 1
	v_mul_f32_e32 v23, v20, v23
	v_mov_b32_e32 v20, 0x3f317218
	s_mov_b32 s4, 0x3f317218
	v_pk_mul_f32 v[20:21], v[22:23], v[20:21]
	v_fma_f32 v24, v22, s4, -v20
	v_fmac_f32_e32 v24, 0xb102e308, v22
	v_pk_add_f32 v[22:23], v[20:21], v[24:25]
	v_sub_f32_e32 v8, v8, v13
	v_sub_f32_e32 v13, v23, v25
	v_ldexp_f32 v8, v8, 1
	v_sub_f32_e32 v13, v21, v13
	v_add_f32_e32 v27, v8, v13
	v_mov_b32_e32 v26, v20
	v_pk_add_f32 v[20:21], v[22:23], v[20:21] neg_lo:[0,1] neg_hi:[0,1]
	v_pk_add_f32 v[32:33], v[22:23], v[26:27]
	v_mov_b32_e32 v21, v33
	v_mov_b32_e32 v25, v22
	s_waitcnt lgkmcnt(0)
	v_pk_add_f32 v[34:35], v[24:25], v[20:21] neg_lo:[0,1] neg_hi:[0,1]
	v_pk_add_f32 v[20:21], v[24:25], v[20:21]
	v_mov_b32_e32 v8, v21
	v_pk_add_f32 v[24:25], v[8:9], v[22:23] neg_lo:[0,1] neg_hi:[0,1]
	v_mov_b32_e32 v13, v24
	v_pk_add_f32 v[36:37], v[32:33], v[12:13] neg_lo:[0,1] neg_hi:[0,1]
	v_mov_b32_e32 v20, v33
	v_mov_b32_e32 v32, v23
	;; [unrolled: 1-line block ×4, first 2 shown]
	v_pk_add_f32 v[20:21], v[20:21], v[32:33] neg_lo:[0,1] neg_hi:[0,1]
	v_mov_b32_e32 v24, v27
	v_mov_b32_e32 v25, v22
	v_pk_add_f32 v[20:21], v[24:25], v[20:21] neg_lo:[0,1] neg_hi:[0,1]
	v_mov_b32_e32 v36, v34
	v_pk_add_f32 v[22:23], v[36:37], v[20:21]
	v_mov_b32_e32 v24, v23
	v_pk_add_f32 v[24:25], v[22:23], v[24:25]
	v_pk_add_f32 v[26:27], v[8:9], v[24:25]
	v_mov_b32_e32 v23, v26
	v_pk_add_f32 v[32:33], v[22:23], v[34:35] neg_lo:[0,1] neg_hi:[0,1]
	v_mov_b32_e32 v21, v24
	v_sub_f32_e32 v8, v22, v32
	v_pk_add_f32 v[20:21], v[20:21], v[32:33] neg_lo:[0,1] neg_hi:[0,1]
	v_sub_f32_e32 v8, v34, v8
	v_add_f32_e32 v8, v20, v8
	v_cmp_eq_f32_e64 s[4:5], s28, v17
	s_mov_b32 s28, 0x33800000
	v_add_f32_e32 v8, v8, v21
	v_cmp_lt_f32_e64 s[28:29], |v17|, s28
	v_add_f32_e32 v8, v26, v8
	s_or_b64 s[4:5], s[4:5], s[28:29]
	v_cndmask_b32_e64 v8, v8, v17, s[4:5]
	v_add_f32_e32 v8, v12, v8
.LBB107_112:
	s_or_b64 exec, exec, s[26:27]
	v_max_f32_e32 v12, v8, v8
	v_min_f32_e32 v13, v12, v28
	v_cmp_u_f32_e64 s[4:5], v8, v8
	v_max_f32_e32 v12, v12, v28
	v_cndmask_b32_e64 v13, v13, v8, s[4:5]
	v_cndmask_b32_e64 v12, v12, v8, s[4:5]
	;; [unrolled: 1-line block ×4, first 2 shown]
	s_movk_i32 s28, 0x1f8
	v_cmp_neq_f32_e64 s[4:5], v13, v12
	v_cmp_class_f32_e64 s[26:27], v13, s28
	s_or_b64 s[4:5], s[4:5], s[26:27]
	v_mov_b32_e32 v9, v8
	s_and_saveexec_b64 s[26:27], s[4:5]
	s_cbranch_execz .LBB107_114
; %bb.113:
	v_sub_f32_e32 v9, v13, v12
	s_mov_b32 s4, 0x3fb8aa3b
	v_mul_f32_e32 v13, 0x3fb8aa3b, v9
	v_fma_f32 v17, v9, s4, -v13
	v_rndne_f32_e32 v19, v13
	v_fmac_f32_e32 v17, 0x32a5705f, v9
	v_sub_f32_e32 v13, v13, v19
	v_add_f32_e32 v13, v13, v17
	v_exp_f32_e32 v13, v13
	v_cvt_i32_f32_e32 v17, v19
	s_mov_b32 s4, 0xc2ce8ed0
	v_cmp_ngt_f32_e64 s[4:5], s4, v9
	s_mov_b32 s29, 0x7f800000
	v_ldexp_f32 v13, v13, v17
	v_cndmask_b32_e64 v13, 0, v13, s[4:5]
	s_mov_b32 s4, 0x42b17218
	v_mov_b32_e32 v17, 0x7f800000
	v_cmp_nlt_f32_e64 s[4:5], s4, v9
	v_cndmask_b32_e64 v13, v17, v13, s[4:5]
	v_add_f32_e32 v9, 1.0, v13
	v_add_f32_e32 v17, -1.0, v9
	v_sub_f32_e32 v19, v17, v9
	v_add_f32_e32 v19, 1.0, v19
	v_sub_f32_e32 v17, v13, v17
	v_add_f32_e32 v17, v17, v19
	v_frexp_mant_f32_e32 v19, v9
	s_mov_b32 s4, 0x3f2aaaab
	v_cvt_f64_f32_e32 v[20:21], v9
	v_frexp_exp_i32_f64_e32 v20, v[20:21]
	v_cmp_gt_f32_e64 s[4:5], s4, v19
	v_subbrev_co_u32_e64 v19, s[4:5], 0, v20, s[4:5]
	v_sub_u32_e32 v20, 0, v19
	v_ldexp_f32 v9, v9, v20
	v_ldexp_f32 v17, v17, v20
	v_add_f32_e32 v20, -1.0, v9
	v_add_f32_e32 v21, 1.0, v20
	v_sub_f32_e32 v21, v9, v21
	v_add_f32_e32 v22, v17, v21
	v_add_f32_e32 v21, 1.0, v9
	v_add_f32_e32 v23, -1.0, v21
	v_sub_f32_e32 v9, v9, v23
	v_add_f32_e32 v9, v17, v9
	v_add_f32_e32 v17, v21, v9
	v_rcp_f32_e32 v28, v17
	v_sub_f32_e32 v21, v21, v17
	v_add_f32_e32 v9, v9, v21
	v_add_f32_e32 v21, v20, v22
	v_sub_f32_e32 v20, v20, v21
	v_mul_f32_e32 v32, v21, v28
	v_add_f32_e32 v31, v22, v20
	v_mul_f32_e32 v22, v17, v32
	v_fma_f32 v24, v32, v17, -v22
	v_fmac_f32_e32 v24, v32, v9
	v_add_f32_e32 v20, v22, v24
	v_sub_f32_e32 v23, v21, v20
	v_pk_add_f32 v[26:27], v[20:21], v[22:23] neg_lo:[0,1] neg_hi:[0,1]
	v_mov_b32_e32 v25, v20
	v_pk_add_f32 v[20:21], v[26:27], v[24:25] neg_lo:[0,1] neg_hi:[0,1]
	v_add_f32_e32 v21, v31, v21
	v_add_f32_e32 v20, v20, v21
	;; [unrolled: 1-line block ×3, first 2 shown]
	v_mul_f32_e32 v31, v28, v21
	v_mul_f32_e32 v22, v17, v31
	v_fma_f32 v24, v31, v17, -v22
	v_fmac_f32_e32 v24, v31, v9
	v_sub_f32_e32 v9, v23, v21
	v_add_f32_e32 v9, v20, v9
	v_add_f32_e32 v20, v22, v24
	v_sub_f32_e32 v23, v21, v20
	v_pk_add_f32 v[26:27], v[20:21], v[22:23] neg_lo:[0,1] neg_hi:[0,1]
	v_mov_b32_e32 v25, v20
	v_pk_add_f32 v[20:21], v[26:27], v[24:25] neg_lo:[0,1] neg_hi:[0,1]
	v_add_f32_e32 v9, v9, v21
	v_add_f32_e32 v9, v20, v9
	;; [unrolled: 1-line block ×4, first 2 shown]
	v_sub_f32_e32 v20, v17, v32
	v_mul_f32_e32 v9, v28, v9
	v_sub_f32_e32 v20, v31, v20
	v_add_f32_e32 v9, v20, v9
	v_add_f32_e32 v20, v17, v9
	v_mul_f32_e32 v23, v20, v20
	v_mov_b32_e32 v22, 0x3ecc95a3
	v_fmac_f32_e32 v22, 0x3e9b6dac, v23
	v_mov_b32_e32 v21, 0x3f2aaada
	v_fmac_f32_e32 v21, v23, v22
	v_cvt_f32_i32_e32 v22, v19
	v_sub_f32_e32 v17, v20, v17
	v_ldexp_f32 v25, v20, 1
	v_mul_f32_e32 v23, v20, v23
	v_mov_b32_e32 v20, 0x3f317218
	s_mov_b32 s4, 0x3f317218
	v_pk_mul_f32 v[20:21], v[22:23], v[20:21]
	v_fma_f32 v24, v22, s4, -v20
	v_fmac_f32_e32 v24, 0xb102e308, v22
	v_pk_add_f32 v[22:23], v[20:21], v[24:25]
	v_sub_f32_e32 v9, v9, v17
	v_sub_f32_e32 v17, v23, v25
	v_ldexp_f32 v9, v9, 1
	v_sub_f32_e32 v17, v21, v17
	v_add_f32_e32 v27, v9, v17
	v_mov_b32_e32 v26, v20
	v_pk_add_f32 v[20:21], v[22:23], v[20:21] neg_lo:[0,1] neg_hi:[0,1]
	v_pk_add_f32 v[32:33], v[22:23], v[26:27]
	v_mov_b32_e32 v21, v33
	v_mov_b32_e32 v25, v22
	s_waitcnt lgkmcnt(0)
	v_pk_add_f32 v[34:35], v[24:25], v[20:21] neg_lo:[0,1] neg_hi:[0,1]
	v_pk_add_f32 v[20:21], v[24:25], v[20:21]
	v_mov_b32_e32 v24, v21
	v_pk_add_f32 v[36:37], v[24:25], v[22:23] neg_lo:[0,1] neg_hi:[0,1]
	v_mov_b32_e32 v9, v36
	v_pk_add_f32 v[38:39], v[32:33], v[8:9] neg_lo:[0,1] neg_hi:[0,1]
	v_mov_b32_e32 v20, v33
	v_mov_b32_e32 v32, v23
	;; [unrolled: 1-line block ×4, first 2 shown]
	v_pk_add_f32 v[20:21], v[20:21], v[32:33] neg_lo:[0,1] neg_hi:[0,1]
	v_mov_b32_e32 v26, v27
	v_mov_b32_e32 v27, v22
	v_pk_add_f32 v[20:21], v[26:27], v[20:21] neg_lo:[0,1] neg_hi:[0,1]
	v_mov_b32_e32 v38, v34
	v_pk_add_f32 v[22:23], v[38:39], v[20:21]
	v_mov_b32_e32 v26, v23
	v_pk_add_f32 v[26:27], v[22:23], v[26:27]
	v_pk_add_f32 v[24:25], v[24:25], v[26:27]
	v_mov_b32_e32 v23, v24
	v_pk_add_f32 v[32:33], v[22:23], v[34:35] neg_lo:[0,1] neg_hi:[0,1]
	v_mov_b32_e32 v21, v26
	v_sub_f32_e32 v9, v22, v32
	v_pk_add_f32 v[20:21], v[20:21], v[32:33] neg_lo:[0,1] neg_hi:[0,1]
	v_sub_f32_e32 v9, v34, v9
	v_add_f32_e32 v9, v20, v9
	v_cmp_eq_f32_e64 s[4:5], s29, v13
	s_mov_b32 s29, 0x33800000
	v_add_f32_e32 v9, v9, v21
	v_cmp_lt_f32_e64 s[30:31], |v13|, s29
	v_add_f32_e32 v9, v24, v9
	s_or_b64 s[4:5], s[4:5], s[30:31]
	v_cndmask_b32_e64 v9, v9, v13, s[4:5]
	v_add_f32_e32 v9, v12, v9
.LBB107_114:
	s_or_b64 exec, exec, s[26:27]
	v_max_f32_e32 v12, v9, v9
	v_min_f32_e32 v13, v12, v29
	v_cmp_u_f32_e64 s[4:5], v9, v9
	v_max_f32_e32 v12, v12, v29
	v_cndmask_b32_e64 v13, v13, v9, s[4:5]
	v_cndmask_b32_e64 v12, v12, v9, s[4:5]
	;; [unrolled: 1-line block ×4, first 2 shown]
	v_cmp_neq_f32_e64 s[4:5], v17, v13
	v_cmp_class_f32_e64 s[26:27], v17, s28
	s_or_b64 s[4:5], s[4:5], s[26:27]
	v_mov_b32_e32 v12, v9
	s_and_saveexec_b64 s[26:27], s[4:5]
	s_cbranch_execz .LBB107_116
; %bb.115:
	v_sub_f32_e32 v12, v17, v13
	s_mov_b32 s4, 0x3fb8aa3b
	v_mul_f32_e32 v14, 0x3fb8aa3b, v12
	v_fma_f32 v17, v12, s4, -v14
	v_rndne_f32_e32 v19, v14
	v_fmac_f32_e32 v17, 0x32a5705f, v12
	v_sub_f32_e32 v14, v14, v19
	v_add_f32_e32 v14, v14, v17
	v_exp_f32_e32 v14, v14
	v_cvt_i32_f32_e32 v17, v19
	s_mov_b32 s4, 0xc2ce8ed0
	v_cmp_ngt_f32_e64 s[4:5], s4, v12
	s_mov_b32 s28, 0x7f800000
	v_ldexp_f32 v14, v14, v17
	v_cndmask_b32_e64 v14, 0, v14, s[4:5]
	s_mov_b32 s4, 0x42b17218
	v_mov_b32_e32 v17, 0x7f800000
	v_cmp_nlt_f32_e64 s[4:5], s4, v12
	v_cndmask_b32_e64 v19, v17, v14, s[4:5]
	v_add_f32_e32 v12, 1.0, v19
	v_add_f32_e32 v14, -1.0, v12
	v_sub_f32_e32 v17, v14, v12
	v_add_f32_e32 v17, 1.0, v17
	v_sub_f32_e32 v14, v19, v14
	v_add_f32_e32 v14, v14, v17
	v_frexp_mant_f32_e32 v17, v12
	s_mov_b32 s4, 0x3f2aaaab
	v_cvt_f64_f32_e32 v[20:21], v12
	v_frexp_exp_i32_f64_e32 v20, v[20:21]
	v_cmp_gt_f32_e64 s[4:5], s4, v17
	v_subbrev_co_u32_e64 v17, s[4:5], 0, v20, s[4:5]
	v_sub_u32_e32 v20, 0, v17
	v_ldexp_f32 v12, v12, v20
	v_ldexp_f32 v14, v14, v20
	v_add_f32_e32 v20, -1.0, v12
	v_add_f32_e32 v21, 1.0, v20
	v_sub_f32_e32 v21, v12, v21
	v_add_f32_e32 v22, v14, v21
	v_add_f32_e32 v21, 1.0, v12
	v_add_f32_e32 v23, -1.0, v21
	v_sub_f32_e32 v12, v12, v23
	v_add_f32_e32 v12, v14, v12
	v_add_f32_e32 v14, v21, v12
	v_rcp_f32_e32 v28, v14
	v_sub_f32_e32 v21, v21, v14
	v_add_f32_e32 v12, v12, v21
	v_add_f32_e32 v21, v20, v22
	v_sub_f32_e32 v20, v20, v21
	v_mul_f32_e32 v31, v21, v28
	v_add_f32_e32 v29, v22, v20
	v_mul_f32_e32 v22, v14, v31
	v_fma_f32 v24, v31, v14, -v22
	v_fmac_f32_e32 v24, v31, v12
	v_add_f32_e32 v20, v22, v24
	v_sub_f32_e32 v23, v21, v20
	v_pk_add_f32 v[26:27], v[20:21], v[22:23] neg_lo:[0,1] neg_hi:[0,1]
	v_mov_b32_e32 v25, v20
	v_pk_add_f32 v[20:21], v[26:27], v[24:25] neg_lo:[0,1] neg_hi:[0,1]
	v_add_f32_e32 v21, v29, v21
	v_add_f32_e32 v20, v20, v21
	;; [unrolled: 1-line block ×3, first 2 shown]
	v_mul_f32_e32 v29, v28, v21
	v_mul_f32_e32 v22, v14, v29
	v_fma_f32 v24, v29, v14, -v22
	v_fmac_f32_e32 v24, v29, v12
	v_sub_f32_e32 v12, v23, v21
	v_add_f32_e32 v12, v20, v12
	v_add_f32_e32 v20, v22, v24
	v_sub_f32_e32 v23, v21, v20
	v_pk_add_f32 v[26:27], v[20:21], v[22:23] neg_lo:[0,1] neg_hi:[0,1]
	v_mov_b32_e32 v25, v20
	v_pk_add_f32 v[20:21], v[26:27], v[24:25] neg_lo:[0,1] neg_hi:[0,1]
	v_add_f32_e32 v12, v12, v21
	v_add_f32_e32 v12, v20, v12
	;; [unrolled: 1-line block ×4, first 2 shown]
	v_sub_f32_e32 v20, v14, v31
	v_mul_f32_e32 v12, v28, v12
	v_sub_f32_e32 v20, v29, v20
	v_add_f32_e32 v12, v20, v12
	v_add_f32_e32 v20, v14, v12
	v_mul_f32_e32 v23, v20, v20
	v_mov_b32_e32 v22, 0x3ecc95a3
	v_fmac_f32_e32 v22, 0x3e9b6dac, v23
	v_mov_b32_e32 v21, 0x3f2aaada
	v_fmac_f32_e32 v21, v23, v22
	v_cvt_f32_i32_e32 v22, v17
	v_sub_f32_e32 v14, v20, v14
	v_ldexp_f32 v25, v20, 1
	v_mul_f32_e32 v23, v20, v23
	v_mov_b32_e32 v20, 0x3f317218
	s_mov_b32 s4, 0x3f317218
	v_pk_mul_f32 v[20:21], v[22:23], v[20:21]
	v_fma_f32 v24, v22, s4, -v20
	v_fmac_f32_e32 v24, 0xb102e308, v22
	v_pk_add_f32 v[22:23], v[20:21], v[24:25]
	v_sub_f32_e32 v12, v12, v14
	v_sub_f32_e32 v14, v23, v25
	v_ldexp_f32 v12, v12, 1
	v_sub_f32_e32 v14, v21, v14
	v_add_f32_e32 v27, v12, v14
	v_mov_b32_e32 v26, v20
	v_pk_add_f32 v[20:21], v[22:23], v[20:21] neg_lo:[0,1] neg_hi:[0,1]
	v_pk_add_f32 v[28:29], v[22:23], v[26:27]
	v_mov_b32_e32 v21, v29
	v_mov_b32_e32 v25, v22
	v_pk_add_f32 v[32:33], v[24:25], v[20:21] neg_lo:[0,1] neg_hi:[0,1]
	v_pk_add_f32 v[20:21], v[24:25], v[20:21]
	v_mov_b32_e32 v12, v21
	v_pk_add_f32 v[24:25], v[12:13], v[22:23] neg_lo:[0,1] neg_hi:[0,1]
	v_mov_b32_e32 v17, v24
	s_waitcnt lgkmcnt(0)
	v_pk_add_f32 v[34:35], v[28:29], v[16:17] neg_lo:[0,1] neg_hi:[0,1]
	v_mov_b32_e32 v20, v29
	v_mov_b32_e32 v28, v23
	;; [unrolled: 1-line block ×4, first 2 shown]
	v_pk_add_f32 v[20:21], v[20:21], v[28:29] neg_lo:[0,1] neg_hi:[0,1]
	v_mov_b32_e32 v24, v27
	v_mov_b32_e32 v25, v22
	v_pk_add_f32 v[20:21], v[24:25], v[20:21] neg_lo:[0,1] neg_hi:[0,1]
	v_mov_b32_e32 v34, v32
	v_pk_add_f32 v[22:23], v[34:35], v[20:21]
	v_mov_b32_e32 v14, v23
	v_pk_add_f32 v[24:25], v[22:23], v[14:15]
	v_pk_add_f32 v[26:27], v[12:13], v[24:25]
	v_mov_b32_e32 v23, v26
	v_pk_add_f32 v[28:29], v[22:23], v[32:33] neg_lo:[0,1] neg_hi:[0,1]
	v_mov_b32_e32 v21, v24
	v_sub_f32_e32 v12, v22, v28
	v_pk_add_f32 v[20:21], v[20:21], v[28:29] neg_lo:[0,1] neg_hi:[0,1]
	v_sub_f32_e32 v12, v32, v12
	v_add_f32_e32 v12, v20, v12
	v_cmp_eq_f32_e64 s[4:5], s28, v19
	s_mov_b32 s28, 0x33800000
	v_add_f32_e32 v12, v12, v21
	v_cmp_lt_f32_e64 s[28:29], |v19|, s28
	v_add_f32_e32 v12, v26, v12
	s_or_b64 s[4:5], s[4:5], s[28:29]
	v_cndmask_b32_e64 v12, v12, v19, s[4:5]
	v_add_f32_e32 v12, v13, v12
.LBB107_116:
	s_or_b64 exec, exec, s[26:27]
	v_max_f32_e32 v13, v12, v12
	v_min_f32_e32 v14, v13, v30
	v_cmp_u_f32_e64 s[4:5], v12, v12
	v_max_f32_e32 v13, v13, v30
	v_cndmask_b32_e64 v14, v14, v12, s[4:5]
	v_cndmask_b32_e64 v13, v13, v12, s[4:5]
	v_cndmask_b32_e64 v17, v14, v15, s[52:53]
	v_cndmask_b32_e64 v14, v13, v15, s[52:53]
	s_movk_i32 s26, 0x1f8
	v_cmp_neq_f32_e64 s[4:5], v17, v14
	v_cmp_class_f32_e64 s[26:27], v17, s26
	s_or_b64 s[4:5], s[4:5], s[26:27]
	v_mov_b32_e32 v13, v12
	s_and_saveexec_b64 s[26:27], s[4:5]
	s_cbranch_execz .LBB107_118
; %bb.117:
	v_sub_f32_e32 v13, v17, v14
	s_mov_b32 s4, 0x3fb8aa3b
	v_mul_f32_e32 v15, 0x3fb8aa3b, v13
	v_fma_f32 v17, v13, s4, -v15
	v_rndne_f32_e32 v19, v15
	v_fmac_f32_e32 v17, 0x32a5705f, v13
	v_sub_f32_e32 v15, v15, v19
	v_add_f32_e32 v15, v15, v17
	v_exp_f32_e32 v15, v15
	v_cvt_i32_f32_e32 v17, v19
	s_mov_b32 s4, 0xc2ce8ed0
	v_cmp_ngt_f32_e64 s[4:5], s4, v13
	s_mov_b32 s28, 0x7f800000
	v_ldexp_f32 v15, v15, v17
	v_cndmask_b32_e64 v15, 0, v15, s[4:5]
	s_mov_b32 s4, 0x42b17218
	v_mov_b32_e32 v17, 0x7f800000
	v_cmp_nlt_f32_e64 s[4:5], s4, v13
	v_cndmask_b32_e64 v15, v17, v15, s[4:5]
	v_add_f32_e32 v13, 1.0, v15
	v_add_f32_e32 v17, -1.0, v13
	v_sub_f32_e32 v19, v17, v13
	v_add_f32_e32 v19, 1.0, v19
	v_sub_f32_e32 v17, v15, v17
	v_add_f32_e32 v17, v17, v19
	v_frexp_mant_f32_e32 v19, v13
	s_mov_b32 s4, 0x3f2aaaab
	v_cvt_f64_f32_e32 v[20:21], v13
	v_frexp_exp_i32_f64_e32 v20, v[20:21]
	v_cmp_gt_f32_e64 s[4:5], s4, v19
	v_subbrev_co_u32_e64 v19, s[4:5], 0, v20, s[4:5]
	v_sub_u32_e32 v20, 0, v19
	v_ldexp_f32 v13, v13, v20
	v_ldexp_f32 v17, v17, v20
	v_add_f32_e32 v20, -1.0, v13
	v_add_f32_e32 v21, 1.0, v20
	v_sub_f32_e32 v21, v13, v21
	v_add_f32_e32 v22, v17, v21
	v_add_f32_e32 v21, 1.0, v13
	v_add_f32_e32 v23, -1.0, v21
	v_sub_f32_e32 v13, v13, v23
	v_add_f32_e32 v13, v17, v13
	v_add_f32_e32 v17, v21, v13
	v_rcp_f32_e32 v28, v17
	v_sub_f32_e32 v21, v21, v17
	v_add_f32_e32 v13, v13, v21
	v_add_f32_e32 v21, v20, v22
	v_sub_f32_e32 v20, v20, v21
	v_mul_f32_e32 v30, v21, v28
	v_add_f32_e32 v29, v22, v20
	v_mul_f32_e32 v22, v17, v30
	v_fma_f32 v24, v30, v17, -v22
	v_fmac_f32_e32 v24, v30, v13
	v_add_f32_e32 v20, v22, v24
	v_sub_f32_e32 v23, v21, v20
	v_pk_add_f32 v[26:27], v[20:21], v[22:23] neg_lo:[0,1] neg_hi:[0,1]
	v_mov_b32_e32 v25, v20
	v_pk_add_f32 v[20:21], v[26:27], v[24:25] neg_lo:[0,1] neg_hi:[0,1]
	v_add_f32_e32 v21, v29, v21
	v_add_f32_e32 v20, v20, v21
	;; [unrolled: 1-line block ×3, first 2 shown]
	v_mul_f32_e32 v29, v28, v21
	v_mul_f32_e32 v22, v17, v29
	v_fma_f32 v24, v29, v17, -v22
	v_fmac_f32_e32 v24, v29, v13
	v_sub_f32_e32 v13, v23, v21
	v_add_f32_e32 v13, v20, v13
	v_add_f32_e32 v20, v22, v24
	v_sub_f32_e32 v23, v21, v20
	v_pk_add_f32 v[26:27], v[20:21], v[22:23] neg_lo:[0,1] neg_hi:[0,1]
	v_mov_b32_e32 v25, v20
	v_pk_add_f32 v[20:21], v[26:27], v[24:25] neg_lo:[0,1] neg_hi:[0,1]
	v_add_f32_e32 v13, v13, v21
	v_add_f32_e32 v13, v20, v13
	;; [unrolled: 1-line block ×4, first 2 shown]
	v_sub_f32_e32 v20, v17, v30
	v_mul_f32_e32 v13, v28, v13
	v_sub_f32_e32 v20, v29, v20
	v_add_f32_e32 v13, v20, v13
	v_add_f32_e32 v20, v17, v13
	v_mul_f32_e32 v23, v20, v20
	v_mov_b32_e32 v22, 0x3ecc95a3
	v_fmac_f32_e32 v22, 0x3e9b6dac, v23
	v_mov_b32_e32 v21, 0x3f2aaada
	v_fmac_f32_e32 v21, v23, v22
	v_cvt_f32_i32_e32 v22, v19
	v_sub_f32_e32 v17, v20, v17
	v_ldexp_f32 v25, v20, 1
	v_mul_f32_e32 v23, v20, v23
	v_mov_b32_e32 v20, 0x3f317218
	s_mov_b32 s4, 0x3f317218
	v_pk_mul_f32 v[20:21], v[22:23], v[20:21]
	v_fma_f32 v24, v22, s4, -v20
	v_fmac_f32_e32 v24, 0xb102e308, v22
	v_pk_add_f32 v[22:23], v[20:21], v[24:25]
	v_sub_f32_e32 v13, v13, v17
	v_sub_f32_e32 v17, v23, v25
	v_ldexp_f32 v13, v13, 1
	v_sub_f32_e32 v17, v21, v17
	v_add_f32_e32 v27, v13, v17
	v_mov_b32_e32 v26, v20
	v_pk_add_f32 v[20:21], v[22:23], v[20:21] neg_lo:[0,1] neg_hi:[0,1]
	v_pk_add_f32 v[28:29], v[22:23], v[26:27]
	v_mov_b32_e32 v21, v29
	v_mov_b32_e32 v25, v22
	v_pk_add_f32 v[30:31], v[24:25], v[20:21] neg_lo:[0,1] neg_hi:[0,1]
	v_pk_add_f32 v[20:21], v[24:25], v[20:21]
	v_mov_b32_e32 v24, v21
	v_pk_add_f32 v[32:33], v[24:25], v[22:23] neg_lo:[0,1] neg_hi:[0,1]
	v_mov_b32_e32 v13, v32
	s_waitcnt lgkmcnt(0)
	v_pk_add_f32 v[34:35], v[28:29], v[12:13] neg_lo:[0,1] neg_hi:[0,1]
	v_mov_b32_e32 v20, v29
	v_mov_b32_e32 v28, v23
	;; [unrolled: 1-line block ×4, first 2 shown]
	v_pk_add_f32 v[20:21], v[20:21], v[28:29] neg_lo:[0,1] neg_hi:[0,1]
	v_mov_b32_e32 v26, v27
	v_mov_b32_e32 v27, v22
	v_pk_add_f32 v[20:21], v[26:27], v[20:21] neg_lo:[0,1] neg_hi:[0,1]
	v_mov_b32_e32 v34, v30
	v_pk_add_f32 v[22:23], v[34:35], v[20:21]
	v_mov_b32_e32 v26, v23
	v_pk_add_f32 v[26:27], v[22:23], v[26:27]
	v_pk_add_f32 v[24:25], v[24:25], v[26:27]
	v_mov_b32_e32 v23, v24
	v_pk_add_f32 v[28:29], v[22:23], v[30:31] neg_lo:[0,1] neg_hi:[0,1]
	v_mov_b32_e32 v21, v26
	v_sub_f32_e32 v13, v22, v28
	v_pk_add_f32 v[20:21], v[20:21], v[28:29] neg_lo:[0,1] neg_hi:[0,1]
	v_sub_f32_e32 v13, v30, v13
	v_add_f32_e32 v13, v20, v13
	v_cmp_eq_f32_e64 s[4:5], s28, v15
	s_mov_b32 s28, 0x33800000
	v_add_f32_e32 v13, v13, v21
	v_cmp_lt_f32_e64 s[28:29], |v15|, s28
	v_add_f32_e32 v13, v24, v13
	s_or_b64 s[4:5], s[4:5], s[28:29]
	v_cndmask_b32_e64 v13, v13, v15, s[4:5]
	v_add_f32_e32 v13, v14, v13
.LBB107_118:
	s_or_b64 exec, exec, s[26:27]
	v_add_u32_e32 v14, v18, v16
	s_waitcnt lgkmcnt(0)
	s_barrier
	ds_write2_b64 v14, v[2:3], v[0:1] offset1:1
	ds_write2_b64 v14, v[4:5], v[10:11] offset0:2 offset1:3
	ds_write2_b64 v14, v[6:7], v[8:9] offset0:4 offset1:5
	ds_write_b64 v14, v[12:13] offset:48
	s_waitcnt lgkmcnt(0)
	s_barrier
	ds_read2st64_b32 v[12:13], v18 offset0:2 offset1:4
	ds_read2st64_b32 v[10:11], v18 offset0:6 offset1:8
	ds_read2st64_b32 v[8:9], v18 offset0:10 offset1:12
	ds_read2st64_b32 v[6:7], v18 offset0:14 offset1:16
	ds_read2st64_b32 v[4:5], v18 offset0:18 offset1:20
	ds_read2st64_b32 v[2:3], v18 offset0:22 offset1:24
	ds_read_b32 v14, v18 offset:6656
	v_mov_b32_e32 v1, s63
	v_add_co_u32_e64 v0, s[4:5], s62, v18
	v_addc_co_u32_e64 v1, s[4:5], 0, v1, s[4:5]
	s_and_saveexec_b64 s[4:5], vcc
	s_cbranch_execnz .LBB107_133
; %bb.119:
	s_or_b64 exec, exec, s[4:5]
	s_and_saveexec_b64 s[4:5], s[0:1]
	s_cbranch_execnz .LBB107_134
.LBB107_120:
	s_or_b64 exec, exec, s[4:5]
	s_and_saveexec_b64 s[0:1], s[2:3]
	s_cbranch_execnz .LBB107_135
.LBB107_121:
	s_or_b64 exec, exec, s[0:1]
	s_and_saveexec_b64 s[0:1], s[56:57]
	s_cbranch_execnz .LBB107_136
.LBB107_122:
	s_or_b64 exec, exec, s[0:1]
	s_and_saveexec_b64 s[0:1], s[6:7]
	s_cbranch_execnz .LBB107_137
.LBB107_123:
	s_or_b64 exec, exec, s[0:1]
	s_and_saveexec_b64 s[0:1], s[8:9]
	s_cbranch_execnz .LBB107_138
.LBB107_124:
	s_or_b64 exec, exec, s[0:1]
	s_and_saveexec_b64 s[0:1], s[10:11]
	s_cbranch_execnz .LBB107_139
.LBB107_125:
	s_or_b64 exec, exec, s[0:1]
	s_and_saveexec_b64 s[0:1], s[12:13]
	s_cbranch_execnz .LBB107_140
.LBB107_126:
	s_or_b64 exec, exec, s[0:1]
	s_and_saveexec_b64 s[0:1], s[14:15]
	s_cbranch_execnz .LBB107_141
.LBB107_127:
	s_or_b64 exec, exec, s[0:1]
	s_and_saveexec_b64 s[0:1], s[16:17]
	s_cbranch_execnz .LBB107_142
.LBB107_128:
	s_or_b64 exec, exec, s[0:1]
	s_and_saveexec_b64 s[0:1], s[18:19]
	s_cbranch_execnz .LBB107_143
.LBB107_129:
	s_or_b64 exec, exec, s[0:1]
	s_and_saveexec_b64 s[0:1], s[20:21]
	s_cbranch_execnz .LBB107_144
.LBB107_130:
	s_or_b64 exec, exec, s[0:1]
	s_and_saveexec_b64 s[0:1], s[22:23]
	s_cbranch_execnz .LBB107_145
.LBB107_131:
	s_or_b64 exec, exec, s[0:1]
	s_and_saveexec_b64 s[0:1], s[24:25]
	s_cbranch_execnz .LBB107_146
.LBB107_132:
	s_endpgm
.LBB107_133:
	ds_read_b32 v15, v18
	s_waitcnt lgkmcnt(0)
	global_store_dword v[0:1], v15, off
	s_or_b64 exec, exec, s[4:5]
	s_and_saveexec_b64 s[4:5], s[0:1]
	s_cbranch_execz .LBB107_120
.LBB107_134:
	s_waitcnt lgkmcnt(6)
	global_store_dword v[0:1], v12, off offset:512
	s_or_b64 exec, exec, s[4:5]
	s_and_saveexec_b64 s[0:1], s[2:3]
	s_cbranch_execz .LBB107_121
.LBB107_135:
	s_waitcnt lgkmcnt(6)
	global_store_dword v[0:1], v13, off offset:1024
	s_or_b64 exec, exec, s[0:1]
	s_and_saveexec_b64 s[0:1], s[56:57]
	s_cbranch_execz .LBB107_122
.LBB107_136:
	s_waitcnt lgkmcnt(5)
	global_store_dword v[0:1], v10, off offset:1536
	s_or_b64 exec, exec, s[0:1]
	s_and_saveexec_b64 s[0:1], s[6:7]
	s_cbranch_execz .LBB107_123
.LBB107_137:
	s_waitcnt lgkmcnt(5)
	global_store_dword v[0:1], v11, off offset:2048
	s_or_b64 exec, exec, s[0:1]
	s_and_saveexec_b64 s[0:1], s[8:9]
	s_cbranch_execz .LBB107_124
.LBB107_138:
	s_waitcnt lgkmcnt(4)
	global_store_dword v[0:1], v8, off offset:2560
	s_or_b64 exec, exec, s[0:1]
	s_and_saveexec_b64 s[0:1], s[10:11]
	s_cbranch_execz .LBB107_125
.LBB107_139:
	s_waitcnt lgkmcnt(4)
	global_store_dword v[0:1], v9, off offset:3072
	s_or_b64 exec, exec, s[0:1]
	s_and_saveexec_b64 s[0:1], s[12:13]
	s_cbranch_execz .LBB107_126
.LBB107_140:
	s_waitcnt lgkmcnt(3)
	global_store_dword v[0:1], v6, off offset:3584
	s_or_b64 exec, exec, s[0:1]
	s_and_saveexec_b64 s[0:1], s[14:15]
	s_cbranch_execz .LBB107_127
.LBB107_141:
	s_waitcnt lgkmcnt(4)
	v_add_co_u32_e32 v8, vcc, 0x1000, v0
	v_addc_co_u32_e32 v9, vcc, 0, v1, vcc
	s_waitcnt lgkmcnt(3)
	global_store_dword v[8:9], v7, off
	s_or_b64 exec, exec, s[0:1]
	s_and_saveexec_b64 s[0:1], s[16:17]
	s_cbranch_execz .LBB107_128
.LBB107_142:
	s_waitcnt lgkmcnt(3)
	v_add_co_u32_e32 v6, vcc, 0x1000, v0
	v_addc_co_u32_e32 v7, vcc, 0, v1, vcc
	s_waitcnt lgkmcnt(2)
	global_store_dword v[6:7], v4, off offset:512
	s_or_b64 exec, exec, s[0:1]
	s_and_saveexec_b64 s[0:1], s[18:19]
	s_cbranch_execz .LBB107_129
.LBB107_143:
	s_waitcnt lgkmcnt(3)
	v_add_co_u32_e32 v6, vcc, 0x1000, v0
	v_addc_co_u32_e32 v7, vcc, 0, v1, vcc
	s_waitcnt lgkmcnt(2)
	global_store_dword v[6:7], v5, off offset:1024
	s_or_b64 exec, exec, s[0:1]
	s_and_saveexec_b64 s[0:1], s[20:21]
	s_cbranch_execz .LBB107_130
.LBB107_144:
	s_waitcnt lgkmcnt(2)
	v_add_co_u32_e32 v4, vcc, 0x1000, v0
	v_addc_co_u32_e32 v5, vcc, 0, v1, vcc
	s_waitcnt lgkmcnt(1)
	global_store_dword v[4:5], v2, off offset:1536
	s_or_b64 exec, exec, s[0:1]
	s_and_saveexec_b64 s[0:1], s[22:23]
	s_cbranch_execz .LBB107_131
.LBB107_145:
	s_waitcnt lgkmcnt(2)
	v_add_co_u32_e32 v4, vcc, 0x1000, v0
	v_addc_co_u32_e32 v5, vcc, 0, v1, vcc
	s_waitcnt lgkmcnt(1)
	global_store_dword v[4:5], v3, off offset:2048
	s_or_b64 exec, exec, s[0:1]
	s_and_saveexec_b64 s[0:1], s[24:25]
	s_cbranch_execz .LBB107_132
.LBB107_146:
	v_add_co_u32_e32 v0, vcc, 0x1000, v0
	v_addc_co_u32_e32 v1, vcc, 0, v1, vcc
	s_waitcnt lgkmcnt(0)
	global_store_dword v[0:1], v14, off offset:2560
	s_endpgm
	.section	.rodata,"a",@progbits
	.p2align	6, 0x0
	.amdhsa_kernel _ZN7rocprim17ROCPRIM_400000_NS6detail17trampoline_kernelINS0_14default_configENS1_20scan_config_selectorIfEEZZNS1_9scan_implILNS1_25lookback_scan_determinismE0ELb0ELb0ES3_PKfPffZZZN2at6native31launch_logcumsumexp_cuda_kernelERKNSB_10TensorBaseESF_lENKUlvE_clEvENKUlvE0_clEvEUlffE_fEEDaPvRmT3_T4_T5_mT6_P12ihipStream_tbENKUlT_T0_E_clISt17integral_constantIbLb0EESW_EEDaSR_SS_EUlSR_E0_NS1_11comp_targetILNS1_3genE4ELNS1_11target_archE910ELNS1_3gpuE8ELNS1_3repE0EEENS1_30default_config_static_selectorELNS0_4arch9wavefront6targetE1EEEvT1_
		.amdhsa_group_segment_fixed_size 7168
		.amdhsa_private_segment_fixed_size 0
		.amdhsa_kernarg_size 32
		.amdhsa_user_sgpr_count 6
		.amdhsa_user_sgpr_private_segment_buffer 1
		.amdhsa_user_sgpr_dispatch_ptr 0
		.amdhsa_user_sgpr_queue_ptr 0
		.amdhsa_user_sgpr_kernarg_segment_ptr 1
		.amdhsa_user_sgpr_dispatch_id 0
		.amdhsa_user_sgpr_flat_scratch_init 0
		.amdhsa_user_sgpr_kernarg_preload_length 0
		.amdhsa_user_sgpr_kernarg_preload_offset 0
		.amdhsa_user_sgpr_private_segment_size 0
		.amdhsa_uses_dynamic_stack 0
		.amdhsa_system_sgpr_private_segment_wavefront_offset 0
		.amdhsa_system_sgpr_workgroup_id_x 1
		.amdhsa_system_sgpr_workgroup_id_y 0
		.amdhsa_system_sgpr_workgroup_id_z 0
		.amdhsa_system_sgpr_workgroup_info 0
		.amdhsa_system_vgpr_workitem_id 0
		.amdhsa_next_free_vgpr 57
		.amdhsa_next_free_sgpr 70
		.amdhsa_accum_offset 60
		.amdhsa_reserve_vcc 1
		.amdhsa_reserve_flat_scratch 0
		.amdhsa_float_round_mode_32 0
		.amdhsa_float_round_mode_16_64 0
		.amdhsa_float_denorm_mode_32 3
		.amdhsa_float_denorm_mode_16_64 3
		.amdhsa_dx10_clamp 1
		.amdhsa_ieee_mode 1
		.amdhsa_fp16_overflow 0
		.amdhsa_tg_split 0
		.amdhsa_exception_fp_ieee_invalid_op 0
		.amdhsa_exception_fp_denorm_src 0
		.amdhsa_exception_fp_ieee_div_zero 0
		.amdhsa_exception_fp_ieee_overflow 0
		.amdhsa_exception_fp_ieee_underflow 0
		.amdhsa_exception_fp_ieee_inexact 0
		.amdhsa_exception_int_div_zero 0
	.end_amdhsa_kernel
	.section	.text._ZN7rocprim17ROCPRIM_400000_NS6detail17trampoline_kernelINS0_14default_configENS1_20scan_config_selectorIfEEZZNS1_9scan_implILNS1_25lookback_scan_determinismE0ELb0ELb0ES3_PKfPffZZZN2at6native31launch_logcumsumexp_cuda_kernelERKNSB_10TensorBaseESF_lENKUlvE_clEvENKUlvE0_clEvEUlffE_fEEDaPvRmT3_T4_T5_mT6_P12ihipStream_tbENKUlT_T0_E_clISt17integral_constantIbLb0EESW_EEDaSR_SS_EUlSR_E0_NS1_11comp_targetILNS1_3genE4ELNS1_11target_archE910ELNS1_3gpuE8ELNS1_3repE0EEENS1_30default_config_static_selectorELNS0_4arch9wavefront6targetE1EEEvT1_,"axG",@progbits,_ZN7rocprim17ROCPRIM_400000_NS6detail17trampoline_kernelINS0_14default_configENS1_20scan_config_selectorIfEEZZNS1_9scan_implILNS1_25lookback_scan_determinismE0ELb0ELb0ES3_PKfPffZZZN2at6native31launch_logcumsumexp_cuda_kernelERKNSB_10TensorBaseESF_lENKUlvE_clEvENKUlvE0_clEvEUlffE_fEEDaPvRmT3_T4_T5_mT6_P12ihipStream_tbENKUlT_T0_E_clISt17integral_constantIbLb0EESW_EEDaSR_SS_EUlSR_E0_NS1_11comp_targetILNS1_3genE4ELNS1_11target_archE910ELNS1_3gpuE8ELNS1_3repE0EEENS1_30default_config_static_selectorELNS0_4arch9wavefront6targetE1EEEvT1_,comdat
.Lfunc_end107:
	.size	_ZN7rocprim17ROCPRIM_400000_NS6detail17trampoline_kernelINS0_14default_configENS1_20scan_config_selectorIfEEZZNS1_9scan_implILNS1_25lookback_scan_determinismE0ELb0ELb0ES3_PKfPffZZZN2at6native31launch_logcumsumexp_cuda_kernelERKNSB_10TensorBaseESF_lENKUlvE_clEvENKUlvE0_clEvEUlffE_fEEDaPvRmT3_T4_T5_mT6_P12ihipStream_tbENKUlT_T0_E_clISt17integral_constantIbLb0EESW_EEDaSR_SS_EUlSR_E0_NS1_11comp_targetILNS1_3genE4ELNS1_11target_archE910ELNS1_3gpuE8ELNS1_3repE0EEENS1_30default_config_static_selectorELNS0_4arch9wavefront6targetE1EEEvT1_, .Lfunc_end107-_ZN7rocprim17ROCPRIM_400000_NS6detail17trampoline_kernelINS0_14default_configENS1_20scan_config_selectorIfEEZZNS1_9scan_implILNS1_25lookback_scan_determinismE0ELb0ELb0ES3_PKfPffZZZN2at6native31launch_logcumsumexp_cuda_kernelERKNSB_10TensorBaseESF_lENKUlvE_clEvENKUlvE0_clEvEUlffE_fEEDaPvRmT3_T4_T5_mT6_P12ihipStream_tbENKUlT_T0_E_clISt17integral_constantIbLb0EESW_EEDaSR_SS_EUlSR_E0_NS1_11comp_targetILNS1_3genE4ELNS1_11target_archE910ELNS1_3gpuE8ELNS1_3repE0EEENS1_30default_config_static_selectorELNS0_4arch9wavefront6targetE1EEEvT1_
                                        ; -- End function
	.section	.AMDGPU.csdata,"",@progbits
; Kernel info:
; codeLenInByte = 33048
; NumSgprs: 74
; NumVgprs: 57
; NumAgprs: 0
; TotalNumVgprs: 57
; ScratchSize: 0
; MemoryBound: 0
; FloatMode: 240
; IeeeMode: 1
; LDSByteSize: 7168 bytes/workgroup (compile time only)
; SGPRBlocks: 9
; VGPRBlocks: 7
; NumSGPRsForWavesPerEU: 74
; NumVGPRsForWavesPerEU: 57
; AccumOffset: 60
; Occupancy: 5
; WaveLimiterHint : 0
; COMPUTE_PGM_RSRC2:SCRATCH_EN: 0
; COMPUTE_PGM_RSRC2:USER_SGPR: 6
; COMPUTE_PGM_RSRC2:TRAP_HANDLER: 0
; COMPUTE_PGM_RSRC2:TGID_X_EN: 1
; COMPUTE_PGM_RSRC2:TGID_Y_EN: 0
; COMPUTE_PGM_RSRC2:TGID_Z_EN: 0
; COMPUTE_PGM_RSRC2:TIDIG_COMP_CNT: 0
; COMPUTE_PGM_RSRC3_GFX90A:ACCUM_OFFSET: 14
; COMPUTE_PGM_RSRC3_GFX90A:TG_SPLIT: 0
	.section	.text._ZN7rocprim17ROCPRIM_400000_NS6detail17trampoline_kernelINS0_14default_configENS1_20scan_config_selectorIfEEZZNS1_9scan_implILNS1_25lookback_scan_determinismE0ELb0ELb0ES3_PKfPffZZZN2at6native31launch_logcumsumexp_cuda_kernelERKNSB_10TensorBaseESF_lENKUlvE_clEvENKUlvE0_clEvEUlffE_fEEDaPvRmT3_T4_T5_mT6_P12ihipStream_tbENKUlT_T0_E_clISt17integral_constantIbLb0EESW_EEDaSR_SS_EUlSR_E0_NS1_11comp_targetILNS1_3genE3ELNS1_11target_archE908ELNS1_3gpuE7ELNS1_3repE0EEENS1_30default_config_static_selectorELNS0_4arch9wavefront6targetE1EEEvT1_,"axG",@progbits,_ZN7rocprim17ROCPRIM_400000_NS6detail17trampoline_kernelINS0_14default_configENS1_20scan_config_selectorIfEEZZNS1_9scan_implILNS1_25lookback_scan_determinismE0ELb0ELb0ES3_PKfPffZZZN2at6native31launch_logcumsumexp_cuda_kernelERKNSB_10TensorBaseESF_lENKUlvE_clEvENKUlvE0_clEvEUlffE_fEEDaPvRmT3_T4_T5_mT6_P12ihipStream_tbENKUlT_T0_E_clISt17integral_constantIbLb0EESW_EEDaSR_SS_EUlSR_E0_NS1_11comp_targetILNS1_3genE3ELNS1_11target_archE908ELNS1_3gpuE7ELNS1_3repE0EEENS1_30default_config_static_selectorELNS0_4arch9wavefront6targetE1EEEvT1_,comdat
	.globl	_ZN7rocprim17ROCPRIM_400000_NS6detail17trampoline_kernelINS0_14default_configENS1_20scan_config_selectorIfEEZZNS1_9scan_implILNS1_25lookback_scan_determinismE0ELb0ELb0ES3_PKfPffZZZN2at6native31launch_logcumsumexp_cuda_kernelERKNSB_10TensorBaseESF_lENKUlvE_clEvENKUlvE0_clEvEUlffE_fEEDaPvRmT3_T4_T5_mT6_P12ihipStream_tbENKUlT_T0_E_clISt17integral_constantIbLb0EESW_EEDaSR_SS_EUlSR_E0_NS1_11comp_targetILNS1_3genE3ELNS1_11target_archE908ELNS1_3gpuE7ELNS1_3repE0EEENS1_30default_config_static_selectorELNS0_4arch9wavefront6targetE1EEEvT1_ ; -- Begin function _ZN7rocprim17ROCPRIM_400000_NS6detail17trampoline_kernelINS0_14default_configENS1_20scan_config_selectorIfEEZZNS1_9scan_implILNS1_25lookback_scan_determinismE0ELb0ELb0ES3_PKfPffZZZN2at6native31launch_logcumsumexp_cuda_kernelERKNSB_10TensorBaseESF_lENKUlvE_clEvENKUlvE0_clEvEUlffE_fEEDaPvRmT3_T4_T5_mT6_P12ihipStream_tbENKUlT_T0_E_clISt17integral_constantIbLb0EESW_EEDaSR_SS_EUlSR_E0_NS1_11comp_targetILNS1_3genE3ELNS1_11target_archE908ELNS1_3gpuE7ELNS1_3repE0EEENS1_30default_config_static_selectorELNS0_4arch9wavefront6targetE1EEEvT1_
	.p2align	8
	.type	_ZN7rocprim17ROCPRIM_400000_NS6detail17trampoline_kernelINS0_14default_configENS1_20scan_config_selectorIfEEZZNS1_9scan_implILNS1_25lookback_scan_determinismE0ELb0ELb0ES3_PKfPffZZZN2at6native31launch_logcumsumexp_cuda_kernelERKNSB_10TensorBaseESF_lENKUlvE_clEvENKUlvE0_clEvEUlffE_fEEDaPvRmT3_T4_T5_mT6_P12ihipStream_tbENKUlT_T0_E_clISt17integral_constantIbLb0EESW_EEDaSR_SS_EUlSR_E0_NS1_11comp_targetILNS1_3genE3ELNS1_11target_archE908ELNS1_3gpuE7ELNS1_3repE0EEENS1_30default_config_static_selectorELNS0_4arch9wavefront6targetE1EEEvT1_,@function
_ZN7rocprim17ROCPRIM_400000_NS6detail17trampoline_kernelINS0_14default_configENS1_20scan_config_selectorIfEEZZNS1_9scan_implILNS1_25lookback_scan_determinismE0ELb0ELb0ES3_PKfPffZZZN2at6native31launch_logcumsumexp_cuda_kernelERKNSB_10TensorBaseESF_lENKUlvE_clEvENKUlvE0_clEvEUlffE_fEEDaPvRmT3_T4_T5_mT6_P12ihipStream_tbENKUlT_T0_E_clISt17integral_constantIbLb0EESW_EEDaSR_SS_EUlSR_E0_NS1_11comp_targetILNS1_3genE3ELNS1_11target_archE908ELNS1_3gpuE7ELNS1_3repE0EEENS1_30default_config_static_selectorELNS0_4arch9wavefront6targetE1EEEvT1_: ; @_ZN7rocprim17ROCPRIM_400000_NS6detail17trampoline_kernelINS0_14default_configENS1_20scan_config_selectorIfEEZZNS1_9scan_implILNS1_25lookback_scan_determinismE0ELb0ELb0ES3_PKfPffZZZN2at6native31launch_logcumsumexp_cuda_kernelERKNSB_10TensorBaseESF_lENKUlvE_clEvENKUlvE0_clEvEUlffE_fEEDaPvRmT3_T4_T5_mT6_P12ihipStream_tbENKUlT_T0_E_clISt17integral_constantIbLb0EESW_EEDaSR_SS_EUlSR_E0_NS1_11comp_targetILNS1_3genE3ELNS1_11target_archE908ELNS1_3gpuE7ELNS1_3repE0EEENS1_30default_config_static_selectorELNS0_4arch9wavefront6targetE1EEEvT1_
; %bb.0:
	.section	.rodata,"a",@progbits
	.p2align	6, 0x0
	.amdhsa_kernel _ZN7rocprim17ROCPRIM_400000_NS6detail17trampoline_kernelINS0_14default_configENS1_20scan_config_selectorIfEEZZNS1_9scan_implILNS1_25lookback_scan_determinismE0ELb0ELb0ES3_PKfPffZZZN2at6native31launch_logcumsumexp_cuda_kernelERKNSB_10TensorBaseESF_lENKUlvE_clEvENKUlvE0_clEvEUlffE_fEEDaPvRmT3_T4_T5_mT6_P12ihipStream_tbENKUlT_T0_E_clISt17integral_constantIbLb0EESW_EEDaSR_SS_EUlSR_E0_NS1_11comp_targetILNS1_3genE3ELNS1_11target_archE908ELNS1_3gpuE7ELNS1_3repE0EEENS1_30default_config_static_selectorELNS0_4arch9wavefront6targetE1EEEvT1_
		.amdhsa_group_segment_fixed_size 0
		.amdhsa_private_segment_fixed_size 0
		.amdhsa_kernarg_size 32
		.amdhsa_user_sgpr_count 6
		.amdhsa_user_sgpr_private_segment_buffer 1
		.amdhsa_user_sgpr_dispatch_ptr 0
		.amdhsa_user_sgpr_queue_ptr 0
		.amdhsa_user_sgpr_kernarg_segment_ptr 1
		.amdhsa_user_sgpr_dispatch_id 0
		.amdhsa_user_sgpr_flat_scratch_init 0
		.amdhsa_user_sgpr_kernarg_preload_length 0
		.amdhsa_user_sgpr_kernarg_preload_offset 0
		.amdhsa_user_sgpr_private_segment_size 0
		.amdhsa_uses_dynamic_stack 0
		.amdhsa_system_sgpr_private_segment_wavefront_offset 0
		.amdhsa_system_sgpr_workgroup_id_x 1
		.amdhsa_system_sgpr_workgroup_id_y 0
		.amdhsa_system_sgpr_workgroup_id_z 0
		.amdhsa_system_sgpr_workgroup_info 0
		.amdhsa_system_vgpr_workitem_id 0
		.amdhsa_next_free_vgpr 1
		.amdhsa_next_free_sgpr 0
		.amdhsa_accum_offset 4
		.amdhsa_reserve_vcc 0
		.amdhsa_reserve_flat_scratch 0
		.amdhsa_float_round_mode_32 0
		.amdhsa_float_round_mode_16_64 0
		.amdhsa_float_denorm_mode_32 3
		.amdhsa_float_denorm_mode_16_64 3
		.amdhsa_dx10_clamp 1
		.amdhsa_ieee_mode 1
		.amdhsa_fp16_overflow 0
		.amdhsa_tg_split 0
		.amdhsa_exception_fp_ieee_invalid_op 0
		.amdhsa_exception_fp_denorm_src 0
		.amdhsa_exception_fp_ieee_div_zero 0
		.amdhsa_exception_fp_ieee_overflow 0
		.amdhsa_exception_fp_ieee_underflow 0
		.amdhsa_exception_fp_ieee_inexact 0
		.amdhsa_exception_int_div_zero 0
	.end_amdhsa_kernel
	.section	.text._ZN7rocprim17ROCPRIM_400000_NS6detail17trampoline_kernelINS0_14default_configENS1_20scan_config_selectorIfEEZZNS1_9scan_implILNS1_25lookback_scan_determinismE0ELb0ELb0ES3_PKfPffZZZN2at6native31launch_logcumsumexp_cuda_kernelERKNSB_10TensorBaseESF_lENKUlvE_clEvENKUlvE0_clEvEUlffE_fEEDaPvRmT3_T4_T5_mT6_P12ihipStream_tbENKUlT_T0_E_clISt17integral_constantIbLb0EESW_EEDaSR_SS_EUlSR_E0_NS1_11comp_targetILNS1_3genE3ELNS1_11target_archE908ELNS1_3gpuE7ELNS1_3repE0EEENS1_30default_config_static_selectorELNS0_4arch9wavefront6targetE1EEEvT1_,"axG",@progbits,_ZN7rocprim17ROCPRIM_400000_NS6detail17trampoline_kernelINS0_14default_configENS1_20scan_config_selectorIfEEZZNS1_9scan_implILNS1_25lookback_scan_determinismE0ELb0ELb0ES3_PKfPffZZZN2at6native31launch_logcumsumexp_cuda_kernelERKNSB_10TensorBaseESF_lENKUlvE_clEvENKUlvE0_clEvEUlffE_fEEDaPvRmT3_T4_T5_mT6_P12ihipStream_tbENKUlT_T0_E_clISt17integral_constantIbLb0EESW_EEDaSR_SS_EUlSR_E0_NS1_11comp_targetILNS1_3genE3ELNS1_11target_archE908ELNS1_3gpuE7ELNS1_3repE0EEENS1_30default_config_static_selectorELNS0_4arch9wavefront6targetE1EEEvT1_,comdat
.Lfunc_end108:
	.size	_ZN7rocprim17ROCPRIM_400000_NS6detail17trampoline_kernelINS0_14default_configENS1_20scan_config_selectorIfEEZZNS1_9scan_implILNS1_25lookback_scan_determinismE0ELb0ELb0ES3_PKfPffZZZN2at6native31launch_logcumsumexp_cuda_kernelERKNSB_10TensorBaseESF_lENKUlvE_clEvENKUlvE0_clEvEUlffE_fEEDaPvRmT3_T4_T5_mT6_P12ihipStream_tbENKUlT_T0_E_clISt17integral_constantIbLb0EESW_EEDaSR_SS_EUlSR_E0_NS1_11comp_targetILNS1_3genE3ELNS1_11target_archE908ELNS1_3gpuE7ELNS1_3repE0EEENS1_30default_config_static_selectorELNS0_4arch9wavefront6targetE1EEEvT1_, .Lfunc_end108-_ZN7rocprim17ROCPRIM_400000_NS6detail17trampoline_kernelINS0_14default_configENS1_20scan_config_selectorIfEEZZNS1_9scan_implILNS1_25lookback_scan_determinismE0ELb0ELb0ES3_PKfPffZZZN2at6native31launch_logcumsumexp_cuda_kernelERKNSB_10TensorBaseESF_lENKUlvE_clEvENKUlvE0_clEvEUlffE_fEEDaPvRmT3_T4_T5_mT6_P12ihipStream_tbENKUlT_T0_E_clISt17integral_constantIbLb0EESW_EEDaSR_SS_EUlSR_E0_NS1_11comp_targetILNS1_3genE3ELNS1_11target_archE908ELNS1_3gpuE7ELNS1_3repE0EEENS1_30default_config_static_selectorELNS0_4arch9wavefront6targetE1EEEvT1_
                                        ; -- End function
	.section	.AMDGPU.csdata,"",@progbits
; Kernel info:
; codeLenInByte = 0
; NumSgprs: 4
; NumVgprs: 0
; NumAgprs: 0
; TotalNumVgprs: 0
; ScratchSize: 0
; MemoryBound: 0
; FloatMode: 240
; IeeeMode: 1
; LDSByteSize: 0 bytes/workgroup (compile time only)
; SGPRBlocks: 0
; VGPRBlocks: 0
; NumSGPRsForWavesPerEU: 4
; NumVGPRsForWavesPerEU: 1
; AccumOffset: 4
; Occupancy: 8
; WaveLimiterHint : 0
; COMPUTE_PGM_RSRC2:SCRATCH_EN: 0
; COMPUTE_PGM_RSRC2:USER_SGPR: 6
; COMPUTE_PGM_RSRC2:TRAP_HANDLER: 0
; COMPUTE_PGM_RSRC2:TGID_X_EN: 1
; COMPUTE_PGM_RSRC2:TGID_Y_EN: 0
; COMPUTE_PGM_RSRC2:TGID_Z_EN: 0
; COMPUTE_PGM_RSRC2:TIDIG_COMP_CNT: 0
; COMPUTE_PGM_RSRC3_GFX90A:ACCUM_OFFSET: 0
; COMPUTE_PGM_RSRC3_GFX90A:TG_SPLIT: 0
	.section	.text._ZN7rocprim17ROCPRIM_400000_NS6detail17trampoline_kernelINS0_14default_configENS1_20scan_config_selectorIfEEZZNS1_9scan_implILNS1_25lookback_scan_determinismE0ELb0ELb0ES3_PKfPffZZZN2at6native31launch_logcumsumexp_cuda_kernelERKNSB_10TensorBaseESF_lENKUlvE_clEvENKUlvE0_clEvEUlffE_fEEDaPvRmT3_T4_T5_mT6_P12ihipStream_tbENKUlT_T0_E_clISt17integral_constantIbLb0EESW_EEDaSR_SS_EUlSR_E0_NS1_11comp_targetILNS1_3genE2ELNS1_11target_archE906ELNS1_3gpuE6ELNS1_3repE0EEENS1_30default_config_static_selectorELNS0_4arch9wavefront6targetE1EEEvT1_,"axG",@progbits,_ZN7rocprim17ROCPRIM_400000_NS6detail17trampoline_kernelINS0_14default_configENS1_20scan_config_selectorIfEEZZNS1_9scan_implILNS1_25lookback_scan_determinismE0ELb0ELb0ES3_PKfPffZZZN2at6native31launch_logcumsumexp_cuda_kernelERKNSB_10TensorBaseESF_lENKUlvE_clEvENKUlvE0_clEvEUlffE_fEEDaPvRmT3_T4_T5_mT6_P12ihipStream_tbENKUlT_T0_E_clISt17integral_constantIbLb0EESW_EEDaSR_SS_EUlSR_E0_NS1_11comp_targetILNS1_3genE2ELNS1_11target_archE906ELNS1_3gpuE6ELNS1_3repE0EEENS1_30default_config_static_selectorELNS0_4arch9wavefront6targetE1EEEvT1_,comdat
	.globl	_ZN7rocprim17ROCPRIM_400000_NS6detail17trampoline_kernelINS0_14default_configENS1_20scan_config_selectorIfEEZZNS1_9scan_implILNS1_25lookback_scan_determinismE0ELb0ELb0ES3_PKfPffZZZN2at6native31launch_logcumsumexp_cuda_kernelERKNSB_10TensorBaseESF_lENKUlvE_clEvENKUlvE0_clEvEUlffE_fEEDaPvRmT3_T4_T5_mT6_P12ihipStream_tbENKUlT_T0_E_clISt17integral_constantIbLb0EESW_EEDaSR_SS_EUlSR_E0_NS1_11comp_targetILNS1_3genE2ELNS1_11target_archE906ELNS1_3gpuE6ELNS1_3repE0EEENS1_30default_config_static_selectorELNS0_4arch9wavefront6targetE1EEEvT1_ ; -- Begin function _ZN7rocprim17ROCPRIM_400000_NS6detail17trampoline_kernelINS0_14default_configENS1_20scan_config_selectorIfEEZZNS1_9scan_implILNS1_25lookback_scan_determinismE0ELb0ELb0ES3_PKfPffZZZN2at6native31launch_logcumsumexp_cuda_kernelERKNSB_10TensorBaseESF_lENKUlvE_clEvENKUlvE0_clEvEUlffE_fEEDaPvRmT3_T4_T5_mT6_P12ihipStream_tbENKUlT_T0_E_clISt17integral_constantIbLb0EESW_EEDaSR_SS_EUlSR_E0_NS1_11comp_targetILNS1_3genE2ELNS1_11target_archE906ELNS1_3gpuE6ELNS1_3repE0EEENS1_30default_config_static_selectorELNS0_4arch9wavefront6targetE1EEEvT1_
	.p2align	8
	.type	_ZN7rocprim17ROCPRIM_400000_NS6detail17trampoline_kernelINS0_14default_configENS1_20scan_config_selectorIfEEZZNS1_9scan_implILNS1_25lookback_scan_determinismE0ELb0ELb0ES3_PKfPffZZZN2at6native31launch_logcumsumexp_cuda_kernelERKNSB_10TensorBaseESF_lENKUlvE_clEvENKUlvE0_clEvEUlffE_fEEDaPvRmT3_T4_T5_mT6_P12ihipStream_tbENKUlT_T0_E_clISt17integral_constantIbLb0EESW_EEDaSR_SS_EUlSR_E0_NS1_11comp_targetILNS1_3genE2ELNS1_11target_archE906ELNS1_3gpuE6ELNS1_3repE0EEENS1_30default_config_static_selectorELNS0_4arch9wavefront6targetE1EEEvT1_,@function
_ZN7rocprim17ROCPRIM_400000_NS6detail17trampoline_kernelINS0_14default_configENS1_20scan_config_selectorIfEEZZNS1_9scan_implILNS1_25lookback_scan_determinismE0ELb0ELb0ES3_PKfPffZZZN2at6native31launch_logcumsumexp_cuda_kernelERKNSB_10TensorBaseESF_lENKUlvE_clEvENKUlvE0_clEvEUlffE_fEEDaPvRmT3_T4_T5_mT6_P12ihipStream_tbENKUlT_T0_E_clISt17integral_constantIbLb0EESW_EEDaSR_SS_EUlSR_E0_NS1_11comp_targetILNS1_3genE2ELNS1_11target_archE906ELNS1_3gpuE6ELNS1_3repE0EEENS1_30default_config_static_selectorELNS0_4arch9wavefront6targetE1EEEvT1_: ; @_ZN7rocprim17ROCPRIM_400000_NS6detail17trampoline_kernelINS0_14default_configENS1_20scan_config_selectorIfEEZZNS1_9scan_implILNS1_25lookback_scan_determinismE0ELb0ELb0ES3_PKfPffZZZN2at6native31launch_logcumsumexp_cuda_kernelERKNSB_10TensorBaseESF_lENKUlvE_clEvENKUlvE0_clEvEUlffE_fEEDaPvRmT3_T4_T5_mT6_P12ihipStream_tbENKUlT_T0_E_clISt17integral_constantIbLb0EESW_EEDaSR_SS_EUlSR_E0_NS1_11comp_targetILNS1_3genE2ELNS1_11target_archE906ELNS1_3gpuE6ELNS1_3repE0EEENS1_30default_config_static_selectorELNS0_4arch9wavefront6targetE1EEEvT1_
; %bb.0:
	.section	.rodata,"a",@progbits
	.p2align	6, 0x0
	.amdhsa_kernel _ZN7rocprim17ROCPRIM_400000_NS6detail17trampoline_kernelINS0_14default_configENS1_20scan_config_selectorIfEEZZNS1_9scan_implILNS1_25lookback_scan_determinismE0ELb0ELb0ES3_PKfPffZZZN2at6native31launch_logcumsumexp_cuda_kernelERKNSB_10TensorBaseESF_lENKUlvE_clEvENKUlvE0_clEvEUlffE_fEEDaPvRmT3_T4_T5_mT6_P12ihipStream_tbENKUlT_T0_E_clISt17integral_constantIbLb0EESW_EEDaSR_SS_EUlSR_E0_NS1_11comp_targetILNS1_3genE2ELNS1_11target_archE906ELNS1_3gpuE6ELNS1_3repE0EEENS1_30default_config_static_selectorELNS0_4arch9wavefront6targetE1EEEvT1_
		.amdhsa_group_segment_fixed_size 0
		.amdhsa_private_segment_fixed_size 0
		.amdhsa_kernarg_size 32
		.amdhsa_user_sgpr_count 6
		.amdhsa_user_sgpr_private_segment_buffer 1
		.amdhsa_user_sgpr_dispatch_ptr 0
		.amdhsa_user_sgpr_queue_ptr 0
		.amdhsa_user_sgpr_kernarg_segment_ptr 1
		.amdhsa_user_sgpr_dispatch_id 0
		.amdhsa_user_sgpr_flat_scratch_init 0
		.amdhsa_user_sgpr_kernarg_preload_length 0
		.amdhsa_user_sgpr_kernarg_preload_offset 0
		.amdhsa_user_sgpr_private_segment_size 0
		.amdhsa_uses_dynamic_stack 0
		.amdhsa_system_sgpr_private_segment_wavefront_offset 0
		.amdhsa_system_sgpr_workgroup_id_x 1
		.amdhsa_system_sgpr_workgroup_id_y 0
		.amdhsa_system_sgpr_workgroup_id_z 0
		.amdhsa_system_sgpr_workgroup_info 0
		.amdhsa_system_vgpr_workitem_id 0
		.amdhsa_next_free_vgpr 1
		.amdhsa_next_free_sgpr 0
		.amdhsa_accum_offset 4
		.amdhsa_reserve_vcc 0
		.amdhsa_reserve_flat_scratch 0
		.amdhsa_float_round_mode_32 0
		.amdhsa_float_round_mode_16_64 0
		.amdhsa_float_denorm_mode_32 3
		.amdhsa_float_denorm_mode_16_64 3
		.amdhsa_dx10_clamp 1
		.amdhsa_ieee_mode 1
		.amdhsa_fp16_overflow 0
		.amdhsa_tg_split 0
		.amdhsa_exception_fp_ieee_invalid_op 0
		.amdhsa_exception_fp_denorm_src 0
		.amdhsa_exception_fp_ieee_div_zero 0
		.amdhsa_exception_fp_ieee_overflow 0
		.amdhsa_exception_fp_ieee_underflow 0
		.amdhsa_exception_fp_ieee_inexact 0
		.amdhsa_exception_int_div_zero 0
	.end_amdhsa_kernel
	.section	.text._ZN7rocprim17ROCPRIM_400000_NS6detail17trampoline_kernelINS0_14default_configENS1_20scan_config_selectorIfEEZZNS1_9scan_implILNS1_25lookback_scan_determinismE0ELb0ELb0ES3_PKfPffZZZN2at6native31launch_logcumsumexp_cuda_kernelERKNSB_10TensorBaseESF_lENKUlvE_clEvENKUlvE0_clEvEUlffE_fEEDaPvRmT3_T4_T5_mT6_P12ihipStream_tbENKUlT_T0_E_clISt17integral_constantIbLb0EESW_EEDaSR_SS_EUlSR_E0_NS1_11comp_targetILNS1_3genE2ELNS1_11target_archE906ELNS1_3gpuE6ELNS1_3repE0EEENS1_30default_config_static_selectorELNS0_4arch9wavefront6targetE1EEEvT1_,"axG",@progbits,_ZN7rocprim17ROCPRIM_400000_NS6detail17trampoline_kernelINS0_14default_configENS1_20scan_config_selectorIfEEZZNS1_9scan_implILNS1_25lookback_scan_determinismE0ELb0ELb0ES3_PKfPffZZZN2at6native31launch_logcumsumexp_cuda_kernelERKNSB_10TensorBaseESF_lENKUlvE_clEvENKUlvE0_clEvEUlffE_fEEDaPvRmT3_T4_T5_mT6_P12ihipStream_tbENKUlT_T0_E_clISt17integral_constantIbLb0EESW_EEDaSR_SS_EUlSR_E0_NS1_11comp_targetILNS1_3genE2ELNS1_11target_archE906ELNS1_3gpuE6ELNS1_3repE0EEENS1_30default_config_static_selectorELNS0_4arch9wavefront6targetE1EEEvT1_,comdat
.Lfunc_end109:
	.size	_ZN7rocprim17ROCPRIM_400000_NS6detail17trampoline_kernelINS0_14default_configENS1_20scan_config_selectorIfEEZZNS1_9scan_implILNS1_25lookback_scan_determinismE0ELb0ELb0ES3_PKfPffZZZN2at6native31launch_logcumsumexp_cuda_kernelERKNSB_10TensorBaseESF_lENKUlvE_clEvENKUlvE0_clEvEUlffE_fEEDaPvRmT3_T4_T5_mT6_P12ihipStream_tbENKUlT_T0_E_clISt17integral_constantIbLb0EESW_EEDaSR_SS_EUlSR_E0_NS1_11comp_targetILNS1_3genE2ELNS1_11target_archE906ELNS1_3gpuE6ELNS1_3repE0EEENS1_30default_config_static_selectorELNS0_4arch9wavefront6targetE1EEEvT1_, .Lfunc_end109-_ZN7rocprim17ROCPRIM_400000_NS6detail17trampoline_kernelINS0_14default_configENS1_20scan_config_selectorIfEEZZNS1_9scan_implILNS1_25lookback_scan_determinismE0ELb0ELb0ES3_PKfPffZZZN2at6native31launch_logcumsumexp_cuda_kernelERKNSB_10TensorBaseESF_lENKUlvE_clEvENKUlvE0_clEvEUlffE_fEEDaPvRmT3_T4_T5_mT6_P12ihipStream_tbENKUlT_T0_E_clISt17integral_constantIbLb0EESW_EEDaSR_SS_EUlSR_E0_NS1_11comp_targetILNS1_3genE2ELNS1_11target_archE906ELNS1_3gpuE6ELNS1_3repE0EEENS1_30default_config_static_selectorELNS0_4arch9wavefront6targetE1EEEvT1_
                                        ; -- End function
	.section	.AMDGPU.csdata,"",@progbits
; Kernel info:
; codeLenInByte = 0
; NumSgprs: 4
; NumVgprs: 0
; NumAgprs: 0
; TotalNumVgprs: 0
; ScratchSize: 0
; MemoryBound: 0
; FloatMode: 240
; IeeeMode: 1
; LDSByteSize: 0 bytes/workgroup (compile time only)
; SGPRBlocks: 0
; VGPRBlocks: 0
; NumSGPRsForWavesPerEU: 4
; NumVGPRsForWavesPerEU: 1
; AccumOffset: 4
; Occupancy: 8
; WaveLimiterHint : 0
; COMPUTE_PGM_RSRC2:SCRATCH_EN: 0
; COMPUTE_PGM_RSRC2:USER_SGPR: 6
; COMPUTE_PGM_RSRC2:TRAP_HANDLER: 0
; COMPUTE_PGM_RSRC2:TGID_X_EN: 1
; COMPUTE_PGM_RSRC2:TGID_Y_EN: 0
; COMPUTE_PGM_RSRC2:TGID_Z_EN: 0
; COMPUTE_PGM_RSRC2:TIDIG_COMP_CNT: 0
; COMPUTE_PGM_RSRC3_GFX90A:ACCUM_OFFSET: 0
; COMPUTE_PGM_RSRC3_GFX90A:TG_SPLIT: 0
	.section	.text._ZN7rocprim17ROCPRIM_400000_NS6detail17trampoline_kernelINS0_14default_configENS1_20scan_config_selectorIfEEZZNS1_9scan_implILNS1_25lookback_scan_determinismE0ELb0ELb0ES3_PKfPffZZZN2at6native31launch_logcumsumexp_cuda_kernelERKNSB_10TensorBaseESF_lENKUlvE_clEvENKUlvE0_clEvEUlffE_fEEDaPvRmT3_T4_T5_mT6_P12ihipStream_tbENKUlT_T0_E_clISt17integral_constantIbLb0EESW_EEDaSR_SS_EUlSR_E0_NS1_11comp_targetILNS1_3genE10ELNS1_11target_archE1201ELNS1_3gpuE5ELNS1_3repE0EEENS1_30default_config_static_selectorELNS0_4arch9wavefront6targetE1EEEvT1_,"axG",@progbits,_ZN7rocprim17ROCPRIM_400000_NS6detail17trampoline_kernelINS0_14default_configENS1_20scan_config_selectorIfEEZZNS1_9scan_implILNS1_25lookback_scan_determinismE0ELb0ELb0ES3_PKfPffZZZN2at6native31launch_logcumsumexp_cuda_kernelERKNSB_10TensorBaseESF_lENKUlvE_clEvENKUlvE0_clEvEUlffE_fEEDaPvRmT3_T4_T5_mT6_P12ihipStream_tbENKUlT_T0_E_clISt17integral_constantIbLb0EESW_EEDaSR_SS_EUlSR_E0_NS1_11comp_targetILNS1_3genE10ELNS1_11target_archE1201ELNS1_3gpuE5ELNS1_3repE0EEENS1_30default_config_static_selectorELNS0_4arch9wavefront6targetE1EEEvT1_,comdat
	.globl	_ZN7rocprim17ROCPRIM_400000_NS6detail17trampoline_kernelINS0_14default_configENS1_20scan_config_selectorIfEEZZNS1_9scan_implILNS1_25lookback_scan_determinismE0ELb0ELb0ES3_PKfPffZZZN2at6native31launch_logcumsumexp_cuda_kernelERKNSB_10TensorBaseESF_lENKUlvE_clEvENKUlvE0_clEvEUlffE_fEEDaPvRmT3_T4_T5_mT6_P12ihipStream_tbENKUlT_T0_E_clISt17integral_constantIbLb0EESW_EEDaSR_SS_EUlSR_E0_NS1_11comp_targetILNS1_3genE10ELNS1_11target_archE1201ELNS1_3gpuE5ELNS1_3repE0EEENS1_30default_config_static_selectorELNS0_4arch9wavefront6targetE1EEEvT1_ ; -- Begin function _ZN7rocprim17ROCPRIM_400000_NS6detail17trampoline_kernelINS0_14default_configENS1_20scan_config_selectorIfEEZZNS1_9scan_implILNS1_25lookback_scan_determinismE0ELb0ELb0ES3_PKfPffZZZN2at6native31launch_logcumsumexp_cuda_kernelERKNSB_10TensorBaseESF_lENKUlvE_clEvENKUlvE0_clEvEUlffE_fEEDaPvRmT3_T4_T5_mT6_P12ihipStream_tbENKUlT_T0_E_clISt17integral_constantIbLb0EESW_EEDaSR_SS_EUlSR_E0_NS1_11comp_targetILNS1_3genE10ELNS1_11target_archE1201ELNS1_3gpuE5ELNS1_3repE0EEENS1_30default_config_static_selectorELNS0_4arch9wavefront6targetE1EEEvT1_
	.p2align	8
	.type	_ZN7rocprim17ROCPRIM_400000_NS6detail17trampoline_kernelINS0_14default_configENS1_20scan_config_selectorIfEEZZNS1_9scan_implILNS1_25lookback_scan_determinismE0ELb0ELb0ES3_PKfPffZZZN2at6native31launch_logcumsumexp_cuda_kernelERKNSB_10TensorBaseESF_lENKUlvE_clEvENKUlvE0_clEvEUlffE_fEEDaPvRmT3_T4_T5_mT6_P12ihipStream_tbENKUlT_T0_E_clISt17integral_constantIbLb0EESW_EEDaSR_SS_EUlSR_E0_NS1_11comp_targetILNS1_3genE10ELNS1_11target_archE1201ELNS1_3gpuE5ELNS1_3repE0EEENS1_30default_config_static_selectorELNS0_4arch9wavefront6targetE1EEEvT1_,@function
_ZN7rocprim17ROCPRIM_400000_NS6detail17trampoline_kernelINS0_14default_configENS1_20scan_config_selectorIfEEZZNS1_9scan_implILNS1_25lookback_scan_determinismE0ELb0ELb0ES3_PKfPffZZZN2at6native31launch_logcumsumexp_cuda_kernelERKNSB_10TensorBaseESF_lENKUlvE_clEvENKUlvE0_clEvEUlffE_fEEDaPvRmT3_T4_T5_mT6_P12ihipStream_tbENKUlT_T0_E_clISt17integral_constantIbLb0EESW_EEDaSR_SS_EUlSR_E0_NS1_11comp_targetILNS1_3genE10ELNS1_11target_archE1201ELNS1_3gpuE5ELNS1_3repE0EEENS1_30default_config_static_selectorELNS0_4arch9wavefront6targetE1EEEvT1_: ; @_ZN7rocprim17ROCPRIM_400000_NS6detail17trampoline_kernelINS0_14default_configENS1_20scan_config_selectorIfEEZZNS1_9scan_implILNS1_25lookback_scan_determinismE0ELb0ELb0ES3_PKfPffZZZN2at6native31launch_logcumsumexp_cuda_kernelERKNSB_10TensorBaseESF_lENKUlvE_clEvENKUlvE0_clEvEUlffE_fEEDaPvRmT3_T4_T5_mT6_P12ihipStream_tbENKUlT_T0_E_clISt17integral_constantIbLb0EESW_EEDaSR_SS_EUlSR_E0_NS1_11comp_targetILNS1_3genE10ELNS1_11target_archE1201ELNS1_3gpuE5ELNS1_3repE0EEENS1_30default_config_static_selectorELNS0_4arch9wavefront6targetE1EEEvT1_
; %bb.0:
	.section	.rodata,"a",@progbits
	.p2align	6, 0x0
	.amdhsa_kernel _ZN7rocprim17ROCPRIM_400000_NS6detail17trampoline_kernelINS0_14default_configENS1_20scan_config_selectorIfEEZZNS1_9scan_implILNS1_25lookback_scan_determinismE0ELb0ELb0ES3_PKfPffZZZN2at6native31launch_logcumsumexp_cuda_kernelERKNSB_10TensorBaseESF_lENKUlvE_clEvENKUlvE0_clEvEUlffE_fEEDaPvRmT3_T4_T5_mT6_P12ihipStream_tbENKUlT_T0_E_clISt17integral_constantIbLb0EESW_EEDaSR_SS_EUlSR_E0_NS1_11comp_targetILNS1_3genE10ELNS1_11target_archE1201ELNS1_3gpuE5ELNS1_3repE0EEENS1_30default_config_static_selectorELNS0_4arch9wavefront6targetE1EEEvT1_
		.amdhsa_group_segment_fixed_size 0
		.amdhsa_private_segment_fixed_size 0
		.amdhsa_kernarg_size 32
		.amdhsa_user_sgpr_count 6
		.amdhsa_user_sgpr_private_segment_buffer 1
		.amdhsa_user_sgpr_dispatch_ptr 0
		.amdhsa_user_sgpr_queue_ptr 0
		.amdhsa_user_sgpr_kernarg_segment_ptr 1
		.amdhsa_user_sgpr_dispatch_id 0
		.amdhsa_user_sgpr_flat_scratch_init 0
		.amdhsa_user_sgpr_kernarg_preload_length 0
		.amdhsa_user_sgpr_kernarg_preload_offset 0
		.amdhsa_user_sgpr_private_segment_size 0
		.amdhsa_uses_dynamic_stack 0
		.amdhsa_system_sgpr_private_segment_wavefront_offset 0
		.amdhsa_system_sgpr_workgroup_id_x 1
		.amdhsa_system_sgpr_workgroup_id_y 0
		.amdhsa_system_sgpr_workgroup_id_z 0
		.amdhsa_system_sgpr_workgroup_info 0
		.amdhsa_system_vgpr_workitem_id 0
		.amdhsa_next_free_vgpr 1
		.amdhsa_next_free_sgpr 0
		.amdhsa_accum_offset 4
		.amdhsa_reserve_vcc 0
		.amdhsa_reserve_flat_scratch 0
		.amdhsa_float_round_mode_32 0
		.amdhsa_float_round_mode_16_64 0
		.amdhsa_float_denorm_mode_32 3
		.amdhsa_float_denorm_mode_16_64 3
		.amdhsa_dx10_clamp 1
		.amdhsa_ieee_mode 1
		.amdhsa_fp16_overflow 0
		.amdhsa_tg_split 0
		.amdhsa_exception_fp_ieee_invalid_op 0
		.amdhsa_exception_fp_denorm_src 0
		.amdhsa_exception_fp_ieee_div_zero 0
		.amdhsa_exception_fp_ieee_overflow 0
		.amdhsa_exception_fp_ieee_underflow 0
		.amdhsa_exception_fp_ieee_inexact 0
		.amdhsa_exception_int_div_zero 0
	.end_amdhsa_kernel
	.section	.text._ZN7rocprim17ROCPRIM_400000_NS6detail17trampoline_kernelINS0_14default_configENS1_20scan_config_selectorIfEEZZNS1_9scan_implILNS1_25lookback_scan_determinismE0ELb0ELb0ES3_PKfPffZZZN2at6native31launch_logcumsumexp_cuda_kernelERKNSB_10TensorBaseESF_lENKUlvE_clEvENKUlvE0_clEvEUlffE_fEEDaPvRmT3_T4_T5_mT6_P12ihipStream_tbENKUlT_T0_E_clISt17integral_constantIbLb0EESW_EEDaSR_SS_EUlSR_E0_NS1_11comp_targetILNS1_3genE10ELNS1_11target_archE1201ELNS1_3gpuE5ELNS1_3repE0EEENS1_30default_config_static_selectorELNS0_4arch9wavefront6targetE1EEEvT1_,"axG",@progbits,_ZN7rocprim17ROCPRIM_400000_NS6detail17trampoline_kernelINS0_14default_configENS1_20scan_config_selectorIfEEZZNS1_9scan_implILNS1_25lookback_scan_determinismE0ELb0ELb0ES3_PKfPffZZZN2at6native31launch_logcumsumexp_cuda_kernelERKNSB_10TensorBaseESF_lENKUlvE_clEvENKUlvE0_clEvEUlffE_fEEDaPvRmT3_T4_T5_mT6_P12ihipStream_tbENKUlT_T0_E_clISt17integral_constantIbLb0EESW_EEDaSR_SS_EUlSR_E0_NS1_11comp_targetILNS1_3genE10ELNS1_11target_archE1201ELNS1_3gpuE5ELNS1_3repE0EEENS1_30default_config_static_selectorELNS0_4arch9wavefront6targetE1EEEvT1_,comdat
.Lfunc_end110:
	.size	_ZN7rocprim17ROCPRIM_400000_NS6detail17trampoline_kernelINS0_14default_configENS1_20scan_config_selectorIfEEZZNS1_9scan_implILNS1_25lookback_scan_determinismE0ELb0ELb0ES3_PKfPffZZZN2at6native31launch_logcumsumexp_cuda_kernelERKNSB_10TensorBaseESF_lENKUlvE_clEvENKUlvE0_clEvEUlffE_fEEDaPvRmT3_T4_T5_mT6_P12ihipStream_tbENKUlT_T0_E_clISt17integral_constantIbLb0EESW_EEDaSR_SS_EUlSR_E0_NS1_11comp_targetILNS1_3genE10ELNS1_11target_archE1201ELNS1_3gpuE5ELNS1_3repE0EEENS1_30default_config_static_selectorELNS0_4arch9wavefront6targetE1EEEvT1_, .Lfunc_end110-_ZN7rocprim17ROCPRIM_400000_NS6detail17trampoline_kernelINS0_14default_configENS1_20scan_config_selectorIfEEZZNS1_9scan_implILNS1_25lookback_scan_determinismE0ELb0ELb0ES3_PKfPffZZZN2at6native31launch_logcumsumexp_cuda_kernelERKNSB_10TensorBaseESF_lENKUlvE_clEvENKUlvE0_clEvEUlffE_fEEDaPvRmT3_T4_T5_mT6_P12ihipStream_tbENKUlT_T0_E_clISt17integral_constantIbLb0EESW_EEDaSR_SS_EUlSR_E0_NS1_11comp_targetILNS1_3genE10ELNS1_11target_archE1201ELNS1_3gpuE5ELNS1_3repE0EEENS1_30default_config_static_selectorELNS0_4arch9wavefront6targetE1EEEvT1_
                                        ; -- End function
	.section	.AMDGPU.csdata,"",@progbits
; Kernel info:
; codeLenInByte = 0
; NumSgprs: 4
; NumVgprs: 0
; NumAgprs: 0
; TotalNumVgprs: 0
; ScratchSize: 0
; MemoryBound: 0
; FloatMode: 240
; IeeeMode: 1
; LDSByteSize: 0 bytes/workgroup (compile time only)
; SGPRBlocks: 0
; VGPRBlocks: 0
; NumSGPRsForWavesPerEU: 4
; NumVGPRsForWavesPerEU: 1
; AccumOffset: 4
; Occupancy: 8
; WaveLimiterHint : 0
; COMPUTE_PGM_RSRC2:SCRATCH_EN: 0
; COMPUTE_PGM_RSRC2:USER_SGPR: 6
; COMPUTE_PGM_RSRC2:TRAP_HANDLER: 0
; COMPUTE_PGM_RSRC2:TGID_X_EN: 1
; COMPUTE_PGM_RSRC2:TGID_Y_EN: 0
; COMPUTE_PGM_RSRC2:TGID_Z_EN: 0
; COMPUTE_PGM_RSRC2:TIDIG_COMP_CNT: 0
; COMPUTE_PGM_RSRC3_GFX90A:ACCUM_OFFSET: 0
; COMPUTE_PGM_RSRC3_GFX90A:TG_SPLIT: 0
	.section	.text._ZN7rocprim17ROCPRIM_400000_NS6detail17trampoline_kernelINS0_14default_configENS1_20scan_config_selectorIfEEZZNS1_9scan_implILNS1_25lookback_scan_determinismE0ELb0ELb0ES3_PKfPffZZZN2at6native31launch_logcumsumexp_cuda_kernelERKNSB_10TensorBaseESF_lENKUlvE_clEvENKUlvE0_clEvEUlffE_fEEDaPvRmT3_T4_T5_mT6_P12ihipStream_tbENKUlT_T0_E_clISt17integral_constantIbLb0EESW_EEDaSR_SS_EUlSR_E0_NS1_11comp_targetILNS1_3genE10ELNS1_11target_archE1200ELNS1_3gpuE4ELNS1_3repE0EEENS1_30default_config_static_selectorELNS0_4arch9wavefront6targetE1EEEvT1_,"axG",@progbits,_ZN7rocprim17ROCPRIM_400000_NS6detail17trampoline_kernelINS0_14default_configENS1_20scan_config_selectorIfEEZZNS1_9scan_implILNS1_25lookback_scan_determinismE0ELb0ELb0ES3_PKfPffZZZN2at6native31launch_logcumsumexp_cuda_kernelERKNSB_10TensorBaseESF_lENKUlvE_clEvENKUlvE0_clEvEUlffE_fEEDaPvRmT3_T4_T5_mT6_P12ihipStream_tbENKUlT_T0_E_clISt17integral_constantIbLb0EESW_EEDaSR_SS_EUlSR_E0_NS1_11comp_targetILNS1_3genE10ELNS1_11target_archE1200ELNS1_3gpuE4ELNS1_3repE0EEENS1_30default_config_static_selectorELNS0_4arch9wavefront6targetE1EEEvT1_,comdat
	.globl	_ZN7rocprim17ROCPRIM_400000_NS6detail17trampoline_kernelINS0_14default_configENS1_20scan_config_selectorIfEEZZNS1_9scan_implILNS1_25lookback_scan_determinismE0ELb0ELb0ES3_PKfPffZZZN2at6native31launch_logcumsumexp_cuda_kernelERKNSB_10TensorBaseESF_lENKUlvE_clEvENKUlvE0_clEvEUlffE_fEEDaPvRmT3_T4_T5_mT6_P12ihipStream_tbENKUlT_T0_E_clISt17integral_constantIbLb0EESW_EEDaSR_SS_EUlSR_E0_NS1_11comp_targetILNS1_3genE10ELNS1_11target_archE1200ELNS1_3gpuE4ELNS1_3repE0EEENS1_30default_config_static_selectorELNS0_4arch9wavefront6targetE1EEEvT1_ ; -- Begin function _ZN7rocprim17ROCPRIM_400000_NS6detail17trampoline_kernelINS0_14default_configENS1_20scan_config_selectorIfEEZZNS1_9scan_implILNS1_25lookback_scan_determinismE0ELb0ELb0ES3_PKfPffZZZN2at6native31launch_logcumsumexp_cuda_kernelERKNSB_10TensorBaseESF_lENKUlvE_clEvENKUlvE0_clEvEUlffE_fEEDaPvRmT3_T4_T5_mT6_P12ihipStream_tbENKUlT_T0_E_clISt17integral_constantIbLb0EESW_EEDaSR_SS_EUlSR_E0_NS1_11comp_targetILNS1_3genE10ELNS1_11target_archE1200ELNS1_3gpuE4ELNS1_3repE0EEENS1_30default_config_static_selectorELNS0_4arch9wavefront6targetE1EEEvT1_
	.p2align	8
	.type	_ZN7rocprim17ROCPRIM_400000_NS6detail17trampoline_kernelINS0_14default_configENS1_20scan_config_selectorIfEEZZNS1_9scan_implILNS1_25lookback_scan_determinismE0ELb0ELb0ES3_PKfPffZZZN2at6native31launch_logcumsumexp_cuda_kernelERKNSB_10TensorBaseESF_lENKUlvE_clEvENKUlvE0_clEvEUlffE_fEEDaPvRmT3_T4_T5_mT6_P12ihipStream_tbENKUlT_T0_E_clISt17integral_constantIbLb0EESW_EEDaSR_SS_EUlSR_E0_NS1_11comp_targetILNS1_3genE10ELNS1_11target_archE1200ELNS1_3gpuE4ELNS1_3repE0EEENS1_30default_config_static_selectorELNS0_4arch9wavefront6targetE1EEEvT1_,@function
_ZN7rocprim17ROCPRIM_400000_NS6detail17trampoline_kernelINS0_14default_configENS1_20scan_config_selectorIfEEZZNS1_9scan_implILNS1_25lookback_scan_determinismE0ELb0ELb0ES3_PKfPffZZZN2at6native31launch_logcumsumexp_cuda_kernelERKNSB_10TensorBaseESF_lENKUlvE_clEvENKUlvE0_clEvEUlffE_fEEDaPvRmT3_T4_T5_mT6_P12ihipStream_tbENKUlT_T0_E_clISt17integral_constantIbLb0EESW_EEDaSR_SS_EUlSR_E0_NS1_11comp_targetILNS1_3genE10ELNS1_11target_archE1200ELNS1_3gpuE4ELNS1_3repE0EEENS1_30default_config_static_selectorELNS0_4arch9wavefront6targetE1EEEvT1_: ; @_ZN7rocprim17ROCPRIM_400000_NS6detail17trampoline_kernelINS0_14default_configENS1_20scan_config_selectorIfEEZZNS1_9scan_implILNS1_25lookback_scan_determinismE0ELb0ELb0ES3_PKfPffZZZN2at6native31launch_logcumsumexp_cuda_kernelERKNSB_10TensorBaseESF_lENKUlvE_clEvENKUlvE0_clEvEUlffE_fEEDaPvRmT3_T4_T5_mT6_P12ihipStream_tbENKUlT_T0_E_clISt17integral_constantIbLb0EESW_EEDaSR_SS_EUlSR_E0_NS1_11comp_targetILNS1_3genE10ELNS1_11target_archE1200ELNS1_3gpuE4ELNS1_3repE0EEENS1_30default_config_static_selectorELNS0_4arch9wavefront6targetE1EEEvT1_
; %bb.0:
	.section	.rodata,"a",@progbits
	.p2align	6, 0x0
	.amdhsa_kernel _ZN7rocprim17ROCPRIM_400000_NS6detail17trampoline_kernelINS0_14default_configENS1_20scan_config_selectorIfEEZZNS1_9scan_implILNS1_25lookback_scan_determinismE0ELb0ELb0ES3_PKfPffZZZN2at6native31launch_logcumsumexp_cuda_kernelERKNSB_10TensorBaseESF_lENKUlvE_clEvENKUlvE0_clEvEUlffE_fEEDaPvRmT3_T4_T5_mT6_P12ihipStream_tbENKUlT_T0_E_clISt17integral_constantIbLb0EESW_EEDaSR_SS_EUlSR_E0_NS1_11comp_targetILNS1_3genE10ELNS1_11target_archE1200ELNS1_3gpuE4ELNS1_3repE0EEENS1_30default_config_static_selectorELNS0_4arch9wavefront6targetE1EEEvT1_
		.amdhsa_group_segment_fixed_size 0
		.amdhsa_private_segment_fixed_size 0
		.amdhsa_kernarg_size 32
		.amdhsa_user_sgpr_count 6
		.amdhsa_user_sgpr_private_segment_buffer 1
		.amdhsa_user_sgpr_dispatch_ptr 0
		.amdhsa_user_sgpr_queue_ptr 0
		.amdhsa_user_sgpr_kernarg_segment_ptr 1
		.amdhsa_user_sgpr_dispatch_id 0
		.amdhsa_user_sgpr_flat_scratch_init 0
		.amdhsa_user_sgpr_kernarg_preload_length 0
		.amdhsa_user_sgpr_kernarg_preload_offset 0
		.amdhsa_user_sgpr_private_segment_size 0
		.amdhsa_uses_dynamic_stack 0
		.amdhsa_system_sgpr_private_segment_wavefront_offset 0
		.amdhsa_system_sgpr_workgroup_id_x 1
		.amdhsa_system_sgpr_workgroup_id_y 0
		.amdhsa_system_sgpr_workgroup_id_z 0
		.amdhsa_system_sgpr_workgroup_info 0
		.amdhsa_system_vgpr_workitem_id 0
		.amdhsa_next_free_vgpr 1
		.amdhsa_next_free_sgpr 0
		.amdhsa_accum_offset 4
		.amdhsa_reserve_vcc 0
		.amdhsa_reserve_flat_scratch 0
		.amdhsa_float_round_mode_32 0
		.amdhsa_float_round_mode_16_64 0
		.amdhsa_float_denorm_mode_32 3
		.amdhsa_float_denorm_mode_16_64 3
		.amdhsa_dx10_clamp 1
		.amdhsa_ieee_mode 1
		.amdhsa_fp16_overflow 0
		.amdhsa_tg_split 0
		.amdhsa_exception_fp_ieee_invalid_op 0
		.amdhsa_exception_fp_denorm_src 0
		.amdhsa_exception_fp_ieee_div_zero 0
		.amdhsa_exception_fp_ieee_overflow 0
		.amdhsa_exception_fp_ieee_underflow 0
		.amdhsa_exception_fp_ieee_inexact 0
		.amdhsa_exception_int_div_zero 0
	.end_amdhsa_kernel
	.section	.text._ZN7rocprim17ROCPRIM_400000_NS6detail17trampoline_kernelINS0_14default_configENS1_20scan_config_selectorIfEEZZNS1_9scan_implILNS1_25lookback_scan_determinismE0ELb0ELb0ES3_PKfPffZZZN2at6native31launch_logcumsumexp_cuda_kernelERKNSB_10TensorBaseESF_lENKUlvE_clEvENKUlvE0_clEvEUlffE_fEEDaPvRmT3_T4_T5_mT6_P12ihipStream_tbENKUlT_T0_E_clISt17integral_constantIbLb0EESW_EEDaSR_SS_EUlSR_E0_NS1_11comp_targetILNS1_3genE10ELNS1_11target_archE1200ELNS1_3gpuE4ELNS1_3repE0EEENS1_30default_config_static_selectorELNS0_4arch9wavefront6targetE1EEEvT1_,"axG",@progbits,_ZN7rocprim17ROCPRIM_400000_NS6detail17trampoline_kernelINS0_14default_configENS1_20scan_config_selectorIfEEZZNS1_9scan_implILNS1_25lookback_scan_determinismE0ELb0ELb0ES3_PKfPffZZZN2at6native31launch_logcumsumexp_cuda_kernelERKNSB_10TensorBaseESF_lENKUlvE_clEvENKUlvE0_clEvEUlffE_fEEDaPvRmT3_T4_T5_mT6_P12ihipStream_tbENKUlT_T0_E_clISt17integral_constantIbLb0EESW_EEDaSR_SS_EUlSR_E0_NS1_11comp_targetILNS1_3genE10ELNS1_11target_archE1200ELNS1_3gpuE4ELNS1_3repE0EEENS1_30default_config_static_selectorELNS0_4arch9wavefront6targetE1EEEvT1_,comdat
.Lfunc_end111:
	.size	_ZN7rocprim17ROCPRIM_400000_NS6detail17trampoline_kernelINS0_14default_configENS1_20scan_config_selectorIfEEZZNS1_9scan_implILNS1_25lookback_scan_determinismE0ELb0ELb0ES3_PKfPffZZZN2at6native31launch_logcumsumexp_cuda_kernelERKNSB_10TensorBaseESF_lENKUlvE_clEvENKUlvE0_clEvEUlffE_fEEDaPvRmT3_T4_T5_mT6_P12ihipStream_tbENKUlT_T0_E_clISt17integral_constantIbLb0EESW_EEDaSR_SS_EUlSR_E0_NS1_11comp_targetILNS1_3genE10ELNS1_11target_archE1200ELNS1_3gpuE4ELNS1_3repE0EEENS1_30default_config_static_selectorELNS0_4arch9wavefront6targetE1EEEvT1_, .Lfunc_end111-_ZN7rocprim17ROCPRIM_400000_NS6detail17trampoline_kernelINS0_14default_configENS1_20scan_config_selectorIfEEZZNS1_9scan_implILNS1_25lookback_scan_determinismE0ELb0ELb0ES3_PKfPffZZZN2at6native31launch_logcumsumexp_cuda_kernelERKNSB_10TensorBaseESF_lENKUlvE_clEvENKUlvE0_clEvEUlffE_fEEDaPvRmT3_T4_T5_mT6_P12ihipStream_tbENKUlT_T0_E_clISt17integral_constantIbLb0EESW_EEDaSR_SS_EUlSR_E0_NS1_11comp_targetILNS1_3genE10ELNS1_11target_archE1200ELNS1_3gpuE4ELNS1_3repE0EEENS1_30default_config_static_selectorELNS0_4arch9wavefront6targetE1EEEvT1_
                                        ; -- End function
	.section	.AMDGPU.csdata,"",@progbits
; Kernel info:
; codeLenInByte = 0
; NumSgprs: 4
; NumVgprs: 0
; NumAgprs: 0
; TotalNumVgprs: 0
; ScratchSize: 0
; MemoryBound: 0
; FloatMode: 240
; IeeeMode: 1
; LDSByteSize: 0 bytes/workgroup (compile time only)
; SGPRBlocks: 0
; VGPRBlocks: 0
; NumSGPRsForWavesPerEU: 4
; NumVGPRsForWavesPerEU: 1
; AccumOffset: 4
; Occupancy: 8
; WaveLimiterHint : 0
; COMPUTE_PGM_RSRC2:SCRATCH_EN: 0
; COMPUTE_PGM_RSRC2:USER_SGPR: 6
; COMPUTE_PGM_RSRC2:TRAP_HANDLER: 0
; COMPUTE_PGM_RSRC2:TGID_X_EN: 1
; COMPUTE_PGM_RSRC2:TGID_Y_EN: 0
; COMPUTE_PGM_RSRC2:TGID_Z_EN: 0
; COMPUTE_PGM_RSRC2:TIDIG_COMP_CNT: 0
; COMPUTE_PGM_RSRC3_GFX90A:ACCUM_OFFSET: 0
; COMPUTE_PGM_RSRC3_GFX90A:TG_SPLIT: 0
	.section	.text._ZN7rocprim17ROCPRIM_400000_NS6detail17trampoline_kernelINS0_14default_configENS1_20scan_config_selectorIfEEZZNS1_9scan_implILNS1_25lookback_scan_determinismE0ELb0ELb0ES3_PKfPffZZZN2at6native31launch_logcumsumexp_cuda_kernelERKNSB_10TensorBaseESF_lENKUlvE_clEvENKUlvE0_clEvEUlffE_fEEDaPvRmT3_T4_T5_mT6_P12ihipStream_tbENKUlT_T0_E_clISt17integral_constantIbLb0EESW_EEDaSR_SS_EUlSR_E0_NS1_11comp_targetILNS1_3genE9ELNS1_11target_archE1100ELNS1_3gpuE3ELNS1_3repE0EEENS1_30default_config_static_selectorELNS0_4arch9wavefront6targetE1EEEvT1_,"axG",@progbits,_ZN7rocprim17ROCPRIM_400000_NS6detail17trampoline_kernelINS0_14default_configENS1_20scan_config_selectorIfEEZZNS1_9scan_implILNS1_25lookback_scan_determinismE0ELb0ELb0ES3_PKfPffZZZN2at6native31launch_logcumsumexp_cuda_kernelERKNSB_10TensorBaseESF_lENKUlvE_clEvENKUlvE0_clEvEUlffE_fEEDaPvRmT3_T4_T5_mT6_P12ihipStream_tbENKUlT_T0_E_clISt17integral_constantIbLb0EESW_EEDaSR_SS_EUlSR_E0_NS1_11comp_targetILNS1_3genE9ELNS1_11target_archE1100ELNS1_3gpuE3ELNS1_3repE0EEENS1_30default_config_static_selectorELNS0_4arch9wavefront6targetE1EEEvT1_,comdat
	.globl	_ZN7rocprim17ROCPRIM_400000_NS6detail17trampoline_kernelINS0_14default_configENS1_20scan_config_selectorIfEEZZNS1_9scan_implILNS1_25lookback_scan_determinismE0ELb0ELb0ES3_PKfPffZZZN2at6native31launch_logcumsumexp_cuda_kernelERKNSB_10TensorBaseESF_lENKUlvE_clEvENKUlvE0_clEvEUlffE_fEEDaPvRmT3_T4_T5_mT6_P12ihipStream_tbENKUlT_T0_E_clISt17integral_constantIbLb0EESW_EEDaSR_SS_EUlSR_E0_NS1_11comp_targetILNS1_3genE9ELNS1_11target_archE1100ELNS1_3gpuE3ELNS1_3repE0EEENS1_30default_config_static_selectorELNS0_4arch9wavefront6targetE1EEEvT1_ ; -- Begin function _ZN7rocprim17ROCPRIM_400000_NS6detail17trampoline_kernelINS0_14default_configENS1_20scan_config_selectorIfEEZZNS1_9scan_implILNS1_25lookback_scan_determinismE0ELb0ELb0ES3_PKfPffZZZN2at6native31launch_logcumsumexp_cuda_kernelERKNSB_10TensorBaseESF_lENKUlvE_clEvENKUlvE0_clEvEUlffE_fEEDaPvRmT3_T4_T5_mT6_P12ihipStream_tbENKUlT_T0_E_clISt17integral_constantIbLb0EESW_EEDaSR_SS_EUlSR_E0_NS1_11comp_targetILNS1_3genE9ELNS1_11target_archE1100ELNS1_3gpuE3ELNS1_3repE0EEENS1_30default_config_static_selectorELNS0_4arch9wavefront6targetE1EEEvT1_
	.p2align	8
	.type	_ZN7rocprim17ROCPRIM_400000_NS6detail17trampoline_kernelINS0_14default_configENS1_20scan_config_selectorIfEEZZNS1_9scan_implILNS1_25lookback_scan_determinismE0ELb0ELb0ES3_PKfPffZZZN2at6native31launch_logcumsumexp_cuda_kernelERKNSB_10TensorBaseESF_lENKUlvE_clEvENKUlvE0_clEvEUlffE_fEEDaPvRmT3_T4_T5_mT6_P12ihipStream_tbENKUlT_T0_E_clISt17integral_constantIbLb0EESW_EEDaSR_SS_EUlSR_E0_NS1_11comp_targetILNS1_3genE9ELNS1_11target_archE1100ELNS1_3gpuE3ELNS1_3repE0EEENS1_30default_config_static_selectorELNS0_4arch9wavefront6targetE1EEEvT1_,@function
_ZN7rocprim17ROCPRIM_400000_NS6detail17trampoline_kernelINS0_14default_configENS1_20scan_config_selectorIfEEZZNS1_9scan_implILNS1_25lookback_scan_determinismE0ELb0ELb0ES3_PKfPffZZZN2at6native31launch_logcumsumexp_cuda_kernelERKNSB_10TensorBaseESF_lENKUlvE_clEvENKUlvE0_clEvEUlffE_fEEDaPvRmT3_T4_T5_mT6_P12ihipStream_tbENKUlT_T0_E_clISt17integral_constantIbLb0EESW_EEDaSR_SS_EUlSR_E0_NS1_11comp_targetILNS1_3genE9ELNS1_11target_archE1100ELNS1_3gpuE3ELNS1_3repE0EEENS1_30default_config_static_selectorELNS0_4arch9wavefront6targetE1EEEvT1_: ; @_ZN7rocprim17ROCPRIM_400000_NS6detail17trampoline_kernelINS0_14default_configENS1_20scan_config_selectorIfEEZZNS1_9scan_implILNS1_25lookback_scan_determinismE0ELb0ELb0ES3_PKfPffZZZN2at6native31launch_logcumsumexp_cuda_kernelERKNSB_10TensorBaseESF_lENKUlvE_clEvENKUlvE0_clEvEUlffE_fEEDaPvRmT3_T4_T5_mT6_P12ihipStream_tbENKUlT_T0_E_clISt17integral_constantIbLb0EESW_EEDaSR_SS_EUlSR_E0_NS1_11comp_targetILNS1_3genE9ELNS1_11target_archE1100ELNS1_3gpuE3ELNS1_3repE0EEENS1_30default_config_static_selectorELNS0_4arch9wavefront6targetE1EEEvT1_
; %bb.0:
	.section	.rodata,"a",@progbits
	.p2align	6, 0x0
	.amdhsa_kernel _ZN7rocprim17ROCPRIM_400000_NS6detail17trampoline_kernelINS0_14default_configENS1_20scan_config_selectorIfEEZZNS1_9scan_implILNS1_25lookback_scan_determinismE0ELb0ELb0ES3_PKfPffZZZN2at6native31launch_logcumsumexp_cuda_kernelERKNSB_10TensorBaseESF_lENKUlvE_clEvENKUlvE0_clEvEUlffE_fEEDaPvRmT3_T4_T5_mT6_P12ihipStream_tbENKUlT_T0_E_clISt17integral_constantIbLb0EESW_EEDaSR_SS_EUlSR_E0_NS1_11comp_targetILNS1_3genE9ELNS1_11target_archE1100ELNS1_3gpuE3ELNS1_3repE0EEENS1_30default_config_static_selectorELNS0_4arch9wavefront6targetE1EEEvT1_
		.amdhsa_group_segment_fixed_size 0
		.amdhsa_private_segment_fixed_size 0
		.amdhsa_kernarg_size 32
		.amdhsa_user_sgpr_count 6
		.amdhsa_user_sgpr_private_segment_buffer 1
		.amdhsa_user_sgpr_dispatch_ptr 0
		.amdhsa_user_sgpr_queue_ptr 0
		.amdhsa_user_sgpr_kernarg_segment_ptr 1
		.amdhsa_user_sgpr_dispatch_id 0
		.amdhsa_user_sgpr_flat_scratch_init 0
		.amdhsa_user_sgpr_kernarg_preload_length 0
		.amdhsa_user_sgpr_kernarg_preload_offset 0
		.amdhsa_user_sgpr_private_segment_size 0
		.amdhsa_uses_dynamic_stack 0
		.amdhsa_system_sgpr_private_segment_wavefront_offset 0
		.amdhsa_system_sgpr_workgroup_id_x 1
		.amdhsa_system_sgpr_workgroup_id_y 0
		.amdhsa_system_sgpr_workgroup_id_z 0
		.amdhsa_system_sgpr_workgroup_info 0
		.amdhsa_system_vgpr_workitem_id 0
		.amdhsa_next_free_vgpr 1
		.amdhsa_next_free_sgpr 0
		.amdhsa_accum_offset 4
		.amdhsa_reserve_vcc 0
		.amdhsa_reserve_flat_scratch 0
		.amdhsa_float_round_mode_32 0
		.amdhsa_float_round_mode_16_64 0
		.amdhsa_float_denorm_mode_32 3
		.amdhsa_float_denorm_mode_16_64 3
		.amdhsa_dx10_clamp 1
		.amdhsa_ieee_mode 1
		.amdhsa_fp16_overflow 0
		.amdhsa_tg_split 0
		.amdhsa_exception_fp_ieee_invalid_op 0
		.amdhsa_exception_fp_denorm_src 0
		.amdhsa_exception_fp_ieee_div_zero 0
		.amdhsa_exception_fp_ieee_overflow 0
		.amdhsa_exception_fp_ieee_underflow 0
		.amdhsa_exception_fp_ieee_inexact 0
		.amdhsa_exception_int_div_zero 0
	.end_amdhsa_kernel
	.section	.text._ZN7rocprim17ROCPRIM_400000_NS6detail17trampoline_kernelINS0_14default_configENS1_20scan_config_selectorIfEEZZNS1_9scan_implILNS1_25lookback_scan_determinismE0ELb0ELb0ES3_PKfPffZZZN2at6native31launch_logcumsumexp_cuda_kernelERKNSB_10TensorBaseESF_lENKUlvE_clEvENKUlvE0_clEvEUlffE_fEEDaPvRmT3_T4_T5_mT6_P12ihipStream_tbENKUlT_T0_E_clISt17integral_constantIbLb0EESW_EEDaSR_SS_EUlSR_E0_NS1_11comp_targetILNS1_3genE9ELNS1_11target_archE1100ELNS1_3gpuE3ELNS1_3repE0EEENS1_30default_config_static_selectorELNS0_4arch9wavefront6targetE1EEEvT1_,"axG",@progbits,_ZN7rocprim17ROCPRIM_400000_NS6detail17trampoline_kernelINS0_14default_configENS1_20scan_config_selectorIfEEZZNS1_9scan_implILNS1_25lookback_scan_determinismE0ELb0ELb0ES3_PKfPffZZZN2at6native31launch_logcumsumexp_cuda_kernelERKNSB_10TensorBaseESF_lENKUlvE_clEvENKUlvE0_clEvEUlffE_fEEDaPvRmT3_T4_T5_mT6_P12ihipStream_tbENKUlT_T0_E_clISt17integral_constantIbLb0EESW_EEDaSR_SS_EUlSR_E0_NS1_11comp_targetILNS1_3genE9ELNS1_11target_archE1100ELNS1_3gpuE3ELNS1_3repE0EEENS1_30default_config_static_selectorELNS0_4arch9wavefront6targetE1EEEvT1_,comdat
.Lfunc_end112:
	.size	_ZN7rocprim17ROCPRIM_400000_NS6detail17trampoline_kernelINS0_14default_configENS1_20scan_config_selectorIfEEZZNS1_9scan_implILNS1_25lookback_scan_determinismE0ELb0ELb0ES3_PKfPffZZZN2at6native31launch_logcumsumexp_cuda_kernelERKNSB_10TensorBaseESF_lENKUlvE_clEvENKUlvE0_clEvEUlffE_fEEDaPvRmT3_T4_T5_mT6_P12ihipStream_tbENKUlT_T0_E_clISt17integral_constantIbLb0EESW_EEDaSR_SS_EUlSR_E0_NS1_11comp_targetILNS1_3genE9ELNS1_11target_archE1100ELNS1_3gpuE3ELNS1_3repE0EEENS1_30default_config_static_selectorELNS0_4arch9wavefront6targetE1EEEvT1_, .Lfunc_end112-_ZN7rocprim17ROCPRIM_400000_NS6detail17trampoline_kernelINS0_14default_configENS1_20scan_config_selectorIfEEZZNS1_9scan_implILNS1_25lookback_scan_determinismE0ELb0ELb0ES3_PKfPffZZZN2at6native31launch_logcumsumexp_cuda_kernelERKNSB_10TensorBaseESF_lENKUlvE_clEvENKUlvE0_clEvEUlffE_fEEDaPvRmT3_T4_T5_mT6_P12ihipStream_tbENKUlT_T0_E_clISt17integral_constantIbLb0EESW_EEDaSR_SS_EUlSR_E0_NS1_11comp_targetILNS1_3genE9ELNS1_11target_archE1100ELNS1_3gpuE3ELNS1_3repE0EEENS1_30default_config_static_selectorELNS0_4arch9wavefront6targetE1EEEvT1_
                                        ; -- End function
	.section	.AMDGPU.csdata,"",@progbits
; Kernel info:
; codeLenInByte = 0
; NumSgprs: 4
; NumVgprs: 0
; NumAgprs: 0
; TotalNumVgprs: 0
; ScratchSize: 0
; MemoryBound: 0
; FloatMode: 240
; IeeeMode: 1
; LDSByteSize: 0 bytes/workgroup (compile time only)
; SGPRBlocks: 0
; VGPRBlocks: 0
; NumSGPRsForWavesPerEU: 4
; NumVGPRsForWavesPerEU: 1
; AccumOffset: 4
; Occupancy: 8
; WaveLimiterHint : 0
; COMPUTE_PGM_RSRC2:SCRATCH_EN: 0
; COMPUTE_PGM_RSRC2:USER_SGPR: 6
; COMPUTE_PGM_RSRC2:TRAP_HANDLER: 0
; COMPUTE_PGM_RSRC2:TGID_X_EN: 1
; COMPUTE_PGM_RSRC2:TGID_Y_EN: 0
; COMPUTE_PGM_RSRC2:TGID_Z_EN: 0
; COMPUTE_PGM_RSRC2:TIDIG_COMP_CNT: 0
; COMPUTE_PGM_RSRC3_GFX90A:ACCUM_OFFSET: 0
; COMPUTE_PGM_RSRC3_GFX90A:TG_SPLIT: 0
	.section	.text._ZN7rocprim17ROCPRIM_400000_NS6detail17trampoline_kernelINS0_14default_configENS1_20scan_config_selectorIfEEZZNS1_9scan_implILNS1_25lookback_scan_determinismE0ELb0ELb0ES3_PKfPffZZZN2at6native31launch_logcumsumexp_cuda_kernelERKNSB_10TensorBaseESF_lENKUlvE_clEvENKUlvE0_clEvEUlffE_fEEDaPvRmT3_T4_T5_mT6_P12ihipStream_tbENKUlT_T0_E_clISt17integral_constantIbLb0EESW_EEDaSR_SS_EUlSR_E0_NS1_11comp_targetILNS1_3genE8ELNS1_11target_archE1030ELNS1_3gpuE2ELNS1_3repE0EEENS1_30default_config_static_selectorELNS0_4arch9wavefront6targetE1EEEvT1_,"axG",@progbits,_ZN7rocprim17ROCPRIM_400000_NS6detail17trampoline_kernelINS0_14default_configENS1_20scan_config_selectorIfEEZZNS1_9scan_implILNS1_25lookback_scan_determinismE0ELb0ELb0ES3_PKfPffZZZN2at6native31launch_logcumsumexp_cuda_kernelERKNSB_10TensorBaseESF_lENKUlvE_clEvENKUlvE0_clEvEUlffE_fEEDaPvRmT3_T4_T5_mT6_P12ihipStream_tbENKUlT_T0_E_clISt17integral_constantIbLb0EESW_EEDaSR_SS_EUlSR_E0_NS1_11comp_targetILNS1_3genE8ELNS1_11target_archE1030ELNS1_3gpuE2ELNS1_3repE0EEENS1_30default_config_static_selectorELNS0_4arch9wavefront6targetE1EEEvT1_,comdat
	.globl	_ZN7rocprim17ROCPRIM_400000_NS6detail17trampoline_kernelINS0_14default_configENS1_20scan_config_selectorIfEEZZNS1_9scan_implILNS1_25lookback_scan_determinismE0ELb0ELb0ES3_PKfPffZZZN2at6native31launch_logcumsumexp_cuda_kernelERKNSB_10TensorBaseESF_lENKUlvE_clEvENKUlvE0_clEvEUlffE_fEEDaPvRmT3_T4_T5_mT6_P12ihipStream_tbENKUlT_T0_E_clISt17integral_constantIbLb0EESW_EEDaSR_SS_EUlSR_E0_NS1_11comp_targetILNS1_3genE8ELNS1_11target_archE1030ELNS1_3gpuE2ELNS1_3repE0EEENS1_30default_config_static_selectorELNS0_4arch9wavefront6targetE1EEEvT1_ ; -- Begin function _ZN7rocprim17ROCPRIM_400000_NS6detail17trampoline_kernelINS0_14default_configENS1_20scan_config_selectorIfEEZZNS1_9scan_implILNS1_25lookback_scan_determinismE0ELb0ELb0ES3_PKfPffZZZN2at6native31launch_logcumsumexp_cuda_kernelERKNSB_10TensorBaseESF_lENKUlvE_clEvENKUlvE0_clEvEUlffE_fEEDaPvRmT3_T4_T5_mT6_P12ihipStream_tbENKUlT_T0_E_clISt17integral_constantIbLb0EESW_EEDaSR_SS_EUlSR_E0_NS1_11comp_targetILNS1_3genE8ELNS1_11target_archE1030ELNS1_3gpuE2ELNS1_3repE0EEENS1_30default_config_static_selectorELNS0_4arch9wavefront6targetE1EEEvT1_
	.p2align	8
	.type	_ZN7rocprim17ROCPRIM_400000_NS6detail17trampoline_kernelINS0_14default_configENS1_20scan_config_selectorIfEEZZNS1_9scan_implILNS1_25lookback_scan_determinismE0ELb0ELb0ES3_PKfPffZZZN2at6native31launch_logcumsumexp_cuda_kernelERKNSB_10TensorBaseESF_lENKUlvE_clEvENKUlvE0_clEvEUlffE_fEEDaPvRmT3_T4_T5_mT6_P12ihipStream_tbENKUlT_T0_E_clISt17integral_constantIbLb0EESW_EEDaSR_SS_EUlSR_E0_NS1_11comp_targetILNS1_3genE8ELNS1_11target_archE1030ELNS1_3gpuE2ELNS1_3repE0EEENS1_30default_config_static_selectorELNS0_4arch9wavefront6targetE1EEEvT1_,@function
_ZN7rocprim17ROCPRIM_400000_NS6detail17trampoline_kernelINS0_14default_configENS1_20scan_config_selectorIfEEZZNS1_9scan_implILNS1_25lookback_scan_determinismE0ELb0ELb0ES3_PKfPffZZZN2at6native31launch_logcumsumexp_cuda_kernelERKNSB_10TensorBaseESF_lENKUlvE_clEvENKUlvE0_clEvEUlffE_fEEDaPvRmT3_T4_T5_mT6_P12ihipStream_tbENKUlT_T0_E_clISt17integral_constantIbLb0EESW_EEDaSR_SS_EUlSR_E0_NS1_11comp_targetILNS1_3genE8ELNS1_11target_archE1030ELNS1_3gpuE2ELNS1_3repE0EEENS1_30default_config_static_selectorELNS0_4arch9wavefront6targetE1EEEvT1_: ; @_ZN7rocprim17ROCPRIM_400000_NS6detail17trampoline_kernelINS0_14default_configENS1_20scan_config_selectorIfEEZZNS1_9scan_implILNS1_25lookback_scan_determinismE0ELb0ELb0ES3_PKfPffZZZN2at6native31launch_logcumsumexp_cuda_kernelERKNSB_10TensorBaseESF_lENKUlvE_clEvENKUlvE0_clEvEUlffE_fEEDaPvRmT3_T4_T5_mT6_P12ihipStream_tbENKUlT_T0_E_clISt17integral_constantIbLb0EESW_EEDaSR_SS_EUlSR_E0_NS1_11comp_targetILNS1_3genE8ELNS1_11target_archE1030ELNS1_3gpuE2ELNS1_3repE0EEENS1_30default_config_static_selectorELNS0_4arch9wavefront6targetE1EEEvT1_
; %bb.0:
	.section	.rodata,"a",@progbits
	.p2align	6, 0x0
	.amdhsa_kernel _ZN7rocprim17ROCPRIM_400000_NS6detail17trampoline_kernelINS0_14default_configENS1_20scan_config_selectorIfEEZZNS1_9scan_implILNS1_25lookback_scan_determinismE0ELb0ELb0ES3_PKfPffZZZN2at6native31launch_logcumsumexp_cuda_kernelERKNSB_10TensorBaseESF_lENKUlvE_clEvENKUlvE0_clEvEUlffE_fEEDaPvRmT3_T4_T5_mT6_P12ihipStream_tbENKUlT_T0_E_clISt17integral_constantIbLb0EESW_EEDaSR_SS_EUlSR_E0_NS1_11comp_targetILNS1_3genE8ELNS1_11target_archE1030ELNS1_3gpuE2ELNS1_3repE0EEENS1_30default_config_static_selectorELNS0_4arch9wavefront6targetE1EEEvT1_
		.amdhsa_group_segment_fixed_size 0
		.amdhsa_private_segment_fixed_size 0
		.amdhsa_kernarg_size 32
		.amdhsa_user_sgpr_count 6
		.amdhsa_user_sgpr_private_segment_buffer 1
		.amdhsa_user_sgpr_dispatch_ptr 0
		.amdhsa_user_sgpr_queue_ptr 0
		.amdhsa_user_sgpr_kernarg_segment_ptr 1
		.amdhsa_user_sgpr_dispatch_id 0
		.amdhsa_user_sgpr_flat_scratch_init 0
		.amdhsa_user_sgpr_kernarg_preload_length 0
		.amdhsa_user_sgpr_kernarg_preload_offset 0
		.amdhsa_user_sgpr_private_segment_size 0
		.amdhsa_uses_dynamic_stack 0
		.amdhsa_system_sgpr_private_segment_wavefront_offset 0
		.amdhsa_system_sgpr_workgroup_id_x 1
		.amdhsa_system_sgpr_workgroup_id_y 0
		.amdhsa_system_sgpr_workgroup_id_z 0
		.amdhsa_system_sgpr_workgroup_info 0
		.amdhsa_system_vgpr_workitem_id 0
		.amdhsa_next_free_vgpr 1
		.amdhsa_next_free_sgpr 0
		.amdhsa_accum_offset 4
		.amdhsa_reserve_vcc 0
		.amdhsa_reserve_flat_scratch 0
		.amdhsa_float_round_mode_32 0
		.amdhsa_float_round_mode_16_64 0
		.amdhsa_float_denorm_mode_32 3
		.amdhsa_float_denorm_mode_16_64 3
		.amdhsa_dx10_clamp 1
		.amdhsa_ieee_mode 1
		.amdhsa_fp16_overflow 0
		.amdhsa_tg_split 0
		.amdhsa_exception_fp_ieee_invalid_op 0
		.amdhsa_exception_fp_denorm_src 0
		.amdhsa_exception_fp_ieee_div_zero 0
		.amdhsa_exception_fp_ieee_overflow 0
		.amdhsa_exception_fp_ieee_underflow 0
		.amdhsa_exception_fp_ieee_inexact 0
		.amdhsa_exception_int_div_zero 0
	.end_amdhsa_kernel
	.section	.text._ZN7rocprim17ROCPRIM_400000_NS6detail17trampoline_kernelINS0_14default_configENS1_20scan_config_selectorIfEEZZNS1_9scan_implILNS1_25lookback_scan_determinismE0ELb0ELb0ES3_PKfPffZZZN2at6native31launch_logcumsumexp_cuda_kernelERKNSB_10TensorBaseESF_lENKUlvE_clEvENKUlvE0_clEvEUlffE_fEEDaPvRmT3_T4_T5_mT6_P12ihipStream_tbENKUlT_T0_E_clISt17integral_constantIbLb0EESW_EEDaSR_SS_EUlSR_E0_NS1_11comp_targetILNS1_3genE8ELNS1_11target_archE1030ELNS1_3gpuE2ELNS1_3repE0EEENS1_30default_config_static_selectorELNS0_4arch9wavefront6targetE1EEEvT1_,"axG",@progbits,_ZN7rocprim17ROCPRIM_400000_NS6detail17trampoline_kernelINS0_14default_configENS1_20scan_config_selectorIfEEZZNS1_9scan_implILNS1_25lookback_scan_determinismE0ELb0ELb0ES3_PKfPffZZZN2at6native31launch_logcumsumexp_cuda_kernelERKNSB_10TensorBaseESF_lENKUlvE_clEvENKUlvE0_clEvEUlffE_fEEDaPvRmT3_T4_T5_mT6_P12ihipStream_tbENKUlT_T0_E_clISt17integral_constantIbLb0EESW_EEDaSR_SS_EUlSR_E0_NS1_11comp_targetILNS1_3genE8ELNS1_11target_archE1030ELNS1_3gpuE2ELNS1_3repE0EEENS1_30default_config_static_selectorELNS0_4arch9wavefront6targetE1EEEvT1_,comdat
.Lfunc_end113:
	.size	_ZN7rocprim17ROCPRIM_400000_NS6detail17trampoline_kernelINS0_14default_configENS1_20scan_config_selectorIfEEZZNS1_9scan_implILNS1_25lookback_scan_determinismE0ELb0ELb0ES3_PKfPffZZZN2at6native31launch_logcumsumexp_cuda_kernelERKNSB_10TensorBaseESF_lENKUlvE_clEvENKUlvE0_clEvEUlffE_fEEDaPvRmT3_T4_T5_mT6_P12ihipStream_tbENKUlT_T0_E_clISt17integral_constantIbLb0EESW_EEDaSR_SS_EUlSR_E0_NS1_11comp_targetILNS1_3genE8ELNS1_11target_archE1030ELNS1_3gpuE2ELNS1_3repE0EEENS1_30default_config_static_selectorELNS0_4arch9wavefront6targetE1EEEvT1_, .Lfunc_end113-_ZN7rocprim17ROCPRIM_400000_NS6detail17trampoline_kernelINS0_14default_configENS1_20scan_config_selectorIfEEZZNS1_9scan_implILNS1_25lookback_scan_determinismE0ELb0ELb0ES3_PKfPffZZZN2at6native31launch_logcumsumexp_cuda_kernelERKNSB_10TensorBaseESF_lENKUlvE_clEvENKUlvE0_clEvEUlffE_fEEDaPvRmT3_T4_T5_mT6_P12ihipStream_tbENKUlT_T0_E_clISt17integral_constantIbLb0EESW_EEDaSR_SS_EUlSR_E0_NS1_11comp_targetILNS1_3genE8ELNS1_11target_archE1030ELNS1_3gpuE2ELNS1_3repE0EEENS1_30default_config_static_selectorELNS0_4arch9wavefront6targetE1EEEvT1_
                                        ; -- End function
	.section	.AMDGPU.csdata,"",@progbits
; Kernel info:
; codeLenInByte = 0
; NumSgprs: 4
; NumVgprs: 0
; NumAgprs: 0
; TotalNumVgprs: 0
; ScratchSize: 0
; MemoryBound: 0
; FloatMode: 240
; IeeeMode: 1
; LDSByteSize: 0 bytes/workgroup (compile time only)
; SGPRBlocks: 0
; VGPRBlocks: 0
; NumSGPRsForWavesPerEU: 4
; NumVGPRsForWavesPerEU: 1
; AccumOffset: 4
; Occupancy: 8
; WaveLimiterHint : 0
; COMPUTE_PGM_RSRC2:SCRATCH_EN: 0
; COMPUTE_PGM_RSRC2:USER_SGPR: 6
; COMPUTE_PGM_RSRC2:TRAP_HANDLER: 0
; COMPUTE_PGM_RSRC2:TGID_X_EN: 1
; COMPUTE_PGM_RSRC2:TGID_Y_EN: 0
; COMPUTE_PGM_RSRC2:TGID_Z_EN: 0
; COMPUTE_PGM_RSRC2:TIDIG_COMP_CNT: 0
; COMPUTE_PGM_RSRC3_GFX90A:ACCUM_OFFSET: 0
; COMPUTE_PGM_RSRC3_GFX90A:TG_SPLIT: 0
	.section	.text._ZN7rocprim17ROCPRIM_400000_NS6detail31init_lookback_scan_state_kernelINS1_19lookback_scan_stateIfLb1ELb1EEENS1_16block_id_wrapperIjLb1EEEEEvT_jT0_jPNS7_10value_typeE,"axG",@progbits,_ZN7rocprim17ROCPRIM_400000_NS6detail31init_lookback_scan_state_kernelINS1_19lookback_scan_stateIfLb1ELb1EEENS1_16block_id_wrapperIjLb1EEEEEvT_jT0_jPNS7_10value_typeE,comdat
	.protected	_ZN7rocprim17ROCPRIM_400000_NS6detail31init_lookback_scan_state_kernelINS1_19lookback_scan_stateIfLb1ELb1EEENS1_16block_id_wrapperIjLb1EEEEEvT_jT0_jPNS7_10value_typeE ; -- Begin function _ZN7rocprim17ROCPRIM_400000_NS6detail31init_lookback_scan_state_kernelINS1_19lookback_scan_stateIfLb1ELb1EEENS1_16block_id_wrapperIjLb1EEEEEvT_jT0_jPNS7_10value_typeE
	.globl	_ZN7rocprim17ROCPRIM_400000_NS6detail31init_lookback_scan_state_kernelINS1_19lookback_scan_stateIfLb1ELb1EEENS1_16block_id_wrapperIjLb1EEEEEvT_jT0_jPNS7_10value_typeE
	.p2align	8
	.type	_ZN7rocprim17ROCPRIM_400000_NS6detail31init_lookback_scan_state_kernelINS1_19lookback_scan_stateIfLb1ELb1EEENS1_16block_id_wrapperIjLb1EEEEEvT_jT0_jPNS7_10value_typeE,@function
_ZN7rocprim17ROCPRIM_400000_NS6detail31init_lookback_scan_state_kernelINS1_19lookback_scan_stateIfLb1ELb1EEENS1_16block_id_wrapperIjLb1EEEEEvT_jT0_jPNS7_10value_typeE: ; @_ZN7rocprim17ROCPRIM_400000_NS6detail31init_lookback_scan_state_kernelINS1_19lookback_scan_stateIfLb1ELb1EEENS1_16block_id_wrapperIjLb1EEEEEvT_jT0_jPNS7_10value_typeE
; %bb.0:
	s_load_dword s7, s[4:5], 0x34
	s_load_dwordx2 s[2:3], s[4:5], 0x20
	s_load_dwordx2 s[0:1], s[4:5], 0x0
	s_load_dword s10, s[4:5], 0x8
	s_waitcnt lgkmcnt(0)
	s_and_b32 s7, s7, 0xffff
	s_mul_i32 s6, s6, s7
	s_cmp_eq_u64 s[2:3], 0
	v_add_u32_e32 v0, s6, v0
	s_cbranch_scc1 .LBB114_9
; %bb.1:
	s_load_dword s8, s[4:5], 0x18
	s_mov_b32 s9, 0
	s_waitcnt lgkmcnt(0)
	s_cmp_lt_u32 s8, s10
	s_cselect_b32 s6, s8, 0
	v_cmp_eq_u32_e32 vcc, s6, v0
	s_and_saveexec_b64 s[6:7], vcc
	s_cbranch_execz .LBB114_8
; %bb.2:
	s_add_i32 s8, s8, 64
	s_lshl_b64 s[8:9], s[8:9], 3
	s_add_u32 s8, s0, s8
	s_addc_u32 s9, s1, s9
	v_mov_b32_e32 v2, 0
	global_load_dwordx2 v[4:5], v2, s[8:9] glc
	s_waitcnt vmcnt(0)
	v_and_b32_e32 v3, 0xff, v5
	v_cmp_ne_u64_e32 vcc, 0, v[2:3]
	s_cbranch_vccnz .LBB114_7
; %bb.3:
	s_mov_b32 s11, 1
.LBB114_4:                              ; =>This Loop Header: Depth=1
                                        ;     Child Loop BB114_5 Depth 2
	s_max_u32 s12, s11, 1
.LBB114_5:                              ;   Parent Loop BB114_4 Depth=1
                                        ; =>  This Inner Loop Header: Depth=2
	s_add_i32 s12, s12, -1
	s_cmp_eq_u32 s12, 0
	s_sleep 1
	s_cbranch_scc0 .LBB114_5
; %bb.6:                                ;   in Loop: Header=BB114_4 Depth=1
	global_load_dwordx2 v[4:5], v2, s[8:9] glc
	s_cmp_lt_u32 s11, 32
	s_cselect_b64 s[12:13], -1, 0
	s_cmp_lg_u64 s[12:13], 0
	s_addc_u32 s11, s11, 0
	s_waitcnt vmcnt(0)
	v_and_b32_e32 v3, 0xff, v5
	v_cmp_ne_u64_e32 vcc, 0, v[2:3]
	s_cbranch_vccz .LBB114_4
.LBB114_7:
	v_mov_b32_e32 v1, 0
	global_store_dword v1, v4, s[2:3]
.LBB114_8:
	s_or_b64 exec, exec, s[6:7]
.LBB114_9:
	v_cmp_eq_u32_e32 vcc, 0, v0
	s_and_saveexec_b64 s[2:3], vcc
	s_cbranch_execnz .LBB114_13
; %bb.10:
	s_or_b64 exec, exec, s[2:3]
	v_cmp_gt_u32_e32 vcc, s10, v0
	s_and_saveexec_b64 s[2:3], vcc
	s_cbranch_execnz .LBB114_14
.LBB114_11:
	s_or_b64 exec, exec, s[2:3]
	v_cmp_gt_u32_e32 vcc, 64, v0
	s_and_saveexec_b64 s[2:3], vcc
	s_cbranch_execnz .LBB114_15
.LBB114_12:
	s_endpgm
.LBB114_13:
	s_load_dwordx2 s[4:5], s[4:5], 0x10
	v_mov_b32_e32 v1, 0
	s_waitcnt lgkmcnt(0)
	global_store_dword v1, v1, s[4:5]
	s_or_b64 exec, exec, s[2:3]
	v_cmp_gt_u32_e32 vcc, s10, v0
	s_and_saveexec_b64 s[2:3], vcc
	s_cbranch_execz .LBB114_11
.LBB114_14:
	v_add_u32_e32 v2, 64, v0
	v_mov_b32_e32 v3, 0
	v_lshlrev_b64 v[4:5], 3, v[2:3]
	v_mov_b32_e32 v1, s1
	v_add_co_u32_e32 v4, vcc, s0, v4
	v_addc_co_u32_e32 v5, vcc, v1, v5, vcc
	v_mov_b32_e32 v2, v3
	global_store_dwordx2 v[4:5], v[2:3], off
	s_or_b64 exec, exec, s[2:3]
	v_cmp_gt_u32_e32 vcc, 64, v0
	s_and_saveexec_b64 s[2:3], vcc
	s_cbranch_execz .LBB114_12
.LBB114_15:
	v_mov_b32_e32 v1, 0
	v_lshlrev_b64 v[2:3], 3, v[0:1]
	v_mov_b32_e32 v0, s1
	v_add_co_u32_e32 v2, vcc, s0, v2
	v_addc_co_u32_e32 v3, vcc, v0, v3, vcc
	v_mov_b32_e32 v5, 0xff
	v_mov_b32_e32 v4, v1
	global_store_dwordx2 v[2:3], v[4:5], off
	s_endpgm
	.section	.rodata,"a",@progbits
	.p2align	6, 0x0
	.amdhsa_kernel _ZN7rocprim17ROCPRIM_400000_NS6detail31init_lookback_scan_state_kernelINS1_19lookback_scan_stateIfLb1ELb1EEENS1_16block_id_wrapperIjLb1EEEEEvT_jT0_jPNS7_10value_typeE
		.amdhsa_group_segment_fixed_size 0
		.amdhsa_private_segment_fixed_size 0
		.amdhsa_kernarg_size 296
		.amdhsa_user_sgpr_count 6
		.amdhsa_user_sgpr_private_segment_buffer 1
		.amdhsa_user_sgpr_dispatch_ptr 0
		.amdhsa_user_sgpr_queue_ptr 0
		.amdhsa_user_sgpr_kernarg_segment_ptr 1
		.amdhsa_user_sgpr_dispatch_id 0
		.amdhsa_user_sgpr_flat_scratch_init 0
		.amdhsa_user_sgpr_kernarg_preload_length 0
		.amdhsa_user_sgpr_kernarg_preload_offset 0
		.amdhsa_user_sgpr_private_segment_size 0
		.amdhsa_uses_dynamic_stack 0
		.amdhsa_system_sgpr_private_segment_wavefront_offset 0
		.amdhsa_system_sgpr_workgroup_id_x 1
		.amdhsa_system_sgpr_workgroup_id_y 0
		.amdhsa_system_sgpr_workgroup_id_z 0
		.amdhsa_system_sgpr_workgroup_info 0
		.amdhsa_system_vgpr_workitem_id 0
		.amdhsa_next_free_vgpr 6
		.amdhsa_next_free_sgpr 14
		.amdhsa_accum_offset 8
		.amdhsa_reserve_vcc 1
		.amdhsa_reserve_flat_scratch 0
		.amdhsa_float_round_mode_32 0
		.amdhsa_float_round_mode_16_64 0
		.amdhsa_float_denorm_mode_32 3
		.amdhsa_float_denorm_mode_16_64 3
		.amdhsa_dx10_clamp 1
		.amdhsa_ieee_mode 1
		.amdhsa_fp16_overflow 0
		.amdhsa_tg_split 0
		.amdhsa_exception_fp_ieee_invalid_op 0
		.amdhsa_exception_fp_denorm_src 0
		.amdhsa_exception_fp_ieee_div_zero 0
		.amdhsa_exception_fp_ieee_overflow 0
		.amdhsa_exception_fp_ieee_underflow 0
		.amdhsa_exception_fp_ieee_inexact 0
		.amdhsa_exception_int_div_zero 0
	.end_amdhsa_kernel
	.section	.text._ZN7rocprim17ROCPRIM_400000_NS6detail31init_lookback_scan_state_kernelINS1_19lookback_scan_stateIfLb1ELb1EEENS1_16block_id_wrapperIjLb1EEEEEvT_jT0_jPNS7_10value_typeE,"axG",@progbits,_ZN7rocprim17ROCPRIM_400000_NS6detail31init_lookback_scan_state_kernelINS1_19lookback_scan_stateIfLb1ELb1EEENS1_16block_id_wrapperIjLb1EEEEEvT_jT0_jPNS7_10value_typeE,comdat
.Lfunc_end114:
	.size	_ZN7rocprim17ROCPRIM_400000_NS6detail31init_lookback_scan_state_kernelINS1_19lookback_scan_stateIfLb1ELb1EEENS1_16block_id_wrapperIjLb1EEEEEvT_jT0_jPNS7_10value_typeE, .Lfunc_end114-_ZN7rocprim17ROCPRIM_400000_NS6detail31init_lookback_scan_state_kernelINS1_19lookback_scan_stateIfLb1ELb1EEENS1_16block_id_wrapperIjLb1EEEEEvT_jT0_jPNS7_10value_typeE
                                        ; -- End function
	.section	.AMDGPU.csdata,"",@progbits
; Kernel info:
; codeLenInByte = 420
; NumSgprs: 18
; NumVgprs: 6
; NumAgprs: 0
; TotalNumVgprs: 6
; ScratchSize: 0
; MemoryBound: 0
; FloatMode: 240
; IeeeMode: 1
; LDSByteSize: 0 bytes/workgroup (compile time only)
; SGPRBlocks: 2
; VGPRBlocks: 0
; NumSGPRsForWavesPerEU: 18
; NumVGPRsForWavesPerEU: 6
; AccumOffset: 8
; Occupancy: 8
; WaveLimiterHint : 0
; COMPUTE_PGM_RSRC2:SCRATCH_EN: 0
; COMPUTE_PGM_RSRC2:USER_SGPR: 6
; COMPUTE_PGM_RSRC2:TRAP_HANDLER: 0
; COMPUTE_PGM_RSRC2:TGID_X_EN: 1
; COMPUTE_PGM_RSRC2:TGID_Y_EN: 0
; COMPUTE_PGM_RSRC2:TGID_Z_EN: 0
; COMPUTE_PGM_RSRC2:TIDIG_COMP_CNT: 0
; COMPUTE_PGM_RSRC3_GFX90A:ACCUM_OFFSET: 1
; COMPUTE_PGM_RSRC3_GFX90A:TG_SPLIT: 0
	.section	.text._ZN7rocprim17ROCPRIM_400000_NS6detail17trampoline_kernelINS0_14default_configENS1_20scan_config_selectorIfEEZZNS1_9scan_implILNS1_25lookback_scan_determinismE0ELb0ELb0ES3_PKfPffZZZN2at6native31launch_logcumsumexp_cuda_kernelERKNSB_10TensorBaseESF_lENKUlvE_clEvENKUlvE0_clEvEUlffE_fEEDaPvRmT3_T4_T5_mT6_P12ihipStream_tbENKUlT_T0_E_clISt17integral_constantIbLb1EESW_EEDaSR_SS_EUlSR_E_NS1_11comp_targetILNS1_3genE0ELNS1_11target_archE4294967295ELNS1_3gpuE0ELNS1_3repE0EEENS1_30default_config_static_selectorELNS0_4arch9wavefront6targetE1EEEvT1_,"axG",@progbits,_ZN7rocprim17ROCPRIM_400000_NS6detail17trampoline_kernelINS0_14default_configENS1_20scan_config_selectorIfEEZZNS1_9scan_implILNS1_25lookback_scan_determinismE0ELb0ELb0ES3_PKfPffZZZN2at6native31launch_logcumsumexp_cuda_kernelERKNSB_10TensorBaseESF_lENKUlvE_clEvENKUlvE0_clEvEUlffE_fEEDaPvRmT3_T4_T5_mT6_P12ihipStream_tbENKUlT_T0_E_clISt17integral_constantIbLb1EESW_EEDaSR_SS_EUlSR_E_NS1_11comp_targetILNS1_3genE0ELNS1_11target_archE4294967295ELNS1_3gpuE0ELNS1_3repE0EEENS1_30default_config_static_selectorELNS0_4arch9wavefront6targetE1EEEvT1_,comdat
	.globl	_ZN7rocprim17ROCPRIM_400000_NS6detail17trampoline_kernelINS0_14default_configENS1_20scan_config_selectorIfEEZZNS1_9scan_implILNS1_25lookback_scan_determinismE0ELb0ELb0ES3_PKfPffZZZN2at6native31launch_logcumsumexp_cuda_kernelERKNSB_10TensorBaseESF_lENKUlvE_clEvENKUlvE0_clEvEUlffE_fEEDaPvRmT3_T4_T5_mT6_P12ihipStream_tbENKUlT_T0_E_clISt17integral_constantIbLb1EESW_EEDaSR_SS_EUlSR_E_NS1_11comp_targetILNS1_3genE0ELNS1_11target_archE4294967295ELNS1_3gpuE0ELNS1_3repE0EEENS1_30default_config_static_selectorELNS0_4arch9wavefront6targetE1EEEvT1_ ; -- Begin function _ZN7rocprim17ROCPRIM_400000_NS6detail17trampoline_kernelINS0_14default_configENS1_20scan_config_selectorIfEEZZNS1_9scan_implILNS1_25lookback_scan_determinismE0ELb0ELb0ES3_PKfPffZZZN2at6native31launch_logcumsumexp_cuda_kernelERKNSB_10TensorBaseESF_lENKUlvE_clEvENKUlvE0_clEvEUlffE_fEEDaPvRmT3_T4_T5_mT6_P12ihipStream_tbENKUlT_T0_E_clISt17integral_constantIbLb1EESW_EEDaSR_SS_EUlSR_E_NS1_11comp_targetILNS1_3genE0ELNS1_11target_archE4294967295ELNS1_3gpuE0ELNS1_3repE0EEENS1_30default_config_static_selectorELNS0_4arch9wavefront6targetE1EEEvT1_
	.p2align	8
	.type	_ZN7rocprim17ROCPRIM_400000_NS6detail17trampoline_kernelINS0_14default_configENS1_20scan_config_selectorIfEEZZNS1_9scan_implILNS1_25lookback_scan_determinismE0ELb0ELb0ES3_PKfPffZZZN2at6native31launch_logcumsumexp_cuda_kernelERKNSB_10TensorBaseESF_lENKUlvE_clEvENKUlvE0_clEvEUlffE_fEEDaPvRmT3_T4_T5_mT6_P12ihipStream_tbENKUlT_T0_E_clISt17integral_constantIbLb1EESW_EEDaSR_SS_EUlSR_E_NS1_11comp_targetILNS1_3genE0ELNS1_11target_archE4294967295ELNS1_3gpuE0ELNS1_3repE0EEENS1_30default_config_static_selectorELNS0_4arch9wavefront6targetE1EEEvT1_,@function
_ZN7rocprim17ROCPRIM_400000_NS6detail17trampoline_kernelINS0_14default_configENS1_20scan_config_selectorIfEEZZNS1_9scan_implILNS1_25lookback_scan_determinismE0ELb0ELb0ES3_PKfPffZZZN2at6native31launch_logcumsumexp_cuda_kernelERKNSB_10TensorBaseESF_lENKUlvE_clEvENKUlvE0_clEvEUlffE_fEEDaPvRmT3_T4_T5_mT6_P12ihipStream_tbENKUlT_T0_E_clISt17integral_constantIbLb1EESW_EEDaSR_SS_EUlSR_E_NS1_11comp_targetILNS1_3genE0ELNS1_11target_archE4294967295ELNS1_3gpuE0ELNS1_3repE0EEENS1_30default_config_static_selectorELNS0_4arch9wavefront6targetE1EEEvT1_: ; @_ZN7rocprim17ROCPRIM_400000_NS6detail17trampoline_kernelINS0_14default_configENS1_20scan_config_selectorIfEEZZNS1_9scan_implILNS1_25lookback_scan_determinismE0ELb0ELb0ES3_PKfPffZZZN2at6native31launch_logcumsumexp_cuda_kernelERKNSB_10TensorBaseESF_lENKUlvE_clEvENKUlvE0_clEvEUlffE_fEEDaPvRmT3_T4_T5_mT6_P12ihipStream_tbENKUlT_T0_E_clISt17integral_constantIbLb1EESW_EEDaSR_SS_EUlSR_E_NS1_11comp_targetILNS1_3genE0ELNS1_11target_archE4294967295ELNS1_3gpuE0ELNS1_3repE0EEENS1_30default_config_static_selectorELNS0_4arch9wavefront6targetE1EEEvT1_
; %bb.0:
	.section	.rodata,"a",@progbits
	.p2align	6, 0x0
	.amdhsa_kernel _ZN7rocprim17ROCPRIM_400000_NS6detail17trampoline_kernelINS0_14default_configENS1_20scan_config_selectorIfEEZZNS1_9scan_implILNS1_25lookback_scan_determinismE0ELb0ELb0ES3_PKfPffZZZN2at6native31launch_logcumsumexp_cuda_kernelERKNSB_10TensorBaseESF_lENKUlvE_clEvENKUlvE0_clEvEUlffE_fEEDaPvRmT3_T4_T5_mT6_P12ihipStream_tbENKUlT_T0_E_clISt17integral_constantIbLb1EESW_EEDaSR_SS_EUlSR_E_NS1_11comp_targetILNS1_3genE0ELNS1_11target_archE4294967295ELNS1_3gpuE0ELNS1_3repE0EEENS1_30default_config_static_selectorELNS0_4arch9wavefront6targetE1EEEvT1_
		.amdhsa_group_segment_fixed_size 0
		.amdhsa_private_segment_fixed_size 0
		.amdhsa_kernarg_size 96
		.amdhsa_user_sgpr_count 6
		.amdhsa_user_sgpr_private_segment_buffer 1
		.amdhsa_user_sgpr_dispatch_ptr 0
		.amdhsa_user_sgpr_queue_ptr 0
		.amdhsa_user_sgpr_kernarg_segment_ptr 1
		.amdhsa_user_sgpr_dispatch_id 0
		.amdhsa_user_sgpr_flat_scratch_init 0
		.amdhsa_user_sgpr_kernarg_preload_length 0
		.amdhsa_user_sgpr_kernarg_preload_offset 0
		.amdhsa_user_sgpr_private_segment_size 0
		.amdhsa_uses_dynamic_stack 0
		.amdhsa_system_sgpr_private_segment_wavefront_offset 0
		.amdhsa_system_sgpr_workgroup_id_x 1
		.amdhsa_system_sgpr_workgroup_id_y 0
		.amdhsa_system_sgpr_workgroup_id_z 0
		.amdhsa_system_sgpr_workgroup_info 0
		.amdhsa_system_vgpr_workitem_id 0
		.amdhsa_next_free_vgpr 1
		.amdhsa_next_free_sgpr 0
		.amdhsa_accum_offset 4
		.amdhsa_reserve_vcc 0
		.amdhsa_reserve_flat_scratch 0
		.amdhsa_float_round_mode_32 0
		.amdhsa_float_round_mode_16_64 0
		.amdhsa_float_denorm_mode_32 3
		.amdhsa_float_denorm_mode_16_64 3
		.amdhsa_dx10_clamp 1
		.amdhsa_ieee_mode 1
		.amdhsa_fp16_overflow 0
		.amdhsa_tg_split 0
		.amdhsa_exception_fp_ieee_invalid_op 0
		.amdhsa_exception_fp_denorm_src 0
		.amdhsa_exception_fp_ieee_div_zero 0
		.amdhsa_exception_fp_ieee_overflow 0
		.amdhsa_exception_fp_ieee_underflow 0
		.amdhsa_exception_fp_ieee_inexact 0
		.amdhsa_exception_int_div_zero 0
	.end_amdhsa_kernel
	.section	.text._ZN7rocprim17ROCPRIM_400000_NS6detail17trampoline_kernelINS0_14default_configENS1_20scan_config_selectorIfEEZZNS1_9scan_implILNS1_25lookback_scan_determinismE0ELb0ELb0ES3_PKfPffZZZN2at6native31launch_logcumsumexp_cuda_kernelERKNSB_10TensorBaseESF_lENKUlvE_clEvENKUlvE0_clEvEUlffE_fEEDaPvRmT3_T4_T5_mT6_P12ihipStream_tbENKUlT_T0_E_clISt17integral_constantIbLb1EESW_EEDaSR_SS_EUlSR_E_NS1_11comp_targetILNS1_3genE0ELNS1_11target_archE4294967295ELNS1_3gpuE0ELNS1_3repE0EEENS1_30default_config_static_selectorELNS0_4arch9wavefront6targetE1EEEvT1_,"axG",@progbits,_ZN7rocprim17ROCPRIM_400000_NS6detail17trampoline_kernelINS0_14default_configENS1_20scan_config_selectorIfEEZZNS1_9scan_implILNS1_25lookback_scan_determinismE0ELb0ELb0ES3_PKfPffZZZN2at6native31launch_logcumsumexp_cuda_kernelERKNSB_10TensorBaseESF_lENKUlvE_clEvENKUlvE0_clEvEUlffE_fEEDaPvRmT3_T4_T5_mT6_P12ihipStream_tbENKUlT_T0_E_clISt17integral_constantIbLb1EESW_EEDaSR_SS_EUlSR_E_NS1_11comp_targetILNS1_3genE0ELNS1_11target_archE4294967295ELNS1_3gpuE0ELNS1_3repE0EEENS1_30default_config_static_selectorELNS0_4arch9wavefront6targetE1EEEvT1_,comdat
.Lfunc_end115:
	.size	_ZN7rocprim17ROCPRIM_400000_NS6detail17trampoline_kernelINS0_14default_configENS1_20scan_config_selectorIfEEZZNS1_9scan_implILNS1_25lookback_scan_determinismE0ELb0ELb0ES3_PKfPffZZZN2at6native31launch_logcumsumexp_cuda_kernelERKNSB_10TensorBaseESF_lENKUlvE_clEvENKUlvE0_clEvEUlffE_fEEDaPvRmT3_T4_T5_mT6_P12ihipStream_tbENKUlT_T0_E_clISt17integral_constantIbLb1EESW_EEDaSR_SS_EUlSR_E_NS1_11comp_targetILNS1_3genE0ELNS1_11target_archE4294967295ELNS1_3gpuE0ELNS1_3repE0EEENS1_30default_config_static_selectorELNS0_4arch9wavefront6targetE1EEEvT1_, .Lfunc_end115-_ZN7rocprim17ROCPRIM_400000_NS6detail17trampoline_kernelINS0_14default_configENS1_20scan_config_selectorIfEEZZNS1_9scan_implILNS1_25lookback_scan_determinismE0ELb0ELb0ES3_PKfPffZZZN2at6native31launch_logcumsumexp_cuda_kernelERKNSB_10TensorBaseESF_lENKUlvE_clEvENKUlvE0_clEvEUlffE_fEEDaPvRmT3_T4_T5_mT6_P12ihipStream_tbENKUlT_T0_E_clISt17integral_constantIbLb1EESW_EEDaSR_SS_EUlSR_E_NS1_11comp_targetILNS1_3genE0ELNS1_11target_archE4294967295ELNS1_3gpuE0ELNS1_3repE0EEENS1_30default_config_static_selectorELNS0_4arch9wavefront6targetE1EEEvT1_
                                        ; -- End function
	.section	.AMDGPU.csdata,"",@progbits
; Kernel info:
; codeLenInByte = 0
; NumSgprs: 4
; NumVgprs: 0
; NumAgprs: 0
; TotalNumVgprs: 0
; ScratchSize: 0
; MemoryBound: 0
; FloatMode: 240
; IeeeMode: 1
; LDSByteSize: 0 bytes/workgroup (compile time only)
; SGPRBlocks: 0
; VGPRBlocks: 0
; NumSGPRsForWavesPerEU: 4
; NumVGPRsForWavesPerEU: 1
; AccumOffset: 4
; Occupancy: 8
; WaveLimiterHint : 0
; COMPUTE_PGM_RSRC2:SCRATCH_EN: 0
; COMPUTE_PGM_RSRC2:USER_SGPR: 6
; COMPUTE_PGM_RSRC2:TRAP_HANDLER: 0
; COMPUTE_PGM_RSRC2:TGID_X_EN: 1
; COMPUTE_PGM_RSRC2:TGID_Y_EN: 0
; COMPUTE_PGM_RSRC2:TGID_Z_EN: 0
; COMPUTE_PGM_RSRC2:TIDIG_COMP_CNT: 0
; COMPUTE_PGM_RSRC3_GFX90A:ACCUM_OFFSET: 0
; COMPUTE_PGM_RSRC3_GFX90A:TG_SPLIT: 0
	.section	.text._ZN7rocprim17ROCPRIM_400000_NS6detail17trampoline_kernelINS0_14default_configENS1_20scan_config_selectorIfEEZZNS1_9scan_implILNS1_25lookback_scan_determinismE0ELb0ELb0ES3_PKfPffZZZN2at6native31launch_logcumsumexp_cuda_kernelERKNSB_10TensorBaseESF_lENKUlvE_clEvENKUlvE0_clEvEUlffE_fEEDaPvRmT3_T4_T5_mT6_P12ihipStream_tbENKUlT_T0_E_clISt17integral_constantIbLb1EESW_EEDaSR_SS_EUlSR_E_NS1_11comp_targetILNS1_3genE5ELNS1_11target_archE942ELNS1_3gpuE9ELNS1_3repE0EEENS1_30default_config_static_selectorELNS0_4arch9wavefront6targetE1EEEvT1_,"axG",@progbits,_ZN7rocprim17ROCPRIM_400000_NS6detail17trampoline_kernelINS0_14default_configENS1_20scan_config_selectorIfEEZZNS1_9scan_implILNS1_25lookback_scan_determinismE0ELb0ELb0ES3_PKfPffZZZN2at6native31launch_logcumsumexp_cuda_kernelERKNSB_10TensorBaseESF_lENKUlvE_clEvENKUlvE0_clEvEUlffE_fEEDaPvRmT3_T4_T5_mT6_P12ihipStream_tbENKUlT_T0_E_clISt17integral_constantIbLb1EESW_EEDaSR_SS_EUlSR_E_NS1_11comp_targetILNS1_3genE5ELNS1_11target_archE942ELNS1_3gpuE9ELNS1_3repE0EEENS1_30default_config_static_selectorELNS0_4arch9wavefront6targetE1EEEvT1_,comdat
	.globl	_ZN7rocprim17ROCPRIM_400000_NS6detail17trampoline_kernelINS0_14default_configENS1_20scan_config_selectorIfEEZZNS1_9scan_implILNS1_25lookback_scan_determinismE0ELb0ELb0ES3_PKfPffZZZN2at6native31launch_logcumsumexp_cuda_kernelERKNSB_10TensorBaseESF_lENKUlvE_clEvENKUlvE0_clEvEUlffE_fEEDaPvRmT3_T4_T5_mT6_P12ihipStream_tbENKUlT_T0_E_clISt17integral_constantIbLb1EESW_EEDaSR_SS_EUlSR_E_NS1_11comp_targetILNS1_3genE5ELNS1_11target_archE942ELNS1_3gpuE9ELNS1_3repE0EEENS1_30default_config_static_selectorELNS0_4arch9wavefront6targetE1EEEvT1_ ; -- Begin function _ZN7rocprim17ROCPRIM_400000_NS6detail17trampoline_kernelINS0_14default_configENS1_20scan_config_selectorIfEEZZNS1_9scan_implILNS1_25lookback_scan_determinismE0ELb0ELb0ES3_PKfPffZZZN2at6native31launch_logcumsumexp_cuda_kernelERKNSB_10TensorBaseESF_lENKUlvE_clEvENKUlvE0_clEvEUlffE_fEEDaPvRmT3_T4_T5_mT6_P12ihipStream_tbENKUlT_T0_E_clISt17integral_constantIbLb1EESW_EEDaSR_SS_EUlSR_E_NS1_11comp_targetILNS1_3genE5ELNS1_11target_archE942ELNS1_3gpuE9ELNS1_3repE0EEENS1_30default_config_static_selectorELNS0_4arch9wavefront6targetE1EEEvT1_
	.p2align	8
	.type	_ZN7rocprim17ROCPRIM_400000_NS6detail17trampoline_kernelINS0_14default_configENS1_20scan_config_selectorIfEEZZNS1_9scan_implILNS1_25lookback_scan_determinismE0ELb0ELb0ES3_PKfPffZZZN2at6native31launch_logcumsumexp_cuda_kernelERKNSB_10TensorBaseESF_lENKUlvE_clEvENKUlvE0_clEvEUlffE_fEEDaPvRmT3_T4_T5_mT6_P12ihipStream_tbENKUlT_T0_E_clISt17integral_constantIbLb1EESW_EEDaSR_SS_EUlSR_E_NS1_11comp_targetILNS1_3genE5ELNS1_11target_archE942ELNS1_3gpuE9ELNS1_3repE0EEENS1_30default_config_static_selectorELNS0_4arch9wavefront6targetE1EEEvT1_,@function
_ZN7rocprim17ROCPRIM_400000_NS6detail17trampoline_kernelINS0_14default_configENS1_20scan_config_selectorIfEEZZNS1_9scan_implILNS1_25lookback_scan_determinismE0ELb0ELb0ES3_PKfPffZZZN2at6native31launch_logcumsumexp_cuda_kernelERKNSB_10TensorBaseESF_lENKUlvE_clEvENKUlvE0_clEvEUlffE_fEEDaPvRmT3_T4_T5_mT6_P12ihipStream_tbENKUlT_T0_E_clISt17integral_constantIbLb1EESW_EEDaSR_SS_EUlSR_E_NS1_11comp_targetILNS1_3genE5ELNS1_11target_archE942ELNS1_3gpuE9ELNS1_3repE0EEENS1_30default_config_static_selectorELNS0_4arch9wavefront6targetE1EEEvT1_: ; @_ZN7rocprim17ROCPRIM_400000_NS6detail17trampoline_kernelINS0_14default_configENS1_20scan_config_selectorIfEEZZNS1_9scan_implILNS1_25lookback_scan_determinismE0ELb0ELb0ES3_PKfPffZZZN2at6native31launch_logcumsumexp_cuda_kernelERKNSB_10TensorBaseESF_lENKUlvE_clEvENKUlvE0_clEvEUlffE_fEEDaPvRmT3_T4_T5_mT6_P12ihipStream_tbENKUlT_T0_E_clISt17integral_constantIbLb1EESW_EEDaSR_SS_EUlSR_E_NS1_11comp_targetILNS1_3genE5ELNS1_11target_archE942ELNS1_3gpuE9ELNS1_3repE0EEENS1_30default_config_static_selectorELNS0_4arch9wavefront6targetE1EEEvT1_
; %bb.0:
	.section	.rodata,"a",@progbits
	.p2align	6, 0x0
	.amdhsa_kernel _ZN7rocprim17ROCPRIM_400000_NS6detail17trampoline_kernelINS0_14default_configENS1_20scan_config_selectorIfEEZZNS1_9scan_implILNS1_25lookback_scan_determinismE0ELb0ELb0ES3_PKfPffZZZN2at6native31launch_logcumsumexp_cuda_kernelERKNSB_10TensorBaseESF_lENKUlvE_clEvENKUlvE0_clEvEUlffE_fEEDaPvRmT3_T4_T5_mT6_P12ihipStream_tbENKUlT_T0_E_clISt17integral_constantIbLb1EESW_EEDaSR_SS_EUlSR_E_NS1_11comp_targetILNS1_3genE5ELNS1_11target_archE942ELNS1_3gpuE9ELNS1_3repE0EEENS1_30default_config_static_selectorELNS0_4arch9wavefront6targetE1EEEvT1_
		.amdhsa_group_segment_fixed_size 0
		.amdhsa_private_segment_fixed_size 0
		.amdhsa_kernarg_size 96
		.amdhsa_user_sgpr_count 6
		.amdhsa_user_sgpr_private_segment_buffer 1
		.amdhsa_user_sgpr_dispatch_ptr 0
		.amdhsa_user_sgpr_queue_ptr 0
		.amdhsa_user_sgpr_kernarg_segment_ptr 1
		.amdhsa_user_sgpr_dispatch_id 0
		.amdhsa_user_sgpr_flat_scratch_init 0
		.amdhsa_user_sgpr_kernarg_preload_length 0
		.amdhsa_user_sgpr_kernarg_preload_offset 0
		.amdhsa_user_sgpr_private_segment_size 0
		.amdhsa_uses_dynamic_stack 0
		.amdhsa_system_sgpr_private_segment_wavefront_offset 0
		.amdhsa_system_sgpr_workgroup_id_x 1
		.amdhsa_system_sgpr_workgroup_id_y 0
		.amdhsa_system_sgpr_workgroup_id_z 0
		.amdhsa_system_sgpr_workgroup_info 0
		.amdhsa_system_vgpr_workitem_id 0
		.amdhsa_next_free_vgpr 1
		.amdhsa_next_free_sgpr 0
		.amdhsa_accum_offset 4
		.amdhsa_reserve_vcc 0
		.amdhsa_reserve_flat_scratch 0
		.amdhsa_float_round_mode_32 0
		.amdhsa_float_round_mode_16_64 0
		.amdhsa_float_denorm_mode_32 3
		.amdhsa_float_denorm_mode_16_64 3
		.amdhsa_dx10_clamp 1
		.amdhsa_ieee_mode 1
		.amdhsa_fp16_overflow 0
		.amdhsa_tg_split 0
		.amdhsa_exception_fp_ieee_invalid_op 0
		.amdhsa_exception_fp_denorm_src 0
		.amdhsa_exception_fp_ieee_div_zero 0
		.amdhsa_exception_fp_ieee_overflow 0
		.amdhsa_exception_fp_ieee_underflow 0
		.amdhsa_exception_fp_ieee_inexact 0
		.amdhsa_exception_int_div_zero 0
	.end_amdhsa_kernel
	.section	.text._ZN7rocprim17ROCPRIM_400000_NS6detail17trampoline_kernelINS0_14default_configENS1_20scan_config_selectorIfEEZZNS1_9scan_implILNS1_25lookback_scan_determinismE0ELb0ELb0ES3_PKfPffZZZN2at6native31launch_logcumsumexp_cuda_kernelERKNSB_10TensorBaseESF_lENKUlvE_clEvENKUlvE0_clEvEUlffE_fEEDaPvRmT3_T4_T5_mT6_P12ihipStream_tbENKUlT_T0_E_clISt17integral_constantIbLb1EESW_EEDaSR_SS_EUlSR_E_NS1_11comp_targetILNS1_3genE5ELNS1_11target_archE942ELNS1_3gpuE9ELNS1_3repE0EEENS1_30default_config_static_selectorELNS0_4arch9wavefront6targetE1EEEvT1_,"axG",@progbits,_ZN7rocprim17ROCPRIM_400000_NS6detail17trampoline_kernelINS0_14default_configENS1_20scan_config_selectorIfEEZZNS1_9scan_implILNS1_25lookback_scan_determinismE0ELb0ELb0ES3_PKfPffZZZN2at6native31launch_logcumsumexp_cuda_kernelERKNSB_10TensorBaseESF_lENKUlvE_clEvENKUlvE0_clEvEUlffE_fEEDaPvRmT3_T4_T5_mT6_P12ihipStream_tbENKUlT_T0_E_clISt17integral_constantIbLb1EESW_EEDaSR_SS_EUlSR_E_NS1_11comp_targetILNS1_3genE5ELNS1_11target_archE942ELNS1_3gpuE9ELNS1_3repE0EEENS1_30default_config_static_selectorELNS0_4arch9wavefront6targetE1EEEvT1_,comdat
.Lfunc_end116:
	.size	_ZN7rocprim17ROCPRIM_400000_NS6detail17trampoline_kernelINS0_14default_configENS1_20scan_config_selectorIfEEZZNS1_9scan_implILNS1_25lookback_scan_determinismE0ELb0ELb0ES3_PKfPffZZZN2at6native31launch_logcumsumexp_cuda_kernelERKNSB_10TensorBaseESF_lENKUlvE_clEvENKUlvE0_clEvEUlffE_fEEDaPvRmT3_T4_T5_mT6_P12ihipStream_tbENKUlT_T0_E_clISt17integral_constantIbLb1EESW_EEDaSR_SS_EUlSR_E_NS1_11comp_targetILNS1_3genE5ELNS1_11target_archE942ELNS1_3gpuE9ELNS1_3repE0EEENS1_30default_config_static_selectorELNS0_4arch9wavefront6targetE1EEEvT1_, .Lfunc_end116-_ZN7rocprim17ROCPRIM_400000_NS6detail17trampoline_kernelINS0_14default_configENS1_20scan_config_selectorIfEEZZNS1_9scan_implILNS1_25lookback_scan_determinismE0ELb0ELb0ES3_PKfPffZZZN2at6native31launch_logcumsumexp_cuda_kernelERKNSB_10TensorBaseESF_lENKUlvE_clEvENKUlvE0_clEvEUlffE_fEEDaPvRmT3_T4_T5_mT6_P12ihipStream_tbENKUlT_T0_E_clISt17integral_constantIbLb1EESW_EEDaSR_SS_EUlSR_E_NS1_11comp_targetILNS1_3genE5ELNS1_11target_archE942ELNS1_3gpuE9ELNS1_3repE0EEENS1_30default_config_static_selectorELNS0_4arch9wavefront6targetE1EEEvT1_
                                        ; -- End function
	.section	.AMDGPU.csdata,"",@progbits
; Kernel info:
; codeLenInByte = 0
; NumSgprs: 4
; NumVgprs: 0
; NumAgprs: 0
; TotalNumVgprs: 0
; ScratchSize: 0
; MemoryBound: 0
; FloatMode: 240
; IeeeMode: 1
; LDSByteSize: 0 bytes/workgroup (compile time only)
; SGPRBlocks: 0
; VGPRBlocks: 0
; NumSGPRsForWavesPerEU: 4
; NumVGPRsForWavesPerEU: 1
; AccumOffset: 4
; Occupancy: 8
; WaveLimiterHint : 0
; COMPUTE_PGM_RSRC2:SCRATCH_EN: 0
; COMPUTE_PGM_RSRC2:USER_SGPR: 6
; COMPUTE_PGM_RSRC2:TRAP_HANDLER: 0
; COMPUTE_PGM_RSRC2:TGID_X_EN: 1
; COMPUTE_PGM_RSRC2:TGID_Y_EN: 0
; COMPUTE_PGM_RSRC2:TGID_Z_EN: 0
; COMPUTE_PGM_RSRC2:TIDIG_COMP_CNT: 0
; COMPUTE_PGM_RSRC3_GFX90A:ACCUM_OFFSET: 0
; COMPUTE_PGM_RSRC3_GFX90A:TG_SPLIT: 0
	.section	.text._ZN7rocprim17ROCPRIM_400000_NS6detail17trampoline_kernelINS0_14default_configENS1_20scan_config_selectorIfEEZZNS1_9scan_implILNS1_25lookback_scan_determinismE0ELb0ELb0ES3_PKfPffZZZN2at6native31launch_logcumsumexp_cuda_kernelERKNSB_10TensorBaseESF_lENKUlvE_clEvENKUlvE0_clEvEUlffE_fEEDaPvRmT3_T4_T5_mT6_P12ihipStream_tbENKUlT_T0_E_clISt17integral_constantIbLb1EESW_EEDaSR_SS_EUlSR_E_NS1_11comp_targetILNS1_3genE4ELNS1_11target_archE910ELNS1_3gpuE8ELNS1_3repE0EEENS1_30default_config_static_selectorELNS0_4arch9wavefront6targetE1EEEvT1_,"axG",@progbits,_ZN7rocprim17ROCPRIM_400000_NS6detail17trampoline_kernelINS0_14default_configENS1_20scan_config_selectorIfEEZZNS1_9scan_implILNS1_25lookback_scan_determinismE0ELb0ELb0ES3_PKfPffZZZN2at6native31launch_logcumsumexp_cuda_kernelERKNSB_10TensorBaseESF_lENKUlvE_clEvENKUlvE0_clEvEUlffE_fEEDaPvRmT3_T4_T5_mT6_P12ihipStream_tbENKUlT_T0_E_clISt17integral_constantIbLb1EESW_EEDaSR_SS_EUlSR_E_NS1_11comp_targetILNS1_3genE4ELNS1_11target_archE910ELNS1_3gpuE8ELNS1_3repE0EEENS1_30default_config_static_selectorELNS0_4arch9wavefront6targetE1EEEvT1_,comdat
	.globl	_ZN7rocprim17ROCPRIM_400000_NS6detail17trampoline_kernelINS0_14default_configENS1_20scan_config_selectorIfEEZZNS1_9scan_implILNS1_25lookback_scan_determinismE0ELb0ELb0ES3_PKfPffZZZN2at6native31launch_logcumsumexp_cuda_kernelERKNSB_10TensorBaseESF_lENKUlvE_clEvENKUlvE0_clEvEUlffE_fEEDaPvRmT3_T4_T5_mT6_P12ihipStream_tbENKUlT_T0_E_clISt17integral_constantIbLb1EESW_EEDaSR_SS_EUlSR_E_NS1_11comp_targetILNS1_3genE4ELNS1_11target_archE910ELNS1_3gpuE8ELNS1_3repE0EEENS1_30default_config_static_selectorELNS0_4arch9wavefront6targetE1EEEvT1_ ; -- Begin function _ZN7rocprim17ROCPRIM_400000_NS6detail17trampoline_kernelINS0_14default_configENS1_20scan_config_selectorIfEEZZNS1_9scan_implILNS1_25lookback_scan_determinismE0ELb0ELb0ES3_PKfPffZZZN2at6native31launch_logcumsumexp_cuda_kernelERKNSB_10TensorBaseESF_lENKUlvE_clEvENKUlvE0_clEvEUlffE_fEEDaPvRmT3_T4_T5_mT6_P12ihipStream_tbENKUlT_T0_E_clISt17integral_constantIbLb1EESW_EEDaSR_SS_EUlSR_E_NS1_11comp_targetILNS1_3genE4ELNS1_11target_archE910ELNS1_3gpuE8ELNS1_3repE0EEENS1_30default_config_static_selectorELNS0_4arch9wavefront6targetE1EEEvT1_
	.p2align	8
	.type	_ZN7rocprim17ROCPRIM_400000_NS6detail17trampoline_kernelINS0_14default_configENS1_20scan_config_selectorIfEEZZNS1_9scan_implILNS1_25lookback_scan_determinismE0ELb0ELb0ES3_PKfPffZZZN2at6native31launch_logcumsumexp_cuda_kernelERKNSB_10TensorBaseESF_lENKUlvE_clEvENKUlvE0_clEvEUlffE_fEEDaPvRmT3_T4_T5_mT6_P12ihipStream_tbENKUlT_T0_E_clISt17integral_constantIbLb1EESW_EEDaSR_SS_EUlSR_E_NS1_11comp_targetILNS1_3genE4ELNS1_11target_archE910ELNS1_3gpuE8ELNS1_3repE0EEENS1_30default_config_static_selectorELNS0_4arch9wavefront6targetE1EEEvT1_,@function
_ZN7rocprim17ROCPRIM_400000_NS6detail17trampoline_kernelINS0_14default_configENS1_20scan_config_selectorIfEEZZNS1_9scan_implILNS1_25lookback_scan_determinismE0ELb0ELb0ES3_PKfPffZZZN2at6native31launch_logcumsumexp_cuda_kernelERKNSB_10TensorBaseESF_lENKUlvE_clEvENKUlvE0_clEvEUlffE_fEEDaPvRmT3_T4_T5_mT6_P12ihipStream_tbENKUlT_T0_E_clISt17integral_constantIbLb1EESW_EEDaSR_SS_EUlSR_E_NS1_11comp_targetILNS1_3genE4ELNS1_11target_archE910ELNS1_3gpuE8ELNS1_3repE0EEENS1_30default_config_static_selectorELNS0_4arch9wavefront6targetE1EEEvT1_: ; @_ZN7rocprim17ROCPRIM_400000_NS6detail17trampoline_kernelINS0_14default_configENS1_20scan_config_selectorIfEEZZNS1_9scan_implILNS1_25lookback_scan_determinismE0ELb0ELb0ES3_PKfPffZZZN2at6native31launch_logcumsumexp_cuda_kernelERKNSB_10TensorBaseESF_lENKUlvE_clEvENKUlvE0_clEvEUlffE_fEEDaPvRmT3_T4_T5_mT6_P12ihipStream_tbENKUlT_T0_E_clISt17integral_constantIbLb1EESW_EEDaSR_SS_EUlSR_E_NS1_11comp_targetILNS1_3genE4ELNS1_11target_archE910ELNS1_3gpuE8ELNS1_3repE0EEENS1_30default_config_static_selectorELNS0_4arch9wavefront6targetE1EEEvT1_
; %bb.0:
	s_load_dwordx2 s[56:57], s[4:5], 0x28
	v_cmp_ne_u32_e64 s[0:1], 0, v0
	v_cmp_eq_u32_e64 s[2:3], 0, v0
	s_and_saveexec_b64 s[6:7], s[2:3]
	s_cbranch_execz .LBB117_4
; %bb.1:
	s_mov_b64 s[10:11], exec
	v_mbcnt_lo_u32_b32 v1, s10, 0
	v_mbcnt_hi_u32_b32 v1, s11, v1
	v_cmp_eq_u32_e32 vcc, 0, v1
                                        ; implicit-def: $vgpr2
	s_and_saveexec_b64 s[8:9], vcc
	s_cbranch_execz .LBB117_3
; %bb.2:
	s_load_dwordx2 s[12:13], s[4:5], 0x58
	s_bcnt1_i32_b64 s10, s[10:11]
	v_mov_b32_e32 v2, 0
	v_mov_b32_e32 v3, s10
	s_waitcnt lgkmcnt(0)
	global_atomic_add v2, v2, v3, s[12:13] glc
.LBB117_3:
	s_or_b64 exec, exec, s[8:9]
	s_waitcnt vmcnt(0)
	v_readfirstlane_b32 s8, v2
	v_add_u32_e32 v1, s8, v1
	v_mov_b32_e32 v2, 0
	ds_write_b32 v2, v1
.LBB117_4:
	s_or_b64 exec, exec, s[6:7]
	s_load_dwordx8 s[48:55], s[4:5], 0x0
	s_load_dword s6, s[4:5], 0x30
	s_load_dwordx8 s[40:47], s[4:5], 0x38
	v_mov_b32_e32 v1, 0
	s_waitcnt lgkmcnt(0)
	s_barrier
	ds_read_b32 v1, v1
	s_lshl_b64 s[50:51], s[50:51], 2
	s_add_u32 s7, s48, s50
	s_addc_u32 s8, s49, s51
	s_add_i32 s6, s6, -1
	s_mul_i32 s9, s6, 0x700
	s_sub_u32 s33, s54, s9
	s_waitcnt lgkmcnt(0)
	v_readfirstlane_b32 s63, v1
	s_subb_u32 s62, s55, 0
	s_mul_i32 s4, s63, 0x700
	s_mov_b32 s5, 0
	s_cmp_lg_u32 s63, s6
	s_cselect_b64 s[48:49], -1, 0
	s_lshl_b64 s[54:55], s[4:5], 2
	s_add_u32 s6, s7, s54
	s_addc_u32 s7, s8, s55
	s_mov_b64 s[4:5], -1
	s_and_b64 vcc, exec, s[48:49]
	v_lshlrev_b32_e32 v32, 2, v0
	s_barrier
	s_cbranch_vccz .LBB117_6
; %bb.5:
	v_mov_b32_e32 v1, s7
	v_add_co_u32_e32 v2, vcc, s6, v32
	v_addc_co_u32_e32 v1, vcc, 0, v1, vcc
	v_add_co_u32_e32 v2, vcc, 0x1000, v2
	v_addc_co_u32_e32 v3, vcc, 0, v1, vcc
	global_load_dword v4, v32, s[6:7]
	global_load_dword v5, v32, s[6:7] offset:512
	global_load_dword v6, v32, s[6:7] offset:1024
	;; [unrolled: 1-line block ×7, first 2 shown]
	global_load_dword v1, v[2:3], off
	global_load_dword v12, v[2:3], off offset:512
	global_load_dword v13, v[2:3], off offset:1024
	;; [unrolled: 1-line block ×5, first 2 shown]
	s_mov_b64 s[4:5], 0
	s_waitcnt vmcnt(12)
	ds_write2st64_b32 v32, v4, v5 offset1:2
	s_waitcnt vmcnt(10)
	ds_write2st64_b32 v32, v6, v7 offset0:4 offset1:6
	s_waitcnt vmcnt(8)
	ds_write2st64_b32 v32, v8, v9 offset0:8 offset1:10
	;; [unrolled: 2-line block ×6, first 2 shown]
	s_waitcnt lgkmcnt(0)
	s_barrier
.LBB117_6:
	s_andn2_b64 vcc, exec, s[4:5]
	v_cmp_gt_u32_e64 s[4:5], s33, v0
	s_cbranch_vccnz .LBB117_36
; %bb.7:
	v_mov_b32_e32 v1, 0
	global_load_dword v1, v1, s[6:7]
	s_waitcnt vmcnt(0)
	v_mov_b32_e32 v2, v1
	v_mov_b32_e32 v3, v1
	;; [unrolled: 1-line block ×12, first 2 shown]
	v_pk_mov_b32 v[16:17], v[14:15], v[14:15] op_sel:[0,1]
	v_pk_mov_b32 v[14:15], v[12:13], v[12:13] op_sel:[0,1]
	;; [unrolled: 1-line block ×8, first 2 shown]
	s_and_saveexec_b64 s[8:9], s[4:5]
	s_cbranch_execz .LBB117_9
; %bb.8:
	global_load_dword v18, v32, s[6:7]
	v_mov_b32_e32 v2, v1
	v_mov_b32_e32 v3, v1
	;; [unrolled: 1-line block ×12, first 2 shown]
	v_pk_mov_b32 v[16:17], v[14:15], v[14:15] op_sel:[0,1]
	v_pk_mov_b32 v[14:15], v[12:13], v[12:13] op_sel:[0,1]
	;; [unrolled: 1-line block ×8, first 2 shown]
	s_waitcnt vmcnt(0)
	v_mov_b32_e32 v1, v18
.LBB117_9:
	s_or_b64 exec, exec, s[8:9]
	v_or_b32_e32 v2, 0x80, v0
	v_cmp_gt_u32_e32 vcc, s33, v2
	s_and_saveexec_b64 s[4:5], vcc
	s_cbranch_execz .LBB117_11
; %bb.10:
	global_load_dword v3, v32, s[6:7] offset:512
.LBB117_11:
	s_or_b64 exec, exec, s[4:5]
	v_or_b32_e32 v2, 0x100, v0
	v_cmp_gt_u32_e32 vcc, s33, v2
	s_and_saveexec_b64 s[4:5], vcc
	s_cbranch_execz .LBB117_13
; %bb.12:
	global_load_dword v4, v32, s[6:7] offset:1024
.LBB117_13:
	;; [unrolled: 8-line block ×7, first 2 shown]
	s_or_b64 exec, exec, s[4:5]
	v_or_b32_e32 v2, 0x400, v0
	v_cmp_gt_u32_e32 vcc, s33, v2
	s_and_saveexec_b64 s[4:5], vcc
	s_cbranch_execz .LBB117_25
; %bb.24:
	v_lshlrev_b32_e32 v2, 2, v2
	global_load_dword v10, v2, s[6:7]
.LBB117_25:
	s_or_b64 exec, exec, s[4:5]
	v_or_b32_e32 v2, 0x480, v0
	v_cmp_gt_u32_e32 vcc, s33, v2
	s_and_saveexec_b64 s[4:5], vcc
	s_cbranch_execz .LBB117_27
; %bb.26:
	v_lshlrev_b32_e32 v2, 2, v2
	global_load_dword v11, v2, s[6:7]
.LBB117_27:
	;; [unrolled: 9-line block ×6, first 2 shown]
	s_or_b64 exec, exec, s[4:5]
	s_waitcnt vmcnt(0)
	ds_write2st64_b32 v32, v1, v3 offset1:2
	ds_write2st64_b32 v32, v4, v5 offset0:4 offset1:6
	ds_write2st64_b32 v32, v6, v7 offset0:8 offset1:10
	ds_write2st64_b32 v32, v8, v9 offset0:12 offset1:14
	ds_write2st64_b32 v32, v10, v11 offset0:16 offset1:18
	ds_write2st64_b32 v32, v12, v13 offset0:20 offset1:22
	ds_write2st64_b32 v32, v14, v15 offset0:24 offset1:26
	s_waitcnt lgkmcnt(0)
	s_barrier
.LBB117_36:
	v_mul_u32_u24_e32 v33, 14, v0
	v_lshlrev_b32_e32 v1, 2, v33
	ds_read2_b64 v[2:5], v1 offset1:1
	ds_read2_b64 v[26:29], v1 offset0:2 offset1:3
	ds_read2_b64 v[22:25], v1 offset0:4 offset1:5
	ds_read_b64 v[30:31], v1 offset:48
	s_cmp_lg_u32 s63, 0
	s_waitcnt lgkmcnt(0)
	s_barrier
	s_cbranch_scc0 .LBB117_205
; %bb.37:
	v_max_f32_e32 v18, v3, v3
	v_max_f32_e32 v43, v2, v2
	v_min_f32_e32 v6, v43, v18
	v_cmp_u_f32_e64 s[30:31], v2, v2
	v_cndmask_b32_e64 v6, v6, v2, s[30:31]
	v_cmp_u_f32_e64 s[4:5], v3, v3
	v_cndmask_b32_e64 v7, v6, v3, s[4:5]
	v_max_f32_e32 v6, v43, v18
	v_cndmask_b32_e64 v6, v6, v2, s[30:31]
	v_cndmask_b32_e64 v6, v6, v3, s[4:5]
	s_movk_i32 s8, 0x1f8
	v_cmp_neq_f32_e32 vcc, v7, v6
	v_cmp_class_f32_e64 s[6:7], v7, s8
	s_or_b64 s[10:11], vcc, s[6:7]
	v_mov_b32_e32 v44, v2
	s_and_saveexec_b64 s[6:7], s[10:11]
	s_cbranch_execz .LBB117_39
; %bb.38:
	v_sub_f32_e32 v7, v7, v6
	s_mov_b32 s9, 0x3fb8aa3b
	v_mul_f32_e32 v8, 0x3fb8aa3b, v7
	v_fma_f32 v9, v7, s9, -v8
	v_rndne_f32_e32 v10, v8
	v_fmac_f32_e32 v9, 0x32a5705f, v7
	v_sub_f32_e32 v8, v8, v10
	v_add_f32_e32 v8, v8, v9
	v_exp_f32_e32 v8, v8
	v_cvt_i32_f32_e32 v9, v10
	s_mov_b32 s9, 0xc2ce8ed0
	v_cmp_ngt_f32_e32 vcc, s9, v7
	s_mov_b32 s9, 0x42b17218
	v_ldexp_f32 v8, v8, v9
	v_cndmask_b32_e32 v8, 0, v8, vcc
	v_mov_b32_e32 v9, 0x7f800000
	v_cmp_nlt_f32_e32 vcc, s9, v7
	v_cndmask_b32_e32 v19, v9, v8, vcc
	v_add_f32_e32 v7, 1.0, v19
	v_add_f32_e32 v8, -1.0, v7
	v_sub_f32_e32 v9, v8, v7
	v_add_f32_e32 v9, 1.0, v9
	v_sub_f32_e32 v8, v19, v8
	v_add_f32_e32 v10, v8, v9
	v_frexp_mant_f32_e32 v11, v7
	s_mov_b32 s9, 0x3f2aaaab
	v_cvt_f64_f32_e32 v[8:9], v7
	v_frexp_exp_i32_f64_e32 v8, v[8:9]
	v_cmp_gt_f32_e32 vcc, s9, v11
	v_subbrev_co_u32_e32 v16, vcc, 0, v8, vcc
	v_sub_u32_e32 v8, 0, v16
	v_ldexp_f32 v7, v7, v8
	v_ldexp_f32 v8, v10, v8
	v_add_f32_e32 v10, -1.0, v7
	v_add_f32_e32 v9, 1.0, v10
	v_sub_f32_e32 v9, v7, v9
	v_add_f32_e32 v11, v8, v9
	v_add_f32_e32 v9, 1.0, v7
	v_add_f32_e32 v12, -1.0, v9
	v_sub_f32_e32 v7, v7, v12
	v_add_f32_e32 v7, v8, v7
	v_add_f32_e32 v17, v9, v7
	v_rcp_f32_e32 v20, v17
	v_sub_f32_e32 v8, v9, v17
	v_add_f32_e32 v9, v10, v11
	v_add_f32_e32 v7, v7, v8
	v_mul_f32_e32 v34, v9, v20
	v_sub_f32_e32 v8, v10, v9
	v_mul_f32_e32 v10, v17, v34
	v_fma_f32 v12, v34, v17, -v10
	v_fmac_f32_e32 v12, v34, v7
	v_add_f32_e32 v21, v11, v8
	v_add_f32_e32 v8, v10, v12
	v_sub_f32_e32 v11, v9, v8
	v_pk_add_f32 v[14:15], v[8:9], v[10:11] neg_lo:[0,1] neg_hi:[0,1]
	v_mov_b32_e32 v13, v8
	v_pk_add_f32 v[8:9], v[14:15], v[12:13] neg_lo:[0,1] neg_hi:[0,1]
	v_add_f32_e32 v9, v21, v9
	v_add_f32_e32 v8, v8, v9
	;; [unrolled: 1-line block ×3, first 2 shown]
	v_mul_f32_e32 v21, v20, v9
	v_mul_f32_e32 v10, v17, v21
	v_fma_f32 v12, v21, v17, -v10
	v_fmac_f32_e32 v12, v21, v7
	v_sub_f32_e32 v7, v11, v9
	v_add_f32_e32 v7, v8, v7
	v_add_f32_e32 v8, v10, v12
	v_sub_f32_e32 v11, v9, v8
	v_pk_add_f32 v[14:15], v[8:9], v[10:11] neg_lo:[0,1] neg_hi:[0,1]
	v_mov_b32_e32 v13, v8
	v_pk_add_f32 v[8:9], v[14:15], v[12:13] neg_lo:[0,1] neg_hi:[0,1]
	v_add_f32_e32 v7, v7, v9
	v_add_f32_e32 v7, v8, v7
	;; [unrolled: 1-line block ×4, first 2 shown]
	v_sub_f32_e32 v9, v8, v34
	v_mul_f32_e32 v7, v20, v7
	v_sub_f32_e32 v9, v21, v9
	v_add_f32_e32 v7, v9, v7
	v_add_f32_e32 v11, v8, v7
	v_mul_f32_e32 v12, v11, v11
	v_mov_b32_e32 v10, 0x3ecc95a3
	v_fmac_f32_e32 v10, 0x3e9b6dac, v12
	v_mov_b32_e32 v9, 0x3f2aaada
	v_fmac_f32_e32 v9, v12, v10
	v_cvt_f32_i32_e32 v10, v16
	v_sub_f32_e32 v8, v11, v8
	v_sub_f32_e32 v7, v7, v8
	v_ldexp_f32 v13, v11, 1
	v_mul_f32_e32 v11, v11, v12
	v_mov_b32_e32 v8, 0x3f317218
	s_mov_b32 s9, 0x3f317218
	v_pk_mul_f32 v[8:9], v[10:11], v[8:9]
	v_fma_f32 v12, v10, s9, -v8
	v_fmac_f32_e32 v12, 0xb102e308, v10
	v_pk_add_f32 v[10:11], v[8:9], v[12:13]
	v_sub_f32_e32 v13, v11, v13
	v_ldexp_f32 v7, v7, 1
	v_sub_f32_e32 v13, v9, v13
	v_add_f32_e32 v15, v7, v13
	v_mov_b32_e32 v14, v8
	v_pk_add_f32 v[8:9], v[10:11], v[8:9] neg_lo:[0,1] neg_hi:[0,1]
	v_pk_add_f32 v[16:17], v[10:11], v[14:15]
	v_mov_b32_e32 v9, v17
	v_mov_b32_e32 v13, v10
	v_pk_add_f32 v[20:21], v[12:13], v[8:9] neg_lo:[0,1] neg_hi:[0,1]
	v_pk_add_f32 v[8:9], v[12:13], v[8:9]
	v_mov_b32_e32 v12, v9
	v_pk_add_f32 v[34:35], v[12:13], v[10:11] neg_lo:[0,1] neg_hi:[0,1]
	v_mov_b32_e32 v7, v34
	v_pk_add_f32 v[36:37], v[16:17], v[6:7] neg_lo:[0,1] neg_hi:[0,1]
	v_mov_b32_e32 v8, v17
	v_mov_b32_e32 v16, v11
	;; [unrolled: 1-line block ×4, first 2 shown]
	v_pk_add_f32 v[8:9], v[8:9], v[16:17] neg_lo:[0,1] neg_hi:[0,1]
	v_mov_b32_e32 v14, v15
	v_mov_b32_e32 v15, v10
	v_pk_add_f32 v[8:9], v[14:15], v[8:9] neg_lo:[0,1] neg_hi:[0,1]
	v_mov_b32_e32 v36, v20
	v_pk_add_f32 v[10:11], v[36:37], v[8:9]
	v_mov_b32_e32 v14, v11
	v_pk_add_f32 v[14:15], v[10:11], v[14:15]
	v_pk_add_f32 v[12:13], v[12:13], v[14:15]
	v_mov_b32_e32 v11, v12
	v_pk_add_f32 v[16:17], v[10:11], v[20:21] neg_lo:[0,1] neg_hi:[0,1]
	v_mov_b32_e32 v9, v14
	v_sub_f32_e32 v7, v10, v16
	v_pk_add_f32 v[8:9], v[8:9], v[16:17] neg_lo:[0,1] neg_hi:[0,1]
	v_sub_f32_e32 v7, v20, v7
	s_mov_b32 s10, 0x7f800000
	v_add_f32_e32 v7, v8, v7
	s_mov_b32 s9, 0x33800000
	v_add_f32_e32 v7, v7, v9
	v_cmp_eq_f32_e32 vcc, s10, v19
	v_cmp_lt_f32_e64 s[10:11], |v19|, s9
	v_add_f32_e32 v7, v12, v7
	s_or_b64 vcc, vcc, s[10:11]
	v_cndmask_b32_e32 v7, v7, v19, vcc
	v_add_f32_e32 v44, v6, v7
.LBB117_39:
	s_or_b64 exec, exec, s[6:7]
	v_max_f32_e32 v6, v44, v44
	v_max_f32_e32 v19, v4, v4
	v_min_f32_e32 v7, v6, v19
	v_cmp_u_f32_e32 vcc, v44, v44
	v_max_f32_e32 v6, v6, v19
	v_cndmask_b32_e32 v7, v7, v44, vcc
	v_cmp_u_f32_e64 s[6:7], v4, v4
	v_cndmask_b32_e32 v6, v6, v44, vcc
	v_cndmask_b32_e64 v7, v7, v4, s[6:7]
	v_cndmask_b32_e64 v6, v6, v4, s[6:7]
	v_cmp_neq_f32_e32 vcc, v7, v6
	v_cmp_class_f32_e64 s[8:9], v7, s8
	s_or_b64 s[10:11], vcc, s[8:9]
	s_and_saveexec_b64 s[8:9], s[10:11]
	s_cbranch_execz .LBB117_41
; %bb.40:
	v_sub_f32_e32 v7, v7, v6
	s_mov_b32 s10, 0x3fb8aa3b
	v_mul_f32_e32 v8, 0x3fb8aa3b, v7
	v_fma_f32 v9, v7, s10, -v8
	v_rndne_f32_e32 v10, v8
	v_fmac_f32_e32 v9, 0x32a5705f, v7
	v_sub_f32_e32 v8, v8, v10
	v_add_f32_e32 v8, v8, v9
	v_exp_f32_e32 v8, v8
	v_cvt_i32_f32_e32 v9, v10
	s_mov_b32 s10, 0xc2ce8ed0
	v_cmp_ngt_f32_e32 vcc, s10, v7
	s_mov_b32 s10, 0x42b17218
	v_ldexp_f32 v8, v8, v9
	v_cndmask_b32_e32 v8, 0, v8, vcc
	v_mov_b32_e32 v9, 0x7f800000
	v_cmp_nlt_f32_e32 vcc, s10, v7
	v_cndmask_b32_e32 v38, v9, v8, vcc
	v_add_f32_e32 v7, 1.0, v38
	v_add_f32_e32 v8, -1.0, v7
	v_sub_f32_e32 v9, v8, v7
	v_add_f32_e32 v9, 1.0, v9
	v_sub_f32_e32 v8, v38, v8
	v_add_f32_e32 v10, v8, v9
	v_frexp_mant_f32_e32 v11, v7
	s_mov_b32 s10, 0x3f2aaaab
	v_cvt_f64_f32_e32 v[8:9], v7
	v_frexp_exp_i32_f64_e32 v8, v[8:9]
	v_cmp_gt_f32_e32 vcc, s10, v11
	v_subbrev_co_u32_e32 v16, vcc, 0, v8, vcc
	v_sub_u32_e32 v8, 0, v16
	v_ldexp_f32 v7, v7, v8
	v_ldexp_f32 v8, v10, v8
	v_add_f32_e32 v10, -1.0, v7
	v_add_f32_e32 v9, 1.0, v10
	v_sub_f32_e32 v9, v7, v9
	v_add_f32_e32 v11, v8, v9
	v_add_f32_e32 v9, 1.0, v7
	v_add_f32_e32 v12, -1.0, v9
	v_sub_f32_e32 v7, v7, v12
	v_add_f32_e32 v7, v8, v7
	v_add_f32_e32 v17, v9, v7
	v_rcp_f32_e32 v20, v17
	v_sub_f32_e32 v8, v9, v17
	v_add_f32_e32 v9, v10, v11
	v_add_f32_e32 v7, v7, v8
	v_mul_f32_e32 v34, v9, v20
	v_sub_f32_e32 v8, v10, v9
	v_mul_f32_e32 v10, v17, v34
	v_fma_f32 v12, v34, v17, -v10
	v_fmac_f32_e32 v12, v34, v7
	v_add_f32_e32 v21, v11, v8
	v_add_f32_e32 v8, v10, v12
	v_sub_f32_e32 v11, v9, v8
	v_pk_add_f32 v[14:15], v[8:9], v[10:11] neg_lo:[0,1] neg_hi:[0,1]
	v_mov_b32_e32 v13, v8
	v_pk_add_f32 v[8:9], v[14:15], v[12:13] neg_lo:[0,1] neg_hi:[0,1]
	v_add_f32_e32 v9, v21, v9
	v_add_f32_e32 v8, v8, v9
	;; [unrolled: 1-line block ×3, first 2 shown]
	v_mul_f32_e32 v21, v20, v9
	v_mul_f32_e32 v10, v17, v21
	v_fma_f32 v12, v21, v17, -v10
	v_fmac_f32_e32 v12, v21, v7
	v_sub_f32_e32 v7, v11, v9
	v_add_f32_e32 v7, v8, v7
	v_add_f32_e32 v8, v10, v12
	v_sub_f32_e32 v11, v9, v8
	v_pk_add_f32 v[14:15], v[8:9], v[10:11] neg_lo:[0,1] neg_hi:[0,1]
	v_mov_b32_e32 v13, v8
	v_pk_add_f32 v[8:9], v[14:15], v[12:13] neg_lo:[0,1] neg_hi:[0,1]
	v_add_f32_e32 v7, v7, v9
	v_add_f32_e32 v7, v8, v7
	;; [unrolled: 1-line block ×4, first 2 shown]
	v_sub_f32_e32 v9, v8, v34
	v_mul_f32_e32 v7, v20, v7
	v_sub_f32_e32 v9, v21, v9
	v_add_f32_e32 v7, v9, v7
	v_add_f32_e32 v11, v8, v7
	v_mul_f32_e32 v12, v11, v11
	v_mov_b32_e32 v10, 0x3ecc95a3
	v_fmac_f32_e32 v10, 0x3e9b6dac, v12
	v_mov_b32_e32 v9, 0x3f2aaada
	v_fmac_f32_e32 v9, v12, v10
	v_cvt_f32_i32_e32 v10, v16
	v_sub_f32_e32 v8, v11, v8
	v_sub_f32_e32 v7, v7, v8
	v_ldexp_f32 v13, v11, 1
	v_mul_f32_e32 v11, v11, v12
	v_mov_b32_e32 v8, 0x3f317218
	s_mov_b32 s10, 0x3f317218
	v_pk_mul_f32 v[8:9], v[10:11], v[8:9]
	v_fma_f32 v12, v10, s10, -v8
	v_fmac_f32_e32 v12, 0xb102e308, v10
	v_pk_add_f32 v[10:11], v[8:9], v[12:13]
	v_sub_f32_e32 v13, v11, v13
	v_ldexp_f32 v7, v7, 1
	v_sub_f32_e32 v13, v9, v13
	v_add_f32_e32 v15, v7, v13
	v_mov_b32_e32 v14, v8
	v_pk_add_f32 v[8:9], v[10:11], v[8:9] neg_lo:[0,1] neg_hi:[0,1]
	v_pk_add_f32 v[16:17], v[10:11], v[14:15]
	v_mov_b32_e32 v9, v17
	v_mov_b32_e32 v13, v10
	v_pk_add_f32 v[20:21], v[12:13], v[8:9] neg_lo:[0,1] neg_hi:[0,1]
	v_pk_add_f32 v[8:9], v[12:13], v[8:9]
	v_mov_b32_e32 v12, v9
	v_pk_add_f32 v[34:35], v[12:13], v[10:11] neg_lo:[0,1] neg_hi:[0,1]
	v_mov_b32_e32 v7, v34
	v_pk_add_f32 v[36:37], v[16:17], v[6:7] neg_lo:[0,1] neg_hi:[0,1]
	v_mov_b32_e32 v8, v17
	v_mov_b32_e32 v16, v11
	;; [unrolled: 1-line block ×4, first 2 shown]
	v_pk_add_f32 v[8:9], v[8:9], v[16:17] neg_lo:[0,1] neg_hi:[0,1]
	v_mov_b32_e32 v14, v15
	v_mov_b32_e32 v15, v10
	v_pk_add_f32 v[8:9], v[14:15], v[8:9] neg_lo:[0,1] neg_hi:[0,1]
	v_mov_b32_e32 v36, v20
	v_pk_add_f32 v[10:11], v[36:37], v[8:9]
	v_mov_b32_e32 v14, v11
	v_pk_add_f32 v[14:15], v[10:11], v[14:15]
	v_pk_add_f32 v[12:13], v[12:13], v[14:15]
	v_mov_b32_e32 v11, v12
	v_pk_add_f32 v[16:17], v[10:11], v[20:21] neg_lo:[0,1] neg_hi:[0,1]
	v_mov_b32_e32 v9, v14
	v_sub_f32_e32 v7, v10, v16
	v_pk_add_f32 v[8:9], v[8:9], v[16:17] neg_lo:[0,1] neg_hi:[0,1]
	v_sub_f32_e32 v7, v20, v7
	s_mov_b32 s11, 0x7f800000
	v_add_f32_e32 v7, v8, v7
	s_mov_b32 s10, 0x33800000
	v_add_f32_e32 v7, v7, v9
	v_cmp_eq_f32_e32 vcc, s11, v38
	v_cmp_lt_f32_e64 s[10:11], |v38|, s10
	v_add_f32_e32 v7, v12, v7
	s_or_b64 vcc, vcc, s[10:11]
	v_cndmask_b32_e32 v7, v7, v38, vcc
	v_add_f32_e32 v44, v6, v7
.LBB117_41:
	s_or_b64 exec, exec, s[8:9]
	v_max_f32_e32 v6, v44, v44
	v_max_f32_e32 v20, v5, v5
	v_min_f32_e32 v7, v6, v20
	v_cmp_u_f32_e32 vcc, v44, v44
	v_max_f32_e32 v6, v6, v20
	v_cndmask_b32_e32 v7, v7, v44, vcc
	v_cmp_u_f32_e64 s[8:9], v5, v5
	v_cndmask_b32_e32 v6, v6, v44, vcc
	v_cndmask_b32_e64 v7, v7, v5, s[8:9]
	v_cndmask_b32_e64 v6, v6, v5, s[8:9]
	s_movk_i32 s12, 0x1f8
	v_cmp_neq_f32_e32 vcc, v7, v6
	v_cmp_class_f32_e64 s[10:11], v7, s12
	s_or_b64 s[14:15], vcc, s[10:11]
	s_and_saveexec_b64 s[10:11], s[14:15]
	s_cbranch_execz .LBB117_43
; %bb.42:
	v_sub_f32_e32 v7, v7, v6
	s_mov_b32 s13, 0x3fb8aa3b
	v_mul_f32_e32 v8, 0x3fb8aa3b, v7
	v_fma_f32 v9, v7, s13, -v8
	v_rndne_f32_e32 v10, v8
	v_fmac_f32_e32 v9, 0x32a5705f, v7
	v_sub_f32_e32 v8, v8, v10
	v_add_f32_e32 v8, v8, v9
	v_exp_f32_e32 v8, v8
	v_cvt_i32_f32_e32 v9, v10
	s_mov_b32 s13, 0xc2ce8ed0
	v_cmp_ngt_f32_e32 vcc, s13, v7
	s_mov_b32 s13, 0x42b17218
	v_ldexp_f32 v8, v8, v9
	v_cndmask_b32_e32 v8, 0, v8, vcc
	v_mov_b32_e32 v9, 0x7f800000
	v_cmp_nlt_f32_e32 vcc, s13, v7
	v_cndmask_b32_e32 v21, v9, v8, vcc
	v_add_f32_e32 v7, 1.0, v21
	v_add_f32_e32 v8, -1.0, v7
	v_sub_f32_e32 v9, v8, v7
	v_add_f32_e32 v9, 1.0, v9
	v_sub_f32_e32 v8, v21, v8
	v_add_f32_e32 v10, v8, v9
	v_frexp_mant_f32_e32 v11, v7
	s_mov_b32 s13, 0x3f2aaaab
	v_cvt_f64_f32_e32 v[8:9], v7
	v_frexp_exp_i32_f64_e32 v8, v[8:9]
	v_cmp_gt_f32_e32 vcc, s13, v11
	v_subbrev_co_u32_e32 v16, vcc, 0, v8, vcc
	v_sub_u32_e32 v8, 0, v16
	v_ldexp_f32 v7, v7, v8
	v_ldexp_f32 v8, v10, v8
	v_add_f32_e32 v10, -1.0, v7
	v_add_f32_e32 v9, 1.0, v10
	v_sub_f32_e32 v9, v7, v9
	v_add_f32_e32 v11, v8, v9
	v_add_f32_e32 v9, 1.0, v7
	v_add_f32_e32 v12, -1.0, v9
	v_sub_f32_e32 v7, v7, v12
	v_add_f32_e32 v7, v8, v7
	v_add_f32_e32 v17, v9, v7
	v_rcp_f32_e32 v34, v17
	v_sub_f32_e32 v8, v9, v17
	v_add_f32_e32 v9, v10, v11
	v_add_f32_e32 v7, v7, v8
	v_mul_f32_e32 v36, v9, v34
	v_sub_f32_e32 v8, v10, v9
	v_mul_f32_e32 v10, v17, v36
	v_fma_f32 v12, v36, v17, -v10
	v_fmac_f32_e32 v12, v36, v7
	v_add_f32_e32 v35, v11, v8
	v_add_f32_e32 v8, v10, v12
	v_sub_f32_e32 v11, v9, v8
	v_pk_add_f32 v[14:15], v[8:9], v[10:11] neg_lo:[0,1] neg_hi:[0,1]
	v_mov_b32_e32 v13, v8
	v_pk_add_f32 v[8:9], v[14:15], v[12:13] neg_lo:[0,1] neg_hi:[0,1]
	v_add_f32_e32 v9, v35, v9
	v_add_f32_e32 v8, v8, v9
	;; [unrolled: 1-line block ×3, first 2 shown]
	v_mul_f32_e32 v35, v34, v9
	v_mul_f32_e32 v10, v17, v35
	v_fma_f32 v12, v35, v17, -v10
	v_fmac_f32_e32 v12, v35, v7
	v_sub_f32_e32 v7, v11, v9
	v_add_f32_e32 v7, v8, v7
	v_add_f32_e32 v8, v10, v12
	v_sub_f32_e32 v11, v9, v8
	v_pk_add_f32 v[14:15], v[8:9], v[10:11] neg_lo:[0,1] neg_hi:[0,1]
	v_mov_b32_e32 v13, v8
	v_pk_add_f32 v[8:9], v[14:15], v[12:13] neg_lo:[0,1] neg_hi:[0,1]
	v_add_f32_e32 v7, v7, v9
	v_add_f32_e32 v7, v8, v7
	;; [unrolled: 1-line block ×4, first 2 shown]
	v_sub_f32_e32 v9, v8, v36
	v_mul_f32_e32 v7, v34, v7
	v_sub_f32_e32 v9, v35, v9
	v_add_f32_e32 v7, v9, v7
	v_add_f32_e32 v11, v8, v7
	v_mul_f32_e32 v12, v11, v11
	v_mov_b32_e32 v10, 0x3ecc95a3
	v_fmac_f32_e32 v10, 0x3e9b6dac, v12
	v_mov_b32_e32 v9, 0x3f2aaada
	v_fmac_f32_e32 v9, v12, v10
	v_cvt_f32_i32_e32 v10, v16
	v_sub_f32_e32 v8, v11, v8
	v_sub_f32_e32 v7, v7, v8
	v_ldexp_f32 v13, v11, 1
	v_mul_f32_e32 v11, v11, v12
	v_mov_b32_e32 v8, 0x3f317218
	s_mov_b32 s13, 0x3f317218
	v_pk_mul_f32 v[8:9], v[10:11], v[8:9]
	v_fma_f32 v12, v10, s13, -v8
	v_fmac_f32_e32 v12, 0xb102e308, v10
	v_pk_add_f32 v[10:11], v[8:9], v[12:13]
	v_sub_f32_e32 v13, v11, v13
	v_ldexp_f32 v7, v7, 1
	v_sub_f32_e32 v13, v9, v13
	v_add_f32_e32 v15, v7, v13
	v_mov_b32_e32 v14, v8
	v_pk_add_f32 v[8:9], v[10:11], v[8:9] neg_lo:[0,1] neg_hi:[0,1]
	v_pk_add_f32 v[16:17], v[10:11], v[14:15]
	v_mov_b32_e32 v9, v17
	v_mov_b32_e32 v13, v10
	v_pk_add_f32 v[34:35], v[12:13], v[8:9] neg_lo:[0,1] neg_hi:[0,1]
	v_pk_add_f32 v[8:9], v[12:13], v[8:9]
	v_mov_b32_e32 v12, v9
	v_pk_add_f32 v[36:37], v[12:13], v[10:11] neg_lo:[0,1] neg_hi:[0,1]
	v_mov_b32_e32 v7, v36
	v_pk_add_f32 v[38:39], v[16:17], v[6:7] neg_lo:[0,1] neg_hi:[0,1]
	v_mov_b32_e32 v8, v17
	v_mov_b32_e32 v16, v11
	;; [unrolled: 1-line block ×4, first 2 shown]
	v_pk_add_f32 v[8:9], v[8:9], v[16:17] neg_lo:[0,1] neg_hi:[0,1]
	v_mov_b32_e32 v14, v15
	v_mov_b32_e32 v15, v10
	v_pk_add_f32 v[8:9], v[14:15], v[8:9] neg_lo:[0,1] neg_hi:[0,1]
	v_mov_b32_e32 v38, v34
	v_pk_add_f32 v[10:11], v[38:39], v[8:9]
	v_mov_b32_e32 v14, v11
	v_pk_add_f32 v[14:15], v[10:11], v[14:15]
	v_pk_add_f32 v[12:13], v[12:13], v[14:15]
	v_mov_b32_e32 v11, v12
	v_pk_add_f32 v[16:17], v[10:11], v[34:35] neg_lo:[0,1] neg_hi:[0,1]
	v_mov_b32_e32 v9, v14
	v_sub_f32_e32 v7, v10, v16
	v_pk_add_f32 v[8:9], v[8:9], v[16:17] neg_lo:[0,1] neg_hi:[0,1]
	v_sub_f32_e32 v7, v34, v7
	s_mov_b32 s14, 0x7f800000
	v_add_f32_e32 v7, v8, v7
	s_mov_b32 s13, 0x33800000
	v_add_f32_e32 v7, v7, v9
	v_cmp_eq_f32_e32 vcc, s14, v21
	v_cmp_lt_f32_e64 s[14:15], |v21|, s13
	v_add_f32_e32 v7, v12, v7
	s_or_b64 vcc, vcc, s[14:15]
	v_cndmask_b32_e32 v7, v7, v21, vcc
	v_add_f32_e32 v44, v6, v7
.LBB117_43:
	s_or_b64 exec, exec, s[10:11]
	v_max_f32_e32 v6, v44, v44
	v_max_f32_e32 v21, v26, v26
	v_min_f32_e32 v7, v6, v21
	v_cmp_u_f32_e32 vcc, v44, v44
	v_max_f32_e32 v6, v6, v21
	v_cndmask_b32_e32 v7, v7, v44, vcc
	v_cmp_u_f32_e64 s[10:11], v26, v26
	v_cndmask_b32_e32 v6, v6, v44, vcc
	v_cndmask_b32_e64 v7, v7, v26, s[10:11]
	v_cndmask_b32_e64 v6, v6, v26, s[10:11]
	v_cmp_neq_f32_e32 vcc, v7, v6
	v_cmp_class_f32_e64 s[12:13], v7, s12
	s_or_b64 s[14:15], vcc, s[12:13]
	s_and_saveexec_b64 s[12:13], s[14:15]
	s_cbranch_execz .LBB117_45
; %bb.44:
	v_sub_f32_e32 v7, v7, v6
	s_mov_b32 s14, 0x3fb8aa3b
	v_mul_f32_e32 v8, 0x3fb8aa3b, v7
	v_fma_f32 v9, v7, s14, -v8
	v_rndne_f32_e32 v10, v8
	v_fmac_f32_e32 v9, 0x32a5705f, v7
	v_sub_f32_e32 v8, v8, v10
	v_add_f32_e32 v8, v8, v9
	v_exp_f32_e32 v8, v8
	v_cvt_i32_f32_e32 v9, v10
	s_mov_b32 s14, 0xc2ce8ed0
	v_cmp_ngt_f32_e32 vcc, s14, v7
	s_mov_b32 s14, 0x42b17218
	v_ldexp_f32 v8, v8, v9
	v_cndmask_b32_e32 v8, 0, v8, vcc
	v_mov_b32_e32 v9, 0x7f800000
	v_cmp_nlt_f32_e32 vcc, s14, v7
	v_cndmask_b32_e32 v40, v9, v8, vcc
	v_add_f32_e32 v7, 1.0, v40
	v_add_f32_e32 v8, -1.0, v7
	v_sub_f32_e32 v9, v8, v7
	v_add_f32_e32 v9, 1.0, v9
	v_sub_f32_e32 v8, v40, v8
	v_add_f32_e32 v10, v8, v9
	v_frexp_mant_f32_e32 v11, v7
	s_mov_b32 s14, 0x3f2aaaab
	v_cvt_f64_f32_e32 v[8:9], v7
	v_frexp_exp_i32_f64_e32 v8, v[8:9]
	v_cmp_gt_f32_e32 vcc, s14, v11
	v_subbrev_co_u32_e32 v16, vcc, 0, v8, vcc
	v_sub_u32_e32 v8, 0, v16
	v_ldexp_f32 v7, v7, v8
	v_ldexp_f32 v8, v10, v8
	v_add_f32_e32 v10, -1.0, v7
	v_add_f32_e32 v9, 1.0, v10
	v_sub_f32_e32 v9, v7, v9
	v_add_f32_e32 v11, v8, v9
	v_add_f32_e32 v9, 1.0, v7
	v_add_f32_e32 v12, -1.0, v9
	v_sub_f32_e32 v7, v7, v12
	v_add_f32_e32 v7, v8, v7
	v_add_f32_e32 v17, v9, v7
	v_rcp_f32_e32 v34, v17
	v_sub_f32_e32 v8, v9, v17
	v_add_f32_e32 v9, v10, v11
	v_add_f32_e32 v7, v7, v8
	v_mul_f32_e32 v36, v9, v34
	v_sub_f32_e32 v8, v10, v9
	v_mul_f32_e32 v10, v17, v36
	v_fma_f32 v12, v36, v17, -v10
	v_fmac_f32_e32 v12, v36, v7
	v_add_f32_e32 v35, v11, v8
	v_add_f32_e32 v8, v10, v12
	v_sub_f32_e32 v11, v9, v8
	v_pk_add_f32 v[14:15], v[8:9], v[10:11] neg_lo:[0,1] neg_hi:[0,1]
	v_mov_b32_e32 v13, v8
	v_pk_add_f32 v[8:9], v[14:15], v[12:13] neg_lo:[0,1] neg_hi:[0,1]
	v_add_f32_e32 v9, v35, v9
	v_add_f32_e32 v8, v8, v9
	;; [unrolled: 1-line block ×3, first 2 shown]
	v_mul_f32_e32 v35, v34, v9
	v_mul_f32_e32 v10, v17, v35
	v_fma_f32 v12, v35, v17, -v10
	v_fmac_f32_e32 v12, v35, v7
	v_sub_f32_e32 v7, v11, v9
	v_add_f32_e32 v7, v8, v7
	v_add_f32_e32 v8, v10, v12
	v_sub_f32_e32 v11, v9, v8
	v_pk_add_f32 v[14:15], v[8:9], v[10:11] neg_lo:[0,1] neg_hi:[0,1]
	v_mov_b32_e32 v13, v8
	v_pk_add_f32 v[8:9], v[14:15], v[12:13] neg_lo:[0,1] neg_hi:[0,1]
	v_add_f32_e32 v7, v7, v9
	v_add_f32_e32 v7, v8, v7
	;; [unrolled: 1-line block ×4, first 2 shown]
	v_sub_f32_e32 v9, v8, v36
	v_mul_f32_e32 v7, v34, v7
	v_sub_f32_e32 v9, v35, v9
	v_add_f32_e32 v7, v9, v7
	v_add_f32_e32 v11, v8, v7
	v_mul_f32_e32 v12, v11, v11
	v_mov_b32_e32 v10, 0x3ecc95a3
	v_fmac_f32_e32 v10, 0x3e9b6dac, v12
	v_mov_b32_e32 v9, 0x3f2aaada
	v_fmac_f32_e32 v9, v12, v10
	v_cvt_f32_i32_e32 v10, v16
	v_sub_f32_e32 v8, v11, v8
	v_sub_f32_e32 v7, v7, v8
	v_ldexp_f32 v13, v11, 1
	v_mul_f32_e32 v11, v11, v12
	v_mov_b32_e32 v8, 0x3f317218
	s_mov_b32 s14, 0x3f317218
	v_pk_mul_f32 v[8:9], v[10:11], v[8:9]
	v_fma_f32 v12, v10, s14, -v8
	v_fmac_f32_e32 v12, 0xb102e308, v10
	v_pk_add_f32 v[10:11], v[8:9], v[12:13]
	v_sub_f32_e32 v13, v11, v13
	v_ldexp_f32 v7, v7, 1
	v_sub_f32_e32 v13, v9, v13
	v_add_f32_e32 v15, v7, v13
	v_mov_b32_e32 v14, v8
	v_pk_add_f32 v[8:9], v[10:11], v[8:9] neg_lo:[0,1] neg_hi:[0,1]
	v_pk_add_f32 v[16:17], v[10:11], v[14:15]
	v_mov_b32_e32 v9, v17
	v_mov_b32_e32 v13, v10
	v_pk_add_f32 v[34:35], v[12:13], v[8:9] neg_lo:[0,1] neg_hi:[0,1]
	v_pk_add_f32 v[8:9], v[12:13], v[8:9]
	v_mov_b32_e32 v12, v9
	v_pk_add_f32 v[36:37], v[12:13], v[10:11] neg_lo:[0,1] neg_hi:[0,1]
	v_mov_b32_e32 v7, v36
	v_pk_add_f32 v[38:39], v[16:17], v[6:7] neg_lo:[0,1] neg_hi:[0,1]
	v_mov_b32_e32 v8, v17
	v_mov_b32_e32 v16, v11
	;; [unrolled: 1-line block ×4, first 2 shown]
	v_pk_add_f32 v[8:9], v[8:9], v[16:17] neg_lo:[0,1] neg_hi:[0,1]
	v_mov_b32_e32 v14, v15
	v_mov_b32_e32 v15, v10
	v_pk_add_f32 v[8:9], v[14:15], v[8:9] neg_lo:[0,1] neg_hi:[0,1]
	v_mov_b32_e32 v38, v34
	v_pk_add_f32 v[10:11], v[38:39], v[8:9]
	v_mov_b32_e32 v14, v11
	v_pk_add_f32 v[14:15], v[10:11], v[14:15]
	v_pk_add_f32 v[12:13], v[12:13], v[14:15]
	v_mov_b32_e32 v11, v12
	v_pk_add_f32 v[16:17], v[10:11], v[34:35] neg_lo:[0,1] neg_hi:[0,1]
	v_mov_b32_e32 v9, v14
	v_sub_f32_e32 v7, v10, v16
	v_pk_add_f32 v[8:9], v[8:9], v[16:17] neg_lo:[0,1] neg_hi:[0,1]
	v_sub_f32_e32 v7, v34, v7
	s_mov_b32 s15, 0x7f800000
	v_add_f32_e32 v7, v8, v7
	s_mov_b32 s14, 0x33800000
	v_add_f32_e32 v7, v7, v9
	v_cmp_eq_f32_e32 vcc, s15, v40
	v_cmp_lt_f32_e64 s[14:15], |v40|, s14
	v_add_f32_e32 v7, v12, v7
	s_or_b64 vcc, vcc, s[14:15]
	v_cndmask_b32_e32 v7, v7, v40, vcc
	v_add_f32_e32 v44, v6, v7
.LBB117_45:
	s_or_b64 exec, exec, s[12:13]
	v_max_f32_e32 v6, v44, v44
	v_max_f32_e32 v34, v27, v27
	v_min_f32_e32 v7, v6, v34
	v_cmp_u_f32_e32 vcc, v44, v44
	v_max_f32_e32 v6, v6, v34
	v_cndmask_b32_e32 v7, v7, v44, vcc
	v_cmp_u_f32_e64 s[12:13], v27, v27
	v_cndmask_b32_e32 v6, v6, v44, vcc
	v_cndmask_b32_e64 v7, v7, v27, s[12:13]
	v_cndmask_b32_e64 v6, v6, v27, s[12:13]
	s_movk_i32 s16, 0x1f8
	v_cmp_neq_f32_e32 vcc, v7, v6
	v_cmp_class_f32_e64 s[14:15], v7, s16
	s_or_b64 s[18:19], vcc, s[14:15]
	s_and_saveexec_b64 s[14:15], s[18:19]
	s_cbranch_execz .LBB117_47
; %bb.46:
	v_sub_f32_e32 v7, v7, v6
	s_mov_b32 s17, 0x3fb8aa3b
	v_mul_f32_e32 v8, 0x3fb8aa3b, v7
	v_fma_f32 v9, v7, s17, -v8
	v_rndne_f32_e32 v10, v8
	v_fmac_f32_e32 v9, 0x32a5705f, v7
	v_sub_f32_e32 v8, v8, v10
	v_add_f32_e32 v8, v8, v9
	v_exp_f32_e32 v8, v8
	v_cvt_i32_f32_e32 v9, v10
	s_mov_b32 s17, 0xc2ce8ed0
	v_cmp_ngt_f32_e32 vcc, s17, v7
	s_mov_b32 s17, 0x42b17218
	v_ldexp_f32 v8, v8, v9
	v_cndmask_b32_e32 v8, 0, v8, vcc
	v_mov_b32_e32 v9, 0x7f800000
	v_cmp_nlt_f32_e32 vcc, s17, v7
	v_cndmask_b32_e32 v35, v9, v8, vcc
	v_add_f32_e32 v7, 1.0, v35
	v_add_f32_e32 v8, -1.0, v7
	v_sub_f32_e32 v9, v8, v7
	v_add_f32_e32 v9, 1.0, v9
	v_sub_f32_e32 v8, v35, v8
	v_add_f32_e32 v10, v8, v9
	v_frexp_mant_f32_e32 v11, v7
	s_mov_b32 s17, 0x3f2aaaab
	v_cvt_f64_f32_e32 v[8:9], v7
	v_frexp_exp_i32_f64_e32 v8, v[8:9]
	v_cmp_gt_f32_e32 vcc, s17, v11
	v_subbrev_co_u32_e32 v16, vcc, 0, v8, vcc
	v_sub_u32_e32 v8, 0, v16
	v_ldexp_f32 v7, v7, v8
	v_ldexp_f32 v8, v10, v8
	v_add_f32_e32 v10, -1.0, v7
	v_add_f32_e32 v9, 1.0, v10
	v_sub_f32_e32 v9, v7, v9
	v_add_f32_e32 v11, v8, v9
	v_add_f32_e32 v9, 1.0, v7
	v_add_f32_e32 v12, -1.0, v9
	v_sub_f32_e32 v7, v7, v12
	v_add_f32_e32 v7, v8, v7
	v_add_f32_e32 v17, v9, v7
	v_rcp_f32_e32 v36, v17
	v_sub_f32_e32 v8, v9, v17
	v_add_f32_e32 v9, v10, v11
	v_add_f32_e32 v7, v7, v8
	v_mul_f32_e32 v38, v9, v36
	v_sub_f32_e32 v8, v10, v9
	v_mul_f32_e32 v10, v17, v38
	v_fma_f32 v12, v38, v17, -v10
	v_fmac_f32_e32 v12, v38, v7
	v_add_f32_e32 v37, v11, v8
	v_add_f32_e32 v8, v10, v12
	v_sub_f32_e32 v11, v9, v8
	v_pk_add_f32 v[14:15], v[8:9], v[10:11] neg_lo:[0,1] neg_hi:[0,1]
	v_mov_b32_e32 v13, v8
	v_pk_add_f32 v[8:9], v[14:15], v[12:13] neg_lo:[0,1] neg_hi:[0,1]
	v_add_f32_e32 v9, v37, v9
	v_add_f32_e32 v8, v8, v9
	;; [unrolled: 1-line block ×3, first 2 shown]
	v_mul_f32_e32 v37, v36, v9
	v_mul_f32_e32 v10, v17, v37
	v_fma_f32 v12, v37, v17, -v10
	v_fmac_f32_e32 v12, v37, v7
	v_sub_f32_e32 v7, v11, v9
	v_add_f32_e32 v7, v8, v7
	v_add_f32_e32 v8, v10, v12
	v_sub_f32_e32 v11, v9, v8
	v_pk_add_f32 v[14:15], v[8:9], v[10:11] neg_lo:[0,1] neg_hi:[0,1]
	v_mov_b32_e32 v13, v8
	v_pk_add_f32 v[8:9], v[14:15], v[12:13] neg_lo:[0,1] neg_hi:[0,1]
	v_add_f32_e32 v7, v7, v9
	v_add_f32_e32 v7, v8, v7
	;; [unrolled: 1-line block ×4, first 2 shown]
	v_sub_f32_e32 v9, v8, v38
	v_mul_f32_e32 v7, v36, v7
	v_sub_f32_e32 v9, v37, v9
	v_add_f32_e32 v7, v9, v7
	v_add_f32_e32 v11, v8, v7
	v_mul_f32_e32 v12, v11, v11
	v_mov_b32_e32 v10, 0x3ecc95a3
	v_fmac_f32_e32 v10, 0x3e9b6dac, v12
	v_mov_b32_e32 v9, 0x3f2aaada
	v_fmac_f32_e32 v9, v12, v10
	v_cvt_f32_i32_e32 v10, v16
	v_sub_f32_e32 v8, v11, v8
	v_sub_f32_e32 v7, v7, v8
	v_ldexp_f32 v13, v11, 1
	v_mul_f32_e32 v11, v11, v12
	v_mov_b32_e32 v8, 0x3f317218
	s_mov_b32 s17, 0x3f317218
	v_pk_mul_f32 v[8:9], v[10:11], v[8:9]
	v_fma_f32 v12, v10, s17, -v8
	v_fmac_f32_e32 v12, 0xb102e308, v10
	v_pk_add_f32 v[10:11], v[8:9], v[12:13]
	v_sub_f32_e32 v13, v11, v13
	v_ldexp_f32 v7, v7, 1
	v_sub_f32_e32 v13, v9, v13
	v_add_f32_e32 v15, v7, v13
	v_mov_b32_e32 v14, v8
	v_pk_add_f32 v[8:9], v[10:11], v[8:9] neg_lo:[0,1] neg_hi:[0,1]
	v_pk_add_f32 v[16:17], v[10:11], v[14:15]
	v_mov_b32_e32 v9, v17
	v_mov_b32_e32 v13, v10
	v_pk_add_f32 v[36:37], v[12:13], v[8:9] neg_lo:[0,1] neg_hi:[0,1]
	v_pk_add_f32 v[8:9], v[12:13], v[8:9]
	v_mov_b32_e32 v12, v9
	v_pk_add_f32 v[38:39], v[12:13], v[10:11] neg_lo:[0,1] neg_hi:[0,1]
	v_mov_b32_e32 v7, v38
	v_pk_add_f32 v[40:41], v[16:17], v[6:7] neg_lo:[0,1] neg_hi:[0,1]
	v_mov_b32_e32 v8, v17
	v_mov_b32_e32 v16, v11
	v_mov_b32_e32 v17, v38
	v_mov_b32_e32 v37, v9
	v_pk_add_f32 v[8:9], v[8:9], v[16:17] neg_lo:[0,1] neg_hi:[0,1]
	v_mov_b32_e32 v14, v15
	v_mov_b32_e32 v15, v10
	v_pk_add_f32 v[8:9], v[14:15], v[8:9] neg_lo:[0,1] neg_hi:[0,1]
	v_mov_b32_e32 v40, v36
	v_pk_add_f32 v[10:11], v[40:41], v[8:9]
	v_mov_b32_e32 v14, v11
	v_pk_add_f32 v[14:15], v[10:11], v[14:15]
	v_pk_add_f32 v[12:13], v[12:13], v[14:15]
	v_mov_b32_e32 v11, v12
	v_pk_add_f32 v[16:17], v[10:11], v[36:37] neg_lo:[0,1] neg_hi:[0,1]
	v_mov_b32_e32 v9, v14
	v_sub_f32_e32 v7, v10, v16
	v_pk_add_f32 v[8:9], v[8:9], v[16:17] neg_lo:[0,1] neg_hi:[0,1]
	v_sub_f32_e32 v7, v36, v7
	s_mov_b32 s18, 0x7f800000
	v_add_f32_e32 v7, v8, v7
	s_mov_b32 s17, 0x33800000
	v_add_f32_e32 v7, v7, v9
	v_cmp_eq_f32_e32 vcc, s18, v35
	v_cmp_lt_f32_e64 s[18:19], |v35|, s17
	v_add_f32_e32 v7, v12, v7
	s_or_b64 vcc, vcc, s[18:19]
	v_cndmask_b32_e32 v7, v7, v35, vcc
	v_add_f32_e32 v44, v6, v7
.LBB117_47:
	s_or_b64 exec, exec, s[14:15]
	v_max_f32_e32 v6, v44, v44
	v_max_f32_e32 v35, v28, v28
	v_min_f32_e32 v7, v6, v35
	v_cmp_u_f32_e32 vcc, v44, v44
	v_max_f32_e32 v6, v6, v35
	v_cndmask_b32_e32 v7, v7, v44, vcc
	v_cmp_u_f32_e64 s[14:15], v28, v28
	v_cndmask_b32_e32 v6, v6, v44, vcc
	v_cndmask_b32_e64 v7, v7, v28, s[14:15]
	v_cndmask_b32_e64 v6, v6, v28, s[14:15]
	v_cmp_neq_f32_e32 vcc, v7, v6
	v_cmp_class_f32_e64 s[16:17], v7, s16
	s_or_b64 s[18:19], vcc, s[16:17]
	s_and_saveexec_b64 s[16:17], s[18:19]
	s_cbranch_execz .LBB117_49
; %bb.48:
	v_sub_f32_e32 v7, v7, v6
	s_mov_b32 s18, 0x3fb8aa3b
	v_mul_f32_e32 v8, 0x3fb8aa3b, v7
	v_fma_f32 v9, v7, s18, -v8
	v_rndne_f32_e32 v10, v8
	v_fmac_f32_e32 v9, 0x32a5705f, v7
	v_sub_f32_e32 v8, v8, v10
	v_add_f32_e32 v8, v8, v9
	v_exp_f32_e32 v8, v8
	v_cvt_i32_f32_e32 v9, v10
	s_mov_b32 s18, 0xc2ce8ed0
	v_cmp_ngt_f32_e32 vcc, s18, v7
	s_mov_b32 s18, 0x42b17218
	v_ldexp_f32 v8, v8, v9
	v_cndmask_b32_e32 v8, 0, v8, vcc
	v_mov_b32_e32 v9, 0x7f800000
	v_cmp_nlt_f32_e32 vcc, s18, v7
	v_cndmask_b32_e32 v42, v9, v8, vcc
	v_add_f32_e32 v7, 1.0, v42
	v_add_f32_e32 v8, -1.0, v7
	v_sub_f32_e32 v9, v8, v7
	v_add_f32_e32 v9, 1.0, v9
	v_sub_f32_e32 v8, v42, v8
	v_add_f32_e32 v10, v8, v9
	v_frexp_mant_f32_e32 v11, v7
	s_mov_b32 s18, 0x3f2aaaab
	v_cvt_f64_f32_e32 v[8:9], v7
	v_frexp_exp_i32_f64_e32 v8, v[8:9]
	v_cmp_gt_f32_e32 vcc, s18, v11
	v_subbrev_co_u32_e32 v16, vcc, 0, v8, vcc
	v_sub_u32_e32 v8, 0, v16
	v_ldexp_f32 v7, v7, v8
	v_ldexp_f32 v8, v10, v8
	v_add_f32_e32 v10, -1.0, v7
	v_add_f32_e32 v9, 1.0, v10
	v_sub_f32_e32 v9, v7, v9
	v_add_f32_e32 v11, v8, v9
	v_add_f32_e32 v9, 1.0, v7
	v_add_f32_e32 v12, -1.0, v9
	v_sub_f32_e32 v7, v7, v12
	v_add_f32_e32 v7, v8, v7
	v_add_f32_e32 v17, v9, v7
	v_rcp_f32_e32 v36, v17
	v_sub_f32_e32 v8, v9, v17
	v_add_f32_e32 v9, v10, v11
	v_add_f32_e32 v7, v7, v8
	v_mul_f32_e32 v38, v9, v36
	v_sub_f32_e32 v8, v10, v9
	v_mul_f32_e32 v10, v17, v38
	v_fma_f32 v12, v38, v17, -v10
	v_fmac_f32_e32 v12, v38, v7
	v_add_f32_e32 v37, v11, v8
	v_add_f32_e32 v8, v10, v12
	v_sub_f32_e32 v11, v9, v8
	v_pk_add_f32 v[14:15], v[8:9], v[10:11] neg_lo:[0,1] neg_hi:[0,1]
	v_mov_b32_e32 v13, v8
	v_pk_add_f32 v[8:9], v[14:15], v[12:13] neg_lo:[0,1] neg_hi:[0,1]
	v_add_f32_e32 v9, v37, v9
	v_add_f32_e32 v8, v8, v9
	;; [unrolled: 1-line block ×3, first 2 shown]
	v_mul_f32_e32 v37, v36, v9
	v_mul_f32_e32 v10, v17, v37
	v_fma_f32 v12, v37, v17, -v10
	v_fmac_f32_e32 v12, v37, v7
	v_sub_f32_e32 v7, v11, v9
	v_add_f32_e32 v7, v8, v7
	v_add_f32_e32 v8, v10, v12
	v_sub_f32_e32 v11, v9, v8
	v_pk_add_f32 v[14:15], v[8:9], v[10:11] neg_lo:[0,1] neg_hi:[0,1]
	v_mov_b32_e32 v13, v8
	v_pk_add_f32 v[8:9], v[14:15], v[12:13] neg_lo:[0,1] neg_hi:[0,1]
	v_add_f32_e32 v7, v7, v9
	v_add_f32_e32 v7, v8, v7
	;; [unrolled: 1-line block ×4, first 2 shown]
	v_sub_f32_e32 v9, v8, v38
	v_mul_f32_e32 v7, v36, v7
	v_sub_f32_e32 v9, v37, v9
	v_add_f32_e32 v7, v9, v7
	v_add_f32_e32 v11, v8, v7
	v_mul_f32_e32 v12, v11, v11
	v_mov_b32_e32 v10, 0x3ecc95a3
	v_fmac_f32_e32 v10, 0x3e9b6dac, v12
	v_mov_b32_e32 v9, 0x3f2aaada
	v_fmac_f32_e32 v9, v12, v10
	v_cvt_f32_i32_e32 v10, v16
	v_sub_f32_e32 v8, v11, v8
	v_sub_f32_e32 v7, v7, v8
	v_ldexp_f32 v13, v11, 1
	v_mul_f32_e32 v11, v11, v12
	v_mov_b32_e32 v8, 0x3f317218
	s_mov_b32 s18, 0x3f317218
	v_pk_mul_f32 v[8:9], v[10:11], v[8:9]
	v_fma_f32 v12, v10, s18, -v8
	v_fmac_f32_e32 v12, 0xb102e308, v10
	v_pk_add_f32 v[10:11], v[8:9], v[12:13]
	v_sub_f32_e32 v13, v11, v13
	v_ldexp_f32 v7, v7, 1
	v_sub_f32_e32 v13, v9, v13
	v_add_f32_e32 v15, v7, v13
	v_mov_b32_e32 v14, v8
	v_pk_add_f32 v[8:9], v[10:11], v[8:9] neg_lo:[0,1] neg_hi:[0,1]
	v_pk_add_f32 v[16:17], v[10:11], v[14:15]
	v_mov_b32_e32 v9, v17
	v_mov_b32_e32 v13, v10
	v_pk_add_f32 v[36:37], v[12:13], v[8:9] neg_lo:[0,1] neg_hi:[0,1]
	v_pk_add_f32 v[8:9], v[12:13], v[8:9]
	v_mov_b32_e32 v12, v9
	v_pk_add_f32 v[38:39], v[12:13], v[10:11] neg_lo:[0,1] neg_hi:[0,1]
	v_mov_b32_e32 v7, v38
	v_pk_add_f32 v[40:41], v[16:17], v[6:7] neg_lo:[0,1] neg_hi:[0,1]
	v_mov_b32_e32 v8, v17
	v_mov_b32_e32 v16, v11
	;; [unrolled: 1-line block ×4, first 2 shown]
	v_pk_add_f32 v[8:9], v[8:9], v[16:17] neg_lo:[0,1] neg_hi:[0,1]
	v_mov_b32_e32 v14, v15
	v_mov_b32_e32 v15, v10
	v_pk_add_f32 v[8:9], v[14:15], v[8:9] neg_lo:[0,1] neg_hi:[0,1]
	v_mov_b32_e32 v40, v36
	v_pk_add_f32 v[10:11], v[40:41], v[8:9]
	v_mov_b32_e32 v14, v11
	v_pk_add_f32 v[14:15], v[10:11], v[14:15]
	v_pk_add_f32 v[12:13], v[12:13], v[14:15]
	v_mov_b32_e32 v11, v12
	v_pk_add_f32 v[16:17], v[10:11], v[36:37] neg_lo:[0,1] neg_hi:[0,1]
	v_mov_b32_e32 v9, v14
	v_sub_f32_e32 v7, v10, v16
	v_pk_add_f32 v[8:9], v[8:9], v[16:17] neg_lo:[0,1] neg_hi:[0,1]
	v_sub_f32_e32 v7, v36, v7
	s_mov_b32 s19, 0x7f800000
	v_add_f32_e32 v7, v8, v7
	s_mov_b32 s18, 0x33800000
	v_add_f32_e32 v7, v7, v9
	v_cmp_eq_f32_e32 vcc, s19, v42
	v_cmp_lt_f32_e64 s[18:19], |v42|, s18
	v_add_f32_e32 v7, v12, v7
	s_or_b64 vcc, vcc, s[18:19]
	v_cndmask_b32_e32 v7, v7, v42, vcc
	v_add_f32_e32 v44, v6, v7
.LBB117_49:
	s_or_b64 exec, exec, s[16:17]
	v_max_f32_e32 v6, v44, v44
	v_max_f32_e32 v36, v29, v29
	v_min_f32_e32 v7, v6, v36
	v_cmp_u_f32_e32 vcc, v44, v44
	v_max_f32_e32 v6, v6, v36
	v_cndmask_b32_e32 v7, v7, v44, vcc
	v_cmp_u_f32_e64 s[16:17], v29, v29
	v_cndmask_b32_e32 v6, v6, v44, vcc
	v_cndmask_b32_e64 v7, v7, v29, s[16:17]
	v_cndmask_b32_e64 v6, v6, v29, s[16:17]
	s_movk_i32 s20, 0x1f8
	v_cmp_neq_f32_e32 vcc, v7, v6
	v_cmp_class_f32_e64 s[18:19], v7, s20
	s_or_b64 s[22:23], vcc, s[18:19]
	s_and_saveexec_b64 s[18:19], s[22:23]
	s_cbranch_execz .LBB117_51
; %bb.50:
	v_sub_f32_e32 v7, v7, v6
	s_mov_b32 s21, 0x3fb8aa3b
	v_mul_f32_e32 v8, 0x3fb8aa3b, v7
	v_fma_f32 v9, v7, s21, -v8
	v_rndne_f32_e32 v10, v8
	v_fmac_f32_e32 v9, 0x32a5705f, v7
	v_sub_f32_e32 v8, v8, v10
	v_add_f32_e32 v8, v8, v9
	v_exp_f32_e32 v8, v8
	v_cvt_i32_f32_e32 v9, v10
	s_mov_b32 s21, 0xc2ce8ed0
	v_cmp_ngt_f32_e32 vcc, s21, v7
	s_mov_b32 s21, 0x42b17218
	v_ldexp_f32 v8, v8, v9
	v_cndmask_b32_e32 v8, 0, v8, vcc
	v_mov_b32_e32 v9, 0x7f800000
	v_cmp_nlt_f32_e32 vcc, s21, v7
	v_cndmask_b32_e32 v37, v9, v8, vcc
	v_add_f32_e32 v7, 1.0, v37
	v_add_f32_e32 v8, -1.0, v7
	v_sub_f32_e32 v9, v8, v7
	v_add_f32_e32 v9, 1.0, v9
	v_sub_f32_e32 v8, v37, v8
	v_add_f32_e32 v10, v8, v9
	v_frexp_mant_f32_e32 v11, v7
	s_mov_b32 s21, 0x3f2aaaab
	v_cvt_f64_f32_e32 v[8:9], v7
	v_frexp_exp_i32_f64_e32 v8, v[8:9]
	v_cmp_gt_f32_e32 vcc, s21, v11
	v_subbrev_co_u32_e32 v16, vcc, 0, v8, vcc
	v_sub_u32_e32 v8, 0, v16
	v_ldexp_f32 v7, v7, v8
	v_ldexp_f32 v8, v10, v8
	v_add_f32_e32 v10, -1.0, v7
	v_add_f32_e32 v9, 1.0, v10
	v_sub_f32_e32 v9, v7, v9
	v_add_f32_e32 v11, v8, v9
	v_add_f32_e32 v9, 1.0, v7
	v_add_f32_e32 v12, -1.0, v9
	v_sub_f32_e32 v7, v7, v12
	v_add_f32_e32 v7, v8, v7
	v_add_f32_e32 v17, v9, v7
	v_rcp_f32_e32 v38, v17
	v_sub_f32_e32 v8, v9, v17
	v_add_f32_e32 v9, v10, v11
	v_add_f32_e32 v7, v7, v8
	v_mul_f32_e32 v40, v9, v38
	v_sub_f32_e32 v8, v10, v9
	v_mul_f32_e32 v10, v17, v40
	v_fma_f32 v12, v40, v17, -v10
	v_fmac_f32_e32 v12, v40, v7
	v_add_f32_e32 v39, v11, v8
	v_add_f32_e32 v8, v10, v12
	v_sub_f32_e32 v11, v9, v8
	v_pk_add_f32 v[14:15], v[8:9], v[10:11] neg_lo:[0,1] neg_hi:[0,1]
	v_mov_b32_e32 v13, v8
	v_pk_add_f32 v[8:9], v[14:15], v[12:13] neg_lo:[0,1] neg_hi:[0,1]
	v_add_f32_e32 v9, v39, v9
	v_add_f32_e32 v8, v8, v9
	v_add_f32_e32 v9, v11, v8
	v_mul_f32_e32 v39, v38, v9
	v_mul_f32_e32 v10, v17, v39
	v_fma_f32 v12, v39, v17, -v10
	v_fmac_f32_e32 v12, v39, v7
	v_sub_f32_e32 v7, v11, v9
	v_add_f32_e32 v7, v8, v7
	v_add_f32_e32 v8, v10, v12
	v_sub_f32_e32 v11, v9, v8
	v_pk_add_f32 v[14:15], v[8:9], v[10:11] neg_lo:[0,1] neg_hi:[0,1]
	v_mov_b32_e32 v13, v8
	v_pk_add_f32 v[8:9], v[14:15], v[12:13] neg_lo:[0,1] neg_hi:[0,1]
	v_add_f32_e32 v7, v7, v9
	v_add_f32_e32 v7, v8, v7
	;; [unrolled: 1-line block ×4, first 2 shown]
	v_sub_f32_e32 v9, v8, v40
	v_mul_f32_e32 v7, v38, v7
	v_sub_f32_e32 v9, v39, v9
	v_add_f32_e32 v7, v9, v7
	v_add_f32_e32 v11, v8, v7
	v_mul_f32_e32 v12, v11, v11
	v_mov_b32_e32 v10, 0x3ecc95a3
	v_fmac_f32_e32 v10, 0x3e9b6dac, v12
	v_mov_b32_e32 v9, 0x3f2aaada
	v_fmac_f32_e32 v9, v12, v10
	v_cvt_f32_i32_e32 v10, v16
	v_sub_f32_e32 v8, v11, v8
	v_sub_f32_e32 v7, v7, v8
	v_ldexp_f32 v13, v11, 1
	v_mul_f32_e32 v11, v11, v12
	v_mov_b32_e32 v8, 0x3f317218
	s_mov_b32 s21, 0x3f317218
	v_pk_mul_f32 v[8:9], v[10:11], v[8:9]
	v_fma_f32 v12, v10, s21, -v8
	v_fmac_f32_e32 v12, 0xb102e308, v10
	v_pk_add_f32 v[10:11], v[8:9], v[12:13]
	v_sub_f32_e32 v13, v11, v13
	v_ldexp_f32 v7, v7, 1
	v_sub_f32_e32 v13, v9, v13
	v_add_f32_e32 v15, v7, v13
	v_mov_b32_e32 v14, v8
	v_pk_add_f32 v[8:9], v[10:11], v[8:9] neg_lo:[0,1] neg_hi:[0,1]
	v_pk_add_f32 v[16:17], v[10:11], v[14:15]
	v_mov_b32_e32 v9, v17
	v_mov_b32_e32 v13, v10
	v_pk_add_f32 v[38:39], v[12:13], v[8:9] neg_lo:[0,1] neg_hi:[0,1]
	v_pk_add_f32 v[8:9], v[12:13], v[8:9]
	v_mov_b32_e32 v12, v9
	v_pk_add_f32 v[40:41], v[12:13], v[10:11] neg_lo:[0,1] neg_hi:[0,1]
	v_mov_b32_e32 v7, v40
	v_pk_add_f32 v[44:45], v[16:17], v[6:7] neg_lo:[0,1] neg_hi:[0,1]
	v_mov_b32_e32 v8, v17
	v_mov_b32_e32 v16, v11
	;; [unrolled: 1-line block ×4, first 2 shown]
	v_pk_add_f32 v[8:9], v[8:9], v[16:17] neg_lo:[0,1] neg_hi:[0,1]
	v_mov_b32_e32 v14, v15
	v_mov_b32_e32 v15, v10
	v_pk_add_f32 v[8:9], v[14:15], v[8:9] neg_lo:[0,1] neg_hi:[0,1]
	v_mov_b32_e32 v44, v38
	v_pk_add_f32 v[10:11], v[44:45], v[8:9]
	v_mov_b32_e32 v14, v11
	v_pk_add_f32 v[14:15], v[10:11], v[14:15]
	v_pk_add_f32 v[12:13], v[12:13], v[14:15]
	v_mov_b32_e32 v11, v12
	v_pk_add_f32 v[16:17], v[10:11], v[38:39] neg_lo:[0,1] neg_hi:[0,1]
	v_mov_b32_e32 v9, v14
	v_sub_f32_e32 v7, v10, v16
	v_pk_add_f32 v[8:9], v[8:9], v[16:17] neg_lo:[0,1] neg_hi:[0,1]
	v_sub_f32_e32 v7, v38, v7
	s_mov_b32 s22, 0x7f800000
	v_add_f32_e32 v7, v8, v7
	s_mov_b32 s21, 0x33800000
	v_add_f32_e32 v7, v7, v9
	v_cmp_eq_f32_e32 vcc, s22, v37
	v_cmp_lt_f32_e64 s[22:23], |v37|, s21
	v_add_f32_e32 v7, v12, v7
	s_or_b64 vcc, vcc, s[22:23]
	v_cndmask_b32_e32 v7, v7, v37, vcc
	v_add_f32_e32 v44, v6, v7
.LBB117_51:
	s_or_b64 exec, exec, s[18:19]
	v_max_f32_e32 v6, v44, v44
	v_max_f32_e32 v37, v22, v22
	v_min_f32_e32 v7, v6, v37
	v_cmp_u_f32_e32 vcc, v44, v44
	v_max_f32_e32 v6, v6, v37
	v_cndmask_b32_e32 v7, v7, v44, vcc
	v_cmp_u_f32_e64 s[18:19], v22, v22
	v_cndmask_b32_e32 v6, v6, v44, vcc
	v_cndmask_b32_e64 v7, v7, v22, s[18:19]
	v_cndmask_b32_e64 v6, v6, v22, s[18:19]
	v_cmp_neq_f32_e32 vcc, v7, v6
	v_cmp_class_f32_e64 s[20:21], v7, s20
	s_or_b64 s[22:23], vcc, s[20:21]
	s_and_saveexec_b64 s[20:21], s[22:23]
	s_cbranch_execz .LBB117_53
; %bb.52:
	v_sub_f32_e32 v7, v7, v6
	s_mov_b32 s22, 0x3fb8aa3b
	v_mul_f32_e32 v8, 0x3fb8aa3b, v7
	v_fma_f32 v9, v7, s22, -v8
	v_rndne_f32_e32 v10, v8
	v_fmac_f32_e32 v9, 0x32a5705f, v7
	v_sub_f32_e32 v8, v8, v10
	v_add_f32_e32 v8, v8, v9
	v_exp_f32_e32 v8, v8
	v_cvt_i32_f32_e32 v9, v10
	s_mov_b32 s22, 0xc2ce8ed0
	v_cmp_ngt_f32_e32 vcc, s22, v7
	s_mov_b32 s22, 0x42b17218
	v_ldexp_f32 v8, v8, v9
	v_cndmask_b32_e32 v8, 0, v8, vcc
	v_mov_b32_e32 v9, 0x7f800000
	v_cmp_nlt_f32_e32 vcc, s22, v7
	v_cndmask_b32_e32 v42, v9, v8, vcc
	v_add_f32_e32 v7, 1.0, v42
	v_add_f32_e32 v8, -1.0, v7
	v_sub_f32_e32 v9, v8, v7
	v_add_f32_e32 v9, 1.0, v9
	v_sub_f32_e32 v8, v42, v8
	v_add_f32_e32 v10, v8, v9
	v_frexp_mant_f32_e32 v11, v7
	s_mov_b32 s22, 0x3f2aaaab
	v_cvt_f64_f32_e32 v[8:9], v7
	v_frexp_exp_i32_f64_e32 v8, v[8:9]
	v_cmp_gt_f32_e32 vcc, s22, v11
	v_subbrev_co_u32_e32 v16, vcc, 0, v8, vcc
	v_sub_u32_e32 v8, 0, v16
	v_ldexp_f32 v7, v7, v8
	v_ldexp_f32 v8, v10, v8
	v_add_f32_e32 v10, -1.0, v7
	v_add_f32_e32 v9, 1.0, v10
	v_sub_f32_e32 v9, v7, v9
	v_add_f32_e32 v11, v8, v9
	v_add_f32_e32 v9, 1.0, v7
	v_add_f32_e32 v12, -1.0, v9
	v_sub_f32_e32 v7, v7, v12
	v_add_f32_e32 v7, v8, v7
	v_add_f32_e32 v17, v9, v7
	v_rcp_f32_e32 v38, v17
	v_sub_f32_e32 v8, v9, v17
	v_add_f32_e32 v9, v10, v11
	v_add_f32_e32 v7, v7, v8
	v_mul_f32_e32 v40, v9, v38
	v_sub_f32_e32 v8, v10, v9
	v_mul_f32_e32 v10, v17, v40
	v_fma_f32 v12, v40, v17, -v10
	v_fmac_f32_e32 v12, v40, v7
	v_add_f32_e32 v39, v11, v8
	v_add_f32_e32 v8, v10, v12
	v_sub_f32_e32 v11, v9, v8
	v_pk_add_f32 v[14:15], v[8:9], v[10:11] neg_lo:[0,1] neg_hi:[0,1]
	v_mov_b32_e32 v13, v8
	v_pk_add_f32 v[8:9], v[14:15], v[12:13] neg_lo:[0,1] neg_hi:[0,1]
	v_add_f32_e32 v9, v39, v9
	v_add_f32_e32 v8, v8, v9
	;; [unrolled: 1-line block ×3, first 2 shown]
	v_mul_f32_e32 v39, v38, v9
	v_mul_f32_e32 v10, v17, v39
	v_fma_f32 v12, v39, v17, -v10
	v_fmac_f32_e32 v12, v39, v7
	v_sub_f32_e32 v7, v11, v9
	v_add_f32_e32 v7, v8, v7
	v_add_f32_e32 v8, v10, v12
	v_sub_f32_e32 v11, v9, v8
	v_pk_add_f32 v[14:15], v[8:9], v[10:11] neg_lo:[0,1] neg_hi:[0,1]
	v_mov_b32_e32 v13, v8
	v_pk_add_f32 v[8:9], v[14:15], v[12:13] neg_lo:[0,1] neg_hi:[0,1]
	v_add_f32_e32 v7, v7, v9
	v_add_f32_e32 v7, v8, v7
	;; [unrolled: 1-line block ×4, first 2 shown]
	v_sub_f32_e32 v9, v8, v40
	v_mul_f32_e32 v7, v38, v7
	v_sub_f32_e32 v9, v39, v9
	v_add_f32_e32 v7, v9, v7
	v_add_f32_e32 v11, v8, v7
	v_mul_f32_e32 v12, v11, v11
	v_mov_b32_e32 v10, 0x3ecc95a3
	v_fmac_f32_e32 v10, 0x3e9b6dac, v12
	v_mov_b32_e32 v9, 0x3f2aaada
	v_fmac_f32_e32 v9, v12, v10
	v_cvt_f32_i32_e32 v10, v16
	v_sub_f32_e32 v8, v11, v8
	v_sub_f32_e32 v7, v7, v8
	v_ldexp_f32 v13, v11, 1
	v_mul_f32_e32 v11, v11, v12
	v_mov_b32_e32 v8, 0x3f317218
	s_mov_b32 s22, 0x3f317218
	v_pk_mul_f32 v[8:9], v[10:11], v[8:9]
	v_fma_f32 v12, v10, s22, -v8
	v_fmac_f32_e32 v12, 0xb102e308, v10
	v_pk_add_f32 v[10:11], v[8:9], v[12:13]
	v_sub_f32_e32 v13, v11, v13
	v_ldexp_f32 v7, v7, 1
	v_sub_f32_e32 v13, v9, v13
	v_add_f32_e32 v15, v7, v13
	v_mov_b32_e32 v14, v8
	v_pk_add_f32 v[8:9], v[10:11], v[8:9] neg_lo:[0,1] neg_hi:[0,1]
	v_pk_add_f32 v[16:17], v[10:11], v[14:15]
	v_mov_b32_e32 v9, v17
	v_mov_b32_e32 v13, v10
	v_pk_add_f32 v[38:39], v[12:13], v[8:9] neg_lo:[0,1] neg_hi:[0,1]
	v_pk_add_f32 v[8:9], v[12:13], v[8:9]
	v_mov_b32_e32 v12, v9
	v_pk_add_f32 v[40:41], v[12:13], v[10:11] neg_lo:[0,1] neg_hi:[0,1]
	v_mov_b32_e32 v7, v40
	v_pk_add_f32 v[44:45], v[16:17], v[6:7] neg_lo:[0,1] neg_hi:[0,1]
	v_mov_b32_e32 v8, v17
	v_mov_b32_e32 v16, v11
	;; [unrolled: 1-line block ×4, first 2 shown]
	v_pk_add_f32 v[8:9], v[8:9], v[16:17] neg_lo:[0,1] neg_hi:[0,1]
	v_mov_b32_e32 v14, v15
	v_mov_b32_e32 v15, v10
	v_pk_add_f32 v[8:9], v[14:15], v[8:9] neg_lo:[0,1] neg_hi:[0,1]
	v_mov_b32_e32 v44, v38
	v_pk_add_f32 v[10:11], v[44:45], v[8:9]
	v_mov_b32_e32 v14, v11
	v_pk_add_f32 v[14:15], v[10:11], v[14:15]
	v_pk_add_f32 v[12:13], v[12:13], v[14:15]
	v_mov_b32_e32 v11, v12
	v_pk_add_f32 v[16:17], v[10:11], v[38:39] neg_lo:[0,1] neg_hi:[0,1]
	v_mov_b32_e32 v9, v14
	v_sub_f32_e32 v7, v10, v16
	v_pk_add_f32 v[8:9], v[8:9], v[16:17] neg_lo:[0,1] neg_hi:[0,1]
	v_sub_f32_e32 v7, v38, v7
	s_mov_b32 s23, 0x7f800000
	v_add_f32_e32 v7, v8, v7
	s_mov_b32 s22, 0x33800000
	v_add_f32_e32 v7, v7, v9
	v_cmp_eq_f32_e32 vcc, s23, v42
	v_cmp_lt_f32_e64 s[22:23], |v42|, s22
	v_add_f32_e32 v7, v12, v7
	s_or_b64 vcc, vcc, s[22:23]
	v_cndmask_b32_e32 v7, v7, v42, vcc
	v_add_f32_e32 v44, v6, v7
.LBB117_53:
	s_or_b64 exec, exec, s[20:21]
	v_max_f32_e32 v6, v44, v44
	v_max_f32_e32 v38, v23, v23
	v_min_f32_e32 v7, v6, v38
	v_cmp_u_f32_e32 vcc, v44, v44
	v_max_f32_e32 v6, v6, v38
	v_cndmask_b32_e32 v7, v7, v44, vcc
	v_cmp_u_f32_e64 s[20:21], v23, v23
	v_cndmask_b32_e32 v6, v6, v44, vcc
	v_cndmask_b32_e64 v7, v7, v23, s[20:21]
	v_cndmask_b32_e64 v6, v6, v23, s[20:21]
	s_movk_i32 s24, 0x1f8
	v_cmp_neq_f32_e32 vcc, v7, v6
	v_cmp_class_f32_e64 s[22:23], v7, s24
	s_or_b64 s[26:27], vcc, s[22:23]
	s_and_saveexec_b64 s[22:23], s[26:27]
	s_cbranch_execz .LBB117_55
; %bb.54:
	v_sub_f32_e32 v7, v7, v6
	s_mov_b32 s25, 0x3fb8aa3b
	v_mul_f32_e32 v8, 0x3fb8aa3b, v7
	v_fma_f32 v9, v7, s25, -v8
	v_rndne_f32_e32 v10, v8
	v_fmac_f32_e32 v9, 0x32a5705f, v7
	v_sub_f32_e32 v8, v8, v10
	v_add_f32_e32 v8, v8, v9
	v_exp_f32_e32 v8, v8
	v_cvt_i32_f32_e32 v9, v10
	s_mov_b32 s25, 0xc2ce8ed0
	v_cmp_ngt_f32_e32 vcc, s25, v7
	s_mov_b32 s25, 0x42b17218
	v_ldexp_f32 v8, v8, v9
	v_cndmask_b32_e32 v8, 0, v8, vcc
	v_mov_b32_e32 v9, 0x7f800000
	v_cmp_nlt_f32_e32 vcc, s25, v7
	v_cndmask_b32_e32 v39, v9, v8, vcc
	v_add_f32_e32 v7, 1.0, v39
	v_add_f32_e32 v8, -1.0, v7
	v_sub_f32_e32 v9, v8, v7
	v_add_f32_e32 v9, 1.0, v9
	v_sub_f32_e32 v8, v39, v8
	v_add_f32_e32 v10, v8, v9
	v_frexp_mant_f32_e32 v11, v7
	s_mov_b32 s25, 0x3f2aaaab
	v_cvt_f64_f32_e32 v[8:9], v7
	v_frexp_exp_i32_f64_e32 v8, v[8:9]
	v_cmp_gt_f32_e32 vcc, s25, v11
	v_subbrev_co_u32_e32 v16, vcc, 0, v8, vcc
	v_sub_u32_e32 v8, 0, v16
	v_ldexp_f32 v7, v7, v8
	v_ldexp_f32 v8, v10, v8
	v_add_f32_e32 v10, -1.0, v7
	v_add_f32_e32 v9, 1.0, v10
	v_sub_f32_e32 v9, v7, v9
	v_add_f32_e32 v11, v8, v9
	v_add_f32_e32 v9, 1.0, v7
	v_add_f32_e32 v12, -1.0, v9
	v_sub_f32_e32 v7, v7, v12
	v_add_f32_e32 v7, v8, v7
	v_add_f32_e32 v17, v9, v7
	v_rcp_f32_e32 v40, v17
	v_sub_f32_e32 v8, v9, v17
	v_add_f32_e32 v9, v10, v11
	v_add_f32_e32 v7, v7, v8
	v_mul_f32_e32 v42, v9, v40
	v_sub_f32_e32 v8, v10, v9
	v_mul_f32_e32 v10, v17, v42
	v_fma_f32 v12, v42, v17, -v10
	v_fmac_f32_e32 v12, v42, v7
	v_add_f32_e32 v41, v11, v8
	v_add_f32_e32 v8, v10, v12
	v_sub_f32_e32 v11, v9, v8
	v_pk_add_f32 v[14:15], v[8:9], v[10:11] neg_lo:[0,1] neg_hi:[0,1]
	v_mov_b32_e32 v13, v8
	v_pk_add_f32 v[8:9], v[14:15], v[12:13] neg_lo:[0,1] neg_hi:[0,1]
	v_add_f32_e32 v9, v41, v9
	v_add_f32_e32 v8, v8, v9
	;; [unrolled: 1-line block ×3, first 2 shown]
	v_mul_f32_e32 v41, v40, v9
	v_mul_f32_e32 v10, v17, v41
	v_fma_f32 v12, v41, v17, -v10
	v_fmac_f32_e32 v12, v41, v7
	v_sub_f32_e32 v7, v11, v9
	v_add_f32_e32 v7, v8, v7
	v_add_f32_e32 v8, v10, v12
	v_sub_f32_e32 v11, v9, v8
	v_pk_add_f32 v[14:15], v[8:9], v[10:11] neg_lo:[0,1] neg_hi:[0,1]
	v_mov_b32_e32 v13, v8
	v_pk_add_f32 v[8:9], v[14:15], v[12:13] neg_lo:[0,1] neg_hi:[0,1]
	v_add_f32_e32 v7, v7, v9
	v_add_f32_e32 v7, v8, v7
	v_add_f32_e32 v8, v42, v41
	v_add_f32_e32 v7, v11, v7
	v_sub_f32_e32 v9, v8, v42
	v_mul_f32_e32 v7, v40, v7
	v_sub_f32_e32 v9, v41, v9
	v_add_f32_e32 v7, v9, v7
	v_add_f32_e32 v11, v8, v7
	v_mul_f32_e32 v12, v11, v11
	v_mov_b32_e32 v10, 0x3ecc95a3
	v_fmac_f32_e32 v10, 0x3e9b6dac, v12
	v_mov_b32_e32 v9, 0x3f2aaada
	v_fmac_f32_e32 v9, v12, v10
	v_cvt_f32_i32_e32 v10, v16
	v_sub_f32_e32 v8, v11, v8
	v_sub_f32_e32 v7, v7, v8
	v_ldexp_f32 v13, v11, 1
	v_mul_f32_e32 v11, v11, v12
	v_mov_b32_e32 v8, 0x3f317218
	s_mov_b32 s25, 0x3f317218
	v_pk_mul_f32 v[8:9], v[10:11], v[8:9]
	v_fma_f32 v12, v10, s25, -v8
	v_fmac_f32_e32 v12, 0xb102e308, v10
	v_pk_add_f32 v[10:11], v[8:9], v[12:13]
	v_sub_f32_e32 v13, v11, v13
	v_ldexp_f32 v7, v7, 1
	v_sub_f32_e32 v13, v9, v13
	v_add_f32_e32 v15, v7, v13
	v_mov_b32_e32 v14, v8
	v_pk_add_f32 v[8:9], v[10:11], v[8:9] neg_lo:[0,1] neg_hi:[0,1]
	v_pk_add_f32 v[16:17], v[10:11], v[14:15]
	v_mov_b32_e32 v9, v17
	v_mov_b32_e32 v13, v10
	v_pk_add_f32 v[40:41], v[12:13], v[8:9] neg_lo:[0,1] neg_hi:[0,1]
	v_pk_add_f32 v[8:9], v[12:13], v[8:9]
	v_mov_b32_e32 v12, v9
	v_pk_add_f32 v[44:45], v[12:13], v[10:11] neg_lo:[0,1] neg_hi:[0,1]
	v_mov_b32_e32 v7, v44
	v_pk_add_f32 v[46:47], v[16:17], v[6:7] neg_lo:[0,1] neg_hi:[0,1]
	v_mov_b32_e32 v8, v17
	v_mov_b32_e32 v16, v11
	;; [unrolled: 1-line block ×4, first 2 shown]
	v_pk_add_f32 v[8:9], v[8:9], v[16:17] neg_lo:[0,1] neg_hi:[0,1]
	v_mov_b32_e32 v14, v15
	v_mov_b32_e32 v15, v10
	v_pk_add_f32 v[8:9], v[14:15], v[8:9] neg_lo:[0,1] neg_hi:[0,1]
	v_mov_b32_e32 v46, v40
	v_pk_add_f32 v[10:11], v[46:47], v[8:9]
	v_mov_b32_e32 v14, v11
	v_pk_add_f32 v[14:15], v[10:11], v[14:15]
	v_pk_add_f32 v[12:13], v[12:13], v[14:15]
	v_mov_b32_e32 v11, v12
	v_pk_add_f32 v[16:17], v[10:11], v[40:41] neg_lo:[0,1] neg_hi:[0,1]
	v_mov_b32_e32 v9, v14
	v_sub_f32_e32 v7, v10, v16
	v_pk_add_f32 v[8:9], v[8:9], v[16:17] neg_lo:[0,1] neg_hi:[0,1]
	v_sub_f32_e32 v7, v40, v7
	s_mov_b32 s26, 0x7f800000
	v_add_f32_e32 v7, v8, v7
	s_mov_b32 s25, 0x33800000
	v_add_f32_e32 v7, v7, v9
	v_cmp_eq_f32_e32 vcc, s26, v39
	v_cmp_lt_f32_e64 s[26:27], |v39|, s25
	v_add_f32_e32 v7, v12, v7
	s_or_b64 vcc, vcc, s[26:27]
	v_cndmask_b32_e32 v7, v7, v39, vcc
	v_add_f32_e32 v44, v6, v7
.LBB117_55:
	s_or_b64 exec, exec, s[22:23]
	v_max_f32_e32 v6, v44, v44
	v_max_f32_e32 v39, v24, v24
	v_min_f32_e32 v7, v6, v39
	v_cmp_u_f32_e32 vcc, v44, v44
	v_max_f32_e32 v6, v6, v39
	v_cndmask_b32_e32 v7, v7, v44, vcc
	v_cmp_u_f32_e64 s[22:23], v24, v24
	v_cndmask_b32_e32 v6, v6, v44, vcc
	v_cndmask_b32_e64 v7, v7, v24, s[22:23]
	v_cndmask_b32_e64 v6, v6, v24, s[22:23]
	v_cmp_neq_f32_e32 vcc, v7, v6
	v_cmp_class_f32_e64 s[24:25], v7, s24
	s_or_b64 s[26:27], vcc, s[24:25]
	s_and_saveexec_b64 s[24:25], s[26:27]
	s_cbranch_execz .LBB117_57
; %bb.56:
	v_sub_f32_e32 v7, v7, v6
	s_mov_b32 s26, 0x3fb8aa3b
	v_mul_f32_e32 v8, 0x3fb8aa3b, v7
	v_fma_f32 v9, v7, s26, -v8
	v_rndne_f32_e32 v10, v8
	v_fmac_f32_e32 v9, 0x32a5705f, v7
	v_sub_f32_e32 v8, v8, v10
	v_add_f32_e32 v8, v8, v9
	v_exp_f32_e32 v8, v8
	v_cvt_i32_f32_e32 v9, v10
	s_mov_b32 s26, 0xc2ce8ed0
	v_cmp_ngt_f32_e32 vcc, s26, v7
	s_mov_b32 s26, 0x42b17218
	v_ldexp_f32 v8, v8, v9
	v_cndmask_b32_e32 v8, 0, v8, vcc
	v_mov_b32_e32 v9, 0x7f800000
	v_cmp_nlt_f32_e32 vcc, s26, v7
	v_cndmask_b32_e32 v42, v9, v8, vcc
	v_add_f32_e32 v7, 1.0, v42
	v_add_f32_e32 v8, -1.0, v7
	v_sub_f32_e32 v9, v8, v7
	v_add_f32_e32 v9, 1.0, v9
	v_sub_f32_e32 v8, v42, v8
	v_add_f32_e32 v10, v8, v9
	v_frexp_mant_f32_e32 v11, v7
	s_mov_b32 s26, 0x3f2aaaab
	v_cvt_f64_f32_e32 v[8:9], v7
	v_frexp_exp_i32_f64_e32 v8, v[8:9]
	v_cmp_gt_f32_e32 vcc, s26, v11
	v_subbrev_co_u32_e32 v16, vcc, 0, v8, vcc
	v_sub_u32_e32 v8, 0, v16
	v_ldexp_f32 v7, v7, v8
	v_ldexp_f32 v8, v10, v8
	v_add_f32_e32 v10, -1.0, v7
	v_add_f32_e32 v9, 1.0, v10
	v_sub_f32_e32 v9, v7, v9
	v_add_f32_e32 v11, v8, v9
	v_add_f32_e32 v9, 1.0, v7
	v_add_f32_e32 v12, -1.0, v9
	v_sub_f32_e32 v7, v7, v12
	v_add_f32_e32 v7, v8, v7
	v_add_f32_e32 v17, v9, v7
	v_rcp_f32_e32 v40, v17
	v_sub_f32_e32 v8, v9, v17
	v_add_f32_e32 v9, v10, v11
	v_add_f32_e32 v7, v7, v8
	v_mul_f32_e32 v44, v9, v40
	v_sub_f32_e32 v8, v10, v9
	v_mul_f32_e32 v10, v17, v44
	v_fma_f32 v12, v44, v17, -v10
	v_fmac_f32_e32 v12, v44, v7
	v_add_f32_e32 v41, v11, v8
	v_add_f32_e32 v8, v10, v12
	v_sub_f32_e32 v11, v9, v8
	v_pk_add_f32 v[14:15], v[8:9], v[10:11] neg_lo:[0,1] neg_hi:[0,1]
	v_mov_b32_e32 v13, v8
	v_pk_add_f32 v[8:9], v[14:15], v[12:13] neg_lo:[0,1] neg_hi:[0,1]
	v_add_f32_e32 v9, v41, v9
	v_add_f32_e32 v8, v8, v9
	;; [unrolled: 1-line block ×3, first 2 shown]
	v_mul_f32_e32 v41, v40, v9
	v_mul_f32_e32 v10, v17, v41
	v_fma_f32 v12, v41, v17, -v10
	v_fmac_f32_e32 v12, v41, v7
	v_sub_f32_e32 v7, v11, v9
	v_add_f32_e32 v7, v8, v7
	v_add_f32_e32 v8, v10, v12
	v_sub_f32_e32 v11, v9, v8
	v_pk_add_f32 v[14:15], v[8:9], v[10:11] neg_lo:[0,1] neg_hi:[0,1]
	v_mov_b32_e32 v13, v8
	v_pk_add_f32 v[8:9], v[14:15], v[12:13] neg_lo:[0,1] neg_hi:[0,1]
	v_add_f32_e32 v7, v7, v9
	v_add_f32_e32 v7, v8, v7
	v_add_f32_e32 v8, v44, v41
	v_add_f32_e32 v7, v11, v7
	v_sub_f32_e32 v9, v8, v44
	v_mul_f32_e32 v7, v40, v7
	v_sub_f32_e32 v9, v41, v9
	v_add_f32_e32 v7, v9, v7
	v_add_f32_e32 v11, v8, v7
	v_mul_f32_e32 v12, v11, v11
	v_mov_b32_e32 v10, 0x3ecc95a3
	v_fmac_f32_e32 v10, 0x3e9b6dac, v12
	v_mov_b32_e32 v9, 0x3f2aaada
	v_fmac_f32_e32 v9, v12, v10
	v_cvt_f32_i32_e32 v10, v16
	v_sub_f32_e32 v8, v11, v8
	v_sub_f32_e32 v7, v7, v8
	v_ldexp_f32 v13, v11, 1
	v_mul_f32_e32 v11, v11, v12
	v_mov_b32_e32 v8, 0x3f317218
	s_mov_b32 s26, 0x3f317218
	v_pk_mul_f32 v[8:9], v[10:11], v[8:9]
	v_fma_f32 v12, v10, s26, -v8
	v_fmac_f32_e32 v12, 0xb102e308, v10
	v_pk_add_f32 v[10:11], v[8:9], v[12:13]
	v_sub_f32_e32 v13, v11, v13
	v_ldexp_f32 v7, v7, 1
	v_sub_f32_e32 v13, v9, v13
	v_add_f32_e32 v15, v7, v13
	v_mov_b32_e32 v14, v8
	v_pk_add_f32 v[8:9], v[10:11], v[8:9] neg_lo:[0,1] neg_hi:[0,1]
	v_pk_add_f32 v[16:17], v[10:11], v[14:15]
	v_mov_b32_e32 v9, v17
	v_mov_b32_e32 v13, v10
	v_pk_add_f32 v[40:41], v[12:13], v[8:9] neg_lo:[0,1] neg_hi:[0,1]
	v_pk_add_f32 v[8:9], v[12:13], v[8:9]
	v_mov_b32_e32 v12, v9
	v_pk_add_f32 v[44:45], v[12:13], v[10:11] neg_lo:[0,1] neg_hi:[0,1]
	v_mov_b32_e32 v7, v44
	v_pk_add_f32 v[46:47], v[16:17], v[6:7] neg_lo:[0,1] neg_hi:[0,1]
	v_mov_b32_e32 v8, v17
	v_mov_b32_e32 v16, v11
	;; [unrolled: 1-line block ×4, first 2 shown]
	v_pk_add_f32 v[8:9], v[8:9], v[16:17] neg_lo:[0,1] neg_hi:[0,1]
	v_mov_b32_e32 v14, v15
	v_mov_b32_e32 v15, v10
	v_pk_add_f32 v[8:9], v[14:15], v[8:9] neg_lo:[0,1] neg_hi:[0,1]
	v_mov_b32_e32 v46, v40
	v_pk_add_f32 v[10:11], v[46:47], v[8:9]
	v_mov_b32_e32 v14, v11
	v_pk_add_f32 v[14:15], v[10:11], v[14:15]
	v_pk_add_f32 v[12:13], v[12:13], v[14:15]
	v_mov_b32_e32 v11, v12
	v_pk_add_f32 v[16:17], v[10:11], v[40:41] neg_lo:[0,1] neg_hi:[0,1]
	v_mov_b32_e32 v9, v14
	v_sub_f32_e32 v7, v10, v16
	v_pk_add_f32 v[8:9], v[8:9], v[16:17] neg_lo:[0,1] neg_hi:[0,1]
	v_sub_f32_e32 v7, v40, v7
	s_mov_b32 s27, 0x7f800000
	v_add_f32_e32 v7, v8, v7
	s_mov_b32 s26, 0x33800000
	v_add_f32_e32 v7, v7, v9
	v_cmp_eq_f32_e32 vcc, s27, v42
	v_cmp_lt_f32_e64 s[26:27], |v42|, s26
	v_add_f32_e32 v7, v12, v7
	s_or_b64 vcc, vcc, s[26:27]
	v_cndmask_b32_e32 v7, v7, v42, vcc
	v_add_f32_e32 v44, v6, v7
.LBB117_57:
	s_or_b64 exec, exec, s[24:25]
	v_max_f32_e32 v6, v44, v44
	v_max_f32_e32 v40, v25, v25
	v_min_f32_e32 v7, v6, v40
	v_cmp_u_f32_e32 vcc, v44, v44
	v_max_f32_e32 v6, v6, v40
	v_cndmask_b32_e32 v7, v7, v44, vcc
	v_cmp_u_f32_e64 s[24:25], v25, v25
	v_cndmask_b32_e32 v6, v6, v44, vcc
	v_cndmask_b32_e64 v7, v7, v25, s[24:25]
	v_cndmask_b32_e64 v6, v6, v25, s[24:25]
	s_movk_i32 s28, 0x1f8
	v_cmp_neq_f32_e32 vcc, v7, v6
	v_cmp_class_f32_e64 s[26:27], v7, s28
	s_or_b64 s[34:35], vcc, s[26:27]
	s_and_saveexec_b64 s[26:27], s[34:35]
	s_cbranch_execz .LBB117_59
; %bb.58:
	v_sub_f32_e32 v7, v7, v6
	s_mov_b32 s29, 0x3fb8aa3b
	v_mul_f32_e32 v8, 0x3fb8aa3b, v7
	v_fma_f32 v9, v7, s29, -v8
	v_rndne_f32_e32 v10, v8
	v_fmac_f32_e32 v9, 0x32a5705f, v7
	v_sub_f32_e32 v8, v8, v10
	v_add_f32_e32 v8, v8, v9
	v_exp_f32_e32 v8, v8
	v_cvt_i32_f32_e32 v9, v10
	s_mov_b32 s29, 0xc2ce8ed0
	v_cmp_ngt_f32_e32 vcc, s29, v7
	s_mov_b32 s29, 0x42b17218
	v_ldexp_f32 v8, v8, v9
	v_cndmask_b32_e32 v8, 0, v8, vcc
	v_mov_b32_e32 v9, 0x7f800000
	v_cmp_nlt_f32_e32 vcc, s29, v7
	v_cndmask_b32_e32 v41, v9, v8, vcc
	v_add_f32_e32 v7, 1.0, v41
	v_add_f32_e32 v8, -1.0, v7
	v_sub_f32_e32 v9, v8, v7
	v_add_f32_e32 v9, 1.0, v9
	v_sub_f32_e32 v8, v41, v8
	v_add_f32_e32 v10, v8, v9
	v_frexp_mant_f32_e32 v11, v7
	s_mov_b32 s29, 0x3f2aaaab
	v_cvt_f64_f32_e32 v[8:9], v7
	v_frexp_exp_i32_f64_e32 v8, v[8:9]
	v_cmp_gt_f32_e32 vcc, s29, v11
	v_subbrev_co_u32_e32 v16, vcc, 0, v8, vcc
	v_sub_u32_e32 v8, 0, v16
	v_ldexp_f32 v7, v7, v8
	v_ldexp_f32 v8, v10, v8
	v_add_f32_e32 v10, -1.0, v7
	v_add_f32_e32 v9, 1.0, v10
	v_sub_f32_e32 v9, v7, v9
	v_add_f32_e32 v11, v8, v9
	v_add_f32_e32 v9, 1.0, v7
	v_add_f32_e32 v12, -1.0, v9
	v_sub_f32_e32 v7, v7, v12
	v_add_f32_e32 v7, v8, v7
	v_add_f32_e32 v17, v9, v7
	v_rcp_f32_e32 v42, v17
	v_sub_f32_e32 v8, v9, v17
	v_add_f32_e32 v9, v10, v11
	v_add_f32_e32 v7, v7, v8
	v_mul_f32_e32 v45, v9, v42
	v_sub_f32_e32 v8, v10, v9
	v_mul_f32_e32 v10, v17, v45
	v_fma_f32 v12, v45, v17, -v10
	v_fmac_f32_e32 v12, v45, v7
	v_add_f32_e32 v44, v11, v8
	v_add_f32_e32 v8, v10, v12
	v_sub_f32_e32 v11, v9, v8
	v_pk_add_f32 v[14:15], v[8:9], v[10:11] neg_lo:[0,1] neg_hi:[0,1]
	v_mov_b32_e32 v13, v8
	v_pk_add_f32 v[8:9], v[14:15], v[12:13] neg_lo:[0,1] neg_hi:[0,1]
	v_add_f32_e32 v9, v44, v9
	v_add_f32_e32 v8, v8, v9
	;; [unrolled: 1-line block ×3, first 2 shown]
	v_mul_f32_e32 v44, v42, v9
	v_mul_f32_e32 v10, v17, v44
	v_fma_f32 v12, v44, v17, -v10
	v_fmac_f32_e32 v12, v44, v7
	v_sub_f32_e32 v7, v11, v9
	v_add_f32_e32 v7, v8, v7
	v_add_f32_e32 v8, v10, v12
	v_sub_f32_e32 v11, v9, v8
	v_pk_add_f32 v[14:15], v[8:9], v[10:11] neg_lo:[0,1] neg_hi:[0,1]
	v_mov_b32_e32 v13, v8
	v_pk_add_f32 v[8:9], v[14:15], v[12:13] neg_lo:[0,1] neg_hi:[0,1]
	v_add_f32_e32 v7, v7, v9
	v_add_f32_e32 v7, v8, v7
	;; [unrolled: 1-line block ×4, first 2 shown]
	v_sub_f32_e32 v9, v8, v45
	v_mul_f32_e32 v7, v42, v7
	v_sub_f32_e32 v9, v44, v9
	v_add_f32_e32 v7, v9, v7
	v_add_f32_e32 v11, v8, v7
	v_mul_f32_e32 v12, v11, v11
	v_mov_b32_e32 v10, 0x3ecc95a3
	v_fmac_f32_e32 v10, 0x3e9b6dac, v12
	v_mov_b32_e32 v9, 0x3f2aaada
	v_fmac_f32_e32 v9, v12, v10
	v_cvt_f32_i32_e32 v10, v16
	v_sub_f32_e32 v8, v11, v8
	v_sub_f32_e32 v7, v7, v8
	v_ldexp_f32 v13, v11, 1
	v_mul_f32_e32 v11, v11, v12
	v_mov_b32_e32 v8, 0x3f317218
	s_mov_b32 s29, 0x3f317218
	v_pk_mul_f32 v[8:9], v[10:11], v[8:9]
	v_fma_f32 v12, v10, s29, -v8
	v_fmac_f32_e32 v12, 0xb102e308, v10
	v_pk_add_f32 v[10:11], v[8:9], v[12:13]
	v_sub_f32_e32 v13, v11, v13
	v_ldexp_f32 v7, v7, 1
	v_sub_f32_e32 v13, v9, v13
	v_add_f32_e32 v15, v7, v13
	v_mov_b32_e32 v14, v8
	v_pk_add_f32 v[8:9], v[10:11], v[8:9] neg_lo:[0,1] neg_hi:[0,1]
	v_pk_add_f32 v[16:17], v[10:11], v[14:15]
	v_mov_b32_e32 v9, v17
	v_mov_b32_e32 v13, v10
	v_pk_add_f32 v[44:45], v[12:13], v[8:9] neg_lo:[0,1] neg_hi:[0,1]
	v_pk_add_f32 v[8:9], v[12:13], v[8:9]
	v_mov_b32_e32 v12, v9
	v_pk_add_f32 v[46:47], v[12:13], v[10:11] neg_lo:[0,1] neg_hi:[0,1]
	v_mov_b32_e32 v7, v46
	v_pk_add_f32 v[48:49], v[16:17], v[6:7] neg_lo:[0,1] neg_hi:[0,1]
	v_mov_b32_e32 v8, v17
	v_mov_b32_e32 v16, v11
	;; [unrolled: 1-line block ×4, first 2 shown]
	v_pk_add_f32 v[8:9], v[8:9], v[16:17] neg_lo:[0,1] neg_hi:[0,1]
	v_mov_b32_e32 v14, v15
	v_mov_b32_e32 v15, v10
	v_pk_add_f32 v[8:9], v[14:15], v[8:9] neg_lo:[0,1] neg_hi:[0,1]
	v_mov_b32_e32 v48, v44
	v_pk_add_f32 v[10:11], v[48:49], v[8:9]
	v_mov_b32_e32 v14, v11
	v_pk_add_f32 v[14:15], v[10:11], v[14:15]
	v_pk_add_f32 v[12:13], v[12:13], v[14:15]
	v_mov_b32_e32 v11, v12
	v_pk_add_f32 v[16:17], v[10:11], v[44:45] neg_lo:[0,1] neg_hi:[0,1]
	v_mov_b32_e32 v9, v14
	v_sub_f32_e32 v7, v10, v16
	v_pk_add_f32 v[8:9], v[8:9], v[16:17] neg_lo:[0,1] neg_hi:[0,1]
	v_sub_f32_e32 v7, v44, v7
	s_mov_b32 s34, 0x7f800000
	v_add_f32_e32 v7, v8, v7
	s_mov_b32 s29, 0x33800000
	v_add_f32_e32 v7, v7, v9
	v_cmp_eq_f32_e32 vcc, s34, v41
	v_cmp_lt_f32_e64 s[34:35], |v41|, s29
	v_add_f32_e32 v7, v12, v7
	s_or_b64 vcc, vcc, s[34:35]
	v_cndmask_b32_e32 v7, v7, v41, vcc
	v_add_f32_e32 v44, v6, v7
.LBB117_59:
	s_or_b64 exec, exec, s[26:27]
	v_max_f32_e32 v6, v44, v44
	v_max_f32_e32 v41, v30, v30
	v_min_f32_e32 v7, v6, v41
	v_cmp_u_f32_e32 vcc, v44, v44
	v_max_f32_e32 v6, v6, v41
	v_cndmask_b32_e32 v7, v7, v44, vcc
	v_cmp_u_f32_e64 s[26:27], v30, v30
	v_cndmask_b32_e32 v6, v6, v44, vcc
	v_cndmask_b32_e64 v7, v7, v30, s[26:27]
	v_cndmask_b32_e64 v6, v6, v30, s[26:27]
	v_cmp_neq_f32_e32 vcc, v7, v6
	v_cmp_class_f32_e64 s[28:29], v7, s28
	s_or_b64 s[34:35], vcc, s[28:29]
	s_and_saveexec_b64 s[28:29], s[34:35]
	s_cbranch_execz .LBB117_61
; %bb.60:
	v_sub_f32_e32 v7, v7, v6
	s_mov_b32 s34, 0x3fb8aa3b
	v_mul_f32_e32 v8, 0x3fb8aa3b, v7
	v_fma_f32 v9, v7, s34, -v8
	v_rndne_f32_e32 v10, v8
	v_fmac_f32_e32 v9, 0x32a5705f, v7
	v_sub_f32_e32 v8, v8, v10
	v_add_f32_e32 v8, v8, v9
	v_exp_f32_e32 v8, v8
	v_cvt_i32_f32_e32 v9, v10
	s_mov_b32 s34, 0xc2ce8ed0
	v_cmp_ngt_f32_e32 vcc, s34, v7
	s_mov_b32 s34, 0x42b17218
	v_ldexp_f32 v8, v8, v9
	v_cndmask_b32_e32 v8, 0, v8, vcc
	v_mov_b32_e32 v9, 0x7f800000
	v_cmp_nlt_f32_e32 vcc, s34, v7
	v_cndmask_b32_e32 v42, v9, v8, vcc
	v_add_f32_e32 v7, 1.0, v42
	v_add_f32_e32 v8, -1.0, v7
	v_sub_f32_e32 v9, v8, v7
	v_add_f32_e32 v9, 1.0, v9
	v_sub_f32_e32 v8, v42, v8
	v_add_f32_e32 v10, v8, v9
	v_frexp_mant_f32_e32 v11, v7
	s_mov_b32 s34, 0x3f2aaaab
	v_cvt_f64_f32_e32 v[8:9], v7
	v_frexp_exp_i32_f64_e32 v8, v[8:9]
	v_cmp_gt_f32_e32 vcc, s34, v11
	v_subbrev_co_u32_e32 v16, vcc, 0, v8, vcc
	v_sub_u32_e32 v8, 0, v16
	v_ldexp_f32 v7, v7, v8
	v_ldexp_f32 v8, v10, v8
	v_add_f32_e32 v10, -1.0, v7
	v_add_f32_e32 v9, 1.0, v10
	v_sub_f32_e32 v9, v7, v9
	v_add_f32_e32 v11, v8, v9
	v_add_f32_e32 v9, 1.0, v7
	v_add_f32_e32 v12, -1.0, v9
	v_sub_f32_e32 v7, v7, v12
	v_add_f32_e32 v7, v8, v7
	v_add_f32_e32 v17, v9, v7
	v_rcp_f32_e32 v44, v17
	v_sub_f32_e32 v8, v9, v17
	v_add_f32_e32 v9, v10, v11
	v_add_f32_e32 v7, v7, v8
	v_mul_f32_e32 v46, v9, v44
	v_sub_f32_e32 v8, v10, v9
	v_mul_f32_e32 v10, v17, v46
	v_fma_f32 v12, v46, v17, -v10
	v_fmac_f32_e32 v12, v46, v7
	v_add_f32_e32 v45, v11, v8
	v_add_f32_e32 v8, v10, v12
	v_sub_f32_e32 v11, v9, v8
	v_pk_add_f32 v[14:15], v[8:9], v[10:11] neg_lo:[0,1] neg_hi:[0,1]
	v_mov_b32_e32 v13, v8
	v_pk_add_f32 v[8:9], v[14:15], v[12:13] neg_lo:[0,1] neg_hi:[0,1]
	v_add_f32_e32 v9, v45, v9
	v_add_f32_e32 v8, v8, v9
	;; [unrolled: 1-line block ×3, first 2 shown]
	v_mul_f32_e32 v45, v44, v9
	v_mul_f32_e32 v10, v17, v45
	v_fma_f32 v12, v45, v17, -v10
	v_fmac_f32_e32 v12, v45, v7
	v_sub_f32_e32 v7, v11, v9
	v_add_f32_e32 v7, v8, v7
	v_add_f32_e32 v8, v10, v12
	v_sub_f32_e32 v11, v9, v8
	v_pk_add_f32 v[14:15], v[8:9], v[10:11] neg_lo:[0,1] neg_hi:[0,1]
	v_mov_b32_e32 v13, v8
	v_pk_add_f32 v[8:9], v[14:15], v[12:13] neg_lo:[0,1] neg_hi:[0,1]
	v_add_f32_e32 v7, v7, v9
	v_add_f32_e32 v7, v8, v7
	;; [unrolled: 1-line block ×4, first 2 shown]
	v_sub_f32_e32 v9, v8, v46
	v_mul_f32_e32 v7, v44, v7
	v_sub_f32_e32 v9, v45, v9
	v_add_f32_e32 v7, v9, v7
	v_add_f32_e32 v11, v8, v7
	v_mul_f32_e32 v12, v11, v11
	v_mov_b32_e32 v10, 0x3ecc95a3
	v_fmac_f32_e32 v10, 0x3e9b6dac, v12
	v_mov_b32_e32 v9, 0x3f2aaada
	v_fmac_f32_e32 v9, v12, v10
	v_cvt_f32_i32_e32 v10, v16
	v_sub_f32_e32 v8, v11, v8
	v_sub_f32_e32 v7, v7, v8
	v_ldexp_f32 v13, v11, 1
	v_mul_f32_e32 v11, v11, v12
	v_mov_b32_e32 v8, 0x3f317218
	s_mov_b32 s34, 0x3f317218
	v_pk_mul_f32 v[8:9], v[10:11], v[8:9]
	v_fma_f32 v12, v10, s34, -v8
	v_fmac_f32_e32 v12, 0xb102e308, v10
	v_pk_add_f32 v[10:11], v[8:9], v[12:13]
	v_sub_f32_e32 v13, v11, v13
	v_ldexp_f32 v7, v7, 1
	v_sub_f32_e32 v13, v9, v13
	v_add_f32_e32 v15, v7, v13
	v_mov_b32_e32 v14, v8
	v_pk_add_f32 v[8:9], v[10:11], v[8:9] neg_lo:[0,1] neg_hi:[0,1]
	v_pk_add_f32 v[16:17], v[10:11], v[14:15]
	v_mov_b32_e32 v9, v17
	v_mov_b32_e32 v13, v10
	v_pk_add_f32 v[44:45], v[12:13], v[8:9] neg_lo:[0,1] neg_hi:[0,1]
	v_pk_add_f32 v[8:9], v[12:13], v[8:9]
	v_mov_b32_e32 v12, v9
	v_pk_add_f32 v[46:47], v[12:13], v[10:11] neg_lo:[0,1] neg_hi:[0,1]
	v_mov_b32_e32 v7, v46
	v_pk_add_f32 v[48:49], v[16:17], v[6:7] neg_lo:[0,1] neg_hi:[0,1]
	v_mov_b32_e32 v8, v17
	v_mov_b32_e32 v16, v11
	;; [unrolled: 1-line block ×4, first 2 shown]
	v_pk_add_f32 v[8:9], v[8:9], v[16:17] neg_lo:[0,1] neg_hi:[0,1]
	v_mov_b32_e32 v14, v15
	v_mov_b32_e32 v15, v10
	v_pk_add_f32 v[8:9], v[14:15], v[8:9] neg_lo:[0,1] neg_hi:[0,1]
	v_mov_b32_e32 v48, v44
	v_pk_add_f32 v[10:11], v[48:49], v[8:9]
	v_mov_b32_e32 v14, v11
	v_pk_add_f32 v[14:15], v[10:11], v[14:15]
	v_pk_add_f32 v[12:13], v[12:13], v[14:15]
	v_mov_b32_e32 v11, v12
	v_pk_add_f32 v[16:17], v[10:11], v[44:45] neg_lo:[0,1] neg_hi:[0,1]
	v_mov_b32_e32 v9, v14
	v_sub_f32_e32 v7, v10, v16
	v_pk_add_f32 v[8:9], v[8:9], v[16:17] neg_lo:[0,1] neg_hi:[0,1]
	v_sub_f32_e32 v7, v44, v7
	s_mov_b32 s35, 0x7f800000
	v_add_f32_e32 v7, v8, v7
	s_mov_b32 s34, 0x33800000
	v_add_f32_e32 v7, v7, v9
	v_cmp_eq_f32_e32 vcc, s35, v42
	v_cmp_lt_f32_e64 s[34:35], |v42|, s34
	v_add_f32_e32 v7, v12, v7
	s_or_b64 vcc, vcc, s[34:35]
	v_cndmask_b32_e32 v7, v7, v42, vcc
	v_add_f32_e32 v44, v6, v7
.LBB117_61:
	s_or_b64 exec, exec, s[28:29]
	v_max_f32_e32 v6, v44, v44
	v_max_f32_e32 v42, v31, v31
	v_min_f32_e32 v7, v6, v42
	v_cmp_u_f32_e32 vcc, v44, v44
	v_max_f32_e32 v6, v6, v42
	v_cndmask_b32_e32 v7, v7, v44, vcc
	v_cmp_u_f32_e64 s[28:29], v31, v31
	v_cndmask_b32_e32 v6, v6, v44, vcc
	v_cndmask_b32_e64 v7, v7, v31, s[28:29]
	v_cndmask_b32_e64 v6, v6, v31, s[28:29]
	s_movk_i32 s34, 0x1f8
	v_cmp_neq_f32_e32 vcc, v7, v6
	v_cmp_class_f32_e64 s[34:35], v7, s34
	s_or_b64 s[36:37], vcc, s[34:35]
	s_and_saveexec_b64 s[34:35], s[36:37]
	s_cbranch_execz .LBB117_63
; %bb.62:
	v_sub_f32_e32 v7, v7, v6
	s_mov_b32 s36, 0x3fb8aa3b
	v_mul_f32_e32 v8, 0x3fb8aa3b, v7
	v_fma_f32 v9, v7, s36, -v8
	v_rndne_f32_e32 v10, v8
	v_fmac_f32_e32 v9, 0x32a5705f, v7
	v_sub_f32_e32 v8, v8, v10
	v_add_f32_e32 v8, v8, v9
	v_exp_f32_e32 v8, v8
	v_cvt_i32_f32_e32 v9, v10
	s_mov_b32 s36, 0xc2ce8ed0
	v_cmp_ngt_f32_e32 vcc, s36, v7
	s_mov_b32 s36, 0x42b17218
	v_ldexp_f32 v8, v8, v9
	v_cndmask_b32_e32 v8, 0, v8, vcc
	v_mov_b32_e32 v9, 0x7f800000
	v_cmp_nlt_f32_e32 vcc, s36, v7
	v_cndmask_b32_e32 v50, v9, v8, vcc
	v_add_f32_e32 v7, 1.0, v50
	v_add_f32_e32 v8, -1.0, v7
	v_sub_f32_e32 v9, v8, v7
	v_add_f32_e32 v9, 1.0, v9
	v_sub_f32_e32 v8, v50, v8
	v_add_f32_e32 v10, v8, v9
	v_frexp_mant_f32_e32 v11, v7
	s_mov_b32 s36, 0x3f2aaaab
	v_cvt_f64_f32_e32 v[8:9], v7
	v_frexp_exp_i32_f64_e32 v8, v[8:9]
	v_cmp_gt_f32_e32 vcc, s36, v11
	v_subbrev_co_u32_e32 v16, vcc, 0, v8, vcc
	v_sub_u32_e32 v8, 0, v16
	v_ldexp_f32 v7, v7, v8
	v_ldexp_f32 v8, v10, v8
	v_add_f32_e32 v10, -1.0, v7
	v_add_f32_e32 v9, 1.0, v10
	v_sub_f32_e32 v9, v7, v9
	v_add_f32_e32 v11, v8, v9
	v_add_f32_e32 v9, 1.0, v7
	v_add_f32_e32 v12, -1.0, v9
	v_sub_f32_e32 v7, v7, v12
	v_add_f32_e32 v7, v8, v7
	v_add_f32_e32 v17, v9, v7
	v_rcp_f32_e32 v44, v17
	v_sub_f32_e32 v8, v9, v17
	v_add_f32_e32 v9, v10, v11
	v_add_f32_e32 v7, v7, v8
	v_mul_f32_e32 v46, v9, v44
	v_sub_f32_e32 v8, v10, v9
	v_mul_f32_e32 v10, v17, v46
	v_fma_f32 v12, v46, v17, -v10
	v_fmac_f32_e32 v12, v46, v7
	v_add_f32_e32 v45, v11, v8
	v_add_f32_e32 v8, v10, v12
	v_sub_f32_e32 v11, v9, v8
	v_pk_add_f32 v[14:15], v[8:9], v[10:11] neg_lo:[0,1] neg_hi:[0,1]
	v_mov_b32_e32 v13, v8
	v_pk_add_f32 v[8:9], v[14:15], v[12:13] neg_lo:[0,1] neg_hi:[0,1]
	v_add_f32_e32 v9, v45, v9
	v_add_f32_e32 v8, v8, v9
	;; [unrolled: 1-line block ×3, first 2 shown]
	v_mul_f32_e32 v45, v44, v9
	v_mul_f32_e32 v10, v17, v45
	v_fma_f32 v12, v45, v17, -v10
	v_fmac_f32_e32 v12, v45, v7
	v_sub_f32_e32 v7, v11, v9
	v_add_f32_e32 v7, v8, v7
	v_add_f32_e32 v8, v10, v12
	v_sub_f32_e32 v11, v9, v8
	v_pk_add_f32 v[14:15], v[8:9], v[10:11] neg_lo:[0,1] neg_hi:[0,1]
	v_mov_b32_e32 v13, v8
	v_pk_add_f32 v[8:9], v[14:15], v[12:13] neg_lo:[0,1] neg_hi:[0,1]
	v_add_f32_e32 v7, v7, v9
	v_add_f32_e32 v7, v8, v7
	;; [unrolled: 1-line block ×4, first 2 shown]
	v_sub_f32_e32 v9, v8, v46
	v_mul_f32_e32 v7, v44, v7
	v_sub_f32_e32 v9, v45, v9
	v_add_f32_e32 v7, v9, v7
	v_add_f32_e32 v11, v8, v7
	v_mul_f32_e32 v12, v11, v11
	v_mov_b32_e32 v10, 0x3ecc95a3
	v_fmac_f32_e32 v10, 0x3e9b6dac, v12
	v_mov_b32_e32 v9, 0x3f2aaada
	v_fmac_f32_e32 v9, v12, v10
	v_cvt_f32_i32_e32 v10, v16
	v_sub_f32_e32 v8, v11, v8
	v_sub_f32_e32 v7, v7, v8
	v_ldexp_f32 v13, v11, 1
	v_mul_f32_e32 v11, v11, v12
	v_mov_b32_e32 v8, 0x3f317218
	s_mov_b32 s36, 0x3f317218
	v_pk_mul_f32 v[8:9], v[10:11], v[8:9]
	v_fma_f32 v12, v10, s36, -v8
	v_fmac_f32_e32 v12, 0xb102e308, v10
	v_pk_add_f32 v[10:11], v[8:9], v[12:13]
	v_sub_f32_e32 v13, v11, v13
	v_ldexp_f32 v7, v7, 1
	v_sub_f32_e32 v13, v9, v13
	v_add_f32_e32 v15, v7, v13
	v_mov_b32_e32 v14, v8
	v_pk_add_f32 v[8:9], v[10:11], v[8:9] neg_lo:[0,1] neg_hi:[0,1]
	v_pk_add_f32 v[16:17], v[10:11], v[14:15]
	v_mov_b32_e32 v9, v17
	v_mov_b32_e32 v13, v10
	v_pk_add_f32 v[44:45], v[12:13], v[8:9] neg_lo:[0,1] neg_hi:[0,1]
	v_pk_add_f32 v[8:9], v[12:13], v[8:9]
	v_mov_b32_e32 v12, v9
	v_pk_add_f32 v[46:47], v[12:13], v[10:11] neg_lo:[0,1] neg_hi:[0,1]
	v_mov_b32_e32 v7, v46
	v_pk_add_f32 v[48:49], v[16:17], v[6:7] neg_lo:[0,1] neg_hi:[0,1]
	v_mov_b32_e32 v8, v17
	v_mov_b32_e32 v16, v11
	v_mov_b32_e32 v17, v46
	v_mov_b32_e32 v45, v9
	v_pk_add_f32 v[8:9], v[8:9], v[16:17] neg_lo:[0,1] neg_hi:[0,1]
	v_mov_b32_e32 v14, v15
	v_mov_b32_e32 v15, v10
	v_pk_add_f32 v[8:9], v[14:15], v[8:9] neg_lo:[0,1] neg_hi:[0,1]
	v_mov_b32_e32 v48, v44
	v_pk_add_f32 v[10:11], v[48:49], v[8:9]
	v_mov_b32_e32 v14, v11
	v_pk_add_f32 v[14:15], v[10:11], v[14:15]
	v_pk_add_f32 v[12:13], v[12:13], v[14:15]
	v_mov_b32_e32 v11, v12
	v_pk_add_f32 v[16:17], v[10:11], v[44:45] neg_lo:[0,1] neg_hi:[0,1]
	v_mov_b32_e32 v9, v14
	v_sub_f32_e32 v7, v10, v16
	v_pk_add_f32 v[8:9], v[8:9], v[16:17] neg_lo:[0,1] neg_hi:[0,1]
	v_sub_f32_e32 v7, v44, v7
	s_mov_b32 s37, 0x7f800000
	v_add_f32_e32 v7, v8, v7
	s_mov_b32 s36, 0x33800000
	v_add_f32_e32 v7, v7, v9
	v_cmp_eq_f32_e32 vcc, s37, v50
	v_cmp_lt_f32_e64 s[36:37], |v50|, s36
	v_add_f32_e32 v7, v12, v7
	s_or_b64 vcc, vcc, s[36:37]
	v_cndmask_b32_e32 v7, v7, v50, vcc
	v_add_f32_e32 v44, v6, v7
.LBB117_63:
	s_or_b64 exec, exec, s[34:35]
	v_lshrrev_b32_e32 v6, 5, v0
	v_add_lshl_u32 v6, v6, v0, 2
	v_cmp_gt_u32_e32 vcc, 64, v0
	ds_write_b32 v6, v44
	s_waitcnt lgkmcnt(0)
	s_barrier
	s_and_saveexec_b64 s[58:59], vcc
	s_cbranch_execz .LBB117_95
; %bb.64:
	v_lshlrev_b32_e32 v6, 1, v0
	v_lshrrev_b32_e32 v7, 4, v0
	v_add_lshl_u32 v8, v7, v6, 2
	ds_read2_b32 v[6:7], v8 offset1:1
	s_movk_i32 s38, 0x1f8
	s_waitcnt lgkmcnt(0)
	v_max_f32_e32 v11, v7, v7
	v_max_f32_e32 v9, v6, v6
	v_min_f32_e32 v10, v9, v11
	v_cmp_u_f32_e64 s[34:35], v6, v6
	v_max_f32_e32 v11, v9, v11
	v_cndmask_b32_e64 v10, v10, v6, s[34:35]
	v_cmp_u_f32_e64 s[36:37], v7, v7
	v_cndmask_b32_e64 v11, v11, v6, s[34:35]
	v_cndmask_b32_e64 v10, v10, v7, s[36:37]
	;; [unrolled: 1-line block ×3, first 2 shown]
	v_cmp_neq_f32_e64 s[36:37], v10, v7
	v_cmp_class_f32_e64 s[38:39], v10, s38
	s_or_b64 s[36:37], s[36:37], s[38:39]
	v_mov_b32_e32 v11, v6
	s_and_saveexec_b64 s[38:39], s[36:37]
	s_cbranch_execz .LBB117_66
; %bb.65:
	v_sub_f32_e32 v10, v10, v7
	s_mov_b32 s36, 0x3fb8aa3b
	v_mul_f32_e32 v11, 0x3fb8aa3b, v10
	v_fma_f32 v12, v10, s36, -v11
	v_rndne_f32_e32 v13, v11
	v_fmac_f32_e32 v12, 0x32a5705f, v10
	v_sub_f32_e32 v11, v11, v13
	v_add_f32_e32 v11, v11, v12
	v_exp_f32_e32 v11, v11
	v_cvt_i32_f32_e32 v12, v13
	s_mov_b32 s36, 0xc2ce8ed0
	v_cmp_ngt_f32_e64 s[36:37], s36, v10
	s_mov_b32 s60, 0x7f800000
	v_ldexp_f32 v11, v11, v12
	v_cndmask_b32_e64 v11, 0, v11, s[36:37]
	s_mov_b32 s36, 0x42b17218
	v_mov_b32_e32 v12, 0x7f800000
	v_cmp_nlt_f32_e64 s[36:37], s36, v10
	v_cndmask_b32_e64 v45, v12, v11, s[36:37]
	v_add_f32_e32 v12, 1.0, v45
	v_add_f32_e32 v10, -1.0, v12
	v_sub_f32_e32 v11, v10, v12
	v_add_f32_e32 v11, 1.0, v11
	v_sub_f32_e32 v10, v45, v10
	v_add_f32_e32 v13, v10, v11
	v_frexp_mant_f32_e32 v14, v12
	s_mov_b32 s36, 0x3f2aaaab
	v_cvt_f64_f32_e32 v[10:11], v12
	v_frexp_exp_i32_f64_e32 v10, v[10:11]
	v_cmp_gt_f32_e64 s[36:37], s36, v14
	v_subbrev_co_u32_e64 v46, s[36:37], 0, v10, s[36:37]
	v_sub_u32_e32 v10, 0, v46
	v_ldexp_f32 v11, v12, v10
	v_add_f32_e32 v12, -1.0, v11
	v_add_f32_e32 v14, 1.0, v11
	v_ldexp_f32 v10, v13, v10
	v_add_f32_e32 v13, 1.0, v12
	v_add_f32_e32 v15, -1.0, v14
	v_sub_f32_e32 v13, v11, v13
	v_sub_f32_e32 v11, v11, v15
	v_add_f32_e32 v13, v10, v13
	v_add_f32_e32 v10, v10, v11
	;; [unrolled: 1-line block ×3, first 2 shown]
	v_rcp_f32_e32 v49, v47
	v_sub_f32_e32 v11, v14, v47
	v_add_f32_e32 v48, v10, v11
	v_add_f32_e32 v11, v12, v13
	v_mul_f32_e32 v51, v11, v49
	v_sub_f32_e32 v10, v12, v11
	v_mul_f32_e32 v12, v47, v51
	v_fma_f32 v14, v51, v47, -v12
	v_fmac_f32_e32 v14, v51, v48
	v_add_f32_e32 v50, v13, v10
	v_add_f32_e32 v10, v12, v14
	v_sub_f32_e32 v13, v11, v10
	v_pk_add_f32 v[16:17], v[10:11], v[12:13] neg_lo:[0,1] neg_hi:[0,1]
	v_mov_b32_e32 v15, v10
	v_pk_add_f32 v[10:11], v[16:17], v[14:15] neg_lo:[0,1] neg_hi:[0,1]
	v_add_f32_e32 v11, v50, v11
	v_add_f32_e32 v10, v10, v11
	;; [unrolled: 1-line block ×3, first 2 shown]
	v_mul_f32_e32 v50, v49, v11
	v_mul_f32_e32 v12, v47, v50
	v_fma_f32 v14, v50, v47, -v12
	v_fmac_f32_e32 v14, v50, v48
	v_sub_f32_e32 v13, v13, v11
	v_add_f32_e32 v47, v10, v13
	v_add_f32_e32 v10, v12, v14
	v_sub_f32_e32 v13, v11, v10
	v_pk_add_f32 v[16:17], v[10:11], v[12:13] neg_lo:[0,1] neg_hi:[0,1]
	v_mov_b32_e32 v15, v10
	v_pk_add_f32 v[10:11], v[16:17], v[14:15] neg_lo:[0,1] neg_hi:[0,1]
	v_add_f32_e32 v11, v47, v11
	v_add_f32_e32 v10, v10, v11
	v_add_f32_e32 v10, v13, v10
	v_add_f32_e32 v13, v51, v50
	v_sub_f32_e32 v11, v13, v51
	v_mul_f32_e32 v10, v49, v10
	v_sub_f32_e32 v11, v50, v11
	v_add_f32_e32 v10, v11, v10
	v_add_f32_e32 v14, v13, v10
	v_mul_f32_e32 v16, v14, v14
	v_mov_b32_e32 v12, 0x3ecc95a3
	v_fmac_f32_e32 v12, 0x3e9b6dac, v16
	v_mov_b32_e32 v11, 0x3f2aaada
	v_fmac_f32_e32 v11, v16, v12
	v_cvt_f32_i32_e32 v12, v46
	v_sub_f32_e32 v13, v14, v13
	v_sub_f32_e32 v10, v10, v13
	v_ldexp_f32 v17, v10, 1
	v_mul_f32_e32 v13, v14, v16
	v_mov_b32_e32 v10, 0x3f317218
	s_mov_b32 s36, 0x3f317218
	v_pk_mul_f32 v[10:11], v[12:13], v[10:11]
	v_ldexp_f32 v15, v14, 1
	v_fma_f32 v14, v12, s36, -v10
	v_fmac_f32_e32 v14, 0xb102e308, v12
	v_pk_add_f32 v[12:13], v[10:11], v[14:15]
	v_sub_f32_e32 v15, v13, v15
	v_sub_f32_e32 v15, v11, v15
	v_add_f32_e32 v17, v17, v15
	v_mov_b32_e32 v16, v10
	v_pk_add_f32 v[10:11], v[12:13], v[10:11] neg_lo:[0,1] neg_hi:[0,1]
	v_pk_add_f32 v[46:47], v[12:13], v[16:17]
	v_mov_b32_e32 v11, v47
	v_mov_b32_e32 v15, v12
	v_pk_add_f32 v[48:49], v[14:15], v[10:11] neg_lo:[0,1] neg_hi:[0,1]
	v_pk_add_f32 v[10:11], v[14:15], v[10:11]
	v_mov_b32_e32 v14, v11
	v_pk_add_f32 v[50:51], v[14:15], v[12:13] neg_lo:[0,1] neg_hi:[0,1]
	v_mov_b32_e32 v15, v50
	v_pk_add_f32 v[52:53], v[46:47], v[14:15] neg_lo:[0,1] neg_hi:[0,1]
	v_mov_b32_e32 v10, v47
	v_mov_b32_e32 v46, v13
	;; [unrolled: 1-line block ×4, first 2 shown]
	v_pk_add_f32 v[10:11], v[10:11], v[46:47] neg_lo:[0,1] neg_hi:[0,1]
	v_mov_b32_e32 v16, v17
	v_mov_b32_e32 v17, v12
	v_pk_add_f32 v[10:11], v[16:17], v[10:11] neg_lo:[0,1] neg_hi:[0,1]
	v_mov_b32_e32 v52, v48
	v_pk_add_f32 v[12:13], v[52:53], v[10:11]
	v_mov_b32_e32 v16, v13
	v_pk_add_f32 v[16:17], v[12:13], v[16:17]
	v_pk_add_f32 v[14:15], v[14:15], v[16:17]
	v_mov_b32_e32 v13, v14
	v_pk_add_f32 v[46:47], v[12:13], v[48:49] neg_lo:[0,1] neg_hi:[0,1]
	v_mov_b32_e32 v11, v16
	v_sub_f32_e32 v12, v12, v46
	v_pk_add_f32 v[10:11], v[10:11], v[46:47] neg_lo:[0,1] neg_hi:[0,1]
	v_sub_f32_e32 v12, v48, v12
	v_add_f32_e32 v10, v10, v12
	v_cmp_eq_f32_e64 s[36:37], s60, v45
	s_mov_b32 s60, 0x33800000
	v_add_f32_e32 v10, v10, v11
	v_cmp_lt_f32_e64 s[60:61], |v45|, s60
	v_add_f32_e32 v10, v14, v10
	s_or_b64 s[36:37], s[36:37], s[60:61]
	v_cndmask_b32_e64 v10, v10, v45, s[36:37]
	v_add_f32_e32 v11, v7, v10
.LBB117_66:
	s_or_b64 exec, exec, s[38:39]
	v_mbcnt_lo_u32_b32 v7, -1, 0
	v_mbcnt_hi_u32_b32 v7, -1, v7
	v_and_b32_e32 v10, 15, v7
	v_mov_b32_dpp v12, v11 row_shr:1 row_mask:0xf bank_mask:0xf
	v_cmp_ne_u32_e64 s[36:37], 0, v10
	s_and_saveexec_b64 s[60:61], s[36:37]
	s_cbranch_execz .LBB117_70
; %bb.67:
	v_max_f32_e32 v14, v11, v11
	v_max_f32_e32 v15, v12, v12
	v_min_f32_e32 v13, v15, v14
	v_cmp_u_f32_e64 s[36:37], v12, v12
	v_max_f32_e32 v14, v15, v14
	v_cndmask_b32_e64 v13, v13, v12, s[36:37]
	v_cmp_u_f32_e64 s[38:39], v11, v11
	v_cndmask_b32_e64 v14, v14, v12, s[36:37]
	v_cndmask_b32_e64 v13, v13, v11, s[38:39]
	;; [unrolled: 1-line block ×3, first 2 shown]
	s_movk_i32 s38, 0x1f8
	v_cmp_neq_f32_e64 s[36:37], v13, v11
	v_cmp_class_f32_e64 s[38:39], v13, s38
	s_or_b64 s[36:37], s[36:37], s[38:39]
	s_and_saveexec_b64 s[38:39], s[36:37]
	s_cbranch_execz .LBB117_69
; %bb.68:
	v_sub_f32_e32 v12, v13, v11
	s_mov_b32 s36, 0x3fb8aa3b
	v_mul_f32_e32 v13, 0x3fb8aa3b, v12
	v_fma_f32 v14, v12, s36, -v13
	v_rndne_f32_e32 v15, v13
	v_fmac_f32_e32 v14, 0x32a5705f, v12
	v_sub_f32_e32 v13, v13, v15
	v_add_f32_e32 v13, v13, v14
	v_exp_f32_e32 v13, v13
	v_cvt_i32_f32_e32 v14, v15
	s_mov_b32 s36, 0xc2ce8ed0
	v_cmp_ngt_f32_e64 s[36:37], s36, v12
	s_mov_b32 s64, 0x7f800000
	v_ldexp_f32 v13, v13, v14
	v_cndmask_b32_e64 v13, 0, v13, s[36:37]
	s_mov_b32 s36, 0x42b17218
	v_mov_b32_e32 v14, 0x7f800000
	v_cmp_nlt_f32_e64 s[36:37], s36, v12
	v_cndmask_b32_e64 v45, v14, v13, s[36:37]
	v_add_f32_e32 v14, 1.0, v45
	v_add_f32_e32 v12, -1.0, v14
	v_sub_f32_e32 v13, v12, v14
	v_add_f32_e32 v13, 1.0, v13
	v_sub_f32_e32 v12, v45, v12
	v_add_f32_e32 v15, v12, v13
	v_frexp_mant_f32_e32 v16, v14
	s_mov_b32 s36, 0x3f2aaaab
	v_cvt_f64_f32_e32 v[12:13], v14
	v_frexp_exp_i32_f64_e32 v12, v[12:13]
	v_cmp_gt_f32_e64 s[36:37], s36, v16
	v_subbrev_co_u32_e64 v48, s[36:37], 0, v12, s[36:37]
	v_sub_u32_e32 v12, 0, v48
	v_ldexp_f32 v13, v14, v12
	v_add_f32_e32 v14, -1.0, v13
	v_add_f32_e32 v16, 1.0, v13
	v_ldexp_f32 v12, v15, v12
	v_add_f32_e32 v15, 1.0, v14
	v_add_f32_e32 v17, -1.0, v16
	v_sub_f32_e32 v15, v13, v15
	v_sub_f32_e32 v13, v13, v17
	v_add_f32_e32 v15, v12, v15
	v_add_f32_e32 v12, v12, v13
	;; [unrolled: 1-line block ×3, first 2 shown]
	v_rcp_f32_e32 v51, v49
	v_sub_f32_e32 v13, v16, v49
	v_add_f32_e32 v50, v12, v13
	v_add_f32_e32 v13, v14, v15
	v_mul_f32_e32 v53, v13, v51
	v_sub_f32_e32 v12, v14, v13
	v_mul_f32_e32 v14, v49, v53
	v_fma_f32 v16, v53, v49, -v14
	v_fmac_f32_e32 v16, v53, v50
	v_add_f32_e32 v52, v15, v12
	v_add_f32_e32 v12, v14, v16
	v_sub_f32_e32 v15, v13, v12
	v_pk_add_f32 v[46:47], v[12:13], v[14:15] neg_lo:[0,1] neg_hi:[0,1]
	v_mov_b32_e32 v17, v12
	v_pk_add_f32 v[12:13], v[46:47], v[16:17] neg_lo:[0,1] neg_hi:[0,1]
	v_add_f32_e32 v13, v52, v13
	v_add_f32_e32 v12, v12, v13
	;; [unrolled: 1-line block ×3, first 2 shown]
	v_mul_f32_e32 v52, v51, v13
	v_mul_f32_e32 v14, v49, v52
	v_fma_f32 v16, v52, v49, -v14
	v_fmac_f32_e32 v16, v52, v50
	v_sub_f32_e32 v15, v15, v13
	v_add_f32_e32 v49, v12, v15
	v_add_f32_e32 v12, v14, v16
	v_sub_f32_e32 v15, v13, v12
	v_pk_add_f32 v[46:47], v[12:13], v[14:15] neg_lo:[0,1] neg_hi:[0,1]
	v_mov_b32_e32 v17, v12
	v_pk_add_f32 v[12:13], v[46:47], v[16:17] neg_lo:[0,1] neg_hi:[0,1]
	v_add_f32_e32 v13, v49, v13
	v_add_f32_e32 v12, v12, v13
	;; [unrolled: 1-line block ×4, first 2 shown]
	v_sub_f32_e32 v13, v15, v53
	v_mul_f32_e32 v12, v51, v12
	v_sub_f32_e32 v13, v52, v13
	v_add_f32_e32 v12, v13, v12
	v_add_f32_e32 v16, v15, v12
	v_mul_f32_e32 v46, v16, v16
	v_mov_b32_e32 v14, 0x3ecc95a3
	v_fmac_f32_e32 v14, 0x3e9b6dac, v46
	v_mov_b32_e32 v13, 0x3f2aaada
	v_fmac_f32_e32 v13, v46, v14
	v_cvt_f32_i32_e32 v14, v48
	v_sub_f32_e32 v15, v16, v15
	v_sub_f32_e32 v12, v12, v15
	v_ldexp_f32 v47, v12, 1
	v_mul_f32_e32 v15, v16, v46
	v_mov_b32_e32 v12, 0x3f317218
	s_mov_b32 s36, 0x3f317218
	v_pk_mul_f32 v[12:13], v[14:15], v[12:13]
	v_ldexp_f32 v17, v16, 1
	v_fma_f32 v16, v14, s36, -v12
	v_fmac_f32_e32 v16, 0xb102e308, v14
	v_pk_add_f32 v[14:15], v[12:13], v[16:17]
	v_sub_f32_e32 v17, v15, v17
	v_sub_f32_e32 v17, v13, v17
	v_add_f32_e32 v47, v47, v17
	v_mov_b32_e32 v46, v12
	v_pk_add_f32 v[12:13], v[14:15], v[12:13] neg_lo:[0,1] neg_hi:[0,1]
	v_pk_add_f32 v[48:49], v[14:15], v[46:47]
	v_mov_b32_e32 v13, v49
	v_mov_b32_e32 v17, v14
	v_pk_add_f32 v[50:51], v[16:17], v[12:13] neg_lo:[0,1] neg_hi:[0,1]
	v_pk_add_f32 v[12:13], v[16:17], v[12:13]
	v_mov_b32_e32 v16, v13
	v_pk_add_f32 v[52:53], v[16:17], v[14:15] neg_lo:[0,1] neg_hi:[0,1]
	v_mov_b32_e32 v17, v52
	v_pk_add_f32 v[54:55], v[48:49], v[16:17] neg_lo:[0,1] neg_hi:[0,1]
	v_mov_b32_e32 v12, v49
	v_mov_b32_e32 v48, v15
	;; [unrolled: 1-line block ×4, first 2 shown]
	v_pk_add_f32 v[12:13], v[12:13], v[48:49] neg_lo:[0,1] neg_hi:[0,1]
	v_mov_b32_e32 v46, v47
	v_mov_b32_e32 v47, v14
	v_pk_add_f32 v[12:13], v[46:47], v[12:13] neg_lo:[0,1] neg_hi:[0,1]
	v_mov_b32_e32 v54, v50
	v_pk_add_f32 v[14:15], v[54:55], v[12:13]
	v_mov_b32_e32 v46, v15
	v_pk_add_f32 v[46:47], v[14:15], v[46:47]
	v_pk_add_f32 v[16:17], v[16:17], v[46:47]
	v_mov_b32_e32 v15, v16
	v_pk_add_f32 v[48:49], v[14:15], v[50:51] neg_lo:[0,1] neg_hi:[0,1]
	v_mov_b32_e32 v13, v46
	v_sub_f32_e32 v14, v14, v48
	v_pk_add_f32 v[12:13], v[12:13], v[48:49] neg_lo:[0,1] neg_hi:[0,1]
	v_sub_f32_e32 v14, v50, v14
	v_add_f32_e32 v12, v12, v14
	v_cmp_eq_f32_e64 s[36:37], s64, v45
	s_mov_b32 s64, 0x33800000
	v_add_f32_e32 v12, v12, v13
	v_cmp_lt_f32_e64 s[64:65], |v45|, s64
	v_add_f32_e32 v12, v16, v12
	s_or_b64 s[36:37], s[36:37], s[64:65]
	v_cndmask_b32_e64 v12, v12, v45, s[36:37]
	v_add_f32_e32 v12, v11, v12
.LBB117_69:
	s_or_b64 exec, exec, s[38:39]
	v_mov_b32_e32 v11, v12
.LBB117_70:
	s_or_b64 exec, exec, s[60:61]
	s_nop 0
	v_mov_b32_dpp v12, v11 row_shr:2 row_mask:0xf bank_mask:0xf
	v_cmp_lt_u32_e64 s[36:37], 1, v10
	s_and_saveexec_b64 s[60:61], s[36:37]
	s_cbranch_execz .LBB117_74
; %bb.71:
	v_max_f32_e32 v14, v11, v11
	v_max_f32_e32 v15, v12, v12
	v_min_f32_e32 v13, v15, v14
	v_cmp_u_f32_e64 s[36:37], v12, v12
	v_max_f32_e32 v14, v15, v14
	v_cndmask_b32_e64 v13, v13, v12, s[36:37]
	v_cmp_u_f32_e64 s[38:39], v11, v11
	v_cndmask_b32_e64 v14, v14, v12, s[36:37]
	v_cndmask_b32_e64 v13, v13, v11, s[38:39]
	;; [unrolled: 1-line block ×3, first 2 shown]
	s_movk_i32 s38, 0x1f8
	v_cmp_neq_f32_e64 s[36:37], v13, v11
	v_cmp_class_f32_e64 s[38:39], v13, s38
	s_or_b64 s[36:37], s[36:37], s[38:39]
	s_and_saveexec_b64 s[38:39], s[36:37]
	s_cbranch_execz .LBB117_73
; %bb.72:
	v_sub_f32_e32 v12, v13, v11
	s_mov_b32 s36, 0x3fb8aa3b
	v_mul_f32_e32 v13, 0x3fb8aa3b, v12
	v_fma_f32 v14, v12, s36, -v13
	v_rndne_f32_e32 v15, v13
	v_fmac_f32_e32 v14, 0x32a5705f, v12
	v_sub_f32_e32 v13, v13, v15
	v_add_f32_e32 v13, v13, v14
	v_exp_f32_e32 v13, v13
	v_cvt_i32_f32_e32 v14, v15
	s_mov_b32 s36, 0xc2ce8ed0
	v_cmp_ngt_f32_e64 s[36:37], s36, v12
	s_mov_b32 s64, 0x7f800000
	v_ldexp_f32 v13, v13, v14
	v_cndmask_b32_e64 v13, 0, v13, s[36:37]
	s_mov_b32 s36, 0x42b17218
	v_mov_b32_e32 v14, 0x7f800000
	v_cmp_nlt_f32_e64 s[36:37], s36, v12
	v_cndmask_b32_e64 v45, v14, v13, s[36:37]
	v_add_f32_e32 v14, 1.0, v45
	v_add_f32_e32 v12, -1.0, v14
	v_sub_f32_e32 v13, v12, v14
	v_add_f32_e32 v13, 1.0, v13
	v_sub_f32_e32 v12, v45, v12
	v_add_f32_e32 v15, v12, v13
	v_frexp_mant_f32_e32 v16, v14
	s_mov_b32 s36, 0x3f2aaaab
	v_cvt_f64_f32_e32 v[12:13], v14
	v_frexp_exp_i32_f64_e32 v12, v[12:13]
	v_cmp_gt_f32_e64 s[36:37], s36, v16
	v_subbrev_co_u32_e64 v48, s[36:37], 0, v12, s[36:37]
	v_sub_u32_e32 v12, 0, v48
	v_ldexp_f32 v13, v14, v12
	v_add_f32_e32 v14, -1.0, v13
	v_add_f32_e32 v16, 1.0, v13
	v_ldexp_f32 v12, v15, v12
	v_add_f32_e32 v15, 1.0, v14
	v_add_f32_e32 v17, -1.0, v16
	v_sub_f32_e32 v15, v13, v15
	v_sub_f32_e32 v13, v13, v17
	v_add_f32_e32 v15, v12, v15
	v_add_f32_e32 v12, v12, v13
	;; [unrolled: 1-line block ×3, first 2 shown]
	v_rcp_f32_e32 v51, v49
	v_sub_f32_e32 v13, v16, v49
	v_add_f32_e32 v50, v12, v13
	v_add_f32_e32 v13, v14, v15
	v_mul_f32_e32 v53, v13, v51
	v_sub_f32_e32 v12, v14, v13
	v_mul_f32_e32 v14, v49, v53
	v_fma_f32 v16, v53, v49, -v14
	v_fmac_f32_e32 v16, v53, v50
	v_add_f32_e32 v52, v15, v12
	v_add_f32_e32 v12, v14, v16
	v_sub_f32_e32 v15, v13, v12
	v_pk_add_f32 v[46:47], v[12:13], v[14:15] neg_lo:[0,1] neg_hi:[0,1]
	v_mov_b32_e32 v17, v12
	v_pk_add_f32 v[12:13], v[46:47], v[16:17] neg_lo:[0,1] neg_hi:[0,1]
	v_add_f32_e32 v13, v52, v13
	v_add_f32_e32 v12, v12, v13
	;; [unrolled: 1-line block ×3, first 2 shown]
	v_mul_f32_e32 v52, v51, v13
	v_mul_f32_e32 v14, v49, v52
	v_fma_f32 v16, v52, v49, -v14
	v_fmac_f32_e32 v16, v52, v50
	v_sub_f32_e32 v15, v15, v13
	v_add_f32_e32 v49, v12, v15
	v_add_f32_e32 v12, v14, v16
	v_sub_f32_e32 v15, v13, v12
	v_pk_add_f32 v[46:47], v[12:13], v[14:15] neg_lo:[0,1] neg_hi:[0,1]
	v_mov_b32_e32 v17, v12
	v_pk_add_f32 v[12:13], v[46:47], v[16:17] neg_lo:[0,1] neg_hi:[0,1]
	v_add_f32_e32 v13, v49, v13
	v_add_f32_e32 v12, v12, v13
	v_add_f32_e32 v12, v15, v12
	v_add_f32_e32 v15, v53, v52
	v_sub_f32_e32 v13, v15, v53
	v_mul_f32_e32 v12, v51, v12
	v_sub_f32_e32 v13, v52, v13
	v_add_f32_e32 v12, v13, v12
	v_add_f32_e32 v16, v15, v12
	v_mul_f32_e32 v46, v16, v16
	v_mov_b32_e32 v14, 0x3ecc95a3
	v_fmac_f32_e32 v14, 0x3e9b6dac, v46
	v_mov_b32_e32 v13, 0x3f2aaada
	v_fmac_f32_e32 v13, v46, v14
	v_cvt_f32_i32_e32 v14, v48
	v_sub_f32_e32 v15, v16, v15
	v_sub_f32_e32 v12, v12, v15
	v_ldexp_f32 v47, v12, 1
	v_mul_f32_e32 v15, v16, v46
	v_mov_b32_e32 v12, 0x3f317218
	s_mov_b32 s36, 0x3f317218
	v_pk_mul_f32 v[12:13], v[14:15], v[12:13]
	v_ldexp_f32 v17, v16, 1
	v_fma_f32 v16, v14, s36, -v12
	v_fmac_f32_e32 v16, 0xb102e308, v14
	v_pk_add_f32 v[14:15], v[12:13], v[16:17]
	v_sub_f32_e32 v17, v15, v17
	v_sub_f32_e32 v17, v13, v17
	v_add_f32_e32 v47, v47, v17
	v_mov_b32_e32 v46, v12
	v_pk_add_f32 v[12:13], v[14:15], v[12:13] neg_lo:[0,1] neg_hi:[0,1]
	v_pk_add_f32 v[48:49], v[14:15], v[46:47]
	v_mov_b32_e32 v13, v49
	v_mov_b32_e32 v17, v14
	v_pk_add_f32 v[50:51], v[16:17], v[12:13] neg_lo:[0,1] neg_hi:[0,1]
	v_pk_add_f32 v[12:13], v[16:17], v[12:13]
	v_mov_b32_e32 v16, v13
	v_pk_add_f32 v[52:53], v[16:17], v[14:15] neg_lo:[0,1] neg_hi:[0,1]
	v_mov_b32_e32 v17, v52
	v_pk_add_f32 v[54:55], v[48:49], v[16:17] neg_lo:[0,1] neg_hi:[0,1]
	v_mov_b32_e32 v12, v49
	v_mov_b32_e32 v48, v15
	;; [unrolled: 1-line block ×4, first 2 shown]
	v_pk_add_f32 v[12:13], v[12:13], v[48:49] neg_lo:[0,1] neg_hi:[0,1]
	v_mov_b32_e32 v46, v47
	v_mov_b32_e32 v47, v14
	v_pk_add_f32 v[12:13], v[46:47], v[12:13] neg_lo:[0,1] neg_hi:[0,1]
	v_mov_b32_e32 v54, v50
	v_pk_add_f32 v[14:15], v[54:55], v[12:13]
	v_mov_b32_e32 v46, v15
	v_pk_add_f32 v[46:47], v[14:15], v[46:47]
	v_pk_add_f32 v[16:17], v[16:17], v[46:47]
	v_mov_b32_e32 v15, v16
	v_pk_add_f32 v[48:49], v[14:15], v[50:51] neg_lo:[0,1] neg_hi:[0,1]
	v_mov_b32_e32 v13, v46
	v_sub_f32_e32 v14, v14, v48
	v_pk_add_f32 v[12:13], v[12:13], v[48:49] neg_lo:[0,1] neg_hi:[0,1]
	v_sub_f32_e32 v14, v50, v14
	v_add_f32_e32 v12, v12, v14
	v_cmp_eq_f32_e64 s[36:37], s64, v45
	s_mov_b32 s64, 0x33800000
	v_add_f32_e32 v12, v12, v13
	v_cmp_lt_f32_e64 s[64:65], |v45|, s64
	v_add_f32_e32 v12, v16, v12
	s_or_b64 s[36:37], s[36:37], s[64:65]
	v_cndmask_b32_e64 v12, v12, v45, s[36:37]
	v_add_f32_e32 v12, v11, v12
.LBB117_73:
	s_or_b64 exec, exec, s[38:39]
	v_mov_b32_e32 v11, v12
.LBB117_74:
	s_or_b64 exec, exec, s[60:61]
	s_nop 0
	v_mov_b32_dpp v12, v11 row_shr:4 row_mask:0xf bank_mask:0xf
	v_cmp_lt_u32_e64 s[36:37], 3, v10
	s_and_saveexec_b64 s[60:61], s[36:37]
	s_cbranch_execz .LBB117_78
; %bb.75:
	v_max_f32_e32 v14, v11, v11
	v_max_f32_e32 v15, v12, v12
	v_min_f32_e32 v13, v15, v14
	v_cmp_u_f32_e64 s[36:37], v12, v12
	v_max_f32_e32 v14, v15, v14
	v_cndmask_b32_e64 v13, v13, v12, s[36:37]
	v_cmp_u_f32_e64 s[38:39], v11, v11
	v_cndmask_b32_e64 v14, v14, v12, s[36:37]
	v_cndmask_b32_e64 v13, v13, v11, s[38:39]
	;; [unrolled: 1-line block ×3, first 2 shown]
	s_movk_i32 s38, 0x1f8
	v_cmp_neq_f32_e64 s[36:37], v13, v11
	v_cmp_class_f32_e64 s[38:39], v13, s38
	s_or_b64 s[36:37], s[36:37], s[38:39]
	s_and_saveexec_b64 s[38:39], s[36:37]
	s_cbranch_execz .LBB117_77
; %bb.76:
	v_sub_f32_e32 v12, v13, v11
	s_mov_b32 s36, 0x3fb8aa3b
	v_mul_f32_e32 v13, 0x3fb8aa3b, v12
	v_fma_f32 v14, v12, s36, -v13
	v_rndne_f32_e32 v15, v13
	v_fmac_f32_e32 v14, 0x32a5705f, v12
	v_sub_f32_e32 v13, v13, v15
	v_add_f32_e32 v13, v13, v14
	v_exp_f32_e32 v13, v13
	v_cvt_i32_f32_e32 v14, v15
	s_mov_b32 s36, 0xc2ce8ed0
	v_cmp_ngt_f32_e64 s[36:37], s36, v12
	s_mov_b32 s64, 0x7f800000
	v_ldexp_f32 v13, v13, v14
	v_cndmask_b32_e64 v13, 0, v13, s[36:37]
	s_mov_b32 s36, 0x42b17218
	v_mov_b32_e32 v14, 0x7f800000
	v_cmp_nlt_f32_e64 s[36:37], s36, v12
	v_cndmask_b32_e64 v45, v14, v13, s[36:37]
	v_add_f32_e32 v14, 1.0, v45
	v_add_f32_e32 v12, -1.0, v14
	v_sub_f32_e32 v13, v12, v14
	v_add_f32_e32 v13, 1.0, v13
	v_sub_f32_e32 v12, v45, v12
	v_add_f32_e32 v15, v12, v13
	v_frexp_mant_f32_e32 v16, v14
	s_mov_b32 s36, 0x3f2aaaab
	v_cvt_f64_f32_e32 v[12:13], v14
	v_frexp_exp_i32_f64_e32 v12, v[12:13]
	v_cmp_gt_f32_e64 s[36:37], s36, v16
	v_subbrev_co_u32_e64 v48, s[36:37], 0, v12, s[36:37]
	v_sub_u32_e32 v12, 0, v48
	v_ldexp_f32 v13, v14, v12
	v_add_f32_e32 v14, -1.0, v13
	v_add_f32_e32 v16, 1.0, v13
	v_ldexp_f32 v12, v15, v12
	v_add_f32_e32 v15, 1.0, v14
	v_add_f32_e32 v17, -1.0, v16
	v_sub_f32_e32 v15, v13, v15
	v_sub_f32_e32 v13, v13, v17
	v_add_f32_e32 v15, v12, v15
	v_add_f32_e32 v12, v12, v13
	;; [unrolled: 1-line block ×3, first 2 shown]
	v_rcp_f32_e32 v51, v49
	v_sub_f32_e32 v13, v16, v49
	v_add_f32_e32 v50, v12, v13
	v_add_f32_e32 v13, v14, v15
	v_mul_f32_e32 v53, v13, v51
	v_sub_f32_e32 v12, v14, v13
	v_mul_f32_e32 v14, v49, v53
	v_fma_f32 v16, v53, v49, -v14
	v_fmac_f32_e32 v16, v53, v50
	v_add_f32_e32 v52, v15, v12
	v_add_f32_e32 v12, v14, v16
	v_sub_f32_e32 v15, v13, v12
	v_pk_add_f32 v[46:47], v[12:13], v[14:15] neg_lo:[0,1] neg_hi:[0,1]
	v_mov_b32_e32 v17, v12
	v_pk_add_f32 v[12:13], v[46:47], v[16:17] neg_lo:[0,1] neg_hi:[0,1]
	v_add_f32_e32 v13, v52, v13
	v_add_f32_e32 v12, v12, v13
	;; [unrolled: 1-line block ×3, first 2 shown]
	v_mul_f32_e32 v52, v51, v13
	v_mul_f32_e32 v14, v49, v52
	v_fma_f32 v16, v52, v49, -v14
	v_fmac_f32_e32 v16, v52, v50
	v_sub_f32_e32 v15, v15, v13
	v_add_f32_e32 v49, v12, v15
	v_add_f32_e32 v12, v14, v16
	v_sub_f32_e32 v15, v13, v12
	v_pk_add_f32 v[46:47], v[12:13], v[14:15] neg_lo:[0,1] neg_hi:[0,1]
	v_mov_b32_e32 v17, v12
	v_pk_add_f32 v[12:13], v[46:47], v[16:17] neg_lo:[0,1] neg_hi:[0,1]
	v_add_f32_e32 v13, v49, v13
	v_add_f32_e32 v12, v12, v13
	;; [unrolled: 1-line block ×4, first 2 shown]
	v_sub_f32_e32 v13, v15, v53
	v_mul_f32_e32 v12, v51, v12
	v_sub_f32_e32 v13, v52, v13
	v_add_f32_e32 v12, v13, v12
	v_add_f32_e32 v16, v15, v12
	v_mul_f32_e32 v46, v16, v16
	v_mov_b32_e32 v14, 0x3ecc95a3
	v_fmac_f32_e32 v14, 0x3e9b6dac, v46
	v_mov_b32_e32 v13, 0x3f2aaada
	v_fmac_f32_e32 v13, v46, v14
	v_cvt_f32_i32_e32 v14, v48
	v_sub_f32_e32 v15, v16, v15
	v_sub_f32_e32 v12, v12, v15
	v_ldexp_f32 v47, v12, 1
	v_mul_f32_e32 v15, v16, v46
	v_mov_b32_e32 v12, 0x3f317218
	s_mov_b32 s36, 0x3f317218
	v_pk_mul_f32 v[12:13], v[14:15], v[12:13]
	v_ldexp_f32 v17, v16, 1
	v_fma_f32 v16, v14, s36, -v12
	v_fmac_f32_e32 v16, 0xb102e308, v14
	v_pk_add_f32 v[14:15], v[12:13], v[16:17]
	v_sub_f32_e32 v17, v15, v17
	v_sub_f32_e32 v17, v13, v17
	v_add_f32_e32 v47, v47, v17
	v_mov_b32_e32 v46, v12
	v_pk_add_f32 v[12:13], v[14:15], v[12:13] neg_lo:[0,1] neg_hi:[0,1]
	v_pk_add_f32 v[48:49], v[14:15], v[46:47]
	v_mov_b32_e32 v13, v49
	v_mov_b32_e32 v17, v14
	v_pk_add_f32 v[50:51], v[16:17], v[12:13] neg_lo:[0,1] neg_hi:[0,1]
	v_pk_add_f32 v[12:13], v[16:17], v[12:13]
	v_mov_b32_e32 v16, v13
	v_pk_add_f32 v[52:53], v[16:17], v[14:15] neg_lo:[0,1] neg_hi:[0,1]
	v_mov_b32_e32 v17, v52
	v_pk_add_f32 v[54:55], v[48:49], v[16:17] neg_lo:[0,1] neg_hi:[0,1]
	v_mov_b32_e32 v12, v49
	v_mov_b32_e32 v48, v15
	;; [unrolled: 1-line block ×4, first 2 shown]
	v_pk_add_f32 v[12:13], v[12:13], v[48:49] neg_lo:[0,1] neg_hi:[0,1]
	v_mov_b32_e32 v46, v47
	v_mov_b32_e32 v47, v14
	v_pk_add_f32 v[12:13], v[46:47], v[12:13] neg_lo:[0,1] neg_hi:[0,1]
	v_mov_b32_e32 v54, v50
	v_pk_add_f32 v[14:15], v[54:55], v[12:13]
	v_mov_b32_e32 v46, v15
	v_pk_add_f32 v[46:47], v[14:15], v[46:47]
	v_pk_add_f32 v[16:17], v[16:17], v[46:47]
	v_mov_b32_e32 v15, v16
	v_pk_add_f32 v[48:49], v[14:15], v[50:51] neg_lo:[0,1] neg_hi:[0,1]
	v_mov_b32_e32 v13, v46
	v_sub_f32_e32 v14, v14, v48
	v_pk_add_f32 v[12:13], v[12:13], v[48:49] neg_lo:[0,1] neg_hi:[0,1]
	v_sub_f32_e32 v14, v50, v14
	v_add_f32_e32 v12, v12, v14
	v_cmp_eq_f32_e64 s[36:37], s64, v45
	s_mov_b32 s64, 0x33800000
	v_add_f32_e32 v12, v12, v13
	v_cmp_lt_f32_e64 s[64:65], |v45|, s64
	v_add_f32_e32 v12, v16, v12
	s_or_b64 s[36:37], s[36:37], s[64:65]
	v_cndmask_b32_e64 v12, v12, v45, s[36:37]
	v_add_f32_e32 v12, v11, v12
.LBB117_77:
	s_or_b64 exec, exec, s[38:39]
	v_mov_b32_e32 v11, v12
.LBB117_78:
	s_or_b64 exec, exec, s[60:61]
	s_nop 0
	v_mov_b32_dpp v12, v11 row_shr:8 row_mask:0xf bank_mask:0xf
	v_cmp_lt_u32_e64 s[36:37], 7, v10
	s_and_saveexec_b64 s[60:61], s[36:37]
	s_cbranch_execz .LBB117_82
; %bb.79:
	v_max_f32_e32 v10, v11, v11
	v_max_f32_e32 v14, v12, v12
	v_min_f32_e32 v13, v14, v10
	v_cmp_u_f32_e64 s[36:37], v12, v12
	v_max_f32_e32 v10, v14, v10
	v_cndmask_b32_e64 v13, v13, v12, s[36:37]
	v_cmp_u_f32_e64 s[38:39], v11, v11
	v_cndmask_b32_e64 v10, v10, v12, s[36:37]
	v_cndmask_b32_e64 v13, v13, v11, s[38:39]
	;; [unrolled: 1-line block ×3, first 2 shown]
	s_movk_i32 s38, 0x1f8
	v_cmp_neq_f32_e64 s[36:37], v13, v10
	v_cmp_class_f32_e64 s[38:39], v13, s38
	s_or_b64 s[36:37], s[36:37], s[38:39]
	s_and_saveexec_b64 s[38:39], s[36:37]
	s_cbranch_execz .LBB117_81
; %bb.80:
	v_sub_f32_e32 v11, v13, v10
	s_mov_b32 s36, 0x3fb8aa3b
	v_mul_f32_e32 v12, 0x3fb8aa3b, v11
	v_fma_f32 v13, v11, s36, -v12
	v_rndne_f32_e32 v14, v12
	v_fmac_f32_e32 v13, 0x32a5705f, v11
	v_sub_f32_e32 v12, v12, v14
	v_add_f32_e32 v12, v12, v13
	v_exp_f32_e32 v12, v12
	v_cvt_i32_f32_e32 v13, v14
	s_mov_b32 s36, 0xc2ce8ed0
	v_cmp_ngt_f32_e64 s[36:37], s36, v11
	s_mov_b32 s64, 0x7f800000
	v_ldexp_f32 v12, v12, v13
	v_cndmask_b32_e64 v12, 0, v12, s[36:37]
	s_mov_b32 s36, 0x42b17218
	v_mov_b32_e32 v13, 0x7f800000
	v_cmp_nlt_f32_e64 s[36:37], s36, v11
	v_cndmask_b32_e64 v45, v13, v12, s[36:37]
	v_add_f32_e32 v11, 1.0, v45
	v_add_f32_e32 v12, -1.0, v11
	v_sub_f32_e32 v13, v12, v11
	v_add_f32_e32 v13, 1.0, v13
	v_sub_f32_e32 v12, v45, v12
	v_add_f32_e32 v14, v12, v13
	v_frexp_mant_f32_e32 v15, v11
	s_mov_b32 s36, 0x3f2aaaab
	v_cvt_f64_f32_e32 v[12:13], v11
	v_frexp_exp_i32_f64_e32 v12, v[12:13]
	v_cmp_gt_f32_e64 s[36:37], s36, v15
	v_subbrev_co_u32_e64 v48, s[36:37], 0, v12, s[36:37]
	v_sub_u32_e32 v12, 0, v48
	v_ldexp_f32 v11, v11, v12
	v_ldexp_f32 v12, v14, v12
	v_add_f32_e32 v14, -1.0, v11
	v_add_f32_e32 v13, 1.0, v14
	v_sub_f32_e32 v13, v11, v13
	v_add_f32_e32 v15, v12, v13
	v_add_f32_e32 v13, 1.0, v11
	v_add_f32_e32 v16, -1.0, v13
	v_sub_f32_e32 v11, v11, v16
	v_add_f32_e32 v11, v12, v11
	v_add_f32_e32 v49, v13, v11
	v_rcp_f32_e32 v50, v49
	v_sub_f32_e32 v12, v13, v49
	v_add_f32_e32 v13, v14, v15
	v_add_f32_e32 v11, v11, v12
	v_mul_f32_e32 v52, v13, v50
	v_sub_f32_e32 v12, v14, v13
	v_mul_f32_e32 v14, v49, v52
	v_fma_f32 v16, v52, v49, -v14
	v_fmac_f32_e32 v16, v52, v11
	v_add_f32_e32 v51, v15, v12
	v_add_f32_e32 v12, v14, v16
	v_sub_f32_e32 v15, v13, v12
	v_pk_add_f32 v[46:47], v[12:13], v[14:15] neg_lo:[0,1] neg_hi:[0,1]
	v_mov_b32_e32 v17, v12
	v_pk_add_f32 v[12:13], v[46:47], v[16:17] neg_lo:[0,1] neg_hi:[0,1]
	v_add_f32_e32 v13, v51, v13
	v_add_f32_e32 v12, v12, v13
	;; [unrolled: 1-line block ×3, first 2 shown]
	v_mul_f32_e32 v51, v50, v13
	v_mul_f32_e32 v14, v49, v51
	v_fma_f32 v16, v51, v49, -v14
	v_fmac_f32_e32 v16, v51, v11
	v_sub_f32_e32 v11, v15, v13
	v_add_f32_e32 v11, v12, v11
	v_add_f32_e32 v12, v14, v16
	v_sub_f32_e32 v15, v13, v12
	v_pk_add_f32 v[46:47], v[12:13], v[14:15] neg_lo:[0,1] neg_hi:[0,1]
	v_mov_b32_e32 v17, v12
	v_pk_add_f32 v[12:13], v[46:47], v[16:17] neg_lo:[0,1] neg_hi:[0,1]
	v_add_f32_e32 v11, v11, v13
	v_add_f32_e32 v11, v12, v11
	;; [unrolled: 1-line block ×4, first 2 shown]
	v_sub_f32_e32 v13, v12, v52
	v_mul_f32_e32 v11, v50, v11
	v_sub_f32_e32 v13, v51, v13
	v_add_f32_e32 v11, v13, v11
	v_add_f32_e32 v15, v12, v11
	v_mul_f32_e32 v16, v15, v15
	v_mov_b32_e32 v14, 0x3ecc95a3
	v_fmac_f32_e32 v14, 0x3e9b6dac, v16
	v_mov_b32_e32 v13, 0x3f2aaada
	v_fmac_f32_e32 v13, v16, v14
	v_cvt_f32_i32_e32 v14, v48
	v_sub_f32_e32 v12, v15, v12
	v_sub_f32_e32 v11, v11, v12
	v_ldexp_f32 v17, v15, 1
	v_mul_f32_e32 v15, v15, v16
	v_mov_b32_e32 v12, 0x3f317218
	s_mov_b32 s36, 0x3f317218
	v_pk_mul_f32 v[12:13], v[14:15], v[12:13]
	v_fma_f32 v16, v14, s36, -v12
	v_fmac_f32_e32 v16, 0xb102e308, v14
	v_pk_add_f32 v[14:15], v[12:13], v[16:17]
	v_sub_f32_e32 v17, v15, v17
	v_ldexp_f32 v11, v11, 1
	v_sub_f32_e32 v17, v13, v17
	v_add_f32_e32 v47, v11, v17
	v_mov_b32_e32 v46, v12
	v_pk_add_f32 v[12:13], v[14:15], v[12:13] neg_lo:[0,1] neg_hi:[0,1]
	v_pk_add_f32 v[48:49], v[14:15], v[46:47]
	v_mov_b32_e32 v13, v49
	v_mov_b32_e32 v17, v14
	v_pk_add_f32 v[50:51], v[16:17], v[12:13] neg_lo:[0,1] neg_hi:[0,1]
	v_pk_add_f32 v[12:13], v[16:17], v[12:13]
	v_mov_b32_e32 v16, v13
	v_pk_add_f32 v[52:53], v[16:17], v[14:15] neg_lo:[0,1] neg_hi:[0,1]
	v_mov_b32_e32 v11, v52
	v_pk_add_f32 v[54:55], v[48:49], v[10:11] neg_lo:[0,1] neg_hi:[0,1]
	v_mov_b32_e32 v12, v49
	v_mov_b32_e32 v48, v15
	;; [unrolled: 1-line block ×4, first 2 shown]
	v_pk_add_f32 v[12:13], v[12:13], v[48:49] neg_lo:[0,1] neg_hi:[0,1]
	v_mov_b32_e32 v46, v47
	v_mov_b32_e32 v47, v14
	v_pk_add_f32 v[12:13], v[46:47], v[12:13] neg_lo:[0,1] neg_hi:[0,1]
	v_mov_b32_e32 v54, v50
	v_pk_add_f32 v[14:15], v[54:55], v[12:13]
	v_mov_b32_e32 v46, v15
	v_pk_add_f32 v[46:47], v[14:15], v[46:47]
	v_pk_add_f32 v[16:17], v[16:17], v[46:47]
	v_mov_b32_e32 v15, v16
	v_pk_add_f32 v[48:49], v[14:15], v[50:51] neg_lo:[0,1] neg_hi:[0,1]
	v_mov_b32_e32 v13, v46
	v_sub_f32_e32 v11, v14, v48
	v_pk_add_f32 v[12:13], v[12:13], v[48:49] neg_lo:[0,1] neg_hi:[0,1]
	v_sub_f32_e32 v11, v50, v11
	v_add_f32_e32 v11, v12, v11
	v_cmp_eq_f32_e64 s[36:37], s64, v45
	s_mov_b32 s64, 0x33800000
	v_add_f32_e32 v11, v11, v13
	v_cmp_lt_f32_e64 s[64:65], |v45|, s64
	v_add_f32_e32 v11, v16, v11
	s_or_b64 s[36:37], s[36:37], s[64:65]
	v_cndmask_b32_e64 v11, v11, v45, s[36:37]
	v_add_f32_e32 v12, v10, v11
.LBB117_81:
	s_or_b64 exec, exec, s[38:39]
	v_mov_b32_e32 v11, v12
.LBB117_82:
	s_or_b64 exec, exec, s[60:61]
	v_and_b32_e32 v10, 16, v7
	v_mov_b32_dpp v12, v11 row_bcast:15 row_mask:0xf bank_mask:0xf
	v_cmp_ne_u32_e64 s[36:37], 0, v10
	s_and_saveexec_b64 s[60:61], s[36:37]
	s_cbranch_execz .LBB117_86
; %bb.83:
	v_max_f32_e32 v10, v11, v11
	v_max_f32_e32 v14, v12, v12
	v_min_f32_e32 v13, v14, v10
	v_cmp_u_f32_e64 s[36:37], v12, v12
	v_max_f32_e32 v10, v14, v10
	v_cndmask_b32_e64 v13, v13, v12, s[36:37]
	v_cmp_u_f32_e64 s[38:39], v11, v11
	v_cndmask_b32_e64 v10, v10, v12, s[36:37]
	v_cndmask_b32_e64 v13, v13, v11, s[38:39]
	;; [unrolled: 1-line block ×3, first 2 shown]
	s_movk_i32 s38, 0x1f8
	v_cmp_neq_f32_e64 s[36:37], v13, v10
	v_cmp_class_f32_e64 s[38:39], v13, s38
	s_or_b64 s[36:37], s[36:37], s[38:39]
	s_and_saveexec_b64 s[38:39], s[36:37]
	s_cbranch_execz .LBB117_85
; %bb.84:
	v_sub_f32_e32 v11, v13, v10
	s_mov_b32 s36, 0x3fb8aa3b
	v_mul_f32_e32 v12, 0x3fb8aa3b, v11
	v_fma_f32 v13, v11, s36, -v12
	v_rndne_f32_e32 v14, v12
	v_fmac_f32_e32 v13, 0x32a5705f, v11
	v_sub_f32_e32 v12, v12, v14
	v_add_f32_e32 v12, v12, v13
	v_exp_f32_e32 v12, v12
	v_cvt_i32_f32_e32 v13, v14
	s_mov_b32 s36, 0xc2ce8ed0
	v_cmp_ngt_f32_e64 s[36:37], s36, v11
	s_mov_b32 s64, 0x7f800000
	v_ldexp_f32 v12, v12, v13
	v_cndmask_b32_e64 v12, 0, v12, s[36:37]
	s_mov_b32 s36, 0x42b17218
	v_mov_b32_e32 v13, 0x7f800000
	v_cmp_nlt_f32_e64 s[36:37], s36, v11
	v_cndmask_b32_e64 v45, v13, v12, s[36:37]
	v_add_f32_e32 v11, 1.0, v45
	v_add_f32_e32 v12, -1.0, v11
	v_sub_f32_e32 v13, v12, v11
	v_add_f32_e32 v13, 1.0, v13
	v_sub_f32_e32 v12, v45, v12
	v_add_f32_e32 v14, v12, v13
	v_frexp_mant_f32_e32 v15, v11
	s_mov_b32 s36, 0x3f2aaaab
	v_cvt_f64_f32_e32 v[12:13], v11
	v_frexp_exp_i32_f64_e32 v12, v[12:13]
	v_cmp_gt_f32_e64 s[36:37], s36, v15
	v_subbrev_co_u32_e64 v48, s[36:37], 0, v12, s[36:37]
	v_sub_u32_e32 v12, 0, v48
	v_ldexp_f32 v11, v11, v12
	v_ldexp_f32 v12, v14, v12
	v_add_f32_e32 v14, -1.0, v11
	v_add_f32_e32 v13, 1.0, v14
	v_sub_f32_e32 v13, v11, v13
	v_add_f32_e32 v15, v12, v13
	v_add_f32_e32 v13, 1.0, v11
	v_add_f32_e32 v16, -1.0, v13
	v_sub_f32_e32 v11, v11, v16
	v_add_f32_e32 v11, v12, v11
	v_add_f32_e32 v49, v13, v11
	v_rcp_f32_e32 v50, v49
	v_sub_f32_e32 v12, v13, v49
	v_add_f32_e32 v13, v14, v15
	v_add_f32_e32 v11, v11, v12
	v_mul_f32_e32 v52, v13, v50
	v_sub_f32_e32 v12, v14, v13
	v_mul_f32_e32 v14, v49, v52
	v_fma_f32 v16, v52, v49, -v14
	v_fmac_f32_e32 v16, v52, v11
	v_add_f32_e32 v51, v15, v12
	v_add_f32_e32 v12, v14, v16
	v_sub_f32_e32 v15, v13, v12
	v_pk_add_f32 v[46:47], v[12:13], v[14:15] neg_lo:[0,1] neg_hi:[0,1]
	v_mov_b32_e32 v17, v12
	v_pk_add_f32 v[12:13], v[46:47], v[16:17] neg_lo:[0,1] neg_hi:[0,1]
	v_add_f32_e32 v13, v51, v13
	v_add_f32_e32 v12, v12, v13
	;; [unrolled: 1-line block ×3, first 2 shown]
	v_mul_f32_e32 v51, v50, v13
	v_mul_f32_e32 v14, v49, v51
	v_fma_f32 v16, v51, v49, -v14
	v_fmac_f32_e32 v16, v51, v11
	v_sub_f32_e32 v11, v15, v13
	v_add_f32_e32 v11, v12, v11
	v_add_f32_e32 v12, v14, v16
	v_sub_f32_e32 v15, v13, v12
	v_pk_add_f32 v[46:47], v[12:13], v[14:15] neg_lo:[0,1] neg_hi:[0,1]
	v_mov_b32_e32 v17, v12
	v_pk_add_f32 v[12:13], v[46:47], v[16:17] neg_lo:[0,1] neg_hi:[0,1]
	v_add_f32_e32 v11, v11, v13
	v_add_f32_e32 v11, v12, v11
	;; [unrolled: 1-line block ×4, first 2 shown]
	v_sub_f32_e32 v13, v12, v52
	v_mul_f32_e32 v11, v50, v11
	v_sub_f32_e32 v13, v51, v13
	v_add_f32_e32 v11, v13, v11
	v_add_f32_e32 v15, v12, v11
	v_mul_f32_e32 v16, v15, v15
	v_mov_b32_e32 v14, 0x3ecc95a3
	v_fmac_f32_e32 v14, 0x3e9b6dac, v16
	v_mov_b32_e32 v13, 0x3f2aaada
	v_fmac_f32_e32 v13, v16, v14
	v_cvt_f32_i32_e32 v14, v48
	v_sub_f32_e32 v12, v15, v12
	v_sub_f32_e32 v11, v11, v12
	v_ldexp_f32 v17, v15, 1
	v_mul_f32_e32 v15, v15, v16
	v_mov_b32_e32 v12, 0x3f317218
	s_mov_b32 s36, 0x3f317218
	v_pk_mul_f32 v[12:13], v[14:15], v[12:13]
	v_fma_f32 v16, v14, s36, -v12
	v_fmac_f32_e32 v16, 0xb102e308, v14
	v_pk_add_f32 v[14:15], v[12:13], v[16:17]
	v_sub_f32_e32 v17, v15, v17
	v_ldexp_f32 v11, v11, 1
	v_sub_f32_e32 v17, v13, v17
	v_add_f32_e32 v47, v11, v17
	v_mov_b32_e32 v46, v12
	v_pk_add_f32 v[12:13], v[14:15], v[12:13] neg_lo:[0,1] neg_hi:[0,1]
	v_pk_add_f32 v[48:49], v[14:15], v[46:47]
	v_mov_b32_e32 v13, v49
	v_mov_b32_e32 v17, v14
	v_pk_add_f32 v[50:51], v[16:17], v[12:13] neg_lo:[0,1] neg_hi:[0,1]
	v_pk_add_f32 v[12:13], v[16:17], v[12:13]
	v_mov_b32_e32 v16, v13
	v_pk_add_f32 v[52:53], v[16:17], v[14:15] neg_lo:[0,1] neg_hi:[0,1]
	v_mov_b32_e32 v11, v52
	v_pk_add_f32 v[54:55], v[48:49], v[10:11] neg_lo:[0,1] neg_hi:[0,1]
	v_mov_b32_e32 v12, v49
	v_mov_b32_e32 v48, v15
	;; [unrolled: 1-line block ×4, first 2 shown]
	v_pk_add_f32 v[12:13], v[12:13], v[48:49] neg_lo:[0,1] neg_hi:[0,1]
	v_mov_b32_e32 v46, v47
	v_mov_b32_e32 v47, v14
	v_pk_add_f32 v[12:13], v[46:47], v[12:13] neg_lo:[0,1] neg_hi:[0,1]
	v_mov_b32_e32 v54, v50
	v_pk_add_f32 v[14:15], v[54:55], v[12:13]
	v_mov_b32_e32 v46, v15
	v_pk_add_f32 v[46:47], v[14:15], v[46:47]
	v_pk_add_f32 v[16:17], v[16:17], v[46:47]
	v_mov_b32_e32 v15, v16
	v_pk_add_f32 v[48:49], v[14:15], v[50:51] neg_lo:[0,1] neg_hi:[0,1]
	v_mov_b32_e32 v13, v46
	v_sub_f32_e32 v11, v14, v48
	v_pk_add_f32 v[12:13], v[12:13], v[48:49] neg_lo:[0,1] neg_hi:[0,1]
	v_sub_f32_e32 v11, v50, v11
	v_add_f32_e32 v11, v12, v11
	v_cmp_eq_f32_e64 s[36:37], s64, v45
	s_mov_b32 s64, 0x33800000
	v_add_f32_e32 v11, v11, v13
	v_cmp_lt_f32_e64 s[64:65], |v45|, s64
	v_add_f32_e32 v11, v16, v11
	s_or_b64 s[36:37], s[36:37], s[64:65]
	v_cndmask_b32_e64 v11, v11, v45, s[36:37]
	v_add_f32_e32 v12, v10, v11
.LBB117_85:
	s_or_b64 exec, exec, s[38:39]
	v_mov_b32_e32 v11, v12
.LBB117_86:
	s_or_b64 exec, exec, s[60:61]
	s_nop 0
	v_mov_b32_dpp v12, v11 row_bcast:31 row_mask:0xf bank_mask:0xf
	v_cmp_lt_u32_e64 s[36:37], 31, v7
	s_and_saveexec_b64 s[60:61], s[36:37]
	s_cbranch_execz .LBB117_90
; %bb.87:
	v_max_f32_e32 v10, v11, v11
	v_max_f32_e32 v14, v12, v12
	v_min_f32_e32 v13, v14, v10
	v_cmp_u_f32_e64 s[36:37], v12, v12
	v_max_f32_e32 v10, v14, v10
	v_cndmask_b32_e64 v13, v13, v12, s[36:37]
	v_cmp_u_f32_e64 s[38:39], v11, v11
	v_cndmask_b32_e64 v10, v10, v12, s[36:37]
	v_cndmask_b32_e64 v13, v13, v11, s[38:39]
	;; [unrolled: 1-line block ×3, first 2 shown]
	s_movk_i32 s38, 0x1f8
	v_cmp_neq_f32_e64 s[36:37], v13, v10
	v_cmp_class_f32_e64 s[38:39], v13, s38
	s_or_b64 s[36:37], s[36:37], s[38:39]
	s_and_saveexec_b64 s[38:39], s[36:37]
	s_cbranch_execz .LBB117_89
; %bb.88:
	v_sub_f32_e32 v11, v13, v10
	s_mov_b32 s36, 0x3fb8aa3b
	v_mul_f32_e32 v12, 0x3fb8aa3b, v11
	v_fma_f32 v13, v11, s36, -v12
	v_rndne_f32_e32 v14, v12
	v_fmac_f32_e32 v13, 0x32a5705f, v11
	v_sub_f32_e32 v12, v12, v14
	v_add_f32_e32 v12, v12, v13
	v_exp_f32_e32 v12, v12
	v_cvt_i32_f32_e32 v13, v14
	s_mov_b32 s36, 0xc2ce8ed0
	v_cmp_ngt_f32_e64 s[36:37], s36, v11
	s_mov_b32 s64, 0x7f800000
	v_ldexp_f32 v12, v12, v13
	v_cndmask_b32_e64 v12, 0, v12, s[36:37]
	s_mov_b32 s36, 0x42b17218
	v_mov_b32_e32 v13, 0x7f800000
	v_cmp_nlt_f32_e64 s[36:37], s36, v11
	v_cndmask_b32_e64 v45, v13, v12, s[36:37]
	v_add_f32_e32 v11, 1.0, v45
	v_add_f32_e32 v12, -1.0, v11
	v_sub_f32_e32 v13, v12, v11
	v_add_f32_e32 v13, 1.0, v13
	v_sub_f32_e32 v12, v45, v12
	v_add_f32_e32 v14, v12, v13
	v_frexp_mant_f32_e32 v15, v11
	s_mov_b32 s36, 0x3f2aaaab
	v_cvt_f64_f32_e32 v[12:13], v11
	v_frexp_exp_i32_f64_e32 v12, v[12:13]
	v_cmp_gt_f32_e64 s[36:37], s36, v15
	v_subbrev_co_u32_e64 v48, s[36:37], 0, v12, s[36:37]
	v_sub_u32_e32 v12, 0, v48
	v_ldexp_f32 v11, v11, v12
	v_ldexp_f32 v12, v14, v12
	v_add_f32_e32 v14, -1.0, v11
	v_add_f32_e32 v13, 1.0, v14
	v_sub_f32_e32 v13, v11, v13
	v_add_f32_e32 v15, v12, v13
	v_add_f32_e32 v13, 1.0, v11
	v_add_f32_e32 v16, -1.0, v13
	v_sub_f32_e32 v11, v11, v16
	v_add_f32_e32 v11, v12, v11
	v_add_f32_e32 v49, v13, v11
	v_rcp_f32_e32 v50, v49
	v_sub_f32_e32 v12, v13, v49
	v_add_f32_e32 v13, v14, v15
	v_add_f32_e32 v11, v11, v12
	v_mul_f32_e32 v52, v13, v50
	v_sub_f32_e32 v12, v14, v13
	v_mul_f32_e32 v14, v49, v52
	v_fma_f32 v16, v52, v49, -v14
	v_fmac_f32_e32 v16, v52, v11
	v_add_f32_e32 v51, v15, v12
	v_add_f32_e32 v12, v14, v16
	v_sub_f32_e32 v15, v13, v12
	v_pk_add_f32 v[46:47], v[12:13], v[14:15] neg_lo:[0,1] neg_hi:[0,1]
	v_mov_b32_e32 v17, v12
	v_pk_add_f32 v[12:13], v[46:47], v[16:17] neg_lo:[0,1] neg_hi:[0,1]
	v_add_f32_e32 v13, v51, v13
	v_add_f32_e32 v12, v12, v13
	;; [unrolled: 1-line block ×3, first 2 shown]
	v_mul_f32_e32 v51, v50, v13
	v_mul_f32_e32 v14, v49, v51
	v_fma_f32 v16, v51, v49, -v14
	v_fmac_f32_e32 v16, v51, v11
	v_sub_f32_e32 v11, v15, v13
	v_add_f32_e32 v11, v12, v11
	v_add_f32_e32 v12, v14, v16
	v_sub_f32_e32 v15, v13, v12
	v_pk_add_f32 v[46:47], v[12:13], v[14:15] neg_lo:[0,1] neg_hi:[0,1]
	v_mov_b32_e32 v17, v12
	v_pk_add_f32 v[12:13], v[46:47], v[16:17] neg_lo:[0,1] neg_hi:[0,1]
	v_add_f32_e32 v11, v11, v13
	v_add_f32_e32 v11, v12, v11
	;; [unrolled: 1-line block ×4, first 2 shown]
	v_sub_f32_e32 v13, v12, v52
	v_mul_f32_e32 v11, v50, v11
	v_sub_f32_e32 v13, v51, v13
	v_add_f32_e32 v11, v13, v11
	v_add_f32_e32 v15, v12, v11
	v_mul_f32_e32 v16, v15, v15
	v_mov_b32_e32 v14, 0x3ecc95a3
	v_fmac_f32_e32 v14, 0x3e9b6dac, v16
	v_mov_b32_e32 v13, 0x3f2aaada
	v_fmac_f32_e32 v13, v16, v14
	v_cvt_f32_i32_e32 v14, v48
	v_sub_f32_e32 v12, v15, v12
	v_sub_f32_e32 v11, v11, v12
	v_ldexp_f32 v17, v15, 1
	v_mul_f32_e32 v15, v15, v16
	v_mov_b32_e32 v12, 0x3f317218
	s_mov_b32 s36, 0x3f317218
	v_pk_mul_f32 v[12:13], v[14:15], v[12:13]
	v_fma_f32 v16, v14, s36, -v12
	v_fmac_f32_e32 v16, 0xb102e308, v14
	v_pk_add_f32 v[14:15], v[12:13], v[16:17]
	v_sub_f32_e32 v17, v15, v17
	v_ldexp_f32 v11, v11, 1
	v_sub_f32_e32 v17, v13, v17
	v_add_f32_e32 v47, v11, v17
	v_mov_b32_e32 v46, v12
	v_pk_add_f32 v[12:13], v[14:15], v[12:13] neg_lo:[0,1] neg_hi:[0,1]
	v_pk_add_f32 v[48:49], v[14:15], v[46:47]
	v_mov_b32_e32 v13, v49
	v_mov_b32_e32 v17, v14
	v_pk_add_f32 v[50:51], v[16:17], v[12:13] neg_lo:[0,1] neg_hi:[0,1]
	v_pk_add_f32 v[12:13], v[16:17], v[12:13]
	v_mov_b32_e32 v16, v13
	v_pk_add_f32 v[52:53], v[16:17], v[14:15] neg_lo:[0,1] neg_hi:[0,1]
	v_mov_b32_e32 v11, v52
	v_pk_add_f32 v[54:55], v[48:49], v[10:11] neg_lo:[0,1] neg_hi:[0,1]
	v_mov_b32_e32 v12, v49
	v_mov_b32_e32 v48, v15
	;; [unrolled: 1-line block ×4, first 2 shown]
	v_pk_add_f32 v[12:13], v[12:13], v[48:49] neg_lo:[0,1] neg_hi:[0,1]
	v_mov_b32_e32 v46, v47
	v_mov_b32_e32 v47, v14
	v_pk_add_f32 v[12:13], v[46:47], v[12:13] neg_lo:[0,1] neg_hi:[0,1]
	v_mov_b32_e32 v54, v50
	v_pk_add_f32 v[14:15], v[54:55], v[12:13]
	v_mov_b32_e32 v46, v15
	v_pk_add_f32 v[46:47], v[14:15], v[46:47]
	v_pk_add_f32 v[16:17], v[16:17], v[46:47]
	v_mov_b32_e32 v15, v16
	v_pk_add_f32 v[48:49], v[14:15], v[50:51] neg_lo:[0,1] neg_hi:[0,1]
	v_mov_b32_e32 v13, v46
	v_sub_f32_e32 v11, v14, v48
	v_pk_add_f32 v[12:13], v[12:13], v[48:49] neg_lo:[0,1] neg_hi:[0,1]
	v_sub_f32_e32 v11, v50, v11
	v_add_f32_e32 v11, v12, v11
	v_cmp_eq_f32_e64 s[36:37], s64, v45
	s_mov_b32 s64, 0x33800000
	v_add_f32_e32 v11, v11, v13
	v_cmp_lt_f32_e64 s[64:65], |v45|, s64
	v_add_f32_e32 v11, v16, v11
	s_or_b64 s[36:37], s[36:37], s[64:65]
	v_cndmask_b32_e64 v11, v11, v45, s[36:37]
	v_add_f32_e32 v12, v10, v11
.LBB117_89:
	s_or_b64 exec, exec, s[38:39]
	v_mov_b32_e32 v11, v12
.LBB117_90:
	s_or_b64 exec, exec, s[60:61]
	v_add_u32_e32 v10, -1, v7
	v_and_b32_e32 v12, 64, v7
	v_cmp_lt_i32_e64 s[36:37], v10, v12
	v_cndmask_b32_e64 v7, v10, v7, s[36:37]
	v_lshlrev_b32_e32 v7, 2, v7
	ds_bpermute_b32 v7, v7, v11
	s_movk_i32 s38, 0x1f8
	s_waitcnt lgkmcnt(0)
	v_max_f32_e32 v10, v7, v7
	v_min_f32_e32 v11, v10, v9
	v_max_f32_e32 v10, v10, v9
	v_cmp_u_f32_e64 s[36:37], v7, v7
	v_cndmask_b32_e64 v9, v11, v7, s[36:37]
	v_cndmask_b32_e64 v10, v10, v7, s[36:37]
	;; [unrolled: 1-line block ×4, first 2 shown]
	v_cmp_neq_f32_e64 s[34:35], v9, v6
	v_cmp_class_f32_e64 s[36:37], v9, s38
	s_or_b64 s[34:35], s[34:35], s[36:37]
	s_and_saveexec_b64 s[36:37], s[34:35]
	s_cbranch_execz .LBB117_92
; %bb.91:
	v_sub_f32_e32 v7, v9, v6
	s_mov_b32 s34, 0x3fb8aa3b
	v_mul_f32_e32 v9, 0x3fb8aa3b, v7
	v_fma_f32 v10, v7, s34, -v9
	v_rndne_f32_e32 v11, v9
	v_fmac_f32_e32 v10, 0x32a5705f, v7
	v_sub_f32_e32 v9, v9, v11
	v_add_f32_e32 v9, v9, v10
	v_exp_f32_e32 v9, v9
	v_cvt_i32_f32_e32 v10, v11
	s_mov_b32 s34, 0xc2ce8ed0
	v_cmp_ngt_f32_e64 s[34:35], s34, v7
	s_mov_b32 s39, 0x7f800000
	v_ldexp_f32 v9, v9, v10
	v_cndmask_b32_e64 v9, 0, v9, s[34:35]
	s_mov_b32 s34, 0x42b17218
	v_mov_b32_e32 v10, 0x7f800000
	v_cmp_nlt_f32_e64 s[34:35], s34, v7
	v_cndmask_b32_e64 v9, v10, v9, s[34:35]
	v_add_f32_e32 v7, 1.0, v9
	v_add_f32_e32 v10, -1.0, v7
	v_sub_f32_e32 v11, v10, v7
	v_add_f32_e32 v11, 1.0, v11
	v_sub_f32_e32 v10, v9, v10
	v_add_f32_e32 v12, v10, v11
	v_frexp_mant_f32_e32 v13, v7
	s_mov_b32 s34, 0x3f2aaaab
	v_cvt_f64_f32_e32 v[10:11], v7
	v_frexp_exp_i32_f64_e32 v10, v[10:11]
	v_cmp_gt_f32_e64 s[34:35], s34, v13
	v_subbrev_co_u32_e64 v45, s[34:35], 0, v10, s[34:35]
	v_sub_u32_e32 v10, 0, v45
	v_ldexp_f32 v7, v7, v10
	v_ldexp_f32 v10, v12, v10
	v_add_f32_e32 v12, -1.0, v7
	v_add_f32_e32 v11, 1.0, v12
	v_sub_f32_e32 v11, v7, v11
	v_add_f32_e32 v13, v10, v11
	v_add_f32_e32 v11, 1.0, v7
	v_add_f32_e32 v14, -1.0, v11
	v_sub_f32_e32 v7, v7, v14
	v_add_f32_e32 v7, v10, v7
	v_add_f32_e32 v46, v11, v7
	v_rcp_f32_e32 v47, v46
	v_sub_f32_e32 v10, v11, v46
	v_add_f32_e32 v11, v12, v13
	v_add_f32_e32 v7, v7, v10
	v_mul_f32_e32 v49, v11, v47
	v_sub_f32_e32 v10, v12, v11
	v_mul_f32_e32 v12, v46, v49
	v_fma_f32 v14, v49, v46, -v12
	v_fmac_f32_e32 v14, v49, v7
	v_add_f32_e32 v48, v13, v10
	v_add_f32_e32 v10, v12, v14
	v_sub_f32_e32 v13, v11, v10
	v_pk_add_f32 v[16:17], v[10:11], v[12:13] neg_lo:[0,1] neg_hi:[0,1]
	v_mov_b32_e32 v15, v10
	v_pk_add_f32 v[10:11], v[16:17], v[14:15] neg_lo:[0,1] neg_hi:[0,1]
	v_add_f32_e32 v11, v48, v11
	v_add_f32_e32 v10, v10, v11
	;; [unrolled: 1-line block ×3, first 2 shown]
	v_mul_f32_e32 v48, v47, v11
	v_mul_f32_e32 v12, v46, v48
	v_fma_f32 v14, v48, v46, -v12
	v_fmac_f32_e32 v14, v48, v7
	v_sub_f32_e32 v7, v13, v11
	v_add_f32_e32 v7, v10, v7
	v_add_f32_e32 v10, v12, v14
	v_sub_f32_e32 v13, v11, v10
	v_pk_add_f32 v[16:17], v[10:11], v[12:13] neg_lo:[0,1] neg_hi:[0,1]
	v_mov_b32_e32 v15, v10
	v_pk_add_f32 v[10:11], v[16:17], v[14:15] neg_lo:[0,1] neg_hi:[0,1]
	v_add_f32_e32 v7, v7, v11
	v_add_f32_e32 v7, v10, v7
	;; [unrolled: 1-line block ×4, first 2 shown]
	v_sub_f32_e32 v11, v10, v49
	v_mul_f32_e32 v7, v47, v7
	v_sub_f32_e32 v11, v48, v11
	v_add_f32_e32 v7, v11, v7
	v_add_f32_e32 v13, v10, v7
	v_mul_f32_e32 v14, v13, v13
	v_mov_b32_e32 v12, 0x3ecc95a3
	v_fmac_f32_e32 v12, 0x3e9b6dac, v14
	v_mov_b32_e32 v11, 0x3f2aaada
	v_fmac_f32_e32 v11, v14, v12
	v_cvt_f32_i32_e32 v12, v45
	v_sub_f32_e32 v10, v13, v10
	v_sub_f32_e32 v7, v7, v10
	v_ldexp_f32 v15, v13, 1
	v_mul_f32_e32 v13, v13, v14
	v_mov_b32_e32 v10, 0x3f317218
	s_mov_b32 s34, 0x3f317218
	v_pk_mul_f32 v[10:11], v[12:13], v[10:11]
	v_fma_f32 v14, v12, s34, -v10
	v_fmac_f32_e32 v14, 0xb102e308, v12
	v_pk_add_f32 v[12:13], v[10:11], v[14:15]
	v_sub_f32_e32 v15, v13, v15
	v_ldexp_f32 v7, v7, 1
	v_sub_f32_e32 v15, v11, v15
	v_add_f32_e32 v17, v7, v15
	v_mov_b32_e32 v16, v10
	v_pk_add_f32 v[10:11], v[12:13], v[10:11] neg_lo:[0,1] neg_hi:[0,1]
	v_pk_add_f32 v[46:47], v[12:13], v[16:17]
	v_mov_b32_e32 v11, v47
	v_mov_b32_e32 v15, v12
	v_pk_add_f32 v[48:49], v[14:15], v[10:11] neg_lo:[0,1] neg_hi:[0,1]
	v_pk_add_f32 v[10:11], v[14:15], v[10:11]
	v_mov_b32_e32 v14, v11
	v_pk_add_f32 v[50:51], v[14:15], v[12:13] neg_lo:[0,1] neg_hi:[0,1]
	v_mov_b32_e32 v7, v50
	v_pk_add_f32 v[52:53], v[46:47], v[6:7] neg_lo:[0,1] neg_hi:[0,1]
	v_mov_b32_e32 v10, v47
	v_mov_b32_e32 v46, v13
	;; [unrolled: 1-line block ×4, first 2 shown]
	v_pk_add_f32 v[10:11], v[10:11], v[46:47] neg_lo:[0,1] neg_hi:[0,1]
	v_mov_b32_e32 v16, v17
	v_mov_b32_e32 v17, v12
	v_pk_add_f32 v[10:11], v[16:17], v[10:11] neg_lo:[0,1] neg_hi:[0,1]
	v_mov_b32_e32 v52, v48
	v_pk_add_f32 v[12:13], v[52:53], v[10:11]
	v_mov_b32_e32 v16, v13
	v_pk_add_f32 v[16:17], v[12:13], v[16:17]
	v_pk_add_f32 v[14:15], v[14:15], v[16:17]
	v_mov_b32_e32 v13, v14
	v_pk_add_f32 v[46:47], v[12:13], v[48:49] neg_lo:[0,1] neg_hi:[0,1]
	v_mov_b32_e32 v11, v16
	v_sub_f32_e32 v7, v12, v46
	v_pk_add_f32 v[10:11], v[10:11], v[46:47] neg_lo:[0,1] neg_hi:[0,1]
	v_sub_f32_e32 v7, v48, v7
	v_add_f32_e32 v7, v10, v7
	v_cmp_eq_f32_e64 s[34:35], s39, v9
	s_mov_b32 s39, 0x33800000
	v_add_f32_e32 v7, v7, v11
	v_cmp_lt_f32_e64 s[60:61], |v9|, s39
	v_add_f32_e32 v7, v14, v7
	s_or_b64 s[34:35], s[34:35], s[60:61]
	v_cndmask_b32_e64 v7, v7, v9, s[34:35]
	v_add_f32_e32 v7, v6, v7
.LBB117_92:
	s_or_b64 exec, exec, s[36:37]
	v_cndmask_b32_e64 v7, v7, v44, s[2:3]
	; wave barrier
	ds_write_b32 v8, v7
	; wave barrier
	ds_read_b32 v6, v8 offset:4
	v_max_f32_e32 v10, v7, v7
	v_cmp_u_f32_e64 s[34:35], v7, v7
	s_waitcnt lgkmcnt(0)
	v_max_f32_e32 v11, v6, v6
	v_min_f32_e32 v9, v10, v11
	v_max_f32_e32 v10, v10, v11
	v_cndmask_b32_e64 v9, v9, v7, s[34:35]
	v_cmp_u_f32_e64 s[36:37], v6, v6
	v_cndmask_b32_e64 v10, v10, v7, s[34:35]
	v_cndmask_b32_e64 v9, v9, v6, s[36:37]
	;; [unrolled: 1-line block ×3, first 2 shown]
	v_cmp_neq_f32_e64 s[34:35], v9, v6
	v_cmp_class_f32_e64 s[36:37], v9, s38
	s_or_b64 s[34:35], s[34:35], s[36:37]
	s_and_saveexec_b64 s[36:37], s[34:35]
	s_cbranch_execz .LBB117_94
; %bb.93:
	v_sub_f32_e32 v7, v9, v6
	s_mov_b32 s34, 0x3fb8aa3b
	v_mul_f32_e32 v9, 0x3fb8aa3b, v7
	v_fma_f32 v10, v7, s34, -v9
	v_rndne_f32_e32 v11, v9
	v_fmac_f32_e32 v10, 0x32a5705f, v7
	v_sub_f32_e32 v9, v9, v11
	v_add_f32_e32 v9, v9, v10
	v_exp_f32_e32 v9, v9
	v_cvt_i32_f32_e32 v10, v11
	s_mov_b32 s34, 0xc2ce8ed0
	v_cmp_ngt_f32_e64 s[34:35], s34, v7
	s_mov_b32 s38, 0x7f800000
	v_ldexp_f32 v9, v9, v10
	v_cndmask_b32_e64 v9, 0, v9, s[34:35]
	s_mov_b32 s34, 0x42b17218
	v_mov_b32_e32 v10, 0x7f800000
	v_cmp_nlt_f32_e64 s[34:35], s34, v7
	v_cndmask_b32_e64 v9, v10, v9, s[34:35]
	v_add_f32_e32 v7, 1.0, v9
	v_add_f32_e32 v10, -1.0, v7
	v_sub_f32_e32 v11, v10, v7
	v_add_f32_e32 v11, 1.0, v11
	v_sub_f32_e32 v10, v9, v10
	v_add_f32_e32 v12, v10, v11
	v_frexp_mant_f32_e32 v13, v7
	s_mov_b32 s34, 0x3f2aaaab
	v_cvt_f64_f32_e32 v[10:11], v7
	v_frexp_exp_i32_f64_e32 v10, v[10:11]
	v_cmp_gt_f32_e64 s[34:35], s34, v13
	v_subbrev_co_u32_e64 v45, s[34:35], 0, v10, s[34:35]
	v_sub_u32_e32 v10, 0, v45
	v_ldexp_f32 v7, v7, v10
	v_ldexp_f32 v10, v12, v10
	v_add_f32_e32 v12, -1.0, v7
	v_add_f32_e32 v11, 1.0, v12
	v_sub_f32_e32 v11, v7, v11
	v_add_f32_e32 v13, v10, v11
	v_add_f32_e32 v11, 1.0, v7
	v_add_f32_e32 v14, -1.0, v11
	v_sub_f32_e32 v7, v7, v14
	v_add_f32_e32 v7, v10, v7
	v_add_f32_e32 v46, v11, v7
	v_rcp_f32_e32 v47, v46
	v_sub_f32_e32 v10, v11, v46
	v_add_f32_e32 v11, v12, v13
	v_add_f32_e32 v7, v7, v10
	v_mul_f32_e32 v49, v11, v47
	v_sub_f32_e32 v10, v12, v11
	v_mul_f32_e32 v12, v46, v49
	v_fma_f32 v14, v49, v46, -v12
	v_fmac_f32_e32 v14, v49, v7
	v_add_f32_e32 v48, v13, v10
	v_add_f32_e32 v10, v12, v14
	v_sub_f32_e32 v13, v11, v10
	v_pk_add_f32 v[16:17], v[10:11], v[12:13] neg_lo:[0,1] neg_hi:[0,1]
	v_mov_b32_e32 v15, v10
	v_pk_add_f32 v[10:11], v[16:17], v[14:15] neg_lo:[0,1] neg_hi:[0,1]
	v_add_f32_e32 v11, v48, v11
	v_add_f32_e32 v10, v10, v11
	v_add_f32_e32 v11, v13, v10
	v_mul_f32_e32 v48, v47, v11
	v_mul_f32_e32 v12, v46, v48
	v_fma_f32 v14, v48, v46, -v12
	v_fmac_f32_e32 v14, v48, v7
	v_sub_f32_e32 v7, v13, v11
	v_add_f32_e32 v7, v10, v7
	v_add_f32_e32 v10, v12, v14
	v_sub_f32_e32 v13, v11, v10
	v_pk_add_f32 v[16:17], v[10:11], v[12:13] neg_lo:[0,1] neg_hi:[0,1]
	v_mov_b32_e32 v15, v10
	v_pk_add_f32 v[10:11], v[16:17], v[14:15] neg_lo:[0,1] neg_hi:[0,1]
	v_add_f32_e32 v7, v7, v11
	v_add_f32_e32 v7, v10, v7
	;; [unrolled: 1-line block ×4, first 2 shown]
	v_sub_f32_e32 v11, v10, v49
	v_mul_f32_e32 v7, v47, v7
	v_sub_f32_e32 v11, v48, v11
	v_add_f32_e32 v7, v11, v7
	v_add_f32_e32 v13, v10, v7
	v_mul_f32_e32 v14, v13, v13
	v_mov_b32_e32 v12, 0x3ecc95a3
	v_fmac_f32_e32 v12, 0x3e9b6dac, v14
	v_mov_b32_e32 v11, 0x3f2aaada
	v_fmac_f32_e32 v11, v14, v12
	v_cvt_f32_i32_e32 v12, v45
	v_sub_f32_e32 v10, v13, v10
	v_sub_f32_e32 v7, v7, v10
	v_ldexp_f32 v15, v13, 1
	v_mul_f32_e32 v13, v13, v14
	v_mov_b32_e32 v10, 0x3f317218
	s_mov_b32 s34, 0x3f317218
	v_pk_mul_f32 v[10:11], v[12:13], v[10:11]
	v_fma_f32 v14, v12, s34, -v10
	v_fmac_f32_e32 v14, 0xb102e308, v12
	v_pk_add_f32 v[12:13], v[10:11], v[14:15]
	v_sub_f32_e32 v15, v13, v15
	v_ldexp_f32 v7, v7, 1
	v_sub_f32_e32 v15, v11, v15
	v_add_f32_e32 v17, v7, v15
	v_mov_b32_e32 v16, v10
	v_pk_add_f32 v[10:11], v[12:13], v[10:11] neg_lo:[0,1] neg_hi:[0,1]
	v_pk_add_f32 v[46:47], v[12:13], v[16:17]
	v_mov_b32_e32 v11, v47
	v_mov_b32_e32 v15, v12
	v_pk_add_f32 v[48:49], v[14:15], v[10:11] neg_lo:[0,1] neg_hi:[0,1]
	v_pk_add_f32 v[10:11], v[14:15], v[10:11]
	v_mov_b32_e32 v14, v11
	v_pk_add_f32 v[50:51], v[14:15], v[12:13] neg_lo:[0,1] neg_hi:[0,1]
	v_mov_b32_e32 v7, v50
	v_pk_add_f32 v[52:53], v[46:47], v[6:7] neg_lo:[0,1] neg_hi:[0,1]
	v_mov_b32_e32 v10, v47
	v_mov_b32_e32 v46, v13
	;; [unrolled: 1-line block ×4, first 2 shown]
	v_pk_add_f32 v[10:11], v[10:11], v[46:47] neg_lo:[0,1] neg_hi:[0,1]
	v_mov_b32_e32 v16, v17
	v_mov_b32_e32 v17, v12
	v_pk_add_f32 v[10:11], v[16:17], v[10:11] neg_lo:[0,1] neg_hi:[0,1]
	v_mov_b32_e32 v52, v48
	v_pk_add_f32 v[12:13], v[52:53], v[10:11]
	v_mov_b32_e32 v16, v13
	v_pk_add_f32 v[16:17], v[12:13], v[16:17]
	v_pk_add_f32 v[14:15], v[14:15], v[16:17]
	v_mov_b32_e32 v13, v14
	v_pk_add_f32 v[46:47], v[12:13], v[48:49] neg_lo:[0,1] neg_hi:[0,1]
	v_mov_b32_e32 v11, v16
	v_sub_f32_e32 v7, v12, v46
	v_pk_add_f32 v[10:11], v[10:11], v[46:47] neg_lo:[0,1] neg_hi:[0,1]
	v_sub_f32_e32 v7, v48, v7
	v_add_f32_e32 v7, v10, v7
	v_cmp_eq_f32_e64 s[34:35], s38, v9
	s_mov_b32 s38, 0x33800000
	v_add_f32_e32 v7, v7, v11
	v_cmp_lt_f32_e64 s[38:39], |v9|, s38
	v_add_f32_e32 v7, v14, v7
	s_or_b64 s[34:35], s[34:35], s[38:39]
	v_cndmask_b32_e64 v7, v7, v9, s[34:35]
	v_add_f32_e32 v7, v6, v7
.LBB117_94:
	s_or_b64 exec, exec, s[36:37]
	ds_write_b32 v8, v7 offset:4
.LBB117_95:
	s_or_b64 exec, exec, s[58:59]
	s_waitcnt lgkmcnt(0)
	s_barrier
	s_and_saveexec_b64 s[34:35], s[0:1]
	s_cbranch_execz .LBB117_97
; %bb.96:
	v_add_u32_e32 v6, -1, v0
	v_lshrrev_b32_e32 v7, 5, v6
	v_add_lshl_u32 v6, v7, v6, 2
	ds_read_b32 v44, v6
.LBB117_97:
	s_or_b64 exec, exec, s[34:35]
	s_and_saveexec_b64 s[38:39], vcc
	s_cbranch_execz .LBB117_172
; %bb.98:
	v_mov_b32_e32 v15, 0
	ds_read_b32 v6, v15 offset:520
	v_mbcnt_lo_u32_b32 v7, -1, 0
	v_mbcnt_hi_u32_b32 v9, -1, v7
	s_mov_b32 s59, 0
	v_cmp_eq_u32_e64 s[34:35], 0, v9
	s_and_saveexec_b64 s[36:37], s[34:35]
	s_cbranch_execz .LBB117_100
; %bb.99:
	s_add_i32 s58, s63, 64
	s_lshl_b64 s[58:59], s[58:59], 3
	s_add_u32 s58, s56, s58
	v_mov_b32_e32 v7, 1
	s_addc_u32 s59, s57, s59
	s_waitcnt lgkmcnt(0)
	global_store_dwordx2 v15, v[6:7], s[58:59]
.LBB117_100:
	s_or_b64 exec, exec, s[36:37]
	v_xad_u32 v8, v9, -1, s63
	v_add_u32_e32 v14, 64, v8
	v_lshlrev_b64 v[10:11], 3, v[14:15]
	v_mov_b32_e32 v7, s57
	v_add_co_u32_e32 v10, vcc, s56, v10
	v_addc_co_u32_e32 v11, vcc, v7, v11, vcc
	global_load_dwordx2 v[12:13], v[10:11], off glc
	s_waitcnt vmcnt(0)
	v_cmp_eq_u16_sdwa s[58:59], v13, v15 src0_sel:BYTE_0 src1_sel:DWORD
	s_and_saveexec_b64 s[36:37], s[58:59]
	s_cbranch_execz .LBB117_106
; %bb.101:
	s_mov_b32 s60, 1
	s_mov_b64 s[58:59], 0
	v_mov_b32_e32 v7, 0
.LBB117_102:                            ; =>This Loop Header: Depth=1
                                        ;     Child Loop BB117_103 Depth 2
	s_max_u32 s61, s60, 1
.LBB117_103:                            ;   Parent Loop BB117_102 Depth=1
                                        ; =>  This Inner Loop Header: Depth=2
	s_add_i32 s61, s61, -1
	s_cmp_eq_u32 s61, 0
	s_sleep 1
	s_cbranch_scc0 .LBB117_103
; %bb.104:                              ;   in Loop: Header=BB117_102 Depth=1
	global_load_dwordx2 v[12:13], v[10:11], off glc
	s_cmp_lt_u32 s60, 32
	s_cselect_b64 s[64:65], -1, 0
	s_cmp_lg_u64 s[64:65], 0
	s_addc_u32 s60, s60, 0
	s_waitcnt vmcnt(0)
	v_cmp_ne_u16_sdwa s[64:65], v13, v7 src0_sel:BYTE_0 src1_sel:DWORD
	s_or_b64 s[58:59], s[64:65], s[58:59]
	s_andn2_b64 exec, exec, s[58:59]
	s_cbranch_execnz .LBB117_102
; %bb.105:
	s_or_b64 exec, exec, s[58:59]
.LBB117_106:
	s_or_b64 exec, exec, s[36:37]
	v_mov_b32_e32 v7, 2
	v_cmp_eq_u16_sdwa s[36:37], v13, v7 src0_sel:BYTE_0 src1_sel:DWORD
	v_lshlrev_b64 v[10:11], v9, -1
	v_and_b32_e32 v7, s37, v11
	v_or_b32_e32 v7, 0x80000000, v7
	v_ffbl_b32_e32 v7, v7
	v_add_u32_e32 v15, 32, v7
	v_and_b32_e32 v7, 63, v9
	v_cmp_ne_u32_e32 vcc, 63, v7
	v_addc_co_u32_e32 v16, vcc, 0, v9, vcc
	v_lshlrev_b32_e32 v45, 2, v16
	ds_bpermute_b32 v16, v45, v12
	v_and_b32_e32 v14, s36, v10
	v_ffbl_b32_e32 v14, v14
	v_min_u32_e32 v14, v14, v15
	v_cmp_lt_u32_e32 vcc, v7, v14
	v_mov_b32_e32 v15, v12
	s_and_saveexec_b64 s[58:59], vcc
	s_cbranch_execz .LBB117_110
; %bb.107:
	v_max_f32_e32 v17, v12, v12
	s_waitcnt lgkmcnt(0)
	v_max_f32_e32 v46, v16, v16
	v_min_f32_e32 v15, v46, v17
	v_cmp_u_f32_e32 vcc, v16, v16
	v_max_f32_e32 v17, v46, v17
	v_cndmask_b32_e32 v15, v15, v16, vcc
	v_cmp_u_f32_e64 s[36:37], v12, v12
	v_cndmask_b32_e32 v17, v17, v16, vcc
	v_cndmask_b32_e64 v15, v15, v12, s[36:37]
	v_cndmask_b32_e64 v12, v17, v12, s[36:37]
	s_movk_i32 s36, 0x1f8
	v_cmp_neq_f32_e32 vcc, v15, v12
	v_cmp_class_f32_e64 s[36:37], v15, s36
	s_or_b64 s[60:61], vcc, s[36:37]
	s_and_saveexec_b64 s[36:37], s[60:61]
	s_cbranch_execz .LBB117_109
; %bb.108:
	v_sub_f32_e32 v15, v15, v12
	s_mov_b32 s60, 0x3fb8aa3b
	v_mul_f32_e32 v16, 0x3fb8aa3b, v15
	v_fma_f32 v17, v15, s60, -v16
	v_rndne_f32_e32 v46, v16
	v_fmac_f32_e32 v17, 0x32a5705f, v15
	v_sub_f32_e32 v16, v16, v46
	v_add_f32_e32 v16, v16, v17
	v_exp_f32_e32 v16, v16
	v_cvt_i32_f32_e32 v17, v46
	s_mov_b32 s60, 0xc2ce8ed0
	v_cmp_ngt_f32_e32 vcc, s60, v15
	s_mov_b32 s60, 0x42b17218
	v_ldexp_f32 v16, v16, v17
	v_cndmask_b32_e32 v16, 0, v16, vcc
	v_mov_b32_e32 v17, 0x7f800000
	v_cmp_nlt_f32_e32 vcc, s60, v15
	v_cndmask_b32_e32 v60, v17, v16, vcc
	v_add_f32_e32 v15, 1.0, v60
	v_add_f32_e32 v16, -1.0, v15
	v_sub_f32_e32 v17, v16, v15
	v_add_f32_e32 v17, 1.0, v17
	v_sub_f32_e32 v16, v60, v16
	v_add_f32_e32 v46, v16, v17
	v_frexp_mant_f32_e32 v47, v15
	s_mov_b32 s60, 0x3f2aaaab
	v_cvt_f64_f32_e32 v[16:17], v15
	v_frexp_exp_i32_f64_e32 v16, v[16:17]
	v_cmp_gt_f32_e32 vcc, s60, v47
	v_subbrev_co_u32_e32 v52, vcc, 0, v16, vcc
	v_sub_u32_e32 v16, 0, v52
	v_ldexp_f32 v15, v15, v16
	v_ldexp_f32 v16, v46, v16
	v_add_f32_e32 v46, -1.0, v15
	v_add_f32_e32 v17, 1.0, v46
	v_sub_f32_e32 v17, v15, v17
	v_add_f32_e32 v47, v16, v17
	v_add_f32_e32 v17, 1.0, v15
	v_add_f32_e32 v48, -1.0, v17
	v_sub_f32_e32 v15, v15, v48
	v_add_f32_e32 v15, v16, v15
	v_add_f32_e32 v53, v17, v15
	v_rcp_f32_e32 v54, v53
	v_sub_f32_e32 v16, v17, v53
	v_add_f32_e32 v17, v46, v47
	v_add_f32_e32 v15, v15, v16
	v_mul_f32_e32 v56, v17, v54
	v_sub_f32_e32 v16, v46, v17
	v_mul_f32_e32 v46, v53, v56
	v_fma_f32 v48, v56, v53, -v46
	v_fmac_f32_e32 v48, v56, v15
	v_add_f32_e32 v55, v47, v16
	v_add_f32_e32 v16, v46, v48
	v_sub_f32_e32 v47, v17, v16
	v_pk_add_f32 v[50:51], v[16:17], v[46:47] neg_lo:[0,1] neg_hi:[0,1]
	v_mov_b32_e32 v49, v16
	v_pk_add_f32 v[16:17], v[50:51], v[48:49] neg_lo:[0,1] neg_hi:[0,1]
	v_add_f32_e32 v17, v55, v17
	v_add_f32_e32 v16, v16, v17
	;; [unrolled: 1-line block ×3, first 2 shown]
	v_mul_f32_e32 v55, v54, v17
	v_mul_f32_e32 v46, v53, v55
	v_fma_f32 v48, v55, v53, -v46
	v_fmac_f32_e32 v48, v55, v15
	v_sub_f32_e32 v15, v47, v17
	v_add_f32_e32 v15, v16, v15
	v_add_f32_e32 v16, v46, v48
	v_sub_f32_e32 v47, v17, v16
	v_pk_add_f32 v[50:51], v[16:17], v[46:47] neg_lo:[0,1] neg_hi:[0,1]
	v_mov_b32_e32 v49, v16
	v_pk_add_f32 v[16:17], v[50:51], v[48:49] neg_lo:[0,1] neg_hi:[0,1]
	v_add_f32_e32 v15, v15, v17
	v_add_f32_e32 v15, v16, v15
	;; [unrolled: 1-line block ×4, first 2 shown]
	v_sub_f32_e32 v17, v16, v56
	v_mul_f32_e32 v15, v54, v15
	v_sub_f32_e32 v17, v55, v17
	v_add_f32_e32 v15, v17, v15
	v_add_f32_e32 v47, v16, v15
	v_mul_f32_e32 v48, v47, v47
	v_mov_b32_e32 v46, 0x3ecc95a3
	v_fmac_f32_e32 v46, 0x3e9b6dac, v48
	v_mov_b32_e32 v17, 0x3f2aaada
	v_fmac_f32_e32 v17, v48, v46
	v_cvt_f32_i32_e32 v46, v52
	v_sub_f32_e32 v16, v47, v16
	v_sub_f32_e32 v15, v15, v16
	v_ldexp_f32 v49, v47, 1
	v_mul_f32_e32 v47, v47, v48
	v_mov_b32_e32 v16, 0x3f317218
	s_mov_b32 s60, 0x3f317218
	v_pk_mul_f32 v[16:17], v[46:47], v[16:17]
	v_fma_f32 v48, v46, s60, -v16
	v_fmac_f32_e32 v48, 0xb102e308, v46
	v_pk_add_f32 v[46:47], v[16:17], v[48:49]
	v_sub_f32_e32 v49, v47, v49
	v_ldexp_f32 v15, v15, 1
	v_sub_f32_e32 v49, v17, v49
	v_add_f32_e32 v51, v15, v49
	v_mov_b32_e32 v50, v16
	v_pk_add_f32 v[16:17], v[46:47], v[16:17] neg_lo:[0,1] neg_hi:[0,1]
	v_pk_add_f32 v[52:53], v[46:47], v[50:51]
	v_mov_b32_e32 v17, v53
	v_mov_b32_e32 v49, v46
	v_pk_add_f32 v[54:55], v[48:49], v[16:17] neg_lo:[0,1] neg_hi:[0,1]
	v_pk_add_f32 v[16:17], v[48:49], v[16:17]
	v_mov_b32_e32 v48, v17
	v_pk_add_f32 v[56:57], v[48:49], v[46:47] neg_lo:[0,1] neg_hi:[0,1]
	v_mov_b32_e32 v15, v56
	v_pk_add_f32 v[58:59], v[52:53], v[14:15] neg_lo:[0,1] neg_hi:[0,1]
	v_mov_b32_e32 v16, v53
	v_mov_b32_e32 v52, v47
	;; [unrolled: 1-line block ×4, first 2 shown]
	v_pk_add_f32 v[16:17], v[16:17], v[52:53] neg_lo:[0,1] neg_hi:[0,1]
	v_mov_b32_e32 v50, v51
	v_mov_b32_e32 v51, v46
	v_pk_add_f32 v[16:17], v[50:51], v[16:17] neg_lo:[0,1] neg_hi:[0,1]
	v_mov_b32_e32 v58, v54
	v_pk_add_f32 v[46:47], v[58:59], v[16:17]
	v_mov_b32_e32 v50, v47
	v_pk_add_f32 v[50:51], v[46:47], v[50:51]
	v_pk_add_f32 v[48:49], v[48:49], v[50:51]
	v_mov_b32_e32 v47, v48
	v_pk_add_f32 v[52:53], v[46:47], v[54:55] neg_lo:[0,1] neg_hi:[0,1]
	v_mov_b32_e32 v17, v50
	v_sub_f32_e32 v15, v46, v52
	v_pk_add_f32 v[16:17], v[16:17], v[52:53] neg_lo:[0,1] neg_hi:[0,1]
	v_sub_f32_e32 v15, v54, v15
	s_mov_b32 s61, 0x7f800000
	v_add_f32_e32 v15, v16, v15
	s_mov_b32 s60, 0x33800000
	v_add_f32_e32 v15, v15, v17
	v_cmp_eq_f32_e32 vcc, s61, v60
	v_cmp_lt_f32_e64 s[60:61], |v60|, s60
	v_add_f32_e32 v15, v48, v15
	s_or_b64 vcc, vcc, s[60:61]
	v_cndmask_b32_e32 v15, v15, v60, vcc
	v_add_f32_e32 v16, v12, v15
.LBB117_109:
	s_or_b64 exec, exec, s[36:37]
	v_mov_b32_e32 v12, v16
	v_mov_b32_e32 v15, v16
.LBB117_110:
	s_or_b64 exec, exec, s[58:59]
	v_cmp_gt_u32_e32 vcc, 62, v7
	s_waitcnt lgkmcnt(0)
	v_cndmask_b32_e64 v16, 0, 1, vcc
	v_lshlrev_b32_e32 v16, 1, v16
	v_add_lshl_u32 v46, v16, v9, 2
	ds_bpermute_b32 v16, v46, v12
	v_add_u32_e32 v47, 2, v7
	v_cmp_le_u32_e32 vcc, v47, v14
	s_and_saveexec_b64 s[58:59], vcc
	s_cbranch_execz .LBB117_114
; %bb.111:
	v_max_f32_e32 v12, v15, v15
	s_waitcnt lgkmcnt(0)
	v_max_f32_e32 v48, v16, v16
	v_min_f32_e32 v17, v48, v12
	v_cmp_u_f32_e32 vcc, v16, v16
	v_max_f32_e32 v12, v48, v12
	v_cndmask_b32_e32 v17, v17, v16, vcc
	v_cmp_u_f32_e64 s[36:37], v15, v15
	v_cndmask_b32_e32 v12, v12, v16, vcc
	v_cndmask_b32_e64 v17, v17, v15, s[36:37]
	v_cndmask_b32_e64 v12, v12, v15, s[36:37]
	s_movk_i32 s36, 0x1f8
	v_cmp_neq_f32_e32 vcc, v17, v12
	v_cmp_class_f32_e64 s[36:37], v17, s36
	s_or_b64 s[60:61], vcc, s[36:37]
	s_and_saveexec_b64 s[36:37], s[60:61]
	s_cbranch_execz .LBB117_113
; %bb.112:
	v_sub_f32_e32 v15, v17, v12
	s_mov_b32 s60, 0x3fb8aa3b
	v_mul_f32_e32 v16, 0x3fb8aa3b, v15
	v_fma_f32 v17, v15, s60, -v16
	v_rndne_f32_e32 v48, v16
	v_fmac_f32_e32 v17, 0x32a5705f, v15
	v_sub_f32_e32 v16, v16, v48
	v_add_f32_e32 v16, v16, v17
	v_exp_f32_e32 v16, v16
	v_cvt_i32_f32_e32 v17, v48
	s_mov_b32 s60, 0xc2ce8ed0
	v_cmp_ngt_f32_e32 vcc, s60, v15
	s_mov_b32 s60, 0x42b17218
	v_ldexp_f32 v16, v16, v17
	v_cndmask_b32_e32 v16, 0, v16, vcc
	v_mov_b32_e32 v17, 0x7f800000
	v_cmp_nlt_f32_e32 vcc, s60, v15
	v_cndmask_b32_e32 v62, v17, v16, vcc
	v_add_f32_e32 v15, 1.0, v62
	v_add_f32_e32 v16, -1.0, v15
	v_sub_f32_e32 v17, v16, v15
	v_add_f32_e32 v17, 1.0, v17
	v_sub_f32_e32 v16, v62, v16
	v_add_f32_e32 v48, v16, v17
	v_frexp_mant_f32_e32 v49, v15
	s_mov_b32 s60, 0x3f2aaaab
	v_cvt_f64_f32_e32 v[16:17], v15
	v_frexp_exp_i32_f64_e32 v16, v[16:17]
	v_cmp_gt_f32_e32 vcc, s60, v49
	v_subbrev_co_u32_e32 v54, vcc, 0, v16, vcc
	v_sub_u32_e32 v16, 0, v54
	v_ldexp_f32 v15, v15, v16
	v_ldexp_f32 v16, v48, v16
	v_add_f32_e32 v48, -1.0, v15
	v_add_f32_e32 v17, 1.0, v48
	v_sub_f32_e32 v17, v15, v17
	v_add_f32_e32 v49, v16, v17
	v_add_f32_e32 v17, 1.0, v15
	v_add_f32_e32 v50, -1.0, v17
	v_sub_f32_e32 v15, v15, v50
	v_add_f32_e32 v15, v16, v15
	v_add_f32_e32 v55, v17, v15
	v_rcp_f32_e32 v56, v55
	v_sub_f32_e32 v16, v17, v55
	v_add_f32_e32 v17, v48, v49
	v_add_f32_e32 v15, v15, v16
	v_mul_f32_e32 v58, v17, v56
	v_sub_f32_e32 v16, v48, v17
	v_mul_f32_e32 v48, v55, v58
	v_fma_f32 v50, v58, v55, -v48
	v_fmac_f32_e32 v50, v58, v15
	v_add_f32_e32 v57, v49, v16
	v_add_f32_e32 v16, v48, v50
	v_sub_f32_e32 v49, v17, v16
	v_pk_add_f32 v[52:53], v[16:17], v[48:49] neg_lo:[0,1] neg_hi:[0,1]
	v_mov_b32_e32 v51, v16
	v_pk_add_f32 v[16:17], v[52:53], v[50:51] neg_lo:[0,1] neg_hi:[0,1]
	v_add_f32_e32 v17, v57, v17
	v_add_f32_e32 v16, v16, v17
	;; [unrolled: 1-line block ×3, first 2 shown]
	v_mul_f32_e32 v57, v56, v17
	v_mul_f32_e32 v48, v55, v57
	v_fma_f32 v50, v57, v55, -v48
	v_fmac_f32_e32 v50, v57, v15
	v_sub_f32_e32 v15, v49, v17
	v_add_f32_e32 v15, v16, v15
	v_add_f32_e32 v16, v48, v50
	v_sub_f32_e32 v49, v17, v16
	v_pk_add_f32 v[52:53], v[16:17], v[48:49] neg_lo:[0,1] neg_hi:[0,1]
	v_mov_b32_e32 v51, v16
	v_pk_add_f32 v[16:17], v[52:53], v[50:51] neg_lo:[0,1] neg_hi:[0,1]
	v_add_f32_e32 v15, v15, v17
	v_add_f32_e32 v15, v16, v15
	;; [unrolled: 1-line block ×4, first 2 shown]
	v_sub_f32_e32 v17, v16, v58
	v_mul_f32_e32 v15, v56, v15
	v_sub_f32_e32 v17, v57, v17
	v_add_f32_e32 v15, v17, v15
	v_add_f32_e32 v49, v16, v15
	v_mul_f32_e32 v50, v49, v49
	v_mov_b32_e32 v48, 0x3ecc95a3
	v_fmac_f32_e32 v48, 0x3e9b6dac, v50
	v_mov_b32_e32 v17, 0x3f2aaada
	v_fmac_f32_e32 v17, v50, v48
	v_cvt_f32_i32_e32 v48, v54
	v_sub_f32_e32 v16, v49, v16
	v_sub_f32_e32 v15, v15, v16
	v_ldexp_f32 v51, v49, 1
	v_mul_f32_e32 v49, v49, v50
	v_mov_b32_e32 v16, 0x3f317218
	s_mov_b32 s60, 0x3f317218
	v_pk_mul_f32 v[16:17], v[48:49], v[16:17]
	v_fma_f32 v50, v48, s60, -v16
	v_fmac_f32_e32 v50, 0xb102e308, v48
	v_pk_add_f32 v[48:49], v[16:17], v[50:51]
	v_sub_f32_e32 v51, v49, v51
	v_ldexp_f32 v15, v15, 1
	v_sub_f32_e32 v51, v17, v51
	v_add_f32_e32 v53, v15, v51
	v_mov_b32_e32 v52, v16
	v_pk_add_f32 v[16:17], v[48:49], v[16:17] neg_lo:[0,1] neg_hi:[0,1]
	v_pk_add_f32 v[54:55], v[48:49], v[52:53]
	v_mov_b32_e32 v17, v55
	v_mov_b32_e32 v51, v48
	v_pk_add_f32 v[56:57], v[50:51], v[16:17] neg_lo:[0,1] neg_hi:[0,1]
	v_pk_add_f32 v[16:17], v[50:51], v[16:17]
	v_mov_b32_e32 v50, v17
	v_pk_add_f32 v[58:59], v[50:51], v[48:49] neg_lo:[0,1] neg_hi:[0,1]
	v_mov_b32_e32 v15, v58
	v_pk_add_f32 v[60:61], v[54:55], v[14:15] neg_lo:[0,1] neg_hi:[0,1]
	v_mov_b32_e32 v16, v55
	v_mov_b32_e32 v54, v49
	;; [unrolled: 1-line block ×4, first 2 shown]
	v_pk_add_f32 v[16:17], v[16:17], v[54:55] neg_lo:[0,1] neg_hi:[0,1]
	v_mov_b32_e32 v52, v53
	v_mov_b32_e32 v53, v48
	v_pk_add_f32 v[16:17], v[52:53], v[16:17] neg_lo:[0,1] neg_hi:[0,1]
	v_mov_b32_e32 v60, v56
	v_pk_add_f32 v[48:49], v[60:61], v[16:17]
	v_mov_b32_e32 v52, v49
	v_pk_add_f32 v[52:53], v[48:49], v[52:53]
	v_pk_add_f32 v[50:51], v[50:51], v[52:53]
	v_mov_b32_e32 v49, v50
	v_pk_add_f32 v[54:55], v[48:49], v[56:57] neg_lo:[0,1] neg_hi:[0,1]
	v_mov_b32_e32 v17, v52
	v_sub_f32_e32 v15, v48, v54
	v_pk_add_f32 v[16:17], v[16:17], v[54:55] neg_lo:[0,1] neg_hi:[0,1]
	v_sub_f32_e32 v15, v56, v15
	s_mov_b32 s61, 0x7f800000
	v_add_f32_e32 v15, v16, v15
	s_mov_b32 s60, 0x33800000
	v_add_f32_e32 v15, v15, v17
	v_cmp_eq_f32_e32 vcc, s61, v62
	v_cmp_lt_f32_e64 s[60:61], |v62|, s60
	v_add_f32_e32 v15, v50, v15
	s_or_b64 vcc, vcc, s[60:61]
	v_cndmask_b32_e32 v15, v15, v62, vcc
	v_add_f32_e32 v16, v12, v15
.LBB117_113:
	s_or_b64 exec, exec, s[36:37]
	v_mov_b32_e32 v12, v16
	v_mov_b32_e32 v15, v16
.LBB117_114:
	s_or_b64 exec, exec, s[58:59]
	v_cmp_gt_u32_e32 vcc, 60, v7
	s_waitcnt lgkmcnt(0)
	v_cndmask_b32_e64 v16, 0, 1, vcc
	v_lshlrev_b32_e32 v16, 2, v16
	v_add_lshl_u32 v48, v16, v9, 2
	ds_bpermute_b32 v16, v48, v12
	v_add_u32_e32 v49, 4, v7
	v_cmp_le_u32_e32 vcc, v49, v14
	s_and_saveexec_b64 s[58:59], vcc
	s_cbranch_execz .LBB117_118
; %bb.115:
	v_max_f32_e32 v12, v15, v15
	s_waitcnt lgkmcnt(0)
	v_max_f32_e32 v50, v16, v16
	v_min_f32_e32 v17, v50, v12
	v_cmp_u_f32_e32 vcc, v16, v16
	v_max_f32_e32 v12, v50, v12
	v_cndmask_b32_e32 v17, v17, v16, vcc
	v_cmp_u_f32_e64 s[36:37], v15, v15
	v_cndmask_b32_e32 v12, v12, v16, vcc
	v_cndmask_b32_e64 v17, v17, v15, s[36:37]
	v_cndmask_b32_e64 v12, v12, v15, s[36:37]
	s_movk_i32 s36, 0x1f8
	v_cmp_neq_f32_e32 vcc, v17, v12
	v_cmp_class_f32_e64 s[36:37], v17, s36
	s_or_b64 s[60:61], vcc, s[36:37]
	s_and_saveexec_b64 s[36:37], s[60:61]
	s_cbranch_execz .LBB117_117
; %bb.116:
	v_sub_f32_e32 v15, v17, v12
	s_mov_b32 s60, 0x3fb8aa3b
	v_mul_f32_e32 v16, 0x3fb8aa3b, v15
	v_fma_f32 v17, v15, s60, -v16
	v_rndne_f32_e32 v50, v16
	v_fmac_f32_e32 v17, 0x32a5705f, v15
	v_sub_f32_e32 v16, v16, v50
	v_add_f32_e32 v16, v16, v17
	v_exp_f32_e32 v16, v16
	v_cvt_i32_f32_e32 v17, v50
	s_mov_b32 s60, 0xc2ce8ed0
	v_cmp_ngt_f32_e32 vcc, s60, v15
	s_mov_b32 s60, 0x42b17218
	v_ldexp_f32 v16, v16, v17
	v_cndmask_b32_e32 v16, 0, v16, vcc
	v_mov_b32_e32 v17, 0x7f800000
	v_cmp_nlt_f32_e32 vcc, s60, v15
	v_cndmask_b32_e32 v64, v17, v16, vcc
	v_add_f32_e32 v15, 1.0, v64
	v_add_f32_e32 v16, -1.0, v15
	v_sub_f32_e32 v17, v16, v15
	v_add_f32_e32 v17, 1.0, v17
	v_sub_f32_e32 v16, v64, v16
	v_add_f32_e32 v50, v16, v17
	v_frexp_mant_f32_e32 v51, v15
	s_mov_b32 s60, 0x3f2aaaab
	v_cvt_f64_f32_e32 v[16:17], v15
	v_frexp_exp_i32_f64_e32 v16, v[16:17]
	v_cmp_gt_f32_e32 vcc, s60, v51
	v_subbrev_co_u32_e32 v56, vcc, 0, v16, vcc
	v_sub_u32_e32 v16, 0, v56
	v_ldexp_f32 v15, v15, v16
	v_ldexp_f32 v16, v50, v16
	v_add_f32_e32 v50, -1.0, v15
	v_add_f32_e32 v17, 1.0, v50
	v_sub_f32_e32 v17, v15, v17
	v_add_f32_e32 v51, v16, v17
	v_add_f32_e32 v17, 1.0, v15
	v_add_f32_e32 v52, -1.0, v17
	v_sub_f32_e32 v15, v15, v52
	v_add_f32_e32 v15, v16, v15
	v_add_f32_e32 v57, v17, v15
	v_rcp_f32_e32 v58, v57
	v_sub_f32_e32 v16, v17, v57
	v_add_f32_e32 v17, v50, v51
	v_add_f32_e32 v15, v15, v16
	v_mul_f32_e32 v60, v17, v58
	v_sub_f32_e32 v16, v50, v17
	v_mul_f32_e32 v50, v57, v60
	v_fma_f32 v52, v60, v57, -v50
	v_fmac_f32_e32 v52, v60, v15
	v_add_f32_e32 v59, v51, v16
	v_add_f32_e32 v16, v50, v52
	v_sub_f32_e32 v51, v17, v16
	v_pk_add_f32 v[54:55], v[16:17], v[50:51] neg_lo:[0,1] neg_hi:[0,1]
	v_mov_b32_e32 v53, v16
	v_pk_add_f32 v[16:17], v[54:55], v[52:53] neg_lo:[0,1] neg_hi:[0,1]
	v_add_f32_e32 v17, v59, v17
	v_add_f32_e32 v16, v16, v17
	;; [unrolled: 1-line block ×3, first 2 shown]
	v_mul_f32_e32 v59, v58, v17
	v_mul_f32_e32 v50, v57, v59
	v_fma_f32 v52, v59, v57, -v50
	v_fmac_f32_e32 v52, v59, v15
	v_sub_f32_e32 v15, v51, v17
	v_add_f32_e32 v15, v16, v15
	v_add_f32_e32 v16, v50, v52
	v_sub_f32_e32 v51, v17, v16
	v_pk_add_f32 v[54:55], v[16:17], v[50:51] neg_lo:[0,1] neg_hi:[0,1]
	v_mov_b32_e32 v53, v16
	v_pk_add_f32 v[16:17], v[54:55], v[52:53] neg_lo:[0,1] neg_hi:[0,1]
	v_add_f32_e32 v15, v15, v17
	v_add_f32_e32 v15, v16, v15
	;; [unrolled: 1-line block ×4, first 2 shown]
	v_sub_f32_e32 v17, v16, v60
	v_mul_f32_e32 v15, v58, v15
	v_sub_f32_e32 v17, v59, v17
	v_add_f32_e32 v15, v17, v15
	v_add_f32_e32 v51, v16, v15
	v_mul_f32_e32 v52, v51, v51
	v_mov_b32_e32 v50, 0x3ecc95a3
	v_fmac_f32_e32 v50, 0x3e9b6dac, v52
	v_mov_b32_e32 v17, 0x3f2aaada
	v_fmac_f32_e32 v17, v52, v50
	v_cvt_f32_i32_e32 v50, v56
	v_sub_f32_e32 v16, v51, v16
	v_sub_f32_e32 v15, v15, v16
	v_ldexp_f32 v53, v51, 1
	v_mul_f32_e32 v51, v51, v52
	v_mov_b32_e32 v16, 0x3f317218
	s_mov_b32 s60, 0x3f317218
	v_pk_mul_f32 v[16:17], v[50:51], v[16:17]
	v_fma_f32 v52, v50, s60, -v16
	v_fmac_f32_e32 v52, 0xb102e308, v50
	v_pk_add_f32 v[50:51], v[16:17], v[52:53]
	v_sub_f32_e32 v53, v51, v53
	v_ldexp_f32 v15, v15, 1
	v_sub_f32_e32 v53, v17, v53
	v_add_f32_e32 v55, v15, v53
	v_mov_b32_e32 v54, v16
	v_pk_add_f32 v[16:17], v[50:51], v[16:17] neg_lo:[0,1] neg_hi:[0,1]
	v_pk_add_f32 v[56:57], v[50:51], v[54:55]
	v_mov_b32_e32 v17, v57
	v_mov_b32_e32 v53, v50
	v_pk_add_f32 v[58:59], v[52:53], v[16:17] neg_lo:[0,1] neg_hi:[0,1]
	v_pk_add_f32 v[16:17], v[52:53], v[16:17]
	v_mov_b32_e32 v52, v17
	v_pk_add_f32 v[60:61], v[52:53], v[50:51] neg_lo:[0,1] neg_hi:[0,1]
	v_mov_b32_e32 v15, v60
	v_pk_add_f32 v[62:63], v[56:57], v[14:15] neg_lo:[0,1] neg_hi:[0,1]
	v_mov_b32_e32 v16, v57
	v_mov_b32_e32 v56, v51
	;; [unrolled: 1-line block ×4, first 2 shown]
	v_pk_add_f32 v[16:17], v[16:17], v[56:57] neg_lo:[0,1] neg_hi:[0,1]
	v_mov_b32_e32 v54, v55
	v_mov_b32_e32 v55, v50
	v_pk_add_f32 v[16:17], v[54:55], v[16:17] neg_lo:[0,1] neg_hi:[0,1]
	v_mov_b32_e32 v62, v58
	v_pk_add_f32 v[50:51], v[62:63], v[16:17]
	v_mov_b32_e32 v54, v51
	v_pk_add_f32 v[54:55], v[50:51], v[54:55]
	v_pk_add_f32 v[52:53], v[52:53], v[54:55]
	v_mov_b32_e32 v51, v52
	v_pk_add_f32 v[56:57], v[50:51], v[58:59] neg_lo:[0,1] neg_hi:[0,1]
	v_mov_b32_e32 v17, v54
	v_sub_f32_e32 v15, v50, v56
	v_pk_add_f32 v[16:17], v[16:17], v[56:57] neg_lo:[0,1] neg_hi:[0,1]
	v_sub_f32_e32 v15, v58, v15
	s_mov_b32 s61, 0x7f800000
	v_add_f32_e32 v15, v16, v15
	s_mov_b32 s60, 0x33800000
	v_add_f32_e32 v15, v15, v17
	v_cmp_eq_f32_e32 vcc, s61, v64
	v_cmp_lt_f32_e64 s[60:61], |v64|, s60
	v_add_f32_e32 v15, v52, v15
	s_or_b64 vcc, vcc, s[60:61]
	v_cndmask_b32_e32 v15, v15, v64, vcc
	v_add_f32_e32 v16, v12, v15
.LBB117_117:
	s_or_b64 exec, exec, s[36:37]
	v_mov_b32_e32 v12, v16
	v_mov_b32_e32 v15, v16
.LBB117_118:
	s_or_b64 exec, exec, s[58:59]
	v_cmp_gt_u32_e32 vcc, 56, v7
	s_waitcnt lgkmcnt(0)
	v_cndmask_b32_e64 v16, 0, 1, vcc
	v_lshlrev_b32_e32 v16, 3, v16
	v_add_lshl_u32 v50, v16, v9, 2
	ds_bpermute_b32 v16, v50, v12
	v_add_u32_e32 v51, 8, v7
	v_cmp_le_u32_e32 vcc, v51, v14
	s_and_saveexec_b64 s[58:59], vcc
	s_cbranch_execz .LBB117_122
; %bb.119:
	v_max_f32_e32 v12, v15, v15
	s_waitcnt lgkmcnt(0)
	v_max_f32_e32 v52, v16, v16
	v_min_f32_e32 v17, v52, v12
	v_cmp_u_f32_e32 vcc, v16, v16
	v_max_f32_e32 v12, v52, v12
	v_cndmask_b32_e32 v17, v17, v16, vcc
	v_cmp_u_f32_e64 s[36:37], v15, v15
	v_cndmask_b32_e32 v12, v12, v16, vcc
	v_cndmask_b32_e64 v17, v17, v15, s[36:37]
	v_cndmask_b32_e64 v12, v12, v15, s[36:37]
	s_movk_i32 s36, 0x1f8
	v_cmp_neq_f32_e32 vcc, v17, v12
	v_cmp_class_f32_e64 s[36:37], v17, s36
	s_or_b64 s[60:61], vcc, s[36:37]
	s_and_saveexec_b64 s[36:37], s[60:61]
	s_cbranch_execz .LBB117_121
; %bb.120:
	v_sub_f32_e32 v15, v17, v12
	s_mov_b32 s60, 0x3fb8aa3b
	v_mul_f32_e32 v16, 0x3fb8aa3b, v15
	v_fma_f32 v17, v15, s60, -v16
	v_rndne_f32_e32 v52, v16
	v_fmac_f32_e32 v17, 0x32a5705f, v15
	v_sub_f32_e32 v16, v16, v52
	v_add_f32_e32 v16, v16, v17
	v_exp_f32_e32 v16, v16
	v_cvt_i32_f32_e32 v17, v52
	s_mov_b32 s60, 0xc2ce8ed0
	v_cmp_ngt_f32_e32 vcc, s60, v15
	s_mov_b32 s60, 0x42b17218
	v_ldexp_f32 v16, v16, v17
	v_cndmask_b32_e32 v16, 0, v16, vcc
	v_mov_b32_e32 v17, 0x7f800000
	v_cmp_nlt_f32_e32 vcc, s60, v15
	v_cndmask_b32_e32 v66, v17, v16, vcc
	v_add_f32_e32 v15, 1.0, v66
	v_add_f32_e32 v16, -1.0, v15
	v_sub_f32_e32 v17, v16, v15
	v_add_f32_e32 v17, 1.0, v17
	v_sub_f32_e32 v16, v66, v16
	v_add_f32_e32 v52, v16, v17
	v_frexp_mant_f32_e32 v53, v15
	s_mov_b32 s60, 0x3f2aaaab
	v_cvt_f64_f32_e32 v[16:17], v15
	v_frexp_exp_i32_f64_e32 v16, v[16:17]
	v_cmp_gt_f32_e32 vcc, s60, v53
	v_subbrev_co_u32_e32 v58, vcc, 0, v16, vcc
	v_sub_u32_e32 v16, 0, v58
	v_ldexp_f32 v15, v15, v16
	v_ldexp_f32 v16, v52, v16
	v_add_f32_e32 v52, -1.0, v15
	v_add_f32_e32 v17, 1.0, v52
	v_sub_f32_e32 v17, v15, v17
	v_add_f32_e32 v53, v16, v17
	v_add_f32_e32 v17, 1.0, v15
	v_add_f32_e32 v54, -1.0, v17
	v_sub_f32_e32 v15, v15, v54
	v_add_f32_e32 v15, v16, v15
	v_add_f32_e32 v59, v17, v15
	v_rcp_f32_e32 v60, v59
	v_sub_f32_e32 v16, v17, v59
	v_add_f32_e32 v17, v52, v53
	v_add_f32_e32 v15, v15, v16
	v_mul_f32_e32 v62, v17, v60
	v_sub_f32_e32 v16, v52, v17
	v_mul_f32_e32 v52, v59, v62
	v_fma_f32 v54, v62, v59, -v52
	v_fmac_f32_e32 v54, v62, v15
	v_add_f32_e32 v61, v53, v16
	v_add_f32_e32 v16, v52, v54
	v_sub_f32_e32 v53, v17, v16
	v_pk_add_f32 v[56:57], v[16:17], v[52:53] neg_lo:[0,1] neg_hi:[0,1]
	v_mov_b32_e32 v55, v16
	v_pk_add_f32 v[16:17], v[56:57], v[54:55] neg_lo:[0,1] neg_hi:[0,1]
	v_add_f32_e32 v17, v61, v17
	v_add_f32_e32 v16, v16, v17
	;; [unrolled: 1-line block ×3, first 2 shown]
	v_mul_f32_e32 v61, v60, v17
	v_mul_f32_e32 v52, v59, v61
	v_fma_f32 v54, v61, v59, -v52
	v_fmac_f32_e32 v54, v61, v15
	v_sub_f32_e32 v15, v53, v17
	v_add_f32_e32 v15, v16, v15
	v_add_f32_e32 v16, v52, v54
	v_sub_f32_e32 v53, v17, v16
	v_pk_add_f32 v[56:57], v[16:17], v[52:53] neg_lo:[0,1] neg_hi:[0,1]
	v_mov_b32_e32 v55, v16
	v_pk_add_f32 v[16:17], v[56:57], v[54:55] neg_lo:[0,1] neg_hi:[0,1]
	v_add_f32_e32 v15, v15, v17
	v_add_f32_e32 v15, v16, v15
	;; [unrolled: 1-line block ×4, first 2 shown]
	v_sub_f32_e32 v17, v16, v62
	v_mul_f32_e32 v15, v60, v15
	v_sub_f32_e32 v17, v61, v17
	v_add_f32_e32 v15, v17, v15
	v_add_f32_e32 v53, v16, v15
	v_mul_f32_e32 v54, v53, v53
	v_mov_b32_e32 v52, 0x3ecc95a3
	v_fmac_f32_e32 v52, 0x3e9b6dac, v54
	v_mov_b32_e32 v17, 0x3f2aaada
	v_fmac_f32_e32 v17, v54, v52
	v_cvt_f32_i32_e32 v52, v58
	v_sub_f32_e32 v16, v53, v16
	v_sub_f32_e32 v15, v15, v16
	v_ldexp_f32 v55, v53, 1
	v_mul_f32_e32 v53, v53, v54
	v_mov_b32_e32 v16, 0x3f317218
	s_mov_b32 s60, 0x3f317218
	v_pk_mul_f32 v[16:17], v[52:53], v[16:17]
	v_fma_f32 v54, v52, s60, -v16
	v_fmac_f32_e32 v54, 0xb102e308, v52
	v_pk_add_f32 v[52:53], v[16:17], v[54:55]
	v_sub_f32_e32 v55, v53, v55
	v_ldexp_f32 v15, v15, 1
	v_sub_f32_e32 v55, v17, v55
	v_add_f32_e32 v57, v15, v55
	v_mov_b32_e32 v56, v16
	v_pk_add_f32 v[16:17], v[52:53], v[16:17] neg_lo:[0,1] neg_hi:[0,1]
	v_pk_add_f32 v[58:59], v[52:53], v[56:57]
	v_mov_b32_e32 v17, v59
	v_mov_b32_e32 v55, v52
	v_pk_add_f32 v[60:61], v[54:55], v[16:17] neg_lo:[0,1] neg_hi:[0,1]
	v_pk_add_f32 v[16:17], v[54:55], v[16:17]
	v_mov_b32_e32 v54, v17
	v_pk_add_f32 v[62:63], v[54:55], v[52:53] neg_lo:[0,1] neg_hi:[0,1]
	v_mov_b32_e32 v15, v62
	v_pk_add_f32 v[64:65], v[58:59], v[14:15] neg_lo:[0,1] neg_hi:[0,1]
	v_mov_b32_e32 v16, v59
	v_mov_b32_e32 v58, v53
	v_mov_b32_e32 v59, v62
	v_mov_b32_e32 v61, v17
	v_pk_add_f32 v[16:17], v[16:17], v[58:59] neg_lo:[0,1] neg_hi:[0,1]
	v_mov_b32_e32 v56, v57
	v_mov_b32_e32 v57, v52
	v_pk_add_f32 v[16:17], v[56:57], v[16:17] neg_lo:[0,1] neg_hi:[0,1]
	v_mov_b32_e32 v64, v60
	v_pk_add_f32 v[52:53], v[64:65], v[16:17]
	v_mov_b32_e32 v56, v53
	v_pk_add_f32 v[56:57], v[52:53], v[56:57]
	v_pk_add_f32 v[54:55], v[54:55], v[56:57]
	v_mov_b32_e32 v53, v54
	v_pk_add_f32 v[58:59], v[52:53], v[60:61] neg_lo:[0,1] neg_hi:[0,1]
	v_mov_b32_e32 v17, v56
	v_sub_f32_e32 v15, v52, v58
	v_pk_add_f32 v[16:17], v[16:17], v[58:59] neg_lo:[0,1] neg_hi:[0,1]
	v_sub_f32_e32 v15, v60, v15
	s_mov_b32 s61, 0x7f800000
	v_add_f32_e32 v15, v16, v15
	s_mov_b32 s60, 0x33800000
	v_add_f32_e32 v15, v15, v17
	v_cmp_eq_f32_e32 vcc, s61, v66
	v_cmp_lt_f32_e64 s[60:61], |v66|, s60
	v_add_f32_e32 v15, v54, v15
	s_or_b64 vcc, vcc, s[60:61]
	v_cndmask_b32_e32 v15, v15, v66, vcc
	v_add_f32_e32 v16, v12, v15
.LBB117_121:
	s_or_b64 exec, exec, s[36:37]
	v_mov_b32_e32 v12, v16
	v_mov_b32_e32 v15, v16
.LBB117_122:
	s_or_b64 exec, exec, s[58:59]
	v_cmp_gt_u32_e32 vcc, 48, v7
	s_waitcnt lgkmcnt(0)
	v_cndmask_b32_e64 v16, 0, 1, vcc
	v_lshlrev_b32_e32 v16, 4, v16
	v_add_lshl_u32 v52, v16, v9, 2
	ds_bpermute_b32 v16, v52, v12
	v_add_u32_e32 v53, 16, v7
	v_cmp_le_u32_e32 vcc, v53, v14
	s_and_saveexec_b64 s[58:59], vcc
	s_cbranch_execz .LBB117_126
; %bb.123:
	v_max_f32_e32 v12, v15, v15
	s_waitcnt lgkmcnt(0)
	v_max_f32_e32 v54, v16, v16
	v_min_f32_e32 v17, v54, v12
	v_cmp_u_f32_e32 vcc, v16, v16
	v_max_f32_e32 v12, v54, v12
	v_cndmask_b32_e32 v17, v17, v16, vcc
	v_cmp_u_f32_e64 s[36:37], v15, v15
	v_cndmask_b32_e32 v12, v12, v16, vcc
	v_cndmask_b32_e64 v17, v17, v15, s[36:37]
	v_cndmask_b32_e64 v12, v12, v15, s[36:37]
	s_movk_i32 s36, 0x1f8
	v_cmp_neq_f32_e32 vcc, v17, v12
	v_cmp_class_f32_e64 s[36:37], v17, s36
	s_or_b64 s[60:61], vcc, s[36:37]
	s_and_saveexec_b64 s[36:37], s[60:61]
	s_cbranch_execz .LBB117_125
; %bb.124:
	v_sub_f32_e32 v15, v17, v12
	s_mov_b32 s60, 0x3fb8aa3b
	v_mul_f32_e32 v16, 0x3fb8aa3b, v15
	v_fma_f32 v17, v15, s60, -v16
	v_rndne_f32_e32 v54, v16
	v_fmac_f32_e32 v17, 0x32a5705f, v15
	v_sub_f32_e32 v16, v16, v54
	v_add_f32_e32 v16, v16, v17
	v_exp_f32_e32 v16, v16
	v_cvt_i32_f32_e32 v17, v54
	s_mov_b32 s60, 0xc2ce8ed0
	v_cmp_ngt_f32_e32 vcc, s60, v15
	s_mov_b32 s60, 0x42b17218
	v_ldexp_f32 v16, v16, v17
	v_cndmask_b32_e32 v16, 0, v16, vcc
	v_mov_b32_e32 v17, 0x7f800000
	v_cmp_nlt_f32_e32 vcc, s60, v15
	v_cndmask_b32_e32 v68, v17, v16, vcc
	v_add_f32_e32 v15, 1.0, v68
	v_add_f32_e32 v16, -1.0, v15
	v_sub_f32_e32 v17, v16, v15
	v_add_f32_e32 v17, 1.0, v17
	v_sub_f32_e32 v16, v68, v16
	v_add_f32_e32 v54, v16, v17
	v_frexp_mant_f32_e32 v55, v15
	s_mov_b32 s60, 0x3f2aaaab
	v_cvt_f64_f32_e32 v[16:17], v15
	v_frexp_exp_i32_f64_e32 v16, v[16:17]
	v_cmp_gt_f32_e32 vcc, s60, v55
	v_subbrev_co_u32_e32 v60, vcc, 0, v16, vcc
	v_sub_u32_e32 v16, 0, v60
	v_ldexp_f32 v15, v15, v16
	v_ldexp_f32 v16, v54, v16
	v_add_f32_e32 v54, -1.0, v15
	v_add_f32_e32 v17, 1.0, v54
	v_sub_f32_e32 v17, v15, v17
	v_add_f32_e32 v55, v16, v17
	v_add_f32_e32 v17, 1.0, v15
	v_add_f32_e32 v56, -1.0, v17
	v_sub_f32_e32 v15, v15, v56
	v_add_f32_e32 v15, v16, v15
	v_add_f32_e32 v61, v17, v15
	v_rcp_f32_e32 v62, v61
	v_sub_f32_e32 v16, v17, v61
	v_add_f32_e32 v17, v54, v55
	v_add_f32_e32 v15, v15, v16
	v_mul_f32_e32 v64, v17, v62
	v_sub_f32_e32 v16, v54, v17
	v_mul_f32_e32 v54, v61, v64
	v_fma_f32 v56, v64, v61, -v54
	v_fmac_f32_e32 v56, v64, v15
	v_add_f32_e32 v63, v55, v16
	v_add_f32_e32 v16, v54, v56
	v_sub_f32_e32 v55, v17, v16
	v_pk_add_f32 v[58:59], v[16:17], v[54:55] neg_lo:[0,1] neg_hi:[0,1]
	v_mov_b32_e32 v57, v16
	v_pk_add_f32 v[16:17], v[58:59], v[56:57] neg_lo:[0,1] neg_hi:[0,1]
	v_add_f32_e32 v17, v63, v17
	v_add_f32_e32 v16, v16, v17
	v_add_f32_e32 v17, v55, v16
	v_mul_f32_e32 v63, v62, v17
	v_mul_f32_e32 v54, v61, v63
	v_fma_f32 v56, v63, v61, -v54
	v_fmac_f32_e32 v56, v63, v15
	v_sub_f32_e32 v15, v55, v17
	v_add_f32_e32 v15, v16, v15
	v_add_f32_e32 v16, v54, v56
	v_sub_f32_e32 v55, v17, v16
	v_pk_add_f32 v[58:59], v[16:17], v[54:55] neg_lo:[0,1] neg_hi:[0,1]
	v_mov_b32_e32 v57, v16
	v_pk_add_f32 v[16:17], v[58:59], v[56:57] neg_lo:[0,1] neg_hi:[0,1]
	v_add_f32_e32 v15, v15, v17
	v_add_f32_e32 v15, v16, v15
	;; [unrolled: 1-line block ×4, first 2 shown]
	v_sub_f32_e32 v17, v16, v64
	v_mul_f32_e32 v15, v62, v15
	v_sub_f32_e32 v17, v63, v17
	v_add_f32_e32 v15, v17, v15
	v_add_f32_e32 v55, v16, v15
	v_mul_f32_e32 v56, v55, v55
	v_mov_b32_e32 v54, 0x3ecc95a3
	v_fmac_f32_e32 v54, 0x3e9b6dac, v56
	v_mov_b32_e32 v17, 0x3f2aaada
	v_fmac_f32_e32 v17, v56, v54
	v_cvt_f32_i32_e32 v54, v60
	v_sub_f32_e32 v16, v55, v16
	v_sub_f32_e32 v15, v15, v16
	v_ldexp_f32 v57, v55, 1
	v_mul_f32_e32 v55, v55, v56
	v_mov_b32_e32 v16, 0x3f317218
	s_mov_b32 s60, 0x3f317218
	v_pk_mul_f32 v[16:17], v[54:55], v[16:17]
	v_fma_f32 v56, v54, s60, -v16
	v_fmac_f32_e32 v56, 0xb102e308, v54
	v_pk_add_f32 v[54:55], v[16:17], v[56:57]
	v_sub_f32_e32 v57, v55, v57
	v_ldexp_f32 v15, v15, 1
	v_sub_f32_e32 v57, v17, v57
	v_add_f32_e32 v59, v15, v57
	v_mov_b32_e32 v58, v16
	v_pk_add_f32 v[16:17], v[54:55], v[16:17] neg_lo:[0,1] neg_hi:[0,1]
	v_pk_add_f32 v[60:61], v[54:55], v[58:59]
	v_mov_b32_e32 v17, v61
	v_mov_b32_e32 v57, v54
	v_pk_add_f32 v[62:63], v[56:57], v[16:17] neg_lo:[0,1] neg_hi:[0,1]
	v_pk_add_f32 v[16:17], v[56:57], v[16:17]
	v_mov_b32_e32 v56, v17
	v_pk_add_f32 v[64:65], v[56:57], v[54:55] neg_lo:[0,1] neg_hi:[0,1]
	v_mov_b32_e32 v15, v64
	v_pk_add_f32 v[66:67], v[60:61], v[14:15] neg_lo:[0,1] neg_hi:[0,1]
	v_mov_b32_e32 v16, v61
	v_mov_b32_e32 v60, v55
	;; [unrolled: 1-line block ×4, first 2 shown]
	v_pk_add_f32 v[16:17], v[16:17], v[60:61] neg_lo:[0,1] neg_hi:[0,1]
	v_mov_b32_e32 v58, v59
	v_mov_b32_e32 v59, v54
	v_pk_add_f32 v[16:17], v[58:59], v[16:17] neg_lo:[0,1] neg_hi:[0,1]
	v_mov_b32_e32 v66, v62
	v_pk_add_f32 v[54:55], v[66:67], v[16:17]
	v_mov_b32_e32 v58, v55
	v_pk_add_f32 v[58:59], v[54:55], v[58:59]
	v_pk_add_f32 v[56:57], v[56:57], v[58:59]
	v_mov_b32_e32 v55, v56
	v_pk_add_f32 v[60:61], v[54:55], v[62:63] neg_lo:[0,1] neg_hi:[0,1]
	v_mov_b32_e32 v17, v58
	v_sub_f32_e32 v15, v54, v60
	v_pk_add_f32 v[16:17], v[16:17], v[60:61] neg_lo:[0,1] neg_hi:[0,1]
	v_sub_f32_e32 v15, v62, v15
	s_mov_b32 s61, 0x7f800000
	v_add_f32_e32 v15, v16, v15
	s_mov_b32 s60, 0x33800000
	v_add_f32_e32 v15, v15, v17
	v_cmp_eq_f32_e32 vcc, s61, v68
	v_cmp_lt_f32_e64 s[60:61], |v68|, s60
	v_add_f32_e32 v15, v56, v15
	s_or_b64 vcc, vcc, s[60:61]
	v_cndmask_b32_e32 v15, v15, v68, vcc
	v_add_f32_e32 v16, v12, v15
.LBB117_125:
	s_or_b64 exec, exec, s[36:37]
	v_mov_b32_e32 v12, v16
	v_mov_b32_e32 v15, v16
.LBB117_126:
	s_or_b64 exec, exec, s[58:59]
	v_cmp_gt_u32_e32 vcc, 32, v7
	s_waitcnt lgkmcnt(0)
	v_cndmask_b32_e64 v16, 0, 1, vcc
	v_lshlrev_b32_e32 v16, 5, v16
	v_add_lshl_u32 v54, v16, v9, 2
	ds_bpermute_b32 v12, v54, v12
	v_add_u32_e32 v55, 32, v7
	v_cmp_le_u32_e32 vcc, v55, v14
	s_and_saveexec_b64 s[58:59], vcc
	s_cbranch_execz .LBB117_130
; %bb.127:
	v_max_f32_e32 v9, v15, v15
	s_waitcnt lgkmcnt(0)
	v_max_f32_e32 v16, v12, v12
	v_min_f32_e32 v14, v16, v9
	v_cmp_u_f32_e32 vcc, v12, v12
	v_max_f32_e32 v9, v16, v9
	v_cndmask_b32_e32 v14, v14, v12, vcc
	v_cmp_u_f32_e64 s[36:37], v15, v15
	v_cndmask_b32_e32 v9, v9, v12, vcc
	v_cndmask_b32_e64 v14, v14, v15, s[36:37]
	v_cndmask_b32_e64 v9, v9, v15, s[36:37]
	s_movk_i32 s36, 0x1f8
	v_cmp_neq_f32_e32 vcc, v14, v9
	v_cmp_class_f32_e64 s[36:37], v14, s36
	s_or_b64 s[60:61], vcc, s[36:37]
	s_and_saveexec_b64 s[36:37], s[60:61]
	s_cbranch_execz .LBB117_129
; %bb.128:
	v_sub_f32_e32 v12, v14, v9
	s_mov_b32 s60, 0x3fb8aa3b
	v_mul_f32_e32 v14, 0x3fb8aa3b, v12
	v_fma_f32 v15, v12, s60, -v14
	v_rndne_f32_e32 v16, v14
	v_fmac_f32_e32 v15, 0x32a5705f, v12
	v_sub_f32_e32 v14, v14, v16
	v_add_f32_e32 v14, v14, v15
	v_exp_f32_e32 v14, v14
	v_cvt_i32_f32_e32 v15, v16
	s_mov_b32 s60, 0xc2ce8ed0
	v_cmp_ngt_f32_e32 vcc, s60, v12
	s_mov_b32 s60, 0x42b17218
	v_ldexp_f32 v14, v14, v15
	v_cndmask_b32_e32 v14, 0, v14, vcc
	v_mov_b32_e32 v15, 0x7f800000
	v_cmp_nlt_f32_e32 vcc, s60, v12
	v_cndmask_b32_e32 v66, v15, v14, vcc
	v_add_f32_e32 v12, 1.0, v66
	v_add_f32_e32 v14, -1.0, v12
	v_sub_f32_e32 v15, v14, v12
	v_add_f32_e32 v15, 1.0, v15
	v_sub_f32_e32 v14, v66, v14
	v_add_f32_e32 v16, v14, v15
	v_frexp_mant_f32_e32 v17, v12
	s_mov_b32 s60, 0x3f2aaaab
	v_cvt_f64_f32_e32 v[14:15], v12
	v_frexp_exp_i32_f64_e32 v14, v[14:15]
	v_cmp_gt_f32_e32 vcc, s60, v17
	v_subbrev_co_u32_e32 v60, vcc, 0, v14, vcc
	v_sub_u32_e32 v14, 0, v60
	v_ldexp_f32 v12, v12, v14
	v_ldexp_f32 v14, v16, v14
	v_add_f32_e32 v16, -1.0, v12
	v_add_f32_e32 v15, 1.0, v16
	v_sub_f32_e32 v15, v12, v15
	v_add_f32_e32 v17, v14, v15
	v_add_f32_e32 v15, 1.0, v12
	v_add_f32_e32 v56, -1.0, v15
	v_sub_f32_e32 v12, v12, v56
	v_add_f32_e32 v12, v14, v12
	v_add_f32_e32 v61, v15, v12
	v_rcp_f32_e32 v62, v61
	v_sub_f32_e32 v14, v15, v61
	v_add_f32_e32 v15, v16, v17
	v_add_f32_e32 v12, v12, v14
	v_mul_f32_e32 v64, v15, v62
	v_sub_f32_e32 v14, v16, v15
	v_mul_f32_e32 v16, v61, v64
	v_fma_f32 v56, v64, v61, -v16
	v_fmac_f32_e32 v56, v64, v12
	v_add_f32_e32 v63, v17, v14
	v_add_f32_e32 v14, v16, v56
	v_sub_f32_e32 v17, v15, v14
	v_pk_add_f32 v[58:59], v[14:15], v[16:17] neg_lo:[0,1] neg_hi:[0,1]
	v_mov_b32_e32 v57, v14
	v_pk_add_f32 v[14:15], v[58:59], v[56:57] neg_lo:[0,1] neg_hi:[0,1]
	v_add_f32_e32 v15, v63, v15
	v_add_f32_e32 v14, v14, v15
	v_add_f32_e32 v15, v17, v14
	v_mul_f32_e32 v63, v62, v15
	v_mul_f32_e32 v16, v61, v63
	v_fma_f32 v56, v63, v61, -v16
	v_fmac_f32_e32 v56, v63, v12
	v_sub_f32_e32 v12, v17, v15
	v_add_f32_e32 v12, v14, v12
	v_add_f32_e32 v14, v16, v56
	v_sub_f32_e32 v17, v15, v14
	v_pk_add_f32 v[58:59], v[14:15], v[16:17] neg_lo:[0,1] neg_hi:[0,1]
	v_mov_b32_e32 v57, v14
	v_pk_add_f32 v[14:15], v[58:59], v[56:57] neg_lo:[0,1] neg_hi:[0,1]
	v_add_f32_e32 v12, v12, v15
	v_add_f32_e32 v12, v14, v12
	;; [unrolled: 1-line block ×4, first 2 shown]
	v_sub_f32_e32 v15, v14, v64
	v_mul_f32_e32 v12, v62, v12
	v_sub_f32_e32 v15, v63, v15
	v_add_f32_e32 v12, v15, v12
	v_add_f32_e32 v17, v14, v12
	v_mul_f32_e32 v56, v17, v17
	v_mov_b32_e32 v16, 0x3ecc95a3
	v_fmac_f32_e32 v16, 0x3e9b6dac, v56
	v_mov_b32_e32 v15, 0x3f2aaada
	v_fmac_f32_e32 v15, v56, v16
	v_cvt_f32_i32_e32 v16, v60
	v_sub_f32_e32 v14, v17, v14
	v_sub_f32_e32 v12, v12, v14
	v_ldexp_f32 v57, v17, 1
	v_mul_f32_e32 v17, v17, v56
	v_mov_b32_e32 v14, 0x3f317218
	s_mov_b32 s60, 0x3f317218
	v_pk_mul_f32 v[14:15], v[16:17], v[14:15]
	v_fma_f32 v56, v16, s60, -v14
	v_fmac_f32_e32 v56, 0xb102e308, v16
	v_pk_add_f32 v[16:17], v[14:15], v[56:57]
	v_sub_f32_e32 v57, v17, v57
	v_ldexp_f32 v12, v12, 1
	v_sub_f32_e32 v57, v15, v57
	v_add_f32_e32 v59, v12, v57
	v_mov_b32_e32 v58, v14
	v_pk_add_f32 v[14:15], v[16:17], v[14:15] neg_lo:[0,1] neg_hi:[0,1]
	v_pk_add_f32 v[60:61], v[16:17], v[58:59]
	v_mov_b32_e32 v15, v61
	v_mov_b32_e32 v57, v16
	v_pk_add_f32 v[62:63], v[56:57], v[14:15] neg_lo:[0,1] neg_hi:[0,1]
	v_pk_add_f32 v[14:15], v[56:57], v[14:15]
	v_mov_b32_e32 v12, v15
	v_pk_add_f32 v[56:57], v[12:13], v[16:17] neg_lo:[0,1] neg_hi:[0,1]
	v_mov_b32_e32 v57, v56
	v_pk_add_f32 v[64:65], v[60:61], v[56:57] neg_lo:[0,1] neg_hi:[0,1]
	v_mov_b32_e32 v14, v61
	v_mov_b32_e32 v60, v17
	;; [unrolled: 1-line block ×4, first 2 shown]
	v_pk_add_f32 v[14:15], v[14:15], v[60:61] neg_lo:[0,1] neg_hi:[0,1]
	v_mov_b32_e32 v56, v59
	v_mov_b32_e32 v57, v16
	v_pk_add_f32 v[14:15], v[56:57], v[14:15] neg_lo:[0,1] neg_hi:[0,1]
	v_mov_b32_e32 v64, v62
	v_pk_add_f32 v[16:17], v[64:65], v[14:15]
	v_mov_b32_e32 v56, v17
	v_pk_add_f32 v[56:57], v[16:17], v[56:57]
	v_pk_add_f32 v[58:59], v[12:13], v[56:57]
	v_mov_b32_e32 v17, v58
	v_pk_add_f32 v[60:61], v[16:17], v[62:63] neg_lo:[0,1] neg_hi:[0,1]
	v_mov_b32_e32 v15, v56
	v_sub_f32_e32 v12, v16, v60
	v_pk_add_f32 v[14:15], v[14:15], v[60:61] neg_lo:[0,1] neg_hi:[0,1]
	v_sub_f32_e32 v12, v62, v12
	s_mov_b32 s61, 0x7f800000
	v_add_f32_e32 v12, v14, v12
	s_mov_b32 s60, 0x33800000
	v_add_f32_e32 v12, v12, v15
	v_cmp_eq_f32_e32 vcc, s61, v66
	v_cmp_lt_f32_e64 s[60:61], |v66|, s60
	v_add_f32_e32 v12, v58, v12
	s_or_b64 vcc, vcc, s[60:61]
	v_cndmask_b32_e32 v12, v12, v66, vcc
	v_add_f32_e32 v12, v9, v12
.LBB117_129:
	s_or_b64 exec, exec, s[36:37]
	v_mov_b32_e32 v15, v12
.LBB117_130:
	s_or_b64 exec, exec, s[58:59]
	v_mov_b32_e32 v9, 0
	s_movk_i32 s60, 0x1f8
	s_mov_b32 s61, 0x3fb8aa3b
	s_mov_b32 s64, 0xc2ce8ed0
	;; [unrolled: 1-line block ×5, first 2 shown]
	v_mov_b32_e32 v57, 0x3f2aaada
	s_mov_b32 s68, 0x3f317218
	s_mov_b32 s69, 0x33800000
	v_mov_b32_e32 v58, 2
	v_mov_b32_e32 v59, 0x7f800000
	;; [unrolled: 1-line block ×3, first 2 shown]
	s_branch .LBB117_132
.LBB117_131:                            ;   in Loop: Header=BB117_132 Depth=1
	s_or_b64 exec, exec, s[36:37]
	v_subrev_u32_e32 v8, 64, v8
.LBB117_132:                            ; =>This Loop Header: Depth=1
                                        ;     Child Loop BB117_135 Depth 2
                                        ;       Child Loop BB117_136 Depth 3
	v_cmp_ne_u16_sdwa s[36:37], v13, v58 src0_sel:BYTE_0 src1_sel:DWORD
	s_waitcnt lgkmcnt(0)
	v_cndmask_b32_e64 v12, 0, 1, s[36:37]
	;;#ASMSTART
	;;#ASMEND
	v_cmp_ne_u32_e32 vcc, 0, v12
	s_cmp_lg_u64 vcc, exec
	v_mov_b32_e32 v56, v15
	s_cbranch_scc1 .LBB117_165
; %bb.133:                              ;   in Loop: Header=BB117_132 Depth=1
	v_lshlrev_b64 v[12:13], 3, v[8:9]
	v_mov_b32_e32 v15, s57
	v_add_co_u32_e32 v16, vcc, s56, v12
	v_addc_co_u32_e32 v17, vcc, v15, v13, vcc
	global_load_dwordx2 v[12:13], v[16:17], off glc
	s_waitcnt vmcnt(0)
	v_cmp_eq_u16_sdwa s[58:59], v13, v9 src0_sel:BYTE_0 src1_sel:DWORD
	s_and_saveexec_b64 s[36:37], s[58:59]
	s_cbranch_execz .LBB117_139
; %bb.134:                              ;   in Loop: Header=BB117_132 Depth=1
	s_mov_b32 s70, 1
	s_mov_b64 s[58:59], 0
.LBB117_135:                            ;   Parent Loop BB117_132 Depth=1
                                        ; =>  This Loop Header: Depth=2
                                        ;       Child Loop BB117_136 Depth 3
	s_max_u32 s71, s70, 1
.LBB117_136:                            ;   Parent Loop BB117_132 Depth=1
                                        ;     Parent Loop BB117_135 Depth=2
                                        ; =>    This Inner Loop Header: Depth=3
	s_add_i32 s71, s71, -1
	s_cmp_eq_u32 s71, 0
	s_sleep 1
	s_cbranch_scc0 .LBB117_136
; %bb.137:                              ;   in Loop: Header=BB117_135 Depth=2
	global_load_dwordx2 v[12:13], v[16:17], off glc
	s_cmp_lt_u32 s70, 32
	s_cselect_b64 s[72:73], -1, 0
	s_cmp_lg_u64 s[72:73], 0
	s_addc_u32 s70, s70, 0
	s_waitcnt vmcnt(0)
	v_cmp_ne_u16_sdwa s[72:73], v13, v9 src0_sel:BYTE_0 src1_sel:DWORD
	s_or_b64 s[58:59], s[72:73], s[58:59]
	s_andn2_b64 exec, exec, s[58:59]
	s_cbranch_execnz .LBB117_135
; %bb.138:                              ;   in Loop: Header=BB117_132 Depth=1
	s_or_b64 exec, exec, s[58:59]
.LBB117_139:                            ;   in Loop: Header=BB117_132 Depth=1
	s_or_b64 exec, exec, s[36:37]
	v_cmp_eq_u16_sdwa s[36:37], v13, v58 src0_sel:BYTE_0 src1_sel:DWORD
	v_and_b32_e32 v15, s37, v11
	v_or_b32_e32 v15, 0x80000000, v15
	ds_bpermute_b32 v17, v45, v12
	v_and_b32_e32 v16, s36, v10
	v_ffbl_b32_e32 v15, v15
	v_add_u32_e32 v15, 32, v15
	v_ffbl_b32_e32 v16, v16
	v_min_u32_e32 v16, v16, v15
	v_cmp_lt_u32_e32 vcc, v7, v16
	v_mov_b32_e32 v15, v12
	s_and_saveexec_b64 s[58:59], vcc
	s_cbranch_execz .LBB117_143
; %bb.140:                              ;   in Loop: Header=BB117_132 Depth=1
	v_max_f32_e32 v60, v12, v12
	s_waitcnt lgkmcnt(0)
	v_max_f32_e32 v61, v17, v17
	v_min_f32_e32 v15, v61, v60
	v_cmp_u_f32_e32 vcc, v17, v17
	v_max_f32_e32 v60, v61, v60
	v_cndmask_b32_e32 v15, v15, v17, vcc
	v_cmp_u_f32_e64 s[36:37], v12, v12
	v_cndmask_b32_e32 v60, v60, v17, vcc
	v_cndmask_b32_e64 v15, v15, v12, s[36:37]
	v_cndmask_b32_e64 v12, v60, v12, s[36:37]
	v_cmp_neq_f32_e32 vcc, v15, v12
	v_cmp_class_f32_e64 s[36:37], v15, s60
	s_or_b64 s[70:71], vcc, s[36:37]
	s_and_saveexec_b64 s[36:37], s[70:71]
	s_cbranch_execz .LBB117_142
; %bb.141:                              ;   in Loop: Header=BB117_132 Depth=1
	v_sub_f32_e32 v15, v15, v12
	v_mul_f32_e32 v17, 0x3fb8aa3b, v15
	v_fma_f32 v60, v15, s61, -v17
	v_rndne_f32_e32 v61, v17
	v_fmac_f32_e32 v60, 0x32a5705f, v15
	v_sub_f32_e32 v17, v17, v61
	v_add_f32_e32 v17, v17, v60
	v_cvt_i32_f32_e32 v60, v61
	v_exp_f32_e32 v17, v17
	v_cmp_ngt_f32_e32 vcc, s64, v15
	v_ldexp_f32 v17, v17, v60
	v_cndmask_b32_e32 v17, 0, v17, vcc
	v_cmp_nlt_f32_e32 vcc, s65, v15
	v_cndmask_b32_e32 v17, v59, v17, vcc
	v_add_f32_e32 v15, 1.0, v17
	v_add_f32_e32 v60, -1.0, v15
	v_sub_f32_e32 v61, v60, v15
	v_add_f32_e32 v61, 1.0, v61
	v_sub_f32_e32 v60, v17, v60
	v_add_f32_e32 v62, v60, v61
	v_frexp_mant_f32_e32 v63, v15
	v_cvt_f64_f32_e32 v[60:61], v15
	v_frexp_exp_i32_f64_e32 v60, v[60:61]
	v_cmp_gt_f32_e32 vcc, s67, v63
	v_subbrev_co_u32_e32 v68, vcc, 0, v60, vcc
	v_sub_u32_e32 v60, 0, v68
	v_ldexp_f32 v15, v15, v60
	v_ldexp_f32 v60, v62, v60
	v_add_f32_e32 v62, -1.0, v15
	v_add_f32_e32 v61, 1.0, v62
	v_sub_f32_e32 v61, v15, v61
	v_add_f32_e32 v63, v60, v61
	v_add_f32_e32 v61, 1.0, v15
	v_add_f32_e32 v64, -1.0, v61
	v_sub_f32_e32 v15, v15, v64
	v_add_f32_e32 v15, v60, v15
	v_add_f32_e32 v69, v61, v15
	v_rcp_f32_e32 v70, v69
	v_sub_f32_e32 v60, v61, v69
	v_add_f32_e32 v61, v62, v63
	v_add_f32_e32 v15, v15, v60
	v_mul_f32_e32 v72, v61, v70
	v_sub_f32_e32 v60, v62, v61
	v_mul_f32_e32 v62, v69, v72
	v_fma_f32 v64, v72, v69, -v62
	v_fmac_f32_e32 v64, v72, v15
	v_add_f32_e32 v71, v63, v60
	v_add_f32_e32 v60, v62, v64
	v_sub_f32_e32 v63, v61, v60
	v_pk_add_f32 v[66:67], v[60:61], v[62:63] neg_lo:[0,1] neg_hi:[0,1]
	v_mov_b32_e32 v65, v60
	v_pk_add_f32 v[60:61], v[66:67], v[64:65] neg_lo:[0,1] neg_hi:[0,1]
	v_add_f32_e32 v61, v71, v61
	v_add_f32_e32 v60, v60, v61
	;; [unrolled: 1-line block ×3, first 2 shown]
	v_mul_f32_e32 v71, v70, v61
	v_mul_f32_e32 v62, v69, v71
	v_fma_f32 v64, v71, v69, -v62
	v_fmac_f32_e32 v64, v71, v15
	v_sub_f32_e32 v15, v63, v61
	v_add_f32_e32 v15, v60, v15
	v_add_f32_e32 v60, v62, v64
	v_sub_f32_e32 v63, v61, v60
	v_pk_add_f32 v[66:67], v[60:61], v[62:63] neg_lo:[0,1] neg_hi:[0,1]
	v_mov_b32_e32 v65, v60
	v_pk_add_f32 v[60:61], v[66:67], v[64:65] neg_lo:[0,1] neg_hi:[0,1]
	v_add_f32_e32 v15, v15, v61
	v_add_f32_e32 v15, v60, v15
	;; [unrolled: 1-line block ×4, first 2 shown]
	v_sub_f32_e32 v60, v61, v72
	v_mul_f32_e32 v15, v70, v15
	v_sub_f32_e32 v60, v71, v60
	v_add_f32_e32 v62, v60, v15
	v_add_f32_e32 v64, v61, v62
	v_cvt_f32_i32_e32 v60, v68
	v_mul_f32_e32 v65, v64, v64
	v_mov_b32_e32 v15, 0x3ecc95a3
	v_sub_f32_e32 v61, v64, v61
	v_fmac_f32_e32 v15, 0x3e9b6dac, v65
	v_sub_f32_e32 v61, v62, v61
	v_fma_f32 v15, v65, v15, v57
	v_ldexp_f32 v66, v61, 1
	v_mul_f32_e32 v61, v64, v65
	v_ldexp_f32 v63, v64, 1
	v_pk_mul_f32 v[64:65], v[60:61], v[14:15]
	v_fma_f32 v62, v60, s68, -v64
	v_fmac_f32_e32 v62, 0xb102e308, v60
	v_pk_add_f32 v[60:61], v[64:65], v[62:63]
	v_sub_f32_e32 v15, v61, v63
	v_sub_f32_e32 v15, v65, v15
	v_add_f32_e32 v67, v66, v15
	v_mov_b32_e32 v66, v64
	v_pk_add_f32 v[64:65], v[60:61], v[64:65] neg_lo:[0,1] neg_hi:[0,1]
	v_pk_add_f32 v[68:69], v[60:61], v[66:67]
	v_mov_b32_e32 v65, v69
	v_mov_b32_e32 v63, v60
	v_pk_add_f32 v[70:71], v[62:63], v[64:65] neg_lo:[0,1] neg_hi:[0,1]
	v_pk_add_f32 v[62:63], v[62:63], v[64:65]
	v_mov_b32_e32 v64, v63
	v_pk_add_f32 v[72:73], v[64:65], v[60:61] neg_lo:[0,1] neg_hi:[0,1]
	v_mov_b32_e32 v15, v72
	v_pk_add_f32 v[74:75], v[68:69], v[14:15] neg_lo:[0,1] neg_hi:[0,1]
	v_mov_b32_e32 v62, v69
	v_mov_b32_e32 v68, v61
	;; [unrolled: 1-line block ×4, first 2 shown]
	v_pk_add_f32 v[62:63], v[62:63], v[68:69] neg_lo:[0,1] neg_hi:[0,1]
	v_mov_b32_e32 v66, v67
	v_mov_b32_e32 v67, v60
	v_pk_add_f32 v[60:61], v[66:67], v[62:63] neg_lo:[0,1] neg_hi:[0,1]
	v_mov_b32_e32 v74, v70
	v_pk_add_f32 v[62:63], v[74:75], v[60:61]
	v_mov_b32_e32 v66, v63
	v_pk_add_f32 v[66:67], v[62:63], v[66:67]
	v_pk_add_f32 v[64:65], v[64:65], v[66:67]
	v_mov_b32_e32 v63, v64
	v_pk_add_f32 v[68:69], v[62:63], v[70:71] neg_lo:[0,1] neg_hi:[0,1]
	v_mov_b32_e32 v61, v66
	v_sub_f32_e32 v15, v62, v68
	v_pk_add_f32 v[60:61], v[60:61], v[68:69] neg_lo:[0,1] neg_hi:[0,1]
	v_sub_f32_e32 v15, v70, v15
	v_add_f32_e32 v15, v60, v15
	v_add_f32_e32 v15, v15, v61
	v_cmp_eq_f32_e32 vcc, s66, v17
	v_cmp_lt_f32_e64 s[70:71], |v17|, s69
	v_add_f32_e32 v15, v64, v15
	s_or_b64 vcc, vcc, s[70:71]
	v_cndmask_b32_e32 v15, v15, v17, vcc
	v_add_f32_e32 v17, v12, v15
.LBB117_142:                            ;   in Loop: Header=BB117_132 Depth=1
	s_or_b64 exec, exec, s[36:37]
	v_mov_b32_e32 v12, v17
	v_mov_b32_e32 v15, v17
.LBB117_143:                            ;   in Loop: Header=BB117_132 Depth=1
	s_or_b64 exec, exec, s[58:59]
	s_waitcnt lgkmcnt(0)
	ds_bpermute_b32 v17, v46, v12
	v_cmp_le_u32_e32 vcc, v47, v16
	s_and_saveexec_b64 s[58:59], vcc
	s_cbranch_execz .LBB117_147
; %bb.144:                              ;   in Loop: Header=BB117_132 Depth=1
	v_max_f32_e32 v12, v15, v15
	s_waitcnt lgkmcnt(0)
	v_max_f32_e32 v61, v17, v17
	v_min_f32_e32 v60, v61, v12
	v_cmp_u_f32_e32 vcc, v17, v17
	v_max_f32_e32 v12, v61, v12
	v_cndmask_b32_e32 v60, v60, v17, vcc
	v_cmp_u_f32_e64 s[36:37], v15, v15
	v_cndmask_b32_e32 v12, v12, v17, vcc
	v_cndmask_b32_e64 v60, v60, v15, s[36:37]
	v_cndmask_b32_e64 v12, v12, v15, s[36:37]
	v_cmp_neq_f32_e32 vcc, v60, v12
	v_cmp_class_f32_e64 s[36:37], v60, s60
	s_or_b64 s[70:71], vcc, s[36:37]
	s_and_saveexec_b64 s[36:37], s[70:71]
	s_cbranch_execz .LBB117_146
; %bb.145:                              ;   in Loop: Header=BB117_132 Depth=1
	v_sub_f32_e32 v15, v60, v12
	v_mul_f32_e32 v17, 0x3fb8aa3b, v15
	v_fma_f32 v60, v15, s61, -v17
	v_rndne_f32_e32 v61, v17
	v_fmac_f32_e32 v60, 0x32a5705f, v15
	v_sub_f32_e32 v17, v17, v61
	v_add_f32_e32 v17, v17, v60
	v_cvt_i32_f32_e32 v60, v61
	v_exp_f32_e32 v17, v17
	v_cmp_ngt_f32_e32 vcc, s64, v15
	v_ldexp_f32 v17, v17, v60
	v_cndmask_b32_e32 v17, 0, v17, vcc
	v_cmp_nlt_f32_e32 vcc, s65, v15
	v_cndmask_b32_e32 v17, v59, v17, vcc
	v_add_f32_e32 v15, 1.0, v17
	v_add_f32_e32 v60, -1.0, v15
	v_sub_f32_e32 v61, v60, v15
	v_add_f32_e32 v61, 1.0, v61
	v_sub_f32_e32 v60, v17, v60
	v_add_f32_e32 v62, v60, v61
	v_frexp_mant_f32_e32 v63, v15
	v_cvt_f64_f32_e32 v[60:61], v15
	v_frexp_exp_i32_f64_e32 v60, v[60:61]
	v_cmp_gt_f32_e32 vcc, s67, v63
	v_subbrev_co_u32_e32 v68, vcc, 0, v60, vcc
	v_sub_u32_e32 v60, 0, v68
	v_ldexp_f32 v15, v15, v60
	v_ldexp_f32 v60, v62, v60
	v_add_f32_e32 v62, -1.0, v15
	v_add_f32_e32 v61, 1.0, v62
	v_sub_f32_e32 v61, v15, v61
	v_add_f32_e32 v63, v60, v61
	v_add_f32_e32 v61, 1.0, v15
	v_add_f32_e32 v64, -1.0, v61
	v_sub_f32_e32 v15, v15, v64
	v_add_f32_e32 v15, v60, v15
	v_add_f32_e32 v69, v61, v15
	v_rcp_f32_e32 v70, v69
	v_sub_f32_e32 v60, v61, v69
	v_add_f32_e32 v61, v62, v63
	v_add_f32_e32 v15, v15, v60
	v_mul_f32_e32 v72, v61, v70
	v_sub_f32_e32 v60, v62, v61
	v_mul_f32_e32 v62, v69, v72
	v_fma_f32 v64, v72, v69, -v62
	v_fmac_f32_e32 v64, v72, v15
	v_add_f32_e32 v71, v63, v60
	v_add_f32_e32 v60, v62, v64
	v_sub_f32_e32 v63, v61, v60
	v_pk_add_f32 v[66:67], v[60:61], v[62:63] neg_lo:[0,1] neg_hi:[0,1]
	v_mov_b32_e32 v65, v60
	v_pk_add_f32 v[60:61], v[66:67], v[64:65] neg_lo:[0,1] neg_hi:[0,1]
	v_add_f32_e32 v61, v71, v61
	v_add_f32_e32 v60, v60, v61
	;; [unrolled: 1-line block ×3, first 2 shown]
	v_mul_f32_e32 v71, v70, v61
	v_mul_f32_e32 v62, v69, v71
	v_fma_f32 v64, v71, v69, -v62
	v_fmac_f32_e32 v64, v71, v15
	v_sub_f32_e32 v15, v63, v61
	v_add_f32_e32 v15, v60, v15
	v_add_f32_e32 v60, v62, v64
	v_sub_f32_e32 v63, v61, v60
	v_pk_add_f32 v[66:67], v[60:61], v[62:63] neg_lo:[0,1] neg_hi:[0,1]
	v_mov_b32_e32 v65, v60
	v_pk_add_f32 v[60:61], v[66:67], v[64:65] neg_lo:[0,1] neg_hi:[0,1]
	v_add_f32_e32 v15, v15, v61
	v_add_f32_e32 v15, v60, v15
	;; [unrolled: 1-line block ×4, first 2 shown]
	v_sub_f32_e32 v60, v61, v72
	v_mul_f32_e32 v15, v70, v15
	v_sub_f32_e32 v60, v71, v60
	v_add_f32_e32 v62, v60, v15
	v_add_f32_e32 v64, v61, v62
	v_cvt_f32_i32_e32 v60, v68
	v_mul_f32_e32 v65, v64, v64
	v_mov_b32_e32 v15, 0x3ecc95a3
	v_sub_f32_e32 v61, v64, v61
	v_fmac_f32_e32 v15, 0x3e9b6dac, v65
	v_sub_f32_e32 v61, v62, v61
	v_fma_f32 v15, v65, v15, v57
	v_ldexp_f32 v66, v61, 1
	v_mul_f32_e32 v61, v64, v65
	v_ldexp_f32 v63, v64, 1
	v_pk_mul_f32 v[64:65], v[60:61], v[14:15]
	v_fma_f32 v62, v60, s68, -v64
	v_fmac_f32_e32 v62, 0xb102e308, v60
	v_pk_add_f32 v[60:61], v[64:65], v[62:63]
	v_sub_f32_e32 v15, v61, v63
	v_sub_f32_e32 v15, v65, v15
	v_add_f32_e32 v67, v66, v15
	v_mov_b32_e32 v66, v64
	v_pk_add_f32 v[64:65], v[60:61], v[64:65] neg_lo:[0,1] neg_hi:[0,1]
	v_pk_add_f32 v[68:69], v[60:61], v[66:67]
	v_mov_b32_e32 v65, v69
	v_mov_b32_e32 v63, v60
	v_pk_add_f32 v[70:71], v[62:63], v[64:65] neg_lo:[0,1] neg_hi:[0,1]
	v_pk_add_f32 v[62:63], v[62:63], v[64:65]
	v_mov_b32_e32 v64, v63
	v_pk_add_f32 v[72:73], v[64:65], v[60:61] neg_lo:[0,1] neg_hi:[0,1]
	v_mov_b32_e32 v15, v72
	v_pk_add_f32 v[74:75], v[68:69], v[14:15] neg_lo:[0,1] neg_hi:[0,1]
	v_mov_b32_e32 v62, v69
	v_mov_b32_e32 v68, v61
	;; [unrolled: 1-line block ×4, first 2 shown]
	v_pk_add_f32 v[62:63], v[62:63], v[68:69] neg_lo:[0,1] neg_hi:[0,1]
	v_mov_b32_e32 v66, v67
	v_mov_b32_e32 v67, v60
	v_pk_add_f32 v[60:61], v[66:67], v[62:63] neg_lo:[0,1] neg_hi:[0,1]
	v_mov_b32_e32 v74, v70
	v_pk_add_f32 v[62:63], v[74:75], v[60:61]
	v_mov_b32_e32 v66, v63
	v_pk_add_f32 v[66:67], v[62:63], v[66:67]
	v_pk_add_f32 v[64:65], v[64:65], v[66:67]
	v_mov_b32_e32 v63, v64
	v_pk_add_f32 v[68:69], v[62:63], v[70:71] neg_lo:[0,1] neg_hi:[0,1]
	v_mov_b32_e32 v61, v66
	v_sub_f32_e32 v15, v62, v68
	v_pk_add_f32 v[60:61], v[60:61], v[68:69] neg_lo:[0,1] neg_hi:[0,1]
	v_sub_f32_e32 v15, v70, v15
	v_add_f32_e32 v15, v60, v15
	v_add_f32_e32 v15, v15, v61
	v_cmp_eq_f32_e32 vcc, s66, v17
	v_cmp_lt_f32_e64 s[70:71], |v17|, s69
	v_add_f32_e32 v15, v64, v15
	s_or_b64 vcc, vcc, s[70:71]
	v_cndmask_b32_e32 v15, v15, v17, vcc
	v_add_f32_e32 v17, v12, v15
.LBB117_146:                            ;   in Loop: Header=BB117_132 Depth=1
	s_or_b64 exec, exec, s[36:37]
	v_mov_b32_e32 v12, v17
	v_mov_b32_e32 v15, v17
.LBB117_147:                            ;   in Loop: Header=BB117_132 Depth=1
	s_or_b64 exec, exec, s[58:59]
	s_waitcnt lgkmcnt(0)
	ds_bpermute_b32 v17, v48, v12
	v_cmp_le_u32_e32 vcc, v49, v16
	s_and_saveexec_b64 s[58:59], vcc
	s_cbranch_execz .LBB117_151
; %bb.148:                              ;   in Loop: Header=BB117_132 Depth=1
	v_max_f32_e32 v12, v15, v15
	s_waitcnt lgkmcnt(0)
	v_max_f32_e32 v61, v17, v17
	v_min_f32_e32 v60, v61, v12
	v_cmp_u_f32_e32 vcc, v17, v17
	v_max_f32_e32 v12, v61, v12
	v_cndmask_b32_e32 v60, v60, v17, vcc
	v_cmp_u_f32_e64 s[36:37], v15, v15
	v_cndmask_b32_e32 v12, v12, v17, vcc
	v_cndmask_b32_e64 v60, v60, v15, s[36:37]
	v_cndmask_b32_e64 v12, v12, v15, s[36:37]
	v_cmp_neq_f32_e32 vcc, v60, v12
	v_cmp_class_f32_e64 s[36:37], v60, s60
	s_or_b64 s[70:71], vcc, s[36:37]
	s_and_saveexec_b64 s[36:37], s[70:71]
	s_cbranch_execz .LBB117_150
; %bb.149:                              ;   in Loop: Header=BB117_132 Depth=1
	v_sub_f32_e32 v15, v60, v12
	v_mul_f32_e32 v17, 0x3fb8aa3b, v15
	v_fma_f32 v60, v15, s61, -v17
	v_rndne_f32_e32 v61, v17
	v_fmac_f32_e32 v60, 0x32a5705f, v15
	v_sub_f32_e32 v17, v17, v61
	v_add_f32_e32 v17, v17, v60
	v_cvt_i32_f32_e32 v60, v61
	v_exp_f32_e32 v17, v17
	v_cmp_ngt_f32_e32 vcc, s64, v15
	v_ldexp_f32 v17, v17, v60
	v_cndmask_b32_e32 v17, 0, v17, vcc
	v_cmp_nlt_f32_e32 vcc, s65, v15
	v_cndmask_b32_e32 v17, v59, v17, vcc
	v_add_f32_e32 v15, 1.0, v17
	v_add_f32_e32 v60, -1.0, v15
	v_sub_f32_e32 v61, v60, v15
	v_add_f32_e32 v61, 1.0, v61
	v_sub_f32_e32 v60, v17, v60
	v_add_f32_e32 v62, v60, v61
	v_frexp_mant_f32_e32 v63, v15
	v_cvt_f64_f32_e32 v[60:61], v15
	v_frexp_exp_i32_f64_e32 v60, v[60:61]
	v_cmp_gt_f32_e32 vcc, s67, v63
	v_subbrev_co_u32_e32 v68, vcc, 0, v60, vcc
	v_sub_u32_e32 v60, 0, v68
	v_ldexp_f32 v15, v15, v60
	v_ldexp_f32 v60, v62, v60
	v_add_f32_e32 v62, -1.0, v15
	v_add_f32_e32 v61, 1.0, v62
	v_sub_f32_e32 v61, v15, v61
	v_add_f32_e32 v63, v60, v61
	v_add_f32_e32 v61, 1.0, v15
	v_add_f32_e32 v64, -1.0, v61
	v_sub_f32_e32 v15, v15, v64
	v_add_f32_e32 v15, v60, v15
	v_add_f32_e32 v69, v61, v15
	v_rcp_f32_e32 v70, v69
	v_sub_f32_e32 v60, v61, v69
	v_add_f32_e32 v61, v62, v63
	v_add_f32_e32 v15, v15, v60
	v_mul_f32_e32 v72, v61, v70
	v_sub_f32_e32 v60, v62, v61
	v_mul_f32_e32 v62, v69, v72
	v_fma_f32 v64, v72, v69, -v62
	v_fmac_f32_e32 v64, v72, v15
	v_add_f32_e32 v71, v63, v60
	v_add_f32_e32 v60, v62, v64
	v_sub_f32_e32 v63, v61, v60
	v_pk_add_f32 v[66:67], v[60:61], v[62:63] neg_lo:[0,1] neg_hi:[0,1]
	v_mov_b32_e32 v65, v60
	v_pk_add_f32 v[60:61], v[66:67], v[64:65] neg_lo:[0,1] neg_hi:[0,1]
	v_add_f32_e32 v61, v71, v61
	v_add_f32_e32 v60, v60, v61
	;; [unrolled: 1-line block ×3, first 2 shown]
	v_mul_f32_e32 v71, v70, v61
	v_mul_f32_e32 v62, v69, v71
	v_fma_f32 v64, v71, v69, -v62
	v_fmac_f32_e32 v64, v71, v15
	v_sub_f32_e32 v15, v63, v61
	v_add_f32_e32 v15, v60, v15
	v_add_f32_e32 v60, v62, v64
	v_sub_f32_e32 v63, v61, v60
	v_pk_add_f32 v[66:67], v[60:61], v[62:63] neg_lo:[0,1] neg_hi:[0,1]
	v_mov_b32_e32 v65, v60
	v_pk_add_f32 v[60:61], v[66:67], v[64:65] neg_lo:[0,1] neg_hi:[0,1]
	v_add_f32_e32 v15, v15, v61
	v_add_f32_e32 v15, v60, v15
	;; [unrolled: 1-line block ×4, first 2 shown]
	v_sub_f32_e32 v60, v61, v72
	v_mul_f32_e32 v15, v70, v15
	v_sub_f32_e32 v60, v71, v60
	v_add_f32_e32 v62, v60, v15
	v_add_f32_e32 v64, v61, v62
	v_cvt_f32_i32_e32 v60, v68
	v_mul_f32_e32 v65, v64, v64
	v_mov_b32_e32 v15, 0x3ecc95a3
	v_sub_f32_e32 v61, v64, v61
	v_fmac_f32_e32 v15, 0x3e9b6dac, v65
	v_sub_f32_e32 v61, v62, v61
	v_fma_f32 v15, v65, v15, v57
	v_ldexp_f32 v66, v61, 1
	v_mul_f32_e32 v61, v64, v65
	v_ldexp_f32 v63, v64, 1
	v_pk_mul_f32 v[64:65], v[60:61], v[14:15]
	v_fma_f32 v62, v60, s68, -v64
	v_fmac_f32_e32 v62, 0xb102e308, v60
	v_pk_add_f32 v[60:61], v[64:65], v[62:63]
	v_sub_f32_e32 v15, v61, v63
	v_sub_f32_e32 v15, v65, v15
	v_add_f32_e32 v67, v66, v15
	v_mov_b32_e32 v66, v64
	v_pk_add_f32 v[64:65], v[60:61], v[64:65] neg_lo:[0,1] neg_hi:[0,1]
	v_pk_add_f32 v[68:69], v[60:61], v[66:67]
	v_mov_b32_e32 v65, v69
	v_mov_b32_e32 v63, v60
	v_pk_add_f32 v[70:71], v[62:63], v[64:65] neg_lo:[0,1] neg_hi:[0,1]
	v_pk_add_f32 v[62:63], v[62:63], v[64:65]
	v_mov_b32_e32 v64, v63
	v_pk_add_f32 v[72:73], v[64:65], v[60:61] neg_lo:[0,1] neg_hi:[0,1]
	v_mov_b32_e32 v15, v72
	v_pk_add_f32 v[74:75], v[68:69], v[14:15] neg_lo:[0,1] neg_hi:[0,1]
	v_mov_b32_e32 v62, v69
	v_mov_b32_e32 v68, v61
	;; [unrolled: 1-line block ×4, first 2 shown]
	v_pk_add_f32 v[62:63], v[62:63], v[68:69] neg_lo:[0,1] neg_hi:[0,1]
	v_mov_b32_e32 v66, v67
	v_mov_b32_e32 v67, v60
	v_pk_add_f32 v[60:61], v[66:67], v[62:63] neg_lo:[0,1] neg_hi:[0,1]
	v_mov_b32_e32 v74, v70
	v_pk_add_f32 v[62:63], v[74:75], v[60:61]
	v_mov_b32_e32 v66, v63
	v_pk_add_f32 v[66:67], v[62:63], v[66:67]
	v_pk_add_f32 v[64:65], v[64:65], v[66:67]
	v_mov_b32_e32 v63, v64
	v_pk_add_f32 v[68:69], v[62:63], v[70:71] neg_lo:[0,1] neg_hi:[0,1]
	v_mov_b32_e32 v61, v66
	v_sub_f32_e32 v15, v62, v68
	v_pk_add_f32 v[60:61], v[60:61], v[68:69] neg_lo:[0,1] neg_hi:[0,1]
	v_sub_f32_e32 v15, v70, v15
	v_add_f32_e32 v15, v60, v15
	v_add_f32_e32 v15, v15, v61
	v_cmp_eq_f32_e32 vcc, s66, v17
	v_cmp_lt_f32_e64 s[70:71], |v17|, s69
	v_add_f32_e32 v15, v64, v15
	s_or_b64 vcc, vcc, s[70:71]
	v_cndmask_b32_e32 v15, v15, v17, vcc
	v_add_f32_e32 v17, v12, v15
.LBB117_150:                            ;   in Loop: Header=BB117_132 Depth=1
	s_or_b64 exec, exec, s[36:37]
	v_mov_b32_e32 v12, v17
	v_mov_b32_e32 v15, v17
.LBB117_151:                            ;   in Loop: Header=BB117_132 Depth=1
	s_or_b64 exec, exec, s[58:59]
	s_waitcnt lgkmcnt(0)
	ds_bpermute_b32 v17, v50, v12
	v_cmp_le_u32_e32 vcc, v51, v16
	s_and_saveexec_b64 s[58:59], vcc
	s_cbranch_execz .LBB117_155
; %bb.152:                              ;   in Loop: Header=BB117_132 Depth=1
	v_max_f32_e32 v12, v15, v15
	s_waitcnt lgkmcnt(0)
	v_max_f32_e32 v61, v17, v17
	v_min_f32_e32 v60, v61, v12
	v_cmp_u_f32_e32 vcc, v17, v17
	v_max_f32_e32 v12, v61, v12
	v_cndmask_b32_e32 v60, v60, v17, vcc
	v_cmp_u_f32_e64 s[36:37], v15, v15
	v_cndmask_b32_e32 v12, v12, v17, vcc
	v_cndmask_b32_e64 v60, v60, v15, s[36:37]
	v_cndmask_b32_e64 v12, v12, v15, s[36:37]
	v_cmp_neq_f32_e32 vcc, v60, v12
	v_cmp_class_f32_e64 s[36:37], v60, s60
	s_or_b64 s[70:71], vcc, s[36:37]
	s_and_saveexec_b64 s[36:37], s[70:71]
	s_cbranch_execz .LBB117_154
; %bb.153:                              ;   in Loop: Header=BB117_132 Depth=1
	v_sub_f32_e32 v15, v60, v12
	v_mul_f32_e32 v17, 0x3fb8aa3b, v15
	v_fma_f32 v60, v15, s61, -v17
	v_rndne_f32_e32 v61, v17
	v_fmac_f32_e32 v60, 0x32a5705f, v15
	v_sub_f32_e32 v17, v17, v61
	v_add_f32_e32 v17, v17, v60
	v_cvt_i32_f32_e32 v60, v61
	v_exp_f32_e32 v17, v17
	v_cmp_ngt_f32_e32 vcc, s64, v15
	v_ldexp_f32 v17, v17, v60
	v_cndmask_b32_e32 v17, 0, v17, vcc
	v_cmp_nlt_f32_e32 vcc, s65, v15
	v_cndmask_b32_e32 v17, v59, v17, vcc
	v_add_f32_e32 v15, 1.0, v17
	v_add_f32_e32 v60, -1.0, v15
	v_sub_f32_e32 v61, v60, v15
	v_add_f32_e32 v61, 1.0, v61
	v_sub_f32_e32 v60, v17, v60
	v_add_f32_e32 v62, v60, v61
	v_frexp_mant_f32_e32 v63, v15
	v_cvt_f64_f32_e32 v[60:61], v15
	v_frexp_exp_i32_f64_e32 v60, v[60:61]
	v_cmp_gt_f32_e32 vcc, s67, v63
	v_subbrev_co_u32_e32 v68, vcc, 0, v60, vcc
	v_sub_u32_e32 v60, 0, v68
	v_ldexp_f32 v15, v15, v60
	v_ldexp_f32 v60, v62, v60
	v_add_f32_e32 v62, -1.0, v15
	v_add_f32_e32 v61, 1.0, v62
	v_sub_f32_e32 v61, v15, v61
	v_add_f32_e32 v63, v60, v61
	v_add_f32_e32 v61, 1.0, v15
	v_add_f32_e32 v64, -1.0, v61
	v_sub_f32_e32 v15, v15, v64
	v_add_f32_e32 v15, v60, v15
	v_add_f32_e32 v69, v61, v15
	v_rcp_f32_e32 v70, v69
	v_sub_f32_e32 v60, v61, v69
	v_add_f32_e32 v61, v62, v63
	v_add_f32_e32 v15, v15, v60
	v_mul_f32_e32 v72, v61, v70
	v_sub_f32_e32 v60, v62, v61
	v_mul_f32_e32 v62, v69, v72
	v_fma_f32 v64, v72, v69, -v62
	v_fmac_f32_e32 v64, v72, v15
	v_add_f32_e32 v71, v63, v60
	v_add_f32_e32 v60, v62, v64
	v_sub_f32_e32 v63, v61, v60
	v_pk_add_f32 v[66:67], v[60:61], v[62:63] neg_lo:[0,1] neg_hi:[0,1]
	v_mov_b32_e32 v65, v60
	v_pk_add_f32 v[60:61], v[66:67], v[64:65] neg_lo:[0,1] neg_hi:[0,1]
	v_add_f32_e32 v61, v71, v61
	v_add_f32_e32 v60, v60, v61
	v_add_f32_e32 v61, v63, v60
	v_mul_f32_e32 v71, v70, v61
	v_mul_f32_e32 v62, v69, v71
	v_fma_f32 v64, v71, v69, -v62
	v_fmac_f32_e32 v64, v71, v15
	v_sub_f32_e32 v15, v63, v61
	v_add_f32_e32 v15, v60, v15
	v_add_f32_e32 v60, v62, v64
	v_sub_f32_e32 v63, v61, v60
	v_pk_add_f32 v[66:67], v[60:61], v[62:63] neg_lo:[0,1] neg_hi:[0,1]
	v_mov_b32_e32 v65, v60
	v_pk_add_f32 v[60:61], v[66:67], v[64:65] neg_lo:[0,1] neg_hi:[0,1]
	v_add_f32_e32 v15, v15, v61
	v_add_f32_e32 v15, v60, v15
	;; [unrolled: 1-line block ×4, first 2 shown]
	v_sub_f32_e32 v60, v61, v72
	v_mul_f32_e32 v15, v70, v15
	v_sub_f32_e32 v60, v71, v60
	v_add_f32_e32 v62, v60, v15
	v_add_f32_e32 v64, v61, v62
	v_cvt_f32_i32_e32 v60, v68
	v_mul_f32_e32 v65, v64, v64
	v_mov_b32_e32 v15, 0x3ecc95a3
	v_sub_f32_e32 v61, v64, v61
	v_fmac_f32_e32 v15, 0x3e9b6dac, v65
	v_sub_f32_e32 v61, v62, v61
	v_fma_f32 v15, v65, v15, v57
	v_ldexp_f32 v66, v61, 1
	v_mul_f32_e32 v61, v64, v65
	v_ldexp_f32 v63, v64, 1
	v_pk_mul_f32 v[64:65], v[60:61], v[14:15]
	v_fma_f32 v62, v60, s68, -v64
	v_fmac_f32_e32 v62, 0xb102e308, v60
	v_pk_add_f32 v[60:61], v[64:65], v[62:63]
	v_sub_f32_e32 v15, v61, v63
	v_sub_f32_e32 v15, v65, v15
	v_add_f32_e32 v67, v66, v15
	v_mov_b32_e32 v66, v64
	v_pk_add_f32 v[64:65], v[60:61], v[64:65] neg_lo:[0,1] neg_hi:[0,1]
	v_pk_add_f32 v[68:69], v[60:61], v[66:67]
	v_mov_b32_e32 v65, v69
	v_mov_b32_e32 v63, v60
	v_pk_add_f32 v[70:71], v[62:63], v[64:65] neg_lo:[0,1] neg_hi:[0,1]
	v_pk_add_f32 v[62:63], v[62:63], v[64:65]
	v_mov_b32_e32 v64, v63
	v_pk_add_f32 v[72:73], v[64:65], v[60:61] neg_lo:[0,1] neg_hi:[0,1]
	v_mov_b32_e32 v15, v72
	v_pk_add_f32 v[74:75], v[68:69], v[14:15] neg_lo:[0,1] neg_hi:[0,1]
	v_mov_b32_e32 v62, v69
	v_mov_b32_e32 v68, v61
	;; [unrolled: 1-line block ×4, first 2 shown]
	v_pk_add_f32 v[62:63], v[62:63], v[68:69] neg_lo:[0,1] neg_hi:[0,1]
	v_mov_b32_e32 v66, v67
	v_mov_b32_e32 v67, v60
	v_pk_add_f32 v[60:61], v[66:67], v[62:63] neg_lo:[0,1] neg_hi:[0,1]
	v_mov_b32_e32 v74, v70
	v_pk_add_f32 v[62:63], v[74:75], v[60:61]
	v_mov_b32_e32 v66, v63
	v_pk_add_f32 v[66:67], v[62:63], v[66:67]
	v_pk_add_f32 v[64:65], v[64:65], v[66:67]
	v_mov_b32_e32 v63, v64
	v_pk_add_f32 v[68:69], v[62:63], v[70:71] neg_lo:[0,1] neg_hi:[0,1]
	v_mov_b32_e32 v61, v66
	v_sub_f32_e32 v15, v62, v68
	v_pk_add_f32 v[60:61], v[60:61], v[68:69] neg_lo:[0,1] neg_hi:[0,1]
	v_sub_f32_e32 v15, v70, v15
	v_add_f32_e32 v15, v60, v15
	v_add_f32_e32 v15, v15, v61
	v_cmp_eq_f32_e32 vcc, s66, v17
	v_cmp_lt_f32_e64 s[70:71], |v17|, s69
	v_add_f32_e32 v15, v64, v15
	s_or_b64 vcc, vcc, s[70:71]
	v_cndmask_b32_e32 v15, v15, v17, vcc
	v_add_f32_e32 v17, v12, v15
.LBB117_154:                            ;   in Loop: Header=BB117_132 Depth=1
	s_or_b64 exec, exec, s[36:37]
	v_mov_b32_e32 v12, v17
	v_mov_b32_e32 v15, v17
.LBB117_155:                            ;   in Loop: Header=BB117_132 Depth=1
	s_or_b64 exec, exec, s[58:59]
	s_waitcnt lgkmcnt(0)
	ds_bpermute_b32 v17, v52, v12
	v_cmp_le_u32_e32 vcc, v53, v16
	s_and_saveexec_b64 s[58:59], vcc
	s_cbranch_execz .LBB117_159
; %bb.156:                              ;   in Loop: Header=BB117_132 Depth=1
	v_max_f32_e32 v12, v15, v15
	s_waitcnt lgkmcnt(0)
	v_max_f32_e32 v61, v17, v17
	v_min_f32_e32 v60, v61, v12
	v_cmp_u_f32_e32 vcc, v17, v17
	v_max_f32_e32 v12, v61, v12
	v_cndmask_b32_e32 v60, v60, v17, vcc
	v_cmp_u_f32_e64 s[36:37], v15, v15
	v_cndmask_b32_e32 v12, v12, v17, vcc
	v_cndmask_b32_e64 v60, v60, v15, s[36:37]
	v_cndmask_b32_e64 v12, v12, v15, s[36:37]
	v_cmp_neq_f32_e32 vcc, v60, v12
	v_cmp_class_f32_e64 s[36:37], v60, s60
	s_or_b64 s[70:71], vcc, s[36:37]
	s_and_saveexec_b64 s[36:37], s[70:71]
	s_cbranch_execz .LBB117_158
; %bb.157:                              ;   in Loop: Header=BB117_132 Depth=1
	v_sub_f32_e32 v15, v60, v12
	v_mul_f32_e32 v17, 0x3fb8aa3b, v15
	v_fma_f32 v60, v15, s61, -v17
	v_rndne_f32_e32 v61, v17
	v_fmac_f32_e32 v60, 0x32a5705f, v15
	v_sub_f32_e32 v17, v17, v61
	v_add_f32_e32 v17, v17, v60
	v_cvt_i32_f32_e32 v60, v61
	v_exp_f32_e32 v17, v17
	v_cmp_ngt_f32_e32 vcc, s64, v15
	v_ldexp_f32 v17, v17, v60
	v_cndmask_b32_e32 v17, 0, v17, vcc
	v_cmp_nlt_f32_e32 vcc, s65, v15
	v_cndmask_b32_e32 v17, v59, v17, vcc
	v_add_f32_e32 v15, 1.0, v17
	v_add_f32_e32 v60, -1.0, v15
	v_sub_f32_e32 v61, v60, v15
	v_add_f32_e32 v61, 1.0, v61
	v_sub_f32_e32 v60, v17, v60
	v_add_f32_e32 v62, v60, v61
	v_frexp_mant_f32_e32 v63, v15
	v_cvt_f64_f32_e32 v[60:61], v15
	v_frexp_exp_i32_f64_e32 v60, v[60:61]
	v_cmp_gt_f32_e32 vcc, s67, v63
	v_subbrev_co_u32_e32 v68, vcc, 0, v60, vcc
	v_sub_u32_e32 v60, 0, v68
	v_ldexp_f32 v15, v15, v60
	v_ldexp_f32 v60, v62, v60
	v_add_f32_e32 v62, -1.0, v15
	v_add_f32_e32 v61, 1.0, v62
	v_sub_f32_e32 v61, v15, v61
	v_add_f32_e32 v63, v60, v61
	v_add_f32_e32 v61, 1.0, v15
	v_add_f32_e32 v64, -1.0, v61
	v_sub_f32_e32 v15, v15, v64
	v_add_f32_e32 v15, v60, v15
	v_add_f32_e32 v69, v61, v15
	v_rcp_f32_e32 v70, v69
	v_sub_f32_e32 v60, v61, v69
	v_add_f32_e32 v61, v62, v63
	v_add_f32_e32 v15, v15, v60
	v_mul_f32_e32 v72, v61, v70
	v_sub_f32_e32 v60, v62, v61
	v_mul_f32_e32 v62, v69, v72
	v_fma_f32 v64, v72, v69, -v62
	v_fmac_f32_e32 v64, v72, v15
	v_add_f32_e32 v71, v63, v60
	v_add_f32_e32 v60, v62, v64
	v_sub_f32_e32 v63, v61, v60
	v_pk_add_f32 v[66:67], v[60:61], v[62:63] neg_lo:[0,1] neg_hi:[0,1]
	v_mov_b32_e32 v65, v60
	v_pk_add_f32 v[60:61], v[66:67], v[64:65] neg_lo:[0,1] neg_hi:[0,1]
	v_add_f32_e32 v61, v71, v61
	v_add_f32_e32 v60, v60, v61
	;; [unrolled: 1-line block ×3, first 2 shown]
	v_mul_f32_e32 v71, v70, v61
	v_mul_f32_e32 v62, v69, v71
	v_fma_f32 v64, v71, v69, -v62
	v_fmac_f32_e32 v64, v71, v15
	v_sub_f32_e32 v15, v63, v61
	v_add_f32_e32 v15, v60, v15
	v_add_f32_e32 v60, v62, v64
	v_sub_f32_e32 v63, v61, v60
	v_pk_add_f32 v[66:67], v[60:61], v[62:63] neg_lo:[0,1] neg_hi:[0,1]
	v_mov_b32_e32 v65, v60
	v_pk_add_f32 v[60:61], v[66:67], v[64:65] neg_lo:[0,1] neg_hi:[0,1]
	v_add_f32_e32 v15, v15, v61
	v_add_f32_e32 v15, v60, v15
	;; [unrolled: 1-line block ×4, first 2 shown]
	v_sub_f32_e32 v60, v61, v72
	v_mul_f32_e32 v15, v70, v15
	v_sub_f32_e32 v60, v71, v60
	v_add_f32_e32 v62, v60, v15
	v_add_f32_e32 v64, v61, v62
	v_cvt_f32_i32_e32 v60, v68
	v_mul_f32_e32 v65, v64, v64
	v_mov_b32_e32 v15, 0x3ecc95a3
	v_sub_f32_e32 v61, v64, v61
	v_fmac_f32_e32 v15, 0x3e9b6dac, v65
	v_sub_f32_e32 v61, v62, v61
	v_fma_f32 v15, v65, v15, v57
	v_ldexp_f32 v66, v61, 1
	v_mul_f32_e32 v61, v64, v65
	v_ldexp_f32 v63, v64, 1
	v_pk_mul_f32 v[64:65], v[60:61], v[14:15]
	v_fma_f32 v62, v60, s68, -v64
	v_fmac_f32_e32 v62, 0xb102e308, v60
	v_pk_add_f32 v[60:61], v[64:65], v[62:63]
	v_sub_f32_e32 v15, v61, v63
	v_sub_f32_e32 v15, v65, v15
	v_add_f32_e32 v67, v66, v15
	v_mov_b32_e32 v66, v64
	v_pk_add_f32 v[64:65], v[60:61], v[64:65] neg_lo:[0,1] neg_hi:[0,1]
	v_pk_add_f32 v[68:69], v[60:61], v[66:67]
	v_mov_b32_e32 v65, v69
	v_mov_b32_e32 v63, v60
	v_pk_add_f32 v[70:71], v[62:63], v[64:65] neg_lo:[0,1] neg_hi:[0,1]
	v_pk_add_f32 v[62:63], v[62:63], v[64:65]
	v_mov_b32_e32 v64, v63
	v_pk_add_f32 v[72:73], v[64:65], v[60:61] neg_lo:[0,1] neg_hi:[0,1]
	v_mov_b32_e32 v15, v72
	v_pk_add_f32 v[74:75], v[68:69], v[14:15] neg_lo:[0,1] neg_hi:[0,1]
	v_mov_b32_e32 v62, v69
	v_mov_b32_e32 v68, v61
	;; [unrolled: 1-line block ×4, first 2 shown]
	v_pk_add_f32 v[62:63], v[62:63], v[68:69] neg_lo:[0,1] neg_hi:[0,1]
	v_mov_b32_e32 v66, v67
	v_mov_b32_e32 v67, v60
	v_pk_add_f32 v[60:61], v[66:67], v[62:63] neg_lo:[0,1] neg_hi:[0,1]
	v_mov_b32_e32 v74, v70
	v_pk_add_f32 v[62:63], v[74:75], v[60:61]
	v_mov_b32_e32 v66, v63
	v_pk_add_f32 v[66:67], v[62:63], v[66:67]
	v_pk_add_f32 v[64:65], v[64:65], v[66:67]
	v_mov_b32_e32 v63, v64
	v_pk_add_f32 v[68:69], v[62:63], v[70:71] neg_lo:[0,1] neg_hi:[0,1]
	v_mov_b32_e32 v61, v66
	v_sub_f32_e32 v15, v62, v68
	v_pk_add_f32 v[60:61], v[60:61], v[68:69] neg_lo:[0,1] neg_hi:[0,1]
	v_sub_f32_e32 v15, v70, v15
	v_add_f32_e32 v15, v60, v15
	v_add_f32_e32 v15, v15, v61
	v_cmp_eq_f32_e32 vcc, s66, v17
	v_cmp_lt_f32_e64 s[70:71], |v17|, s69
	v_add_f32_e32 v15, v64, v15
	s_or_b64 vcc, vcc, s[70:71]
	v_cndmask_b32_e32 v15, v15, v17, vcc
	v_add_f32_e32 v17, v12, v15
.LBB117_158:                            ;   in Loop: Header=BB117_132 Depth=1
	s_or_b64 exec, exec, s[36:37]
	v_mov_b32_e32 v12, v17
	v_mov_b32_e32 v15, v17
.LBB117_159:                            ;   in Loop: Header=BB117_132 Depth=1
	s_or_b64 exec, exec, s[58:59]
	s_waitcnt lgkmcnt(0)
	ds_bpermute_b32 v17, v54, v12
	v_cmp_le_u32_e32 vcc, v55, v16
	s_and_saveexec_b64 s[58:59], vcc
	s_cbranch_execz .LBB117_163
; %bb.160:                              ;   in Loop: Header=BB117_132 Depth=1
	v_max_f32_e32 v12, v15, v15
	s_waitcnt lgkmcnt(0)
	v_max_f32_e32 v60, v17, v17
	v_min_f32_e32 v16, v60, v12
	v_cmp_u_f32_e32 vcc, v17, v17
	v_max_f32_e32 v12, v60, v12
	v_cndmask_b32_e32 v16, v16, v17, vcc
	v_cmp_u_f32_e64 s[36:37], v15, v15
	v_cndmask_b32_e32 v12, v12, v17, vcc
	v_cndmask_b32_e64 v16, v16, v15, s[36:37]
	v_cndmask_b32_e64 v12, v12, v15, s[36:37]
	v_cmp_neq_f32_e32 vcc, v16, v12
	v_cmp_class_f32_e64 s[36:37], v16, s60
	s_or_b64 s[70:71], vcc, s[36:37]
	s_and_saveexec_b64 s[36:37], s[70:71]
	s_cbranch_execz .LBB117_162
; %bb.161:                              ;   in Loop: Header=BB117_132 Depth=1
	v_sub_f32_e32 v15, v16, v12
	v_mul_f32_e32 v16, 0x3fb8aa3b, v15
	v_fma_f32 v17, v15, s61, -v16
	v_rndne_f32_e32 v60, v16
	v_fmac_f32_e32 v17, 0x32a5705f, v15
	v_sub_f32_e32 v16, v16, v60
	v_add_f32_e32 v16, v16, v17
	v_cvt_i32_f32_e32 v17, v60
	v_exp_f32_e32 v16, v16
	v_cmp_ngt_f32_e32 vcc, s64, v15
	v_ldexp_f32 v16, v16, v17
	v_cndmask_b32_e32 v16, 0, v16, vcc
	v_cmp_nlt_f32_e32 vcc, s65, v15
	v_cndmask_b32_e32 v74, v59, v16, vcc
	v_add_f32_e32 v15, 1.0, v74
	v_add_f32_e32 v16, -1.0, v15
	v_sub_f32_e32 v17, v16, v15
	v_add_f32_e32 v17, 1.0, v17
	v_sub_f32_e32 v16, v74, v16
	v_add_f32_e32 v60, v16, v17
	v_frexp_mant_f32_e32 v61, v15
	v_cvt_f64_f32_e32 v[16:17], v15
	v_frexp_exp_i32_f64_e32 v16, v[16:17]
	v_cmp_gt_f32_e32 vcc, s67, v61
	v_subbrev_co_u32_e32 v66, vcc, 0, v16, vcc
	v_sub_u32_e32 v16, 0, v66
	v_ldexp_f32 v15, v15, v16
	v_ldexp_f32 v16, v60, v16
	v_add_f32_e32 v60, -1.0, v15
	v_add_f32_e32 v17, 1.0, v60
	v_sub_f32_e32 v17, v15, v17
	v_add_f32_e32 v61, v16, v17
	v_add_f32_e32 v17, 1.0, v15
	v_add_f32_e32 v62, -1.0, v17
	v_sub_f32_e32 v15, v15, v62
	v_add_f32_e32 v15, v16, v15
	v_add_f32_e32 v67, v17, v15
	v_rcp_f32_e32 v68, v67
	v_sub_f32_e32 v16, v17, v67
	v_add_f32_e32 v17, v60, v61
	v_add_f32_e32 v15, v15, v16
	v_mul_f32_e32 v70, v17, v68
	v_sub_f32_e32 v16, v60, v17
	v_mul_f32_e32 v60, v67, v70
	v_fma_f32 v62, v70, v67, -v60
	v_fmac_f32_e32 v62, v70, v15
	v_add_f32_e32 v69, v61, v16
	v_add_f32_e32 v16, v60, v62
	v_sub_f32_e32 v61, v17, v16
	v_pk_add_f32 v[64:65], v[16:17], v[60:61] neg_lo:[0,1] neg_hi:[0,1]
	v_mov_b32_e32 v63, v16
	v_pk_add_f32 v[16:17], v[64:65], v[62:63] neg_lo:[0,1] neg_hi:[0,1]
	v_add_f32_e32 v17, v69, v17
	v_add_f32_e32 v16, v16, v17
	;; [unrolled: 1-line block ×3, first 2 shown]
	v_mul_f32_e32 v69, v68, v17
	v_mul_f32_e32 v60, v67, v69
	v_fma_f32 v62, v69, v67, -v60
	v_fmac_f32_e32 v62, v69, v15
	v_sub_f32_e32 v15, v61, v17
	v_add_f32_e32 v15, v16, v15
	v_add_f32_e32 v16, v60, v62
	v_sub_f32_e32 v61, v17, v16
	v_pk_add_f32 v[64:65], v[16:17], v[60:61] neg_lo:[0,1] neg_hi:[0,1]
	v_mov_b32_e32 v63, v16
	v_pk_add_f32 v[16:17], v[64:65], v[62:63] neg_lo:[0,1] neg_hi:[0,1]
	v_add_f32_e32 v15, v15, v17
	v_add_f32_e32 v15, v16, v15
	;; [unrolled: 1-line block ×4, first 2 shown]
	v_sub_f32_e32 v16, v17, v70
	v_mul_f32_e32 v15, v68, v15
	v_sub_f32_e32 v16, v69, v16
	v_add_f32_e32 v60, v16, v15
	v_add_f32_e32 v62, v17, v60
	v_cvt_f32_i32_e32 v16, v66
	v_mul_f32_e32 v63, v62, v62
	v_mov_b32_e32 v15, 0x3ecc95a3
	v_sub_f32_e32 v17, v62, v17
	v_fmac_f32_e32 v15, 0x3e9b6dac, v63
	v_sub_f32_e32 v17, v60, v17
	v_fma_f32 v15, v63, v15, v57
	v_ldexp_f32 v64, v17, 1
	v_mul_f32_e32 v17, v62, v63
	v_ldexp_f32 v61, v62, 1
	v_pk_mul_f32 v[62:63], v[16:17], v[14:15]
	v_fma_f32 v60, v16, s68, -v62
	v_fmac_f32_e32 v60, 0xb102e308, v16
	v_pk_add_f32 v[16:17], v[62:63], v[60:61]
	v_sub_f32_e32 v15, v17, v61
	v_sub_f32_e32 v15, v63, v15
	v_add_f32_e32 v65, v64, v15
	v_mov_b32_e32 v64, v62
	v_pk_add_f32 v[62:63], v[16:17], v[62:63] neg_lo:[0,1] neg_hi:[0,1]
	v_pk_add_f32 v[66:67], v[16:17], v[64:65]
	v_mov_b32_e32 v63, v67
	v_mov_b32_e32 v61, v16
	v_pk_add_f32 v[68:69], v[60:61], v[62:63] neg_lo:[0,1] neg_hi:[0,1]
	v_pk_add_f32 v[60:61], v[60:61], v[62:63]
	v_mov_b32_e32 v62, v61
	v_pk_add_f32 v[70:71], v[62:63], v[16:17] neg_lo:[0,1] neg_hi:[0,1]
	v_mov_b32_e32 v15, v70
	v_pk_add_f32 v[72:73], v[66:67], v[14:15] neg_lo:[0,1] neg_hi:[0,1]
	v_mov_b32_e32 v60, v67
	v_mov_b32_e32 v66, v17
	v_mov_b32_e32 v67, v70
	v_mov_b32_e32 v69, v61
	v_pk_add_f32 v[60:61], v[60:61], v[66:67] neg_lo:[0,1] neg_hi:[0,1]
	v_mov_b32_e32 v64, v65
	v_mov_b32_e32 v65, v16
	v_pk_add_f32 v[16:17], v[64:65], v[60:61] neg_lo:[0,1] neg_hi:[0,1]
	v_mov_b32_e32 v72, v68
	v_pk_add_f32 v[60:61], v[72:73], v[16:17]
	v_mov_b32_e32 v64, v61
	v_pk_add_f32 v[64:65], v[60:61], v[64:65]
	v_pk_add_f32 v[62:63], v[62:63], v[64:65]
	v_mov_b32_e32 v61, v62
	v_pk_add_f32 v[66:67], v[60:61], v[68:69] neg_lo:[0,1] neg_hi:[0,1]
	v_mov_b32_e32 v17, v64
	v_sub_f32_e32 v15, v60, v66
	v_pk_add_f32 v[16:17], v[16:17], v[66:67] neg_lo:[0,1] neg_hi:[0,1]
	v_sub_f32_e32 v15, v68, v15
	v_add_f32_e32 v15, v16, v15
	v_add_f32_e32 v15, v15, v17
	v_cmp_eq_f32_e32 vcc, s66, v74
	v_cmp_lt_f32_e64 s[70:71], |v74|, s69
	v_add_f32_e32 v15, v62, v15
	s_or_b64 vcc, vcc, s[70:71]
	v_cndmask_b32_e32 v15, v15, v74, vcc
	v_add_f32_e32 v17, v12, v15
.LBB117_162:                            ;   in Loop: Header=BB117_132 Depth=1
	s_or_b64 exec, exec, s[36:37]
	v_mov_b32_e32 v15, v17
.LBB117_163:                            ;   in Loop: Header=BB117_132 Depth=1
	s_or_b64 exec, exec, s[58:59]
	v_max_f32_e32 v12, v56, v56
	s_waitcnt lgkmcnt(0)
	v_max_f32_e32 v17, v15, v15
	v_min_f32_e32 v16, v17, v12
	v_cmp_u_f32_e32 vcc, v15, v15
	v_max_f32_e32 v12, v17, v12
	v_cndmask_b32_e32 v16, v16, v15, vcc
	v_cmp_u_f32_e64 s[36:37], v56, v56
	v_cndmask_b32_e32 v12, v12, v15, vcc
	v_cndmask_b32_e64 v16, v16, v56, s[36:37]
	v_cndmask_b32_e64 v12, v12, v56, s[36:37]
	v_cmp_neq_f32_e32 vcc, v16, v12
	v_cmp_class_f32_e64 s[36:37], v16, s60
	s_or_b64 s[36:37], vcc, s[36:37]
	s_and_saveexec_b64 s[58:59], s[36:37]
	s_xor_b64 s[36:37], exec, s[58:59]
	s_cbranch_execz .LBB117_131
; %bb.164:                              ;   in Loop: Header=BB117_132 Depth=1
	v_sub_f32_e32 v15, v16, v12
	v_mul_f32_e32 v16, 0x3fb8aa3b, v15
	v_fma_f32 v17, v15, s61, -v16
	v_rndne_f32_e32 v60, v16
	v_fmac_f32_e32 v17, 0x32a5705f, v15
	v_sub_f32_e32 v16, v16, v60
	v_add_f32_e32 v16, v16, v17
	v_cvt_i32_f32_e32 v17, v60
	v_exp_f32_e32 v16, v16
	v_cmp_ngt_f32_e32 vcc, s64, v15
	v_ldexp_f32 v16, v16, v17
	v_cndmask_b32_e32 v16, 0, v16, vcc
	v_cmp_nlt_f32_e32 vcc, s65, v15
	v_cndmask_b32_e32 v74, v59, v16, vcc
	v_add_f32_e32 v15, 1.0, v74
	v_add_f32_e32 v16, -1.0, v15
	v_sub_f32_e32 v17, v16, v15
	v_add_f32_e32 v17, 1.0, v17
	v_sub_f32_e32 v16, v74, v16
	v_add_f32_e32 v60, v16, v17
	v_frexp_mant_f32_e32 v61, v15
	v_cvt_f64_f32_e32 v[16:17], v15
	v_frexp_exp_i32_f64_e32 v16, v[16:17]
	v_cmp_gt_f32_e32 vcc, s67, v61
	v_subbrev_co_u32_e32 v16, vcc, 0, v16, vcc
	v_sub_u32_e32 v17, 0, v16
	v_ldexp_f32 v15, v15, v17
	v_ldexp_f32 v17, v60, v17
	v_add_f32_e32 v60, -1.0, v15
	v_add_f32_e32 v63, 1.0, v15
	v_add_f32_e32 v61, 1.0, v60
	v_add_f32_e32 v64, -1.0, v63
	v_sub_f32_e32 v61, v15, v61
	v_sub_f32_e32 v15, v15, v64
	v_add_f32_e32 v15, v17, v15
	v_add_f32_e32 v61, v17, v61
	v_add_f32_e32 v17, v63, v15
	v_rcp_f32_e32 v64, v17
	v_add_f32_e32 v62, v60, v61
	v_sub_f32_e32 v60, v60, v62
	v_add_f32_e32 v60, v61, v60
	v_sub_f32_e32 v61, v63, v17
	v_add_f32_e32 v15, v15, v61
	v_mul_f32_e32 v61, v62, v64
	v_mul_f32_e32 v63, v17, v61
	v_fma_f32 v65, v61, v17, -v63
	v_fmac_f32_e32 v65, v61, v15
	v_add_f32_e32 v66, v63, v65
	v_sub_f32_e32 v67, v62, v66
	v_sub_f32_e32 v62, v62, v67
	;; [unrolled: 1-line block ×4, first 2 shown]
	v_add_f32_e32 v60, v60, v62
	v_sub_f32_e32 v62, v63, v65
	v_add_f32_e32 v60, v62, v60
	v_add_f32_e32 v62, v67, v60
	v_mul_f32_e32 v63, v64, v62
	v_mul_f32_e32 v65, v17, v63
	v_fma_f32 v17, v63, v17, -v65
	v_fmac_f32_e32 v17, v63, v15
	v_sub_f32_e32 v15, v67, v62
	v_add_f32_e32 v15, v60, v15
	v_add_f32_e32 v60, v65, v17
	v_sub_f32_e32 v66, v62, v60
	v_sub_f32_e32 v62, v62, v66
	;; [unrolled: 1-line block ×4, first 2 shown]
	v_add_f32_e32 v15, v15, v60
	v_sub_f32_e32 v17, v65, v17
	v_add_f32_e32 v15, v17, v15
	v_add_f32_e32 v17, v61, v63
	;; [unrolled: 1-line block ×3, first 2 shown]
	v_sub_f32_e32 v60, v17, v61
	v_mul_f32_e32 v15, v64, v15
	v_sub_f32_e32 v60, v63, v60
	v_add_f32_e32 v60, v60, v15
	v_add_f32_e32 v62, v17, v60
	v_cvt_f32_i32_e32 v16, v16
	v_mul_f32_e32 v63, v62, v62
	v_mov_b32_e32 v15, 0x3ecc95a3
	v_sub_f32_e32 v17, v62, v17
	v_fmac_f32_e32 v15, 0x3e9b6dac, v63
	v_sub_f32_e32 v17, v60, v17
	v_fma_f32 v15, v63, v15, v57
	v_ldexp_f32 v64, v17, 1
	v_mul_f32_e32 v17, v62, v63
	v_ldexp_f32 v61, v62, 1
	v_pk_mul_f32 v[62:63], v[16:17], v[14:15]
	v_fma_f32 v60, v16, s68, -v62
	v_fmac_f32_e32 v60, 0xb102e308, v16
	v_pk_add_f32 v[16:17], v[62:63], v[60:61]
	v_sub_f32_e32 v15, v17, v61
	v_sub_f32_e32 v15, v63, v15
	v_add_f32_e32 v65, v64, v15
	v_mov_b32_e32 v64, v62
	v_pk_add_f32 v[62:63], v[16:17], v[62:63] neg_lo:[0,1] neg_hi:[0,1]
	v_pk_add_f32 v[66:67], v[16:17], v[64:65]
	v_mov_b32_e32 v63, v67
	v_mov_b32_e32 v61, v16
	v_pk_add_f32 v[68:69], v[60:61], v[62:63] neg_lo:[0,1] neg_hi:[0,1]
	v_pk_add_f32 v[60:61], v[60:61], v[62:63]
	v_mov_b32_e32 v62, v61
	v_pk_add_f32 v[70:71], v[62:63], v[16:17] neg_lo:[0,1] neg_hi:[0,1]
	v_mov_b32_e32 v15, v70
	v_pk_add_f32 v[72:73], v[66:67], v[14:15] neg_lo:[0,1] neg_hi:[0,1]
	v_mov_b32_e32 v60, v67
	v_mov_b32_e32 v66, v17
	;; [unrolled: 1-line block ×4, first 2 shown]
	v_pk_add_f32 v[60:61], v[60:61], v[66:67] neg_lo:[0,1] neg_hi:[0,1]
	v_mov_b32_e32 v64, v65
	v_mov_b32_e32 v65, v16
	v_pk_add_f32 v[16:17], v[64:65], v[60:61] neg_lo:[0,1] neg_hi:[0,1]
	v_mov_b32_e32 v72, v68
	v_pk_add_f32 v[60:61], v[72:73], v[16:17]
	v_mov_b32_e32 v64, v61
	v_pk_add_f32 v[64:65], v[60:61], v[64:65]
	v_pk_add_f32 v[62:63], v[62:63], v[64:65]
	v_mov_b32_e32 v61, v62
	v_pk_add_f32 v[66:67], v[60:61], v[68:69] neg_lo:[0,1] neg_hi:[0,1]
	v_mov_b32_e32 v17, v64
	v_sub_f32_e32 v15, v60, v66
	v_pk_add_f32 v[16:17], v[16:17], v[66:67] neg_lo:[0,1] neg_hi:[0,1]
	v_sub_f32_e32 v15, v68, v15
	v_add_f32_e32 v15, v16, v15
	v_add_f32_e32 v15, v15, v17
	v_cmp_eq_f32_e32 vcc, s66, v74
	v_cmp_lt_f32_e64 s[58:59], |v74|, s69
	v_add_f32_e32 v15, v62, v15
	s_or_b64 vcc, vcc, s[58:59]
	v_cndmask_b32_e32 v15, v15, v74, vcc
	v_add_f32_e32 v15, v12, v15
	s_branch .LBB117_131
.LBB117_165:                            ;   in Loop: Header=BB117_132 Depth=1
                                        ; implicit-def: $vgpr15
                                        ; implicit-def: $vgpr13
	s_cbranch_execz .LBB117_132
; %bb.166:
	s_and_saveexec_b64 s[36:37], s[34:35]
	s_cbranch_execz .LBB117_170
; %bb.167:
	v_max_f32_e32 v7, v6, v6
	v_max_f32_e32 v9, v56, v56
	v_min_f32_e32 v8, v9, v7
	v_cmp_u_f32_e32 vcc, v56, v56
	v_max_f32_e32 v7, v9, v7
	v_cndmask_b32_e32 v8, v8, v56, vcc
	v_cmp_u_f32_e64 s[34:35], v6, v6
	v_cndmask_b32_e32 v7, v7, v56, vcc
	v_cndmask_b32_e64 v8, v8, v6, s[34:35]
	v_cndmask_b32_e64 v7, v7, v6, s[34:35]
	s_movk_i32 s34, 0x1f8
	v_cmp_neq_f32_e32 vcc, v8, v7
	v_cmp_class_f32_e64 s[34:35], v8, s34
	s_or_b64 s[58:59], vcc, s[34:35]
	v_mov_b32_e32 v6, v56
	s_and_saveexec_b64 s[34:35], s[58:59]
	s_cbranch_execz .LBB117_169
; %bb.168:
	v_sub_f32_e32 v6, v8, v7
	s_mov_b32 s58, 0x3fb8aa3b
	v_mul_f32_e32 v8, 0x3fb8aa3b, v6
	v_fma_f32 v9, v6, s58, -v8
	v_rndne_f32_e32 v10, v8
	v_fmac_f32_e32 v9, 0x32a5705f, v6
	v_sub_f32_e32 v8, v8, v10
	v_add_f32_e32 v8, v8, v9
	v_exp_f32_e32 v8, v8
	v_cvt_i32_f32_e32 v9, v10
	s_mov_b32 s58, 0xc2ce8ed0
	v_cmp_ngt_f32_e32 vcc, s58, v6
	s_mov_b32 s58, 0x42b17218
	v_ldexp_f32 v8, v8, v9
	v_cndmask_b32_e32 v8, 0, v8, vcc
	v_mov_b32_e32 v9, 0x7f800000
	v_cmp_nlt_f32_e32 vcc, s58, v6
	v_cndmask_b32_e32 v45, v9, v8, vcc
	v_add_f32_e32 v6, 1.0, v45
	v_add_f32_e32 v8, -1.0, v6
	v_sub_f32_e32 v9, v8, v6
	v_add_f32_e32 v9, 1.0, v9
	v_sub_f32_e32 v8, v45, v8
	v_add_f32_e32 v10, v8, v9
	v_frexp_mant_f32_e32 v11, v6
	s_mov_b32 s58, 0x3f2aaaab
	v_cvt_f64_f32_e32 v[8:9], v6
	v_frexp_exp_i32_f64_e32 v8, v[8:9]
	v_cmp_gt_f32_e32 vcc, s58, v11
	v_subbrev_co_u32_e32 v16, vcc, 0, v8, vcc
	v_sub_u32_e32 v8, 0, v16
	v_ldexp_f32 v6, v6, v8
	v_ldexp_f32 v8, v10, v8
	v_add_f32_e32 v10, -1.0, v6
	v_add_f32_e32 v9, 1.0, v10
	v_sub_f32_e32 v9, v6, v9
	v_add_f32_e32 v11, v8, v9
	v_add_f32_e32 v9, 1.0, v6
	v_add_f32_e32 v12, -1.0, v9
	v_sub_f32_e32 v6, v6, v12
	v_add_f32_e32 v6, v8, v6
	v_add_f32_e32 v17, v9, v6
	v_rcp_f32_e32 v46, v17
	v_sub_f32_e32 v8, v9, v17
	v_add_f32_e32 v9, v10, v11
	v_add_f32_e32 v6, v6, v8
	v_mul_f32_e32 v48, v9, v46
	v_sub_f32_e32 v8, v10, v9
	v_mul_f32_e32 v10, v17, v48
	v_fma_f32 v12, v48, v17, -v10
	v_fmac_f32_e32 v12, v48, v6
	v_add_f32_e32 v47, v11, v8
	v_add_f32_e32 v8, v10, v12
	v_sub_f32_e32 v11, v9, v8
	v_pk_add_f32 v[14:15], v[8:9], v[10:11] neg_lo:[0,1] neg_hi:[0,1]
	v_mov_b32_e32 v13, v8
	v_pk_add_f32 v[8:9], v[14:15], v[12:13] neg_lo:[0,1] neg_hi:[0,1]
	v_add_f32_e32 v9, v47, v9
	v_add_f32_e32 v8, v8, v9
	;; [unrolled: 1-line block ×3, first 2 shown]
	v_mul_f32_e32 v47, v46, v9
	v_mul_f32_e32 v10, v17, v47
	v_fma_f32 v12, v47, v17, -v10
	v_fmac_f32_e32 v12, v47, v6
	v_sub_f32_e32 v6, v11, v9
	v_add_f32_e32 v6, v8, v6
	v_add_f32_e32 v8, v10, v12
	v_sub_f32_e32 v11, v9, v8
	v_pk_add_f32 v[14:15], v[8:9], v[10:11] neg_lo:[0,1] neg_hi:[0,1]
	v_mov_b32_e32 v13, v8
	v_pk_add_f32 v[8:9], v[14:15], v[12:13] neg_lo:[0,1] neg_hi:[0,1]
	v_add_f32_e32 v6, v6, v9
	v_add_f32_e32 v6, v8, v6
	;; [unrolled: 1-line block ×4, first 2 shown]
	v_sub_f32_e32 v9, v8, v48
	v_mul_f32_e32 v6, v46, v6
	v_sub_f32_e32 v9, v47, v9
	v_add_f32_e32 v6, v9, v6
	v_add_f32_e32 v11, v8, v6
	v_mul_f32_e32 v12, v11, v11
	v_mov_b32_e32 v10, 0x3ecc95a3
	v_fmac_f32_e32 v10, 0x3e9b6dac, v12
	v_mov_b32_e32 v9, 0x3f2aaada
	v_fmac_f32_e32 v9, v12, v10
	v_cvt_f32_i32_e32 v10, v16
	v_sub_f32_e32 v8, v11, v8
	v_sub_f32_e32 v6, v6, v8
	v_ldexp_f32 v13, v11, 1
	v_mul_f32_e32 v11, v11, v12
	v_mov_b32_e32 v8, 0x3f317218
	s_mov_b32 s58, 0x3f317218
	v_pk_mul_f32 v[8:9], v[10:11], v[8:9]
	v_fma_f32 v12, v10, s58, -v8
	v_fmac_f32_e32 v12, 0xb102e308, v10
	v_pk_add_f32 v[10:11], v[8:9], v[12:13]
	v_sub_f32_e32 v13, v11, v13
	v_ldexp_f32 v6, v6, 1
	v_sub_f32_e32 v13, v9, v13
	v_add_f32_e32 v15, v6, v13
	v_mov_b32_e32 v14, v8
	v_pk_add_f32 v[8:9], v[10:11], v[8:9] neg_lo:[0,1] neg_hi:[0,1]
	v_pk_add_f32 v[16:17], v[10:11], v[14:15]
	v_mov_b32_e32 v9, v17
	v_mov_b32_e32 v13, v10
	v_pk_add_f32 v[46:47], v[12:13], v[8:9] neg_lo:[0,1] neg_hi:[0,1]
	v_pk_add_f32 v[8:9], v[12:13], v[8:9]
	v_mov_b32_e32 v6, v9
	v_pk_add_f32 v[12:13], v[6:7], v[10:11] neg_lo:[0,1] neg_hi:[0,1]
	v_mov_b32_e32 v13, v12
	v_pk_add_f32 v[48:49], v[16:17], v[12:13] neg_lo:[0,1] neg_hi:[0,1]
	v_mov_b32_e32 v8, v17
	v_mov_b32_e32 v16, v11
	;; [unrolled: 1-line block ×4, first 2 shown]
	v_pk_add_f32 v[8:9], v[8:9], v[16:17] neg_lo:[0,1] neg_hi:[0,1]
	v_mov_b32_e32 v12, v15
	v_mov_b32_e32 v13, v10
	v_pk_add_f32 v[8:9], v[12:13], v[8:9] neg_lo:[0,1] neg_hi:[0,1]
	v_mov_b32_e32 v48, v46
	v_pk_add_f32 v[10:11], v[48:49], v[8:9]
	v_mov_b32_e32 v12, v11
	v_pk_add_f32 v[12:13], v[10:11], v[12:13]
	v_pk_add_f32 v[14:15], v[6:7], v[12:13]
	v_mov_b32_e32 v11, v14
	v_pk_add_f32 v[16:17], v[10:11], v[46:47] neg_lo:[0,1] neg_hi:[0,1]
	v_mov_b32_e32 v9, v12
	v_sub_f32_e32 v6, v10, v16
	v_pk_add_f32 v[8:9], v[8:9], v[16:17] neg_lo:[0,1] neg_hi:[0,1]
	v_sub_f32_e32 v6, v46, v6
	s_mov_b32 s59, 0x7f800000
	v_add_f32_e32 v6, v8, v6
	s_mov_b32 s58, 0x33800000
	v_add_f32_e32 v6, v6, v9
	v_cmp_eq_f32_e32 vcc, s59, v45
	v_cmp_lt_f32_e64 s[58:59], |v45|, s58
	v_add_f32_e32 v6, v14, v6
	s_or_b64 vcc, vcc, s[58:59]
	v_cndmask_b32_e32 v6, v6, v45, vcc
	v_add_f32_e32 v6, v7, v6
.LBB117_169:
	s_or_b64 exec, exec, s[34:35]
	s_add_i32 s34, s63, 64
	s_mov_b32 s35, 0
	s_lshl_b64 s[34:35], s[34:35], 3
	s_add_u32 s34, s56, s34
	s_addc_u32 s35, s57, s35
	v_mov_b32_e32 v8, 0
	v_mov_b32_e32 v7, 2
	global_store_dwordx2 v8, v[6:7], s[34:35]
.LBB117_170:
	s_or_b64 exec, exec, s[36:37]
	s_and_b64 exec, exec, s[2:3]
	s_cbranch_execz .LBB117_172
; %bb.171:
	v_mov_b32_e32 v6, 0
	ds_write_b32 v6, v56
.LBB117_172:
	s_or_b64 exec, exec, s[38:39]
	v_mov_b32_e32 v6, 0
	s_waitcnt lgkmcnt(0)
	s_barrier
	ds_read_b32 v6, v6
	v_mov_b32_e32 v7, v2
	s_and_saveexec_b64 s[34:35], s[0:1]
	s_cbranch_execz .LBB117_176
; %bb.173:
	v_max_f32_e32 v7, v44, v44
	v_min_f32_e32 v8, v7, v43
	v_cmp_u_f32_e32 vcc, v44, v44
	v_max_f32_e32 v7, v7, v43
	v_cndmask_b32_e32 v8, v8, v44, vcc
	v_cndmask_b32_e32 v7, v7, v44, vcc
	v_cndmask_b32_e64 v8, v8, v2, s[30:31]
	v_cndmask_b32_e64 v7, v7, v2, s[30:31]
	s_movk_i32 s30, 0x1f8
	v_cmp_neq_f32_e32 vcc, v8, v7
	v_cmp_class_f32_e64 s[30:31], v8, s30
	s_or_b64 s[36:37], vcc, s[30:31]
	s_and_saveexec_b64 s[30:31], s[36:37]
	s_cbranch_execz .LBB117_175
; %bb.174:
	v_sub_f32_e32 v8, v8, v7
	s_mov_b32 s36, 0x3fb8aa3b
	v_mul_f32_e32 v9, 0x3fb8aa3b, v8
	v_fma_f32 v10, v8, s36, -v9
	v_rndne_f32_e32 v11, v9
	v_fmac_f32_e32 v10, 0x32a5705f, v8
	v_sub_f32_e32 v9, v9, v11
	v_add_f32_e32 v9, v9, v10
	v_exp_f32_e32 v9, v9
	v_cvt_i32_f32_e32 v10, v11
	s_mov_b32 s36, 0xc2ce8ed0
	v_cmp_ngt_f32_e32 vcc, s36, v8
	s_mov_b32 s36, 0x42b17218
	v_ldexp_f32 v9, v9, v10
	v_cndmask_b32_e32 v9, 0, v9, vcc
	v_mov_b32_e32 v10, 0x7f800000
	v_cmp_nlt_f32_e32 vcc, s36, v8
	v_cndmask_b32_e32 v43, v10, v9, vcc
	v_add_f32_e32 v10, 1.0, v43
	v_add_f32_e32 v8, -1.0, v10
	v_sub_f32_e32 v9, v8, v10
	v_add_f32_e32 v9, 1.0, v9
	v_sub_f32_e32 v8, v43, v8
	v_add_f32_e32 v11, v8, v9
	v_frexp_mant_f32_e32 v12, v10
	s_mov_b32 s36, 0x3f2aaaab
	v_cvt_f64_f32_e32 v[8:9], v10
	v_frexp_exp_i32_f64_e32 v8, v[8:9]
	v_cmp_gt_f32_e32 vcc, s36, v12
	v_subbrev_co_u32_e32 v16, vcc, 0, v8, vcc
	v_sub_u32_e32 v8, 0, v16
	v_ldexp_f32 v9, v10, v8
	v_add_f32_e32 v10, -1.0, v9
	v_add_f32_e32 v12, 1.0, v9
	v_ldexp_f32 v8, v11, v8
	v_add_f32_e32 v11, 1.0, v10
	v_add_f32_e32 v13, -1.0, v12
	v_sub_f32_e32 v11, v9, v11
	v_sub_f32_e32 v9, v9, v13
	v_add_f32_e32 v11, v8, v11
	v_add_f32_e32 v8, v8, v9
	;; [unrolled: 1-line block ×3, first 2 shown]
	v_rcp_f32_e32 v45, v17
	v_sub_f32_e32 v9, v12, v17
	v_add_f32_e32 v44, v8, v9
	v_add_f32_e32 v9, v10, v11
	v_mul_f32_e32 v47, v9, v45
	v_sub_f32_e32 v8, v10, v9
	v_mul_f32_e32 v10, v17, v47
	v_fma_f32 v12, v47, v17, -v10
	v_fmac_f32_e32 v12, v47, v44
	v_add_f32_e32 v46, v11, v8
	v_add_f32_e32 v8, v10, v12
	v_sub_f32_e32 v11, v9, v8
	v_pk_add_f32 v[14:15], v[8:9], v[10:11] neg_lo:[0,1] neg_hi:[0,1]
	v_mov_b32_e32 v13, v8
	v_pk_add_f32 v[8:9], v[14:15], v[12:13] neg_lo:[0,1] neg_hi:[0,1]
	v_add_f32_e32 v9, v46, v9
	v_add_f32_e32 v8, v8, v9
	;; [unrolled: 1-line block ×3, first 2 shown]
	v_mul_f32_e32 v46, v45, v9
	v_mul_f32_e32 v10, v17, v46
	v_fma_f32 v12, v46, v17, -v10
	v_fmac_f32_e32 v12, v46, v44
	v_sub_f32_e32 v11, v11, v9
	v_add_f32_e32 v17, v8, v11
	v_add_f32_e32 v8, v10, v12
	v_sub_f32_e32 v11, v9, v8
	v_pk_add_f32 v[14:15], v[8:9], v[10:11] neg_lo:[0,1] neg_hi:[0,1]
	v_mov_b32_e32 v13, v8
	v_pk_add_f32 v[8:9], v[14:15], v[12:13] neg_lo:[0,1] neg_hi:[0,1]
	v_add_f32_e32 v9, v17, v9
	v_add_f32_e32 v8, v8, v9
	;; [unrolled: 1-line block ×4, first 2 shown]
	v_sub_f32_e32 v9, v11, v47
	v_mul_f32_e32 v8, v45, v8
	v_sub_f32_e32 v9, v46, v9
	v_add_f32_e32 v8, v9, v8
	v_add_f32_e32 v12, v11, v8
	v_mul_f32_e32 v14, v12, v12
	v_mov_b32_e32 v10, 0x3ecc95a3
	v_fmac_f32_e32 v10, 0x3e9b6dac, v14
	v_mov_b32_e32 v9, 0x3f2aaada
	v_fmac_f32_e32 v9, v14, v10
	v_cvt_f32_i32_e32 v10, v16
	v_sub_f32_e32 v11, v12, v11
	v_sub_f32_e32 v8, v8, v11
	v_ldexp_f32 v15, v8, 1
	v_mul_f32_e32 v11, v12, v14
	v_mov_b32_e32 v8, 0x3f317218
	s_mov_b32 s36, 0x3f317218
	v_pk_mul_f32 v[8:9], v[10:11], v[8:9]
	v_ldexp_f32 v13, v12, 1
	v_fma_f32 v12, v10, s36, -v8
	v_fmac_f32_e32 v12, 0xb102e308, v10
	v_pk_add_f32 v[10:11], v[8:9], v[12:13]
	v_sub_f32_e32 v13, v11, v13
	v_sub_f32_e32 v13, v9, v13
	v_add_f32_e32 v15, v15, v13
	v_mov_b32_e32 v14, v8
	v_pk_add_f32 v[8:9], v[10:11], v[8:9] neg_lo:[0,1] neg_hi:[0,1]
	v_pk_add_f32 v[16:17], v[10:11], v[14:15]
	v_mov_b32_e32 v9, v17
	v_mov_b32_e32 v13, v10
	v_pk_add_f32 v[44:45], v[12:13], v[8:9] neg_lo:[0,1] neg_hi:[0,1]
	v_pk_add_f32 v[8:9], v[12:13], v[8:9]
	v_mov_b32_e32 v12, v9
	v_pk_add_f32 v[46:47], v[12:13], v[10:11] neg_lo:[0,1] neg_hi:[0,1]
	v_mov_b32_e32 v13, v46
	v_pk_add_f32 v[48:49], v[16:17], v[12:13] neg_lo:[0,1] neg_hi:[0,1]
	v_mov_b32_e32 v8, v17
	v_mov_b32_e32 v16, v11
	v_mov_b32_e32 v17, v46
	v_mov_b32_e32 v45, v9
	v_pk_add_f32 v[8:9], v[8:9], v[16:17] neg_lo:[0,1] neg_hi:[0,1]
	v_mov_b32_e32 v14, v15
	v_mov_b32_e32 v15, v10
	v_pk_add_f32 v[8:9], v[14:15], v[8:9] neg_lo:[0,1] neg_hi:[0,1]
	v_mov_b32_e32 v48, v44
	v_pk_add_f32 v[10:11], v[48:49], v[8:9]
	v_mov_b32_e32 v14, v11
	v_pk_add_f32 v[14:15], v[10:11], v[14:15]
	v_pk_add_f32 v[12:13], v[12:13], v[14:15]
	v_mov_b32_e32 v11, v12
	v_pk_add_f32 v[16:17], v[10:11], v[44:45] neg_lo:[0,1] neg_hi:[0,1]
	v_mov_b32_e32 v9, v14
	v_sub_f32_e32 v10, v10, v16
	v_pk_add_f32 v[8:9], v[8:9], v[16:17] neg_lo:[0,1] neg_hi:[0,1]
	v_sub_f32_e32 v10, v44, v10
	s_mov_b32 s37, 0x7f800000
	v_add_f32_e32 v8, v8, v10
	s_mov_b32 s36, 0x33800000
	v_add_f32_e32 v8, v8, v9
	v_cmp_eq_f32_e32 vcc, s37, v43
	v_cmp_lt_f32_e64 s[36:37], |v43|, s36
	v_add_f32_e32 v8, v12, v8
	s_or_b64 vcc, vcc, s[36:37]
	v_cndmask_b32_e32 v8, v8, v43, vcc
	v_add_f32_e32 v44, v7, v8
.LBB117_175:
	s_or_b64 exec, exec, s[30:31]
	v_mov_b32_e32 v7, v44
.LBB117_176:
	s_or_b64 exec, exec, s[34:35]
	v_max_f32_e32 v9, v7, v7
	s_waitcnt lgkmcnt(0)
	v_max_f32_e32 v10, v6, v6
	v_min_f32_e32 v8, v10, v9
	v_cmp_u_f32_e32 vcc, v6, v6
	v_max_f32_e32 v9, v10, v9
	v_cndmask_b32_e32 v8, v8, v6, vcc
	v_cmp_u_f32_e64 s[30:31], v7, v7
	v_cndmask_b32_e32 v9, v9, v6, vcc
	v_cndmask_b32_e64 v8, v8, v7, s[30:31]
	v_cndmask_b32_e64 v7, v9, v7, s[30:31]
	s_movk_i32 s34, 0x1f8
	v_cmp_neq_f32_e32 vcc, v8, v7
	v_cmp_class_f32_e64 s[30:31], v8, s34
	s_or_b64 s[36:37], vcc, s[30:31]
	s_and_saveexec_b64 s[30:31], s[36:37]
	s_cbranch_execz .LBB117_178
; %bb.177:
	v_sub_f32_e32 v6, v8, v7
	s_mov_b32 s35, 0x3fb8aa3b
	v_mul_f32_e32 v8, 0x3fb8aa3b, v6
	v_fma_f32 v9, v6, s35, -v8
	v_rndne_f32_e32 v10, v8
	v_fmac_f32_e32 v9, 0x32a5705f, v6
	v_sub_f32_e32 v8, v8, v10
	v_add_f32_e32 v8, v8, v9
	v_exp_f32_e32 v8, v8
	v_cvt_i32_f32_e32 v9, v10
	s_mov_b32 s35, 0xc2ce8ed0
	v_cmp_ngt_f32_e32 vcc, s35, v6
	s_mov_b32 s35, 0x42b17218
	v_ldexp_f32 v8, v8, v9
	v_cndmask_b32_e32 v8, 0, v8, vcc
	v_mov_b32_e32 v9, 0x7f800000
	v_cmp_nlt_f32_e32 vcc, s35, v6
	v_cndmask_b32_e32 v43, v9, v8, vcc
	v_add_f32_e32 v6, 1.0, v43
	v_add_f32_e32 v8, -1.0, v6
	v_sub_f32_e32 v9, v8, v6
	v_add_f32_e32 v9, 1.0, v9
	v_sub_f32_e32 v8, v43, v8
	v_add_f32_e32 v10, v8, v9
	v_frexp_mant_f32_e32 v11, v6
	s_mov_b32 s35, 0x3f2aaaab
	v_cvt_f64_f32_e32 v[8:9], v6
	v_frexp_exp_i32_f64_e32 v8, v[8:9]
	v_cmp_gt_f32_e32 vcc, s35, v11
	v_subbrev_co_u32_e32 v16, vcc, 0, v8, vcc
	v_sub_u32_e32 v8, 0, v16
	v_ldexp_f32 v6, v6, v8
	v_ldexp_f32 v8, v10, v8
	v_add_f32_e32 v10, -1.0, v6
	v_add_f32_e32 v9, 1.0, v10
	v_sub_f32_e32 v9, v6, v9
	v_add_f32_e32 v11, v8, v9
	v_add_f32_e32 v9, 1.0, v6
	v_add_f32_e32 v12, -1.0, v9
	v_sub_f32_e32 v6, v6, v12
	v_add_f32_e32 v6, v8, v6
	v_add_f32_e32 v17, v9, v6
	v_rcp_f32_e32 v44, v17
	v_sub_f32_e32 v8, v9, v17
	v_add_f32_e32 v9, v10, v11
	v_add_f32_e32 v6, v6, v8
	v_mul_f32_e32 v46, v9, v44
	v_sub_f32_e32 v8, v10, v9
	v_mul_f32_e32 v10, v17, v46
	v_fma_f32 v12, v46, v17, -v10
	v_fmac_f32_e32 v12, v46, v6
	v_add_f32_e32 v45, v11, v8
	v_add_f32_e32 v8, v10, v12
	v_sub_f32_e32 v11, v9, v8
	v_pk_add_f32 v[14:15], v[8:9], v[10:11] neg_lo:[0,1] neg_hi:[0,1]
	v_mov_b32_e32 v13, v8
	v_pk_add_f32 v[8:9], v[14:15], v[12:13] neg_lo:[0,1] neg_hi:[0,1]
	v_add_f32_e32 v9, v45, v9
	v_add_f32_e32 v8, v8, v9
	;; [unrolled: 1-line block ×3, first 2 shown]
	v_mul_f32_e32 v45, v44, v9
	v_mul_f32_e32 v10, v17, v45
	v_fma_f32 v12, v45, v17, -v10
	v_fmac_f32_e32 v12, v45, v6
	v_sub_f32_e32 v6, v11, v9
	v_add_f32_e32 v6, v8, v6
	v_add_f32_e32 v8, v10, v12
	v_sub_f32_e32 v11, v9, v8
	v_pk_add_f32 v[14:15], v[8:9], v[10:11] neg_lo:[0,1] neg_hi:[0,1]
	v_mov_b32_e32 v13, v8
	v_pk_add_f32 v[8:9], v[14:15], v[12:13] neg_lo:[0,1] neg_hi:[0,1]
	v_add_f32_e32 v6, v6, v9
	v_add_f32_e32 v6, v8, v6
	;; [unrolled: 1-line block ×4, first 2 shown]
	v_sub_f32_e32 v9, v8, v46
	v_mul_f32_e32 v6, v44, v6
	v_sub_f32_e32 v9, v45, v9
	v_add_f32_e32 v6, v9, v6
	v_add_f32_e32 v11, v8, v6
	v_mul_f32_e32 v12, v11, v11
	v_mov_b32_e32 v10, 0x3ecc95a3
	v_fmac_f32_e32 v10, 0x3e9b6dac, v12
	v_mov_b32_e32 v9, 0x3f2aaada
	v_fmac_f32_e32 v9, v12, v10
	v_cvt_f32_i32_e32 v10, v16
	v_sub_f32_e32 v8, v11, v8
	v_sub_f32_e32 v6, v6, v8
	v_ldexp_f32 v13, v11, 1
	v_mul_f32_e32 v11, v11, v12
	v_mov_b32_e32 v8, 0x3f317218
	s_mov_b32 s35, 0x3f317218
	v_pk_mul_f32 v[8:9], v[10:11], v[8:9]
	v_fma_f32 v12, v10, s35, -v8
	v_fmac_f32_e32 v12, 0xb102e308, v10
	v_pk_add_f32 v[10:11], v[8:9], v[12:13]
	v_sub_f32_e32 v13, v11, v13
	v_ldexp_f32 v6, v6, 1
	v_sub_f32_e32 v13, v9, v13
	v_add_f32_e32 v15, v6, v13
	v_mov_b32_e32 v14, v8
	v_pk_add_f32 v[8:9], v[10:11], v[8:9] neg_lo:[0,1] neg_hi:[0,1]
	v_pk_add_f32 v[16:17], v[10:11], v[14:15]
	v_mov_b32_e32 v9, v17
	v_mov_b32_e32 v13, v10
	v_pk_add_f32 v[44:45], v[12:13], v[8:9] neg_lo:[0,1] neg_hi:[0,1]
	v_pk_add_f32 v[8:9], v[12:13], v[8:9]
	v_mov_b32_e32 v6, v9
	v_pk_add_f32 v[12:13], v[6:7], v[10:11] neg_lo:[0,1] neg_hi:[0,1]
	v_mov_b32_e32 v13, v12
	v_pk_add_f32 v[46:47], v[16:17], v[12:13] neg_lo:[0,1] neg_hi:[0,1]
	v_mov_b32_e32 v8, v17
	v_mov_b32_e32 v16, v11
	;; [unrolled: 1-line block ×4, first 2 shown]
	v_pk_add_f32 v[8:9], v[8:9], v[16:17] neg_lo:[0,1] neg_hi:[0,1]
	v_mov_b32_e32 v12, v15
	v_mov_b32_e32 v13, v10
	v_pk_add_f32 v[8:9], v[12:13], v[8:9] neg_lo:[0,1] neg_hi:[0,1]
	v_mov_b32_e32 v46, v44
	v_pk_add_f32 v[10:11], v[46:47], v[8:9]
	v_mov_b32_e32 v12, v11
	v_pk_add_f32 v[12:13], v[10:11], v[12:13]
	v_pk_add_f32 v[14:15], v[6:7], v[12:13]
	v_mov_b32_e32 v11, v14
	v_pk_add_f32 v[16:17], v[10:11], v[44:45] neg_lo:[0,1] neg_hi:[0,1]
	v_mov_b32_e32 v9, v12
	v_sub_f32_e32 v6, v10, v16
	v_pk_add_f32 v[8:9], v[8:9], v[16:17] neg_lo:[0,1] neg_hi:[0,1]
	v_sub_f32_e32 v6, v44, v6
	s_mov_b32 s36, 0x7f800000
	v_add_f32_e32 v6, v8, v6
	s_mov_b32 s35, 0x33800000
	v_add_f32_e32 v6, v6, v9
	v_cmp_eq_f32_e32 vcc, s36, v43
	v_cmp_lt_f32_e64 s[36:37], |v43|, s35
	v_add_f32_e32 v6, v14, v6
	s_or_b64 vcc, vcc, s[36:37]
	v_cndmask_b32_e32 v6, v6, v43, vcc
	v_add_f32_e32 v6, v7, v6
.LBB117_178:
	s_or_b64 exec, exec, s[30:31]
	v_max_f32_e32 v7, v6, v6
	v_min_f32_e32 v8, v7, v18
	v_cmp_u_f32_e32 vcc, v6, v6
	v_max_f32_e32 v7, v7, v18
	v_cndmask_b32_e32 v8, v8, v6, vcc
	v_cndmask_b32_e32 v7, v7, v6, vcc
	v_cndmask_b32_e64 v9, v8, v3, s[4:5]
	v_cndmask_b32_e64 v8, v7, v3, s[4:5]
	v_cmp_neq_f32_e32 vcc, v9, v8
	v_cmp_class_f32_e64 s[4:5], v9, s34
	s_or_b64 s[30:31], vcc, s[4:5]
	v_mov_b32_e32 v7, v6
	s_and_saveexec_b64 s[4:5], s[30:31]
	s_cbranch_execz .LBB117_180
; %bb.179:
	v_sub_f32_e32 v7, v9, v8
	s_mov_b32 s30, 0x3fb8aa3b
	v_mul_f32_e32 v9, 0x3fb8aa3b, v7
	v_fma_f32 v10, v7, s30, -v9
	v_rndne_f32_e32 v11, v9
	v_fmac_f32_e32 v10, 0x32a5705f, v7
	v_sub_f32_e32 v9, v9, v11
	v_add_f32_e32 v9, v9, v10
	v_exp_f32_e32 v9, v9
	v_cvt_i32_f32_e32 v10, v11
	s_mov_b32 s30, 0xc2ce8ed0
	v_cmp_ngt_f32_e32 vcc, s30, v7
	s_mov_b32 s30, 0x42b17218
	v_ldexp_f32 v9, v9, v10
	v_cndmask_b32_e32 v9, 0, v9, vcc
	v_mov_b32_e32 v10, 0x7f800000
	v_cmp_nlt_f32_e32 vcc, s30, v7
	v_cndmask_b32_e32 v9, v10, v9, vcc
	v_add_f32_e32 v7, 1.0, v9
	v_add_f32_e32 v10, -1.0, v7
	v_sub_f32_e32 v11, v10, v7
	v_add_f32_e32 v11, 1.0, v11
	v_sub_f32_e32 v10, v9, v10
	v_add_f32_e32 v12, v10, v11
	v_frexp_mant_f32_e32 v13, v7
	s_mov_b32 s30, 0x3f2aaaab
	v_cvt_f64_f32_e32 v[10:11], v7
	v_frexp_exp_i32_f64_e32 v10, v[10:11]
	v_cmp_gt_f32_e32 vcc, s30, v13
	v_subbrev_co_u32_e32 v18, vcc, 0, v10, vcc
	v_sub_u32_e32 v10, 0, v18
	v_ldexp_f32 v7, v7, v10
	v_ldexp_f32 v10, v12, v10
	v_add_f32_e32 v12, -1.0, v7
	v_add_f32_e32 v11, 1.0, v12
	v_sub_f32_e32 v11, v7, v11
	v_add_f32_e32 v13, v10, v11
	v_add_f32_e32 v11, 1.0, v7
	v_add_f32_e32 v14, -1.0, v11
	v_sub_f32_e32 v7, v7, v14
	v_add_f32_e32 v7, v10, v7
	v_add_f32_e32 v43, v11, v7
	v_rcp_f32_e32 v44, v43
	v_sub_f32_e32 v10, v11, v43
	v_add_f32_e32 v11, v12, v13
	v_add_f32_e32 v7, v7, v10
	v_mul_f32_e32 v46, v11, v44
	v_sub_f32_e32 v10, v12, v11
	v_mul_f32_e32 v12, v43, v46
	v_fma_f32 v14, v46, v43, -v12
	v_fmac_f32_e32 v14, v46, v7
	v_add_f32_e32 v45, v13, v10
	v_add_f32_e32 v10, v12, v14
	v_sub_f32_e32 v13, v11, v10
	v_pk_add_f32 v[16:17], v[10:11], v[12:13] neg_lo:[0,1] neg_hi:[0,1]
	v_mov_b32_e32 v15, v10
	v_pk_add_f32 v[10:11], v[16:17], v[14:15] neg_lo:[0,1] neg_hi:[0,1]
	v_add_f32_e32 v11, v45, v11
	v_add_f32_e32 v10, v10, v11
	;; [unrolled: 1-line block ×3, first 2 shown]
	v_mul_f32_e32 v45, v44, v11
	v_mul_f32_e32 v12, v43, v45
	v_fma_f32 v14, v45, v43, -v12
	v_fmac_f32_e32 v14, v45, v7
	v_sub_f32_e32 v7, v13, v11
	v_add_f32_e32 v7, v10, v7
	v_add_f32_e32 v10, v12, v14
	v_sub_f32_e32 v13, v11, v10
	v_pk_add_f32 v[16:17], v[10:11], v[12:13] neg_lo:[0,1] neg_hi:[0,1]
	v_mov_b32_e32 v15, v10
	v_pk_add_f32 v[10:11], v[16:17], v[14:15] neg_lo:[0,1] neg_hi:[0,1]
	v_add_f32_e32 v7, v7, v11
	v_add_f32_e32 v7, v10, v7
	;; [unrolled: 1-line block ×4, first 2 shown]
	v_sub_f32_e32 v11, v10, v46
	v_mul_f32_e32 v7, v44, v7
	v_sub_f32_e32 v11, v45, v11
	v_add_f32_e32 v7, v11, v7
	v_add_f32_e32 v13, v10, v7
	v_mul_f32_e32 v14, v13, v13
	v_mov_b32_e32 v12, 0x3ecc95a3
	v_fmac_f32_e32 v12, 0x3e9b6dac, v14
	v_mov_b32_e32 v11, 0x3f2aaada
	v_fmac_f32_e32 v11, v14, v12
	v_cvt_f32_i32_e32 v12, v18
	v_sub_f32_e32 v10, v13, v10
	v_sub_f32_e32 v7, v7, v10
	v_ldexp_f32 v15, v13, 1
	v_mul_f32_e32 v13, v13, v14
	v_mov_b32_e32 v10, 0x3f317218
	s_mov_b32 s30, 0x3f317218
	v_pk_mul_f32 v[10:11], v[12:13], v[10:11]
	v_fma_f32 v14, v12, s30, -v10
	v_fmac_f32_e32 v14, 0xb102e308, v12
	v_pk_add_f32 v[12:13], v[10:11], v[14:15]
	v_sub_f32_e32 v15, v13, v15
	v_ldexp_f32 v7, v7, 1
	v_sub_f32_e32 v15, v11, v15
	v_add_f32_e32 v17, v7, v15
	v_mov_b32_e32 v16, v10
	v_pk_add_f32 v[10:11], v[12:13], v[10:11] neg_lo:[0,1] neg_hi:[0,1]
	v_pk_add_f32 v[44:45], v[12:13], v[16:17]
	v_mov_b32_e32 v11, v45
	v_mov_b32_e32 v15, v12
	v_pk_add_f32 v[46:47], v[14:15], v[10:11] neg_lo:[0,1] neg_hi:[0,1]
	v_pk_add_f32 v[10:11], v[14:15], v[10:11]
	v_mov_b32_e32 v14, v11
	v_pk_add_f32 v[48:49], v[14:15], v[12:13] neg_lo:[0,1] neg_hi:[0,1]
	v_mov_b32_e32 v7, v48
	v_pk_add_f32 v[50:51], v[44:45], v[6:7] neg_lo:[0,1] neg_hi:[0,1]
	v_mov_b32_e32 v10, v45
	v_mov_b32_e32 v44, v13
	;; [unrolled: 1-line block ×4, first 2 shown]
	v_pk_add_f32 v[10:11], v[10:11], v[44:45] neg_lo:[0,1] neg_hi:[0,1]
	v_mov_b32_e32 v16, v17
	v_mov_b32_e32 v17, v12
	v_pk_add_f32 v[10:11], v[16:17], v[10:11] neg_lo:[0,1] neg_hi:[0,1]
	v_mov_b32_e32 v50, v46
	v_pk_add_f32 v[12:13], v[50:51], v[10:11]
	v_mov_b32_e32 v16, v13
	v_pk_add_f32 v[16:17], v[12:13], v[16:17]
	v_pk_add_f32 v[14:15], v[14:15], v[16:17]
	v_mov_b32_e32 v13, v14
	v_pk_add_f32 v[44:45], v[12:13], v[46:47] neg_lo:[0,1] neg_hi:[0,1]
	v_mov_b32_e32 v11, v16
	v_sub_f32_e32 v7, v12, v44
	v_pk_add_f32 v[10:11], v[10:11], v[44:45] neg_lo:[0,1] neg_hi:[0,1]
	v_sub_f32_e32 v7, v46, v7
	s_mov_b32 s31, 0x7f800000
	v_add_f32_e32 v7, v10, v7
	s_mov_b32 s30, 0x33800000
	v_add_f32_e32 v7, v7, v11
	v_cmp_eq_f32_e32 vcc, s31, v9
	v_cmp_lt_f32_e64 s[30:31], |v9|, s30
	v_add_f32_e32 v7, v14, v7
	s_or_b64 vcc, vcc, s[30:31]
	v_cndmask_b32_e32 v7, v7, v9, vcc
	v_add_f32_e32 v7, v8, v7
.LBB117_180:
	s_or_b64 exec, exec, s[4:5]
	v_max_f32_e32 v8, v7, v7
	v_min_f32_e32 v9, v8, v19
	v_cmp_u_f32_e32 vcc, v7, v7
	v_max_f32_e32 v8, v8, v19
	v_cndmask_b32_e32 v9, v9, v7, vcc
	v_cndmask_b32_e32 v8, v8, v7, vcc
	v_cndmask_b32_e64 v10, v9, v4, s[6:7]
	v_cndmask_b32_e64 v9, v8, v4, s[6:7]
	s_movk_i32 s6, 0x1f8
	v_cmp_neq_f32_e32 vcc, v10, v9
	v_cmp_class_f32_e64 s[4:5], v10, s6
	s_or_b64 s[30:31], vcc, s[4:5]
	v_mov_b32_e32 v8, v7
	s_and_saveexec_b64 s[4:5], s[30:31]
	s_cbranch_execz .LBB117_182
; %bb.181:
	v_sub_f32_e32 v8, v10, v9
	s_mov_b32 s7, 0x3fb8aa3b
	v_mul_f32_e32 v10, 0x3fb8aa3b, v8
	v_fma_f32 v11, v8, s7, -v10
	v_rndne_f32_e32 v12, v10
	v_fmac_f32_e32 v11, 0x32a5705f, v8
	v_sub_f32_e32 v10, v10, v12
	v_add_f32_e32 v10, v10, v11
	v_exp_f32_e32 v10, v10
	v_cvt_i32_f32_e32 v11, v12
	s_mov_b32 s7, 0xc2ce8ed0
	v_cmp_ngt_f32_e32 vcc, s7, v8
	s_mov_b32 s7, 0x42b17218
	v_ldexp_f32 v10, v10, v11
	v_cndmask_b32_e32 v10, 0, v10, vcc
	v_mov_b32_e32 v11, 0x7f800000
	v_cmp_nlt_f32_e32 vcc, s7, v8
	v_cndmask_b32_e32 v43, v11, v10, vcc
	v_add_f32_e32 v8, 1.0, v43
	v_add_f32_e32 v10, -1.0, v8
	v_sub_f32_e32 v11, v10, v8
	v_add_f32_e32 v11, 1.0, v11
	v_sub_f32_e32 v10, v43, v10
	v_add_f32_e32 v12, v10, v11
	v_frexp_mant_f32_e32 v13, v8
	s_mov_b32 s7, 0x3f2aaaab
	v_cvt_f64_f32_e32 v[10:11], v8
	v_frexp_exp_i32_f64_e32 v10, v[10:11]
	v_cmp_gt_f32_e32 vcc, s7, v13
	v_subbrev_co_u32_e32 v18, vcc, 0, v10, vcc
	v_sub_u32_e32 v10, 0, v18
	v_ldexp_f32 v8, v8, v10
	v_ldexp_f32 v10, v12, v10
	v_add_f32_e32 v12, -1.0, v8
	v_add_f32_e32 v11, 1.0, v12
	v_sub_f32_e32 v11, v8, v11
	v_add_f32_e32 v13, v10, v11
	v_add_f32_e32 v11, 1.0, v8
	v_add_f32_e32 v14, -1.0, v11
	v_sub_f32_e32 v8, v8, v14
	v_add_f32_e32 v8, v10, v8
	v_add_f32_e32 v19, v11, v8
	v_rcp_f32_e32 v44, v19
	v_sub_f32_e32 v10, v11, v19
	v_add_f32_e32 v11, v12, v13
	v_add_f32_e32 v8, v8, v10
	v_mul_f32_e32 v46, v11, v44
	v_sub_f32_e32 v10, v12, v11
	v_mul_f32_e32 v12, v19, v46
	v_fma_f32 v14, v46, v19, -v12
	v_fmac_f32_e32 v14, v46, v8
	v_add_f32_e32 v45, v13, v10
	v_add_f32_e32 v10, v12, v14
	v_sub_f32_e32 v13, v11, v10
	v_pk_add_f32 v[16:17], v[10:11], v[12:13] neg_lo:[0,1] neg_hi:[0,1]
	v_mov_b32_e32 v15, v10
	v_pk_add_f32 v[10:11], v[16:17], v[14:15] neg_lo:[0,1] neg_hi:[0,1]
	v_add_f32_e32 v11, v45, v11
	v_add_f32_e32 v10, v10, v11
	;; [unrolled: 1-line block ×3, first 2 shown]
	v_mul_f32_e32 v45, v44, v11
	v_mul_f32_e32 v12, v19, v45
	v_fma_f32 v14, v45, v19, -v12
	v_fmac_f32_e32 v14, v45, v8
	v_sub_f32_e32 v8, v13, v11
	v_add_f32_e32 v8, v10, v8
	v_add_f32_e32 v10, v12, v14
	v_sub_f32_e32 v13, v11, v10
	v_pk_add_f32 v[16:17], v[10:11], v[12:13] neg_lo:[0,1] neg_hi:[0,1]
	v_mov_b32_e32 v15, v10
	v_pk_add_f32 v[10:11], v[16:17], v[14:15] neg_lo:[0,1] neg_hi:[0,1]
	v_add_f32_e32 v8, v8, v11
	v_add_f32_e32 v8, v10, v8
	;; [unrolled: 1-line block ×4, first 2 shown]
	v_sub_f32_e32 v11, v10, v46
	v_mul_f32_e32 v8, v44, v8
	v_sub_f32_e32 v11, v45, v11
	v_add_f32_e32 v8, v11, v8
	v_add_f32_e32 v13, v10, v8
	v_mul_f32_e32 v14, v13, v13
	v_mov_b32_e32 v12, 0x3ecc95a3
	v_fmac_f32_e32 v12, 0x3e9b6dac, v14
	v_mov_b32_e32 v11, 0x3f2aaada
	v_fmac_f32_e32 v11, v14, v12
	v_cvt_f32_i32_e32 v12, v18
	v_sub_f32_e32 v10, v13, v10
	v_sub_f32_e32 v8, v8, v10
	v_ldexp_f32 v15, v13, 1
	v_mul_f32_e32 v13, v13, v14
	v_mov_b32_e32 v10, 0x3f317218
	s_mov_b32 s7, 0x3f317218
	v_pk_mul_f32 v[10:11], v[12:13], v[10:11]
	v_fma_f32 v14, v12, s7, -v10
	v_fmac_f32_e32 v14, 0xb102e308, v12
	v_pk_add_f32 v[12:13], v[10:11], v[14:15]
	v_sub_f32_e32 v15, v13, v15
	v_ldexp_f32 v8, v8, 1
	v_sub_f32_e32 v15, v11, v15
	v_add_f32_e32 v17, v8, v15
	v_mov_b32_e32 v16, v10
	v_pk_add_f32 v[10:11], v[12:13], v[10:11] neg_lo:[0,1] neg_hi:[0,1]
	v_pk_add_f32 v[18:19], v[12:13], v[16:17]
	v_mov_b32_e32 v11, v19
	v_mov_b32_e32 v15, v12
	v_pk_add_f32 v[44:45], v[14:15], v[10:11] neg_lo:[0,1] neg_hi:[0,1]
	v_pk_add_f32 v[10:11], v[14:15], v[10:11]
	v_mov_b32_e32 v8, v11
	v_pk_add_f32 v[14:15], v[8:9], v[12:13] neg_lo:[0,1] neg_hi:[0,1]
	v_mov_b32_e32 v15, v14
	v_pk_add_f32 v[46:47], v[18:19], v[14:15] neg_lo:[0,1] neg_hi:[0,1]
	v_mov_b32_e32 v10, v19
	v_mov_b32_e32 v18, v13
	;; [unrolled: 1-line block ×4, first 2 shown]
	v_pk_add_f32 v[10:11], v[10:11], v[18:19] neg_lo:[0,1] neg_hi:[0,1]
	v_mov_b32_e32 v14, v17
	v_mov_b32_e32 v15, v12
	v_pk_add_f32 v[10:11], v[14:15], v[10:11] neg_lo:[0,1] neg_hi:[0,1]
	v_mov_b32_e32 v46, v44
	v_pk_add_f32 v[12:13], v[46:47], v[10:11]
	v_mov_b32_e32 v14, v13
	v_pk_add_f32 v[14:15], v[12:13], v[14:15]
	v_pk_add_f32 v[16:17], v[8:9], v[14:15]
	v_mov_b32_e32 v13, v16
	v_pk_add_f32 v[18:19], v[12:13], v[44:45] neg_lo:[0,1] neg_hi:[0,1]
	v_mov_b32_e32 v11, v14
	v_sub_f32_e32 v8, v12, v18
	v_pk_add_f32 v[10:11], v[10:11], v[18:19] neg_lo:[0,1] neg_hi:[0,1]
	v_sub_f32_e32 v8, v44, v8
	s_mov_b32 s30, 0x7f800000
	v_add_f32_e32 v8, v10, v8
	s_mov_b32 s7, 0x33800000
	v_add_f32_e32 v8, v8, v11
	v_cmp_eq_f32_e32 vcc, s30, v43
	v_cmp_lt_f32_e64 s[30:31], |v43|, s7
	v_add_f32_e32 v8, v16, v8
	s_or_b64 vcc, vcc, s[30:31]
	v_cndmask_b32_e32 v8, v8, v43, vcc
	v_add_f32_e32 v8, v9, v8
.LBB117_182:
	s_or_b64 exec, exec, s[4:5]
	v_max_f32_e32 v9, v8, v8
	v_min_f32_e32 v10, v9, v20
	v_cmp_u_f32_e32 vcc, v8, v8
	v_max_f32_e32 v9, v9, v20
	v_cndmask_b32_e32 v10, v10, v8, vcc
	v_cndmask_b32_e32 v9, v9, v8, vcc
	v_cndmask_b32_e64 v11, v10, v5, s[8:9]
	v_cndmask_b32_e64 v10, v9, v5, s[8:9]
	v_cmp_neq_f32_e32 vcc, v11, v10
	v_cmp_class_f32_e64 s[4:5], v11, s6
	s_or_b64 s[6:7], vcc, s[4:5]
	v_mov_b32_e32 v9, v8
	s_and_saveexec_b64 s[4:5], s[6:7]
	s_cbranch_execz .LBB117_184
; %bb.183:
	v_sub_f32_e32 v9, v11, v10
	s_mov_b32 s6, 0x3fb8aa3b
	v_mul_f32_e32 v11, 0x3fb8aa3b, v9
	v_fma_f32 v12, v9, s6, -v11
	v_rndne_f32_e32 v13, v11
	v_fmac_f32_e32 v12, 0x32a5705f, v9
	v_sub_f32_e32 v11, v11, v13
	v_add_f32_e32 v11, v11, v12
	v_exp_f32_e32 v11, v11
	v_cvt_i32_f32_e32 v12, v13
	s_mov_b32 s6, 0xc2ce8ed0
	v_cmp_ngt_f32_e32 vcc, s6, v9
	s_mov_b32 s6, 0x42b17218
	v_ldexp_f32 v11, v11, v12
	v_cndmask_b32_e32 v11, 0, v11, vcc
	v_mov_b32_e32 v12, 0x7f800000
	v_cmp_nlt_f32_e32 vcc, s6, v9
	v_cndmask_b32_e32 v11, v12, v11, vcc
	v_add_f32_e32 v9, 1.0, v11
	v_add_f32_e32 v12, -1.0, v9
	v_sub_f32_e32 v13, v12, v9
	v_add_f32_e32 v13, 1.0, v13
	v_sub_f32_e32 v12, v11, v12
	v_add_f32_e32 v14, v12, v13
	v_frexp_mant_f32_e32 v15, v9
	s_mov_b32 s6, 0x3f2aaaab
	v_cvt_f64_f32_e32 v[12:13], v9
	v_frexp_exp_i32_f64_e32 v12, v[12:13]
	v_cmp_gt_f32_e32 vcc, s6, v15
	v_subbrev_co_u32_e32 v20, vcc, 0, v12, vcc
	v_sub_u32_e32 v12, 0, v20
	v_ldexp_f32 v9, v9, v12
	v_ldexp_f32 v12, v14, v12
	v_add_f32_e32 v14, -1.0, v9
	v_add_f32_e32 v13, 1.0, v14
	v_sub_f32_e32 v13, v9, v13
	v_add_f32_e32 v15, v12, v13
	v_add_f32_e32 v13, 1.0, v9
	v_add_f32_e32 v16, -1.0, v13
	v_sub_f32_e32 v9, v9, v16
	v_add_f32_e32 v9, v12, v9
	v_add_f32_e32 v43, v13, v9
	v_rcp_f32_e32 v44, v43
	v_sub_f32_e32 v12, v13, v43
	v_add_f32_e32 v13, v14, v15
	v_add_f32_e32 v9, v9, v12
	v_mul_f32_e32 v46, v13, v44
	v_sub_f32_e32 v12, v14, v13
	v_mul_f32_e32 v14, v43, v46
	v_fma_f32 v16, v46, v43, -v14
	v_fmac_f32_e32 v16, v46, v9
	v_add_f32_e32 v45, v15, v12
	v_add_f32_e32 v12, v14, v16
	v_sub_f32_e32 v15, v13, v12
	v_pk_add_f32 v[18:19], v[12:13], v[14:15] neg_lo:[0,1] neg_hi:[0,1]
	v_mov_b32_e32 v17, v12
	v_pk_add_f32 v[12:13], v[18:19], v[16:17] neg_lo:[0,1] neg_hi:[0,1]
	v_add_f32_e32 v13, v45, v13
	v_add_f32_e32 v12, v12, v13
	;; [unrolled: 1-line block ×3, first 2 shown]
	v_mul_f32_e32 v45, v44, v13
	v_mul_f32_e32 v14, v43, v45
	v_fma_f32 v16, v45, v43, -v14
	v_fmac_f32_e32 v16, v45, v9
	v_sub_f32_e32 v9, v15, v13
	v_add_f32_e32 v9, v12, v9
	v_add_f32_e32 v12, v14, v16
	v_sub_f32_e32 v15, v13, v12
	v_pk_add_f32 v[18:19], v[12:13], v[14:15] neg_lo:[0,1] neg_hi:[0,1]
	v_mov_b32_e32 v17, v12
	v_pk_add_f32 v[12:13], v[18:19], v[16:17] neg_lo:[0,1] neg_hi:[0,1]
	v_add_f32_e32 v9, v9, v13
	v_add_f32_e32 v9, v12, v9
	;; [unrolled: 1-line block ×4, first 2 shown]
	v_sub_f32_e32 v13, v12, v46
	v_mul_f32_e32 v9, v44, v9
	v_sub_f32_e32 v13, v45, v13
	v_add_f32_e32 v9, v13, v9
	v_add_f32_e32 v15, v12, v9
	v_mul_f32_e32 v16, v15, v15
	v_mov_b32_e32 v14, 0x3ecc95a3
	v_fmac_f32_e32 v14, 0x3e9b6dac, v16
	v_mov_b32_e32 v13, 0x3f2aaada
	v_fmac_f32_e32 v13, v16, v14
	v_cvt_f32_i32_e32 v14, v20
	v_sub_f32_e32 v12, v15, v12
	v_sub_f32_e32 v9, v9, v12
	v_ldexp_f32 v17, v15, 1
	v_mul_f32_e32 v15, v15, v16
	v_mov_b32_e32 v12, 0x3f317218
	s_mov_b32 s6, 0x3f317218
	v_pk_mul_f32 v[12:13], v[14:15], v[12:13]
	v_fma_f32 v16, v14, s6, -v12
	v_fmac_f32_e32 v16, 0xb102e308, v14
	v_pk_add_f32 v[14:15], v[12:13], v[16:17]
	v_sub_f32_e32 v17, v15, v17
	v_ldexp_f32 v9, v9, 1
	v_sub_f32_e32 v17, v13, v17
	v_add_f32_e32 v19, v9, v17
	v_mov_b32_e32 v18, v12
	v_pk_add_f32 v[12:13], v[14:15], v[12:13] neg_lo:[0,1] neg_hi:[0,1]
	v_pk_add_f32 v[44:45], v[14:15], v[18:19]
	v_mov_b32_e32 v13, v45
	v_mov_b32_e32 v17, v14
	v_pk_add_f32 v[46:47], v[16:17], v[12:13] neg_lo:[0,1] neg_hi:[0,1]
	v_pk_add_f32 v[12:13], v[16:17], v[12:13]
	v_mov_b32_e32 v16, v13
	v_pk_add_f32 v[48:49], v[16:17], v[14:15] neg_lo:[0,1] neg_hi:[0,1]
	v_mov_b32_e32 v9, v48
	v_pk_add_f32 v[50:51], v[44:45], v[8:9] neg_lo:[0,1] neg_hi:[0,1]
	v_mov_b32_e32 v12, v45
	v_mov_b32_e32 v44, v15
	;; [unrolled: 1-line block ×4, first 2 shown]
	v_pk_add_f32 v[12:13], v[12:13], v[44:45] neg_lo:[0,1] neg_hi:[0,1]
	v_mov_b32_e32 v18, v19
	v_mov_b32_e32 v19, v14
	v_pk_add_f32 v[12:13], v[18:19], v[12:13] neg_lo:[0,1] neg_hi:[0,1]
	v_mov_b32_e32 v50, v46
	v_pk_add_f32 v[14:15], v[50:51], v[12:13]
	v_mov_b32_e32 v18, v15
	v_pk_add_f32 v[18:19], v[14:15], v[18:19]
	v_pk_add_f32 v[16:17], v[16:17], v[18:19]
	v_mov_b32_e32 v15, v16
	v_pk_add_f32 v[44:45], v[14:15], v[46:47] neg_lo:[0,1] neg_hi:[0,1]
	v_mov_b32_e32 v13, v18
	v_sub_f32_e32 v9, v14, v44
	v_pk_add_f32 v[12:13], v[12:13], v[44:45] neg_lo:[0,1] neg_hi:[0,1]
	v_sub_f32_e32 v9, v46, v9
	s_mov_b32 s7, 0x7f800000
	v_add_f32_e32 v9, v12, v9
	s_mov_b32 s6, 0x33800000
	v_add_f32_e32 v9, v9, v13
	v_cmp_eq_f32_e32 vcc, s7, v11
	v_cmp_lt_f32_e64 s[6:7], |v11|, s6
	v_add_f32_e32 v9, v16, v9
	s_or_b64 vcc, vcc, s[6:7]
	v_cndmask_b32_e32 v9, v9, v11, vcc
	v_add_f32_e32 v9, v10, v9
.LBB117_184:
	s_or_b64 exec, exec, s[4:5]
	v_max_f32_e32 v10, v9, v9
	v_min_f32_e32 v11, v10, v21
	v_cmp_u_f32_e32 vcc, v9, v9
	v_max_f32_e32 v10, v10, v21
	v_cndmask_b32_e32 v11, v11, v9, vcc
	v_cndmask_b32_e32 v10, v10, v9, vcc
	v_cndmask_b32_e64 v12, v11, v26, s[10:11]
	v_cndmask_b32_e64 v11, v10, v26, s[10:11]
	s_movk_i32 s6, 0x1f8
	v_cmp_neq_f32_e32 vcc, v12, v11
	v_cmp_class_f32_e64 s[4:5], v12, s6
	s_or_b64 s[8:9], vcc, s[4:5]
	v_mov_b32_e32 v10, v9
	s_and_saveexec_b64 s[4:5], s[8:9]
	s_cbranch_execz .LBB117_186
; %bb.185:
	v_sub_f32_e32 v10, v12, v11
	s_mov_b32 s7, 0x3fb8aa3b
	v_mul_f32_e32 v12, 0x3fb8aa3b, v10
	v_fma_f32 v13, v10, s7, -v12
	v_rndne_f32_e32 v14, v12
	v_fmac_f32_e32 v13, 0x32a5705f, v10
	v_sub_f32_e32 v12, v12, v14
	v_add_f32_e32 v12, v12, v13
	v_exp_f32_e32 v12, v12
	v_cvt_i32_f32_e32 v13, v14
	s_mov_b32 s7, 0xc2ce8ed0
	v_cmp_ngt_f32_e32 vcc, s7, v10
	s_mov_b32 s7, 0x42b17218
	v_ldexp_f32 v12, v12, v13
	v_cndmask_b32_e32 v12, 0, v12, vcc
	v_mov_b32_e32 v13, 0x7f800000
	v_cmp_nlt_f32_e32 vcc, s7, v10
	v_cndmask_b32_e32 v43, v13, v12, vcc
	v_add_f32_e32 v10, 1.0, v43
	v_add_f32_e32 v12, -1.0, v10
	v_sub_f32_e32 v13, v12, v10
	v_add_f32_e32 v13, 1.0, v13
	v_sub_f32_e32 v12, v43, v12
	v_add_f32_e32 v14, v12, v13
	v_frexp_mant_f32_e32 v15, v10
	s_mov_b32 s7, 0x3f2aaaab
	v_cvt_f64_f32_e32 v[12:13], v10
	v_frexp_exp_i32_f64_e32 v12, v[12:13]
	v_cmp_gt_f32_e32 vcc, s7, v15
	v_subbrev_co_u32_e32 v20, vcc, 0, v12, vcc
	v_sub_u32_e32 v12, 0, v20
	v_ldexp_f32 v10, v10, v12
	v_ldexp_f32 v12, v14, v12
	v_add_f32_e32 v14, -1.0, v10
	v_add_f32_e32 v13, 1.0, v14
	v_sub_f32_e32 v13, v10, v13
	v_add_f32_e32 v15, v12, v13
	v_add_f32_e32 v13, 1.0, v10
	v_add_f32_e32 v16, -1.0, v13
	v_sub_f32_e32 v10, v10, v16
	v_add_f32_e32 v10, v12, v10
	v_add_f32_e32 v21, v13, v10
	v_rcp_f32_e32 v44, v21
	v_sub_f32_e32 v12, v13, v21
	v_add_f32_e32 v13, v14, v15
	v_add_f32_e32 v10, v10, v12
	v_mul_f32_e32 v46, v13, v44
	v_sub_f32_e32 v12, v14, v13
	v_mul_f32_e32 v14, v21, v46
	v_fma_f32 v16, v46, v21, -v14
	v_fmac_f32_e32 v16, v46, v10
	v_add_f32_e32 v45, v15, v12
	v_add_f32_e32 v12, v14, v16
	v_sub_f32_e32 v15, v13, v12
	v_pk_add_f32 v[18:19], v[12:13], v[14:15] neg_lo:[0,1] neg_hi:[0,1]
	v_mov_b32_e32 v17, v12
	v_pk_add_f32 v[12:13], v[18:19], v[16:17] neg_lo:[0,1] neg_hi:[0,1]
	v_add_f32_e32 v13, v45, v13
	v_add_f32_e32 v12, v12, v13
	;; [unrolled: 1-line block ×3, first 2 shown]
	v_mul_f32_e32 v45, v44, v13
	v_mul_f32_e32 v14, v21, v45
	v_fma_f32 v16, v45, v21, -v14
	v_fmac_f32_e32 v16, v45, v10
	v_sub_f32_e32 v10, v15, v13
	v_add_f32_e32 v10, v12, v10
	v_add_f32_e32 v12, v14, v16
	v_sub_f32_e32 v15, v13, v12
	v_pk_add_f32 v[18:19], v[12:13], v[14:15] neg_lo:[0,1] neg_hi:[0,1]
	v_mov_b32_e32 v17, v12
	v_pk_add_f32 v[12:13], v[18:19], v[16:17] neg_lo:[0,1] neg_hi:[0,1]
	v_add_f32_e32 v10, v10, v13
	v_add_f32_e32 v10, v12, v10
	;; [unrolled: 1-line block ×4, first 2 shown]
	v_sub_f32_e32 v13, v12, v46
	v_mul_f32_e32 v10, v44, v10
	v_sub_f32_e32 v13, v45, v13
	v_add_f32_e32 v10, v13, v10
	v_add_f32_e32 v15, v12, v10
	v_mul_f32_e32 v16, v15, v15
	v_mov_b32_e32 v14, 0x3ecc95a3
	v_fmac_f32_e32 v14, 0x3e9b6dac, v16
	v_mov_b32_e32 v13, 0x3f2aaada
	v_fmac_f32_e32 v13, v16, v14
	v_cvt_f32_i32_e32 v14, v20
	v_sub_f32_e32 v12, v15, v12
	v_sub_f32_e32 v10, v10, v12
	v_ldexp_f32 v17, v15, 1
	v_mul_f32_e32 v15, v15, v16
	v_mov_b32_e32 v12, 0x3f317218
	s_mov_b32 s7, 0x3f317218
	v_pk_mul_f32 v[12:13], v[14:15], v[12:13]
	v_fma_f32 v16, v14, s7, -v12
	v_fmac_f32_e32 v16, 0xb102e308, v14
	v_pk_add_f32 v[14:15], v[12:13], v[16:17]
	v_sub_f32_e32 v17, v15, v17
	v_ldexp_f32 v10, v10, 1
	v_sub_f32_e32 v17, v13, v17
	v_add_f32_e32 v19, v10, v17
	v_mov_b32_e32 v18, v12
	v_pk_add_f32 v[12:13], v[14:15], v[12:13] neg_lo:[0,1] neg_hi:[0,1]
	v_pk_add_f32 v[20:21], v[14:15], v[18:19]
	v_mov_b32_e32 v13, v21
	v_mov_b32_e32 v17, v14
	v_pk_add_f32 v[44:45], v[16:17], v[12:13] neg_lo:[0,1] neg_hi:[0,1]
	v_pk_add_f32 v[12:13], v[16:17], v[12:13]
	v_mov_b32_e32 v10, v13
	v_pk_add_f32 v[16:17], v[10:11], v[14:15] neg_lo:[0,1] neg_hi:[0,1]
	v_mov_b32_e32 v17, v16
	v_pk_add_f32 v[46:47], v[20:21], v[16:17] neg_lo:[0,1] neg_hi:[0,1]
	v_mov_b32_e32 v12, v21
	v_mov_b32_e32 v20, v15
	;; [unrolled: 1-line block ×4, first 2 shown]
	v_pk_add_f32 v[12:13], v[12:13], v[20:21] neg_lo:[0,1] neg_hi:[0,1]
	v_mov_b32_e32 v16, v19
	v_mov_b32_e32 v17, v14
	v_pk_add_f32 v[12:13], v[16:17], v[12:13] neg_lo:[0,1] neg_hi:[0,1]
	v_mov_b32_e32 v46, v44
	v_pk_add_f32 v[14:15], v[46:47], v[12:13]
	v_mov_b32_e32 v16, v15
	v_pk_add_f32 v[16:17], v[14:15], v[16:17]
	v_pk_add_f32 v[18:19], v[10:11], v[16:17]
	v_mov_b32_e32 v15, v18
	v_pk_add_f32 v[20:21], v[14:15], v[44:45] neg_lo:[0,1] neg_hi:[0,1]
	v_mov_b32_e32 v13, v16
	v_sub_f32_e32 v10, v14, v20
	v_pk_add_f32 v[12:13], v[12:13], v[20:21] neg_lo:[0,1] neg_hi:[0,1]
	v_sub_f32_e32 v10, v44, v10
	s_mov_b32 s8, 0x7f800000
	v_add_f32_e32 v10, v12, v10
	s_mov_b32 s7, 0x33800000
	v_add_f32_e32 v10, v10, v13
	v_cmp_eq_f32_e32 vcc, s8, v43
	v_cmp_lt_f32_e64 s[8:9], |v43|, s7
	v_add_f32_e32 v10, v18, v10
	s_or_b64 vcc, vcc, s[8:9]
	v_cndmask_b32_e32 v10, v10, v43, vcc
	v_add_f32_e32 v10, v11, v10
.LBB117_186:
	s_or_b64 exec, exec, s[4:5]
	v_max_f32_e32 v11, v10, v10
	v_min_f32_e32 v12, v11, v34
	v_cmp_u_f32_e32 vcc, v10, v10
	v_max_f32_e32 v11, v11, v34
	v_cndmask_b32_e32 v12, v12, v10, vcc
	v_cndmask_b32_e32 v11, v11, v10, vcc
	v_cndmask_b32_e64 v13, v12, v27, s[12:13]
	v_cndmask_b32_e64 v12, v11, v27, s[12:13]
	v_cmp_neq_f32_e32 vcc, v13, v12
	v_cmp_class_f32_e64 s[4:5], v13, s6
	s_or_b64 s[6:7], vcc, s[4:5]
	v_mov_b32_e32 v11, v10
	s_and_saveexec_b64 s[4:5], s[6:7]
	s_cbranch_execz .LBB117_188
; %bb.187:
	v_sub_f32_e32 v11, v13, v12
	s_mov_b32 s6, 0x3fb8aa3b
	v_mul_f32_e32 v13, 0x3fb8aa3b, v11
	v_fma_f32 v14, v11, s6, -v13
	v_rndne_f32_e32 v15, v13
	v_fmac_f32_e32 v14, 0x32a5705f, v11
	v_sub_f32_e32 v13, v13, v15
	v_add_f32_e32 v13, v13, v14
	v_exp_f32_e32 v13, v13
	v_cvt_i32_f32_e32 v14, v15
	s_mov_b32 s6, 0xc2ce8ed0
	v_cmp_ngt_f32_e32 vcc, s6, v11
	s_mov_b32 s6, 0x42b17218
	v_ldexp_f32 v13, v13, v14
	v_cndmask_b32_e32 v13, 0, v13, vcc
	v_mov_b32_e32 v14, 0x7f800000
	v_cmp_nlt_f32_e32 vcc, s6, v11
	v_cndmask_b32_e32 v13, v14, v13, vcc
	v_add_f32_e32 v11, 1.0, v13
	v_add_f32_e32 v14, -1.0, v11
	v_sub_f32_e32 v15, v14, v11
	v_add_f32_e32 v15, 1.0, v15
	v_sub_f32_e32 v14, v13, v14
	v_add_f32_e32 v16, v14, v15
	v_frexp_mant_f32_e32 v17, v11
	s_mov_b32 s6, 0x3f2aaaab
	v_cvt_f64_f32_e32 v[14:15], v11
	v_frexp_exp_i32_f64_e32 v14, v[14:15]
	v_cmp_gt_f32_e32 vcc, s6, v17
	v_subbrev_co_u32_e32 v34, vcc, 0, v14, vcc
	v_sub_u32_e32 v14, 0, v34
	v_ldexp_f32 v11, v11, v14
	v_ldexp_f32 v14, v16, v14
	v_add_f32_e32 v16, -1.0, v11
	v_add_f32_e32 v15, 1.0, v16
	v_sub_f32_e32 v15, v11, v15
	v_add_f32_e32 v17, v14, v15
	v_add_f32_e32 v15, 1.0, v11
	v_add_f32_e32 v18, -1.0, v15
	v_sub_f32_e32 v11, v11, v18
	v_add_f32_e32 v11, v14, v11
	v_add_f32_e32 v43, v15, v11
	v_rcp_f32_e32 v44, v43
	v_sub_f32_e32 v14, v15, v43
	v_add_f32_e32 v15, v16, v17
	v_add_f32_e32 v11, v11, v14
	v_mul_f32_e32 v46, v15, v44
	v_sub_f32_e32 v14, v16, v15
	v_mul_f32_e32 v16, v43, v46
	v_fma_f32 v18, v46, v43, -v16
	v_fmac_f32_e32 v18, v46, v11
	v_add_f32_e32 v45, v17, v14
	v_add_f32_e32 v14, v16, v18
	v_sub_f32_e32 v17, v15, v14
	v_pk_add_f32 v[20:21], v[14:15], v[16:17] neg_lo:[0,1] neg_hi:[0,1]
	v_mov_b32_e32 v19, v14
	v_pk_add_f32 v[14:15], v[20:21], v[18:19] neg_lo:[0,1] neg_hi:[0,1]
	v_add_f32_e32 v15, v45, v15
	v_add_f32_e32 v14, v14, v15
	;; [unrolled: 1-line block ×3, first 2 shown]
	v_mul_f32_e32 v45, v44, v15
	v_mul_f32_e32 v16, v43, v45
	v_fma_f32 v18, v45, v43, -v16
	v_fmac_f32_e32 v18, v45, v11
	v_sub_f32_e32 v11, v17, v15
	v_add_f32_e32 v11, v14, v11
	v_add_f32_e32 v14, v16, v18
	v_sub_f32_e32 v17, v15, v14
	v_pk_add_f32 v[20:21], v[14:15], v[16:17] neg_lo:[0,1] neg_hi:[0,1]
	v_mov_b32_e32 v19, v14
	v_pk_add_f32 v[14:15], v[20:21], v[18:19] neg_lo:[0,1] neg_hi:[0,1]
	v_add_f32_e32 v11, v11, v15
	v_add_f32_e32 v11, v14, v11
	;; [unrolled: 1-line block ×4, first 2 shown]
	v_sub_f32_e32 v15, v14, v46
	v_mul_f32_e32 v11, v44, v11
	v_sub_f32_e32 v15, v45, v15
	v_add_f32_e32 v11, v15, v11
	v_add_f32_e32 v17, v14, v11
	v_mul_f32_e32 v18, v17, v17
	v_mov_b32_e32 v16, 0x3ecc95a3
	v_fmac_f32_e32 v16, 0x3e9b6dac, v18
	v_mov_b32_e32 v15, 0x3f2aaada
	v_fmac_f32_e32 v15, v18, v16
	v_cvt_f32_i32_e32 v16, v34
	v_sub_f32_e32 v14, v17, v14
	v_sub_f32_e32 v11, v11, v14
	v_ldexp_f32 v19, v17, 1
	v_mul_f32_e32 v17, v17, v18
	v_mov_b32_e32 v14, 0x3f317218
	s_mov_b32 s6, 0x3f317218
	v_pk_mul_f32 v[14:15], v[16:17], v[14:15]
	v_fma_f32 v18, v16, s6, -v14
	v_fmac_f32_e32 v18, 0xb102e308, v16
	v_pk_add_f32 v[16:17], v[14:15], v[18:19]
	v_sub_f32_e32 v19, v17, v19
	v_ldexp_f32 v11, v11, 1
	v_sub_f32_e32 v19, v15, v19
	v_add_f32_e32 v21, v11, v19
	v_mov_b32_e32 v20, v14
	v_pk_add_f32 v[14:15], v[16:17], v[14:15] neg_lo:[0,1] neg_hi:[0,1]
	v_pk_add_f32 v[44:45], v[16:17], v[20:21]
	v_mov_b32_e32 v15, v45
	v_mov_b32_e32 v19, v16
	v_pk_add_f32 v[46:47], v[18:19], v[14:15] neg_lo:[0,1] neg_hi:[0,1]
	v_pk_add_f32 v[14:15], v[18:19], v[14:15]
	v_mov_b32_e32 v18, v15
	v_pk_add_f32 v[48:49], v[18:19], v[16:17] neg_lo:[0,1] neg_hi:[0,1]
	v_mov_b32_e32 v11, v48
	v_pk_add_f32 v[50:51], v[44:45], v[10:11] neg_lo:[0,1] neg_hi:[0,1]
	v_mov_b32_e32 v14, v45
	v_mov_b32_e32 v44, v17
	;; [unrolled: 1-line block ×4, first 2 shown]
	v_pk_add_f32 v[14:15], v[14:15], v[44:45] neg_lo:[0,1] neg_hi:[0,1]
	v_mov_b32_e32 v20, v21
	v_mov_b32_e32 v21, v16
	v_pk_add_f32 v[14:15], v[20:21], v[14:15] neg_lo:[0,1] neg_hi:[0,1]
	v_mov_b32_e32 v50, v46
	v_pk_add_f32 v[16:17], v[50:51], v[14:15]
	v_mov_b32_e32 v20, v17
	v_pk_add_f32 v[20:21], v[16:17], v[20:21]
	v_pk_add_f32 v[18:19], v[18:19], v[20:21]
	v_mov_b32_e32 v17, v18
	v_pk_add_f32 v[44:45], v[16:17], v[46:47] neg_lo:[0,1] neg_hi:[0,1]
	v_mov_b32_e32 v15, v20
	v_sub_f32_e32 v11, v16, v44
	v_pk_add_f32 v[14:15], v[14:15], v[44:45] neg_lo:[0,1] neg_hi:[0,1]
	v_sub_f32_e32 v11, v46, v11
	s_mov_b32 s7, 0x7f800000
	v_add_f32_e32 v11, v14, v11
	s_mov_b32 s6, 0x33800000
	v_add_f32_e32 v11, v11, v15
	v_cmp_eq_f32_e32 vcc, s7, v13
	v_cmp_lt_f32_e64 s[6:7], |v13|, s6
	v_add_f32_e32 v11, v18, v11
	s_or_b64 vcc, vcc, s[6:7]
	v_cndmask_b32_e32 v11, v11, v13, vcc
	v_add_f32_e32 v11, v12, v11
.LBB117_188:
	s_or_b64 exec, exec, s[4:5]
	v_max_f32_e32 v12, v11, v11
	v_min_f32_e32 v13, v12, v35
	v_cmp_u_f32_e32 vcc, v11, v11
	v_max_f32_e32 v12, v12, v35
	v_cndmask_b32_e32 v13, v13, v11, vcc
	v_cndmask_b32_e32 v12, v12, v11, vcc
	v_cndmask_b32_e64 v14, v13, v28, s[14:15]
	v_cndmask_b32_e64 v13, v12, v28, s[14:15]
	s_movk_i32 s6, 0x1f8
	v_cmp_neq_f32_e32 vcc, v14, v13
	v_cmp_class_f32_e64 s[4:5], v14, s6
	s_or_b64 s[8:9], vcc, s[4:5]
	v_mov_b32_e32 v12, v11
	s_and_saveexec_b64 s[4:5], s[8:9]
	s_cbranch_execz .LBB117_190
; %bb.189:
	v_sub_f32_e32 v12, v14, v13
	s_mov_b32 s7, 0x3fb8aa3b
	v_mul_f32_e32 v14, 0x3fb8aa3b, v12
	v_fma_f32 v15, v12, s7, -v14
	v_rndne_f32_e32 v16, v14
	v_fmac_f32_e32 v15, 0x32a5705f, v12
	v_sub_f32_e32 v14, v14, v16
	v_add_f32_e32 v14, v14, v15
	v_exp_f32_e32 v14, v14
	v_cvt_i32_f32_e32 v15, v16
	s_mov_b32 s7, 0xc2ce8ed0
	v_cmp_ngt_f32_e32 vcc, s7, v12
	s_mov_b32 s7, 0x42b17218
	v_ldexp_f32 v14, v14, v15
	v_cndmask_b32_e32 v14, 0, v14, vcc
	v_mov_b32_e32 v15, 0x7f800000
	v_cmp_nlt_f32_e32 vcc, s7, v12
	v_cndmask_b32_e32 v43, v15, v14, vcc
	v_add_f32_e32 v12, 1.0, v43
	v_add_f32_e32 v14, -1.0, v12
	v_sub_f32_e32 v15, v14, v12
	v_add_f32_e32 v15, 1.0, v15
	v_sub_f32_e32 v14, v43, v14
	v_add_f32_e32 v16, v14, v15
	v_frexp_mant_f32_e32 v17, v12
	s_mov_b32 s7, 0x3f2aaaab
	v_cvt_f64_f32_e32 v[14:15], v12
	v_frexp_exp_i32_f64_e32 v14, v[14:15]
	v_cmp_gt_f32_e32 vcc, s7, v17
	v_subbrev_co_u32_e32 v34, vcc, 0, v14, vcc
	v_sub_u32_e32 v14, 0, v34
	v_ldexp_f32 v12, v12, v14
	v_ldexp_f32 v14, v16, v14
	v_add_f32_e32 v16, -1.0, v12
	v_add_f32_e32 v15, 1.0, v16
	v_sub_f32_e32 v15, v12, v15
	v_add_f32_e32 v17, v14, v15
	v_add_f32_e32 v15, 1.0, v12
	v_add_f32_e32 v18, -1.0, v15
	v_sub_f32_e32 v12, v12, v18
	v_add_f32_e32 v12, v14, v12
	v_add_f32_e32 v35, v15, v12
	v_rcp_f32_e32 v44, v35
	v_sub_f32_e32 v14, v15, v35
	v_add_f32_e32 v15, v16, v17
	v_add_f32_e32 v12, v12, v14
	v_mul_f32_e32 v46, v15, v44
	v_sub_f32_e32 v14, v16, v15
	v_mul_f32_e32 v16, v35, v46
	v_fma_f32 v18, v46, v35, -v16
	v_fmac_f32_e32 v18, v46, v12
	v_add_f32_e32 v45, v17, v14
	v_add_f32_e32 v14, v16, v18
	v_sub_f32_e32 v17, v15, v14
	v_pk_add_f32 v[20:21], v[14:15], v[16:17] neg_lo:[0,1] neg_hi:[0,1]
	v_mov_b32_e32 v19, v14
	v_pk_add_f32 v[14:15], v[20:21], v[18:19] neg_lo:[0,1] neg_hi:[0,1]
	v_add_f32_e32 v15, v45, v15
	v_add_f32_e32 v14, v14, v15
	;; [unrolled: 1-line block ×3, first 2 shown]
	v_mul_f32_e32 v45, v44, v15
	v_mul_f32_e32 v16, v35, v45
	v_fma_f32 v18, v45, v35, -v16
	v_fmac_f32_e32 v18, v45, v12
	v_sub_f32_e32 v12, v17, v15
	v_add_f32_e32 v12, v14, v12
	v_add_f32_e32 v14, v16, v18
	v_sub_f32_e32 v17, v15, v14
	v_pk_add_f32 v[20:21], v[14:15], v[16:17] neg_lo:[0,1] neg_hi:[0,1]
	v_mov_b32_e32 v19, v14
	v_pk_add_f32 v[14:15], v[20:21], v[18:19] neg_lo:[0,1] neg_hi:[0,1]
	v_add_f32_e32 v12, v12, v15
	v_add_f32_e32 v12, v14, v12
	;; [unrolled: 1-line block ×4, first 2 shown]
	v_sub_f32_e32 v15, v14, v46
	v_mul_f32_e32 v12, v44, v12
	v_sub_f32_e32 v15, v45, v15
	v_add_f32_e32 v12, v15, v12
	v_add_f32_e32 v17, v14, v12
	v_mul_f32_e32 v18, v17, v17
	v_mov_b32_e32 v16, 0x3ecc95a3
	v_fmac_f32_e32 v16, 0x3e9b6dac, v18
	v_mov_b32_e32 v15, 0x3f2aaada
	v_fmac_f32_e32 v15, v18, v16
	v_cvt_f32_i32_e32 v16, v34
	v_sub_f32_e32 v14, v17, v14
	v_sub_f32_e32 v12, v12, v14
	v_ldexp_f32 v19, v17, 1
	v_mul_f32_e32 v17, v17, v18
	v_mov_b32_e32 v14, 0x3f317218
	s_mov_b32 s7, 0x3f317218
	v_pk_mul_f32 v[14:15], v[16:17], v[14:15]
	v_fma_f32 v18, v16, s7, -v14
	v_fmac_f32_e32 v18, 0xb102e308, v16
	v_pk_add_f32 v[16:17], v[14:15], v[18:19]
	v_sub_f32_e32 v19, v17, v19
	v_ldexp_f32 v12, v12, 1
	v_sub_f32_e32 v19, v15, v19
	v_add_f32_e32 v21, v12, v19
	v_mov_b32_e32 v20, v14
	v_pk_add_f32 v[14:15], v[16:17], v[14:15] neg_lo:[0,1] neg_hi:[0,1]
	v_pk_add_f32 v[34:35], v[16:17], v[20:21]
	v_mov_b32_e32 v15, v35
	v_mov_b32_e32 v19, v16
	v_pk_add_f32 v[44:45], v[18:19], v[14:15] neg_lo:[0,1] neg_hi:[0,1]
	v_pk_add_f32 v[14:15], v[18:19], v[14:15]
	v_mov_b32_e32 v12, v15
	v_pk_add_f32 v[18:19], v[12:13], v[16:17] neg_lo:[0,1] neg_hi:[0,1]
	v_mov_b32_e32 v19, v18
	v_pk_add_f32 v[46:47], v[34:35], v[18:19] neg_lo:[0,1] neg_hi:[0,1]
	v_mov_b32_e32 v14, v35
	v_mov_b32_e32 v34, v17
	;; [unrolled: 1-line block ×4, first 2 shown]
	v_pk_add_f32 v[14:15], v[14:15], v[34:35] neg_lo:[0,1] neg_hi:[0,1]
	v_mov_b32_e32 v18, v21
	v_mov_b32_e32 v19, v16
	v_pk_add_f32 v[14:15], v[18:19], v[14:15] neg_lo:[0,1] neg_hi:[0,1]
	v_mov_b32_e32 v46, v44
	v_pk_add_f32 v[16:17], v[46:47], v[14:15]
	v_mov_b32_e32 v18, v17
	v_pk_add_f32 v[18:19], v[16:17], v[18:19]
	v_pk_add_f32 v[20:21], v[12:13], v[18:19]
	v_mov_b32_e32 v17, v20
	v_pk_add_f32 v[34:35], v[16:17], v[44:45] neg_lo:[0,1] neg_hi:[0,1]
	v_mov_b32_e32 v15, v18
	v_sub_f32_e32 v12, v16, v34
	v_pk_add_f32 v[14:15], v[14:15], v[34:35] neg_lo:[0,1] neg_hi:[0,1]
	v_sub_f32_e32 v12, v44, v12
	s_mov_b32 s8, 0x7f800000
	v_add_f32_e32 v12, v14, v12
	s_mov_b32 s7, 0x33800000
	v_add_f32_e32 v12, v12, v15
	v_cmp_eq_f32_e32 vcc, s8, v43
	v_cmp_lt_f32_e64 s[8:9], |v43|, s7
	v_add_f32_e32 v12, v20, v12
	s_or_b64 vcc, vcc, s[8:9]
	v_cndmask_b32_e32 v12, v12, v43, vcc
	v_add_f32_e32 v12, v13, v12
.LBB117_190:
	s_or_b64 exec, exec, s[4:5]
	v_max_f32_e32 v13, v12, v12
	v_min_f32_e32 v14, v13, v36
	v_cmp_u_f32_e32 vcc, v12, v12
	v_max_f32_e32 v13, v13, v36
	v_cndmask_b32_e32 v14, v14, v12, vcc
	v_cndmask_b32_e32 v13, v13, v12, vcc
	v_cndmask_b32_e64 v15, v14, v29, s[16:17]
	v_cndmask_b32_e64 v14, v13, v29, s[16:17]
	v_cmp_neq_f32_e32 vcc, v15, v14
	v_cmp_class_f32_e64 s[4:5], v15, s6
	s_or_b64 s[6:7], vcc, s[4:5]
	v_mov_b32_e32 v13, v12
	s_and_saveexec_b64 s[4:5], s[6:7]
	s_cbranch_execz .LBB117_192
; %bb.191:
	v_sub_f32_e32 v13, v15, v14
	s_mov_b32 s6, 0x3fb8aa3b
	v_mul_f32_e32 v15, 0x3fb8aa3b, v13
	v_fma_f32 v16, v13, s6, -v15
	v_rndne_f32_e32 v17, v15
	v_fmac_f32_e32 v16, 0x32a5705f, v13
	v_sub_f32_e32 v15, v15, v17
	v_add_f32_e32 v15, v15, v16
	v_exp_f32_e32 v15, v15
	v_cvt_i32_f32_e32 v16, v17
	s_mov_b32 s6, 0xc2ce8ed0
	v_cmp_ngt_f32_e32 vcc, s6, v13
	s_mov_b32 s6, 0x42b17218
	v_ldexp_f32 v15, v15, v16
	v_cndmask_b32_e32 v15, 0, v15, vcc
	v_mov_b32_e32 v16, 0x7f800000
	v_cmp_nlt_f32_e32 vcc, s6, v13
	v_cndmask_b32_e32 v15, v16, v15, vcc
	v_add_f32_e32 v13, 1.0, v15
	v_add_f32_e32 v16, -1.0, v13
	v_sub_f32_e32 v17, v16, v13
	v_add_f32_e32 v17, 1.0, v17
	v_sub_f32_e32 v16, v15, v16
	v_add_f32_e32 v18, v16, v17
	v_frexp_mant_f32_e32 v19, v13
	s_mov_b32 s6, 0x3f2aaaab
	v_cvt_f64_f32_e32 v[16:17], v13
	v_frexp_exp_i32_f64_e32 v16, v[16:17]
	v_cmp_gt_f32_e32 vcc, s6, v19
	v_subbrev_co_u32_e32 v36, vcc, 0, v16, vcc
	v_sub_u32_e32 v16, 0, v36
	v_ldexp_f32 v13, v13, v16
	v_ldexp_f32 v16, v18, v16
	v_add_f32_e32 v18, -1.0, v13
	v_add_f32_e32 v17, 1.0, v18
	v_sub_f32_e32 v17, v13, v17
	v_add_f32_e32 v19, v16, v17
	v_add_f32_e32 v17, 1.0, v13
	v_add_f32_e32 v20, -1.0, v17
	v_sub_f32_e32 v13, v13, v20
	v_add_f32_e32 v13, v16, v13
	v_add_f32_e32 v43, v17, v13
	v_rcp_f32_e32 v44, v43
	v_sub_f32_e32 v16, v17, v43
	v_add_f32_e32 v17, v18, v19
	v_add_f32_e32 v13, v13, v16
	v_mul_f32_e32 v46, v17, v44
	v_sub_f32_e32 v16, v18, v17
	v_mul_f32_e32 v18, v43, v46
	v_fma_f32 v20, v46, v43, -v18
	v_fmac_f32_e32 v20, v46, v13
	v_add_f32_e32 v45, v19, v16
	v_add_f32_e32 v16, v18, v20
	v_sub_f32_e32 v19, v17, v16
	v_pk_add_f32 v[34:35], v[16:17], v[18:19] neg_lo:[0,1] neg_hi:[0,1]
	v_mov_b32_e32 v21, v16
	v_pk_add_f32 v[16:17], v[34:35], v[20:21] neg_lo:[0,1] neg_hi:[0,1]
	v_add_f32_e32 v17, v45, v17
	v_add_f32_e32 v16, v16, v17
	;; [unrolled: 1-line block ×3, first 2 shown]
	v_mul_f32_e32 v45, v44, v17
	v_mul_f32_e32 v18, v43, v45
	v_fma_f32 v20, v45, v43, -v18
	v_fmac_f32_e32 v20, v45, v13
	v_sub_f32_e32 v13, v19, v17
	v_add_f32_e32 v13, v16, v13
	v_add_f32_e32 v16, v18, v20
	v_sub_f32_e32 v19, v17, v16
	v_pk_add_f32 v[34:35], v[16:17], v[18:19] neg_lo:[0,1] neg_hi:[0,1]
	v_mov_b32_e32 v21, v16
	v_pk_add_f32 v[16:17], v[34:35], v[20:21] neg_lo:[0,1] neg_hi:[0,1]
	v_add_f32_e32 v13, v13, v17
	v_add_f32_e32 v13, v16, v13
	;; [unrolled: 1-line block ×4, first 2 shown]
	v_sub_f32_e32 v17, v16, v46
	v_mul_f32_e32 v13, v44, v13
	v_sub_f32_e32 v17, v45, v17
	v_add_f32_e32 v13, v17, v13
	v_add_f32_e32 v19, v16, v13
	v_mul_f32_e32 v20, v19, v19
	v_mov_b32_e32 v18, 0x3ecc95a3
	v_fmac_f32_e32 v18, 0x3e9b6dac, v20
	v_mov_b32_e32 v17, 0x3f2aaada
	v_fmac_f32_e32 v17, v20, v18
	v_cvt_f32_i32_e32 v18, v36
	v_sub_f32_e32 v16, v19, v16
	v_sub_f32_e32 v13, v13, v16
	v_ldexp_f32 v21, v19, 1
	v_mul_f32_e32 v19, v19, v20
	v_mov_b32_e32 v16, 0x3f317218
	s_mov_b32 s6, 0x3f317218
	v_pk_mul_f32 v[16:17], v[18:19], v[16:17]
	v_fma_f32 v20, v18, s6, -v16
	v_fmac_f32_e32 v20, 0xb102e308, v18
	v_pk_add_f32 v[18:19], v[16:17], v[20:21]
	v_sub_f32_e32 v21, v19, v21
	v_ldexp_f32 v13, v13, 1
	v_sub_f32_e32 v21, v17, v21
	v_add_f32_e32 v35, v13, v21
	v_mov_b32_e32 v34, v16
	v_pk_add_f32 v[16:17], v[18:19], v[16:17] neg_lo:[0,1] neg_hi:[0,1]
	v_pk_add_f32 v[44:45], v[18:19], v[34:35]
	v_mov_b32_e32 v17, v45
	v_mov_b32_e32 v21, v18
	v_pk_add_f32 v[46:47], v[20:21], v[16:17] neg_lo:[0,1] neg_hi:[0,1]
	v_pk_add_f32 v[16:17], v[20:21], v[16:17]
	v_mov_b32_e32 v20, v17
	v_pk_add_f32 v[48:49], v[20:21], v[18:19] neg_lo:[0,1] neg_hi:[0,1]
	v_mov_b32_e32 v13, v48
	v_pk_add_f32 v[50:51], v[44:45], v[12:13] neg_lo:[0,1] neg_hi:[0,1]
	v_mov_b32_e32 v16, v45
	v_mov_b32_e32 v44, v19
	;; [unrolled: 1-line block ×4, first 2 shown]
	v_pk_add_f32 v[16:17], v[16:17], v[44:45] neg_lo:[0,1] neg_hi:[0,1]
	v_mov_b32_e32 v34, v35
	v_mov_b32_e32 v35, v18
	v_pk_add_f32 v[16:17], v[34:35], v[16:17] neg_lo:[0,1] neg_hi:[0,1]
	v_mov_b32_e32 v50, v46
	v_pk_add_f32 v[18:19], v[50:51], v[16:17]
	v_mov_b32_e32 v34, v19
	v_pk_add_f32 v[34:35], v[18:19], v[34:35]
	v_pk_add_f32 v[20:21], v[20:21], v[34:35]
	v_mov_b32_e32 v19, v20
	v_pk_add_f32 v[44:45], v[18:19], v[46:47] neg_lo:[0,1] neg_hi:[0,1]
	v_mov_b32_e32 v17, v34
	v_sub_f32_e32 v13, v18, v44
	v_pk_add_f32 v[16:17], v[16:17], v[44:45] neg_lo:[0,1] neg_hi:[0,1]
	v_sub_f32_e32 v13, v46, v13
	s_mov_b32 s7, 0x7f800000
	v_add_f32_e32 v13, v16, v13
	s_mov_b32 s6, 0x33800000
	v_add_f32_e32 v13, v13, v17
	v_cmp_eq_f32_e32 vcc, s7, v15
	v_cmp_lt_f32_e64 s[6:7], |v15|, s6
	v_add_f32_e32 v13, v20, v13
	s_or_b64 vcc, vcc, s[6:7]
	v_cndmask_b32_e32 v13, v13, v15, vcc
	v_add_f32_e32 v13, v14, v13
.LBB117_192:
	s_or_b64 exec, exec, s[4:5]
	v_max_f32_e32 v14, v13, v13
	v_min_f32_e32 v15, v14, v37
	v_cmp_u_f32_e32 vcc, v13, v13
	v_max_f32_e32 v14, v14, v37
	v_cndmask_b32_e32 v15, v15, v13, vcc
	v_cndmask_b32_e32 v14, v14, v13, vcc
	v_cndmask_b32_e64 v16, v15, v22, s[18:19]
	v_cndmask_b32_e64 v15, v14, v22, s[18:19]
	s_movk_i32 s6, 0x1f8
	v_cmp_neq_f32_e32 vcc, v16, v15
	v_cmp_class_f32_e64 s[4:5], v16, s6
	s_or_b64 s[8:9], vcc, s[4:5]
	v_mov_b32_e32 v14, v13
	s_and_saveexec_b64 s[4:5], s[8:9]
	s_cbranch_execz .LBB117_194
; %bb.193:
	v_sub_f32_e32 v14, v16, v15
	s_mov_b32 s7, 0x3fb8aa3b
	v_mul_f32_e32 v16, 0x3fb8aa3b, v14
	v_fma_f32 v17, v14, s7, -v16
	v_rndne_f32_e32 v18, v16
	v_fmac_f32_e32 v17, 0x32a5705f, v14
	v_sub_f32_e32 v16, v16, v18
	v_add_f32_e32 v16, v16, v17
	v_exp_f32_e32 v16, v16
	v_cvt_i32_f32_e32 v17, v18
	s_mov_b32 s7, 0xc2ce8ed0
	v_cmp_ngt_f32_e32 vcc, s7, v14
	s_mov_b32 s7, 0x42b17218
	v_ldexp_f32 v16, v16, v17
	v_cndmask_b32_e32 v16, 0, v16, vcc
	v_mov_b32_e32 v17, 0x7f800000
	v_cmp_nlt_f32_e32 vcc, s7, v14
	v_cndmask_b32_e32 v43, v17, v16, vcc
	v_add_f32_e32 v14, 1.0, v43
	v_add_f32_e32 v16, -1.0, v14
	v_sub_f32_e32 v17, v16, v14
	v_add_f32_e32 v17, 1.0, v17
	v_sub_f32_e32 v16, v43, v16
	v_add_f32_e32 v18, v16, v17
	v_frexp_mant_f32_e32 v19, v14
	s_mov_b32 s7, 0x3f2aaaab
	v_cvt_f64_f32_e32 v[16:17], v14
	v_frexp_exp_i32_f64_e32 v16, v[16:17]
	v_cmp_gt_f32_e32 vcc, s7, v19
	v_subbrev_co_u32_e32 v36, vcc, 0, v16, vcc
	v_sub_u32_e32 v16, 0, v36
	v_ldexp_f32 v14, v14, v16
	v_ldexp_f32 v16, v18, v16
	v_add_f32_e32 v18, -1.0, v14
	v_add_f32_e32 v17, 1.0, v18
	v_sub_f32_e32 v17, v14, v17
	v_add_f32_e32 v19, v16, v17
	v_add_f32_e32 v17, 1.0, v14
	v_add_f32_e32 v20, -1.0, v17
	v_sub_f32_e32 v14, v14, v20
	v_add_f32_e32 v14, v16, v14
	v_add_f32_e32 v37, v17, v14
	v_rcp_f32_e32 v44, v37
	v_sub_f32_e32 v16, v17, v37
	v_add_f32_e32 v17, v18, v19
	v_add_f32_e32 v14, v14, v16
	v_mul_f32_e32 v46, v17, v44
	v_sub_f32_e32 v16, v18, v17
	v_mul_f32_e32 v18, v37, v46
	v_fma_f32 v20, v46, v37, -v18
	v_fmac_f32_e32 v20, v46, v14
	v_add_f32_e32 v45, v19, v16
	v_add_f32_e32 v16, v18, v20
	v_sub_f32_e32 v19, v17, v16
	v_pk_add_f32 v[34:35], v[16:17], v[18:19] neg_lo:[0,1] neg_hi:[0,1]
	v_mov_b32_e32 v21, v16
	v_pk_add_f32 v[16:17], v[34:35], v[20:21] neg_lo:[0,1] neg_hi:[0,1]
	v_add_f32_e32 v17, v45, v17
	v_add_f32_e32 v16, v16, v17
	;; [unrolled: 1-line block ×3, first 2 shown]
	v_mul_f32_e32 v45, v44, v17
	v_mul_f32_e32 v18, v37, v45
	v_fma_f32 v20, v45, v37, -v18
	v_fmac_f32_e32 v20, v45, v14
	v_sub_f32_e32 v14, v19, v17
	v_add_f32_e32 v14, v16, v14
	v_add_f32_e32 v16, v18, v20
	v_sub_f32_e32 v19, v17, v16
	v_pk_add_f32 v[34:35], v[16:17], v[18:19] neg_lo:[0,1] neg_hi:[0,1]
	v_mov_b32_e32 v21, v16
	v_pk_add_f32 v[16:17], v[34:35], v[20:21] neg_lo:[0,1] neg_hi:[0,1]
	v_add_f32_e32 v14, v14, v17
	v_add_f32_e32 v14, v16, v14
	;; [unrolled: 1-line block ×4, first 2 shown]
	v_sub_f32_e32 v17, v16, v46
	v_mul_f32_e32 v14, v44, v14
	v_sub_f32_e32 v17, v45, v17
	v_add_f32_e32 v14, v17, v14
	v_add_f32_e32 v19, v16, v14
	v_mul_f32_e32 v20, v19, v19
	v_mov_b32_e32 v18, 0x3ecc95a3
	v_fmac_f32_e32 v18, 0x3e9b6dac, v20
	v_mov_b32_e32 v17, 0x3f2aaada
	v_fmac_f32_e32 v17, v20, v18
	v_cvt_f32_i32_e32 v18, v36
	v_sub_f32_e32 v16, v19, v16
	v_sub_f32_e32 v14, v14, v16
	v_ldexp_f32 v21, v19, 1
	v_mul_f32_e32 v19, v19, v20
	v_mov_b32_e32 v16, 0x3f317218
	s_mov_b32 s7, 0x3f317218
	v_pk_mul_f32 v[16:17], v[18:19], v[16:17]
	v_fma_f32 v20, v18, s7, -v16
	v_fmac_f32_e32 v20, 0xb102e308, v18
	v_pk_add_f32 v[18:19], v[16:17], v[20:21]
	v_sub_f32_e32 v21, v19, v21
	v_ldexp_f32 v14, v14, 1
	v_sub_f32_e32 v21, v17, v21
	v_add_f32_e32 v35, v14, v21
	v_mov_b32_e32 v34, v16
	v_pk_add_f32 v[16:17], v[18:19], v[16:17] neg_lo:[0,1] neg_hi:[0,1]
	v_pk_add_f32 v[36:37], v[18:19], v[34:35]
	v_mov_b32_e32 v17, v37
	v_mov_b32_e32 v21, v18
	v_pk_add_f32 v[44:45], v[20:21], v[16:17] neg_lo:[0,1] neg_hi:[0,1]
	v_pk_add_f32 v[16:17], v[20:21], v[16:17]
	v_mov_b32_e32 v14, v17
	v_pk_add_f32 v[20:21], v[14:15], v[18:19] neg_lo:[0,1] neg_hi:[0,1]
	v_mov_b32_e32 v21, v20
	v_pk_add_f32 v[46:47], v[36:37], v[20:21] neg_lo:[0,1] neg_hi:[0,1]
	v_mov_b32_e32 v16, v37
	v_mov_b32_e32 v36, v19
	;; [unrolled: 1-line block ×4, first 2 shown]
	v_pk_add_f32 v[16:17], v[16:17], v[36:37] neg_lo:[0,1] neg_hi:[0,1]
	v_mov_b32_e32 v20, v35
	v_mov_b32_e32 v21, v18
	v_pk_add_f32 v[16:17], v[20:21], v[16:17] neg_lo:[0,1] neg_hi:[0,1]
	v_mov_b32_e32 v46, v44
	v_pk_add_f32 v[18:19], v[46:47], v[16:17]
	v_mov_b32_e32 v20, v19
	v_pk_add_f32 v[20:21], v[18:19], v[20:21]
	v_pk_add_f32 v[34:35], v[14:15], v[20:21]
	v_mov_b32_e32 v19, v34
	v_pk_add_f32 v[36:37], v[18:19], v[44:45] neg_lo:[0,1] neg_hi:[0,1]
	v_mov_b32_e32 v17, v20
	v_sub_f32_e32 v14, v18, v36
	v_pk_add_f32 v[16:17], v[16:17], v[36:37] neg_lo:[0,1] neg_hi:[0,1]
	v_sub_f32_e32 v14, v44, v14
	s_mov_b32 s8, 0x7f800000
	v_add_f32_e32 v14, v16, v14
	s_mov_b32 s7, 0x33800000
	v_add_f32_e32 v14, v14, v17
	v_cmp_eq_f32_e32 vcc, s8, v43
	v_cmp_lt_f32_e64 s[8:9], |v43|, s7
	v_add_f32_e32 v14, v34, v14
	s_or_b64 vcc, vcc, s[8:9]
	v_cndmask_b32_e32 v14, v14, v43, vcc
	v_add_f32_e32 v14, v15, v14
.LBB117_194:
	s_or_b64 exec, exec, s[4:5]
	v_max_f32_e32 v15, v14, v14
	v_min_f32_e32 v16, v15, v38
	v_cmp_u_f32_e32 vcc, v14, v14
	v_max_f32_e32 v15, v15, v38
	v_cndmask_b32_e32 v16, v16, v14, vcc
	v_cndmask_b32_e32 v15, v15, v14, vcc
	v_cndmask_b32_e64 v17, v16, v23, s[20:21]
	v_cndmask_b32_e64 v16, v15, v23, s[20:21]
	v_cmp_neq_f32_e32 vcc, v17, v16
	v_cmp_class_f32_e64 s[4:5], v17, s6
	s_or_b64 s[6:7], vcc, s[4:5]
	v_mov_b32_e32 v15, v14
	s_and_saveexec_b64 s[4:5], s[6:7]
	s_cbranch_execz .LBB117_196
; %bb.195:
	v_sub_f32_e32 v15, v17, v16
	s_mov_b32 s6, 0x3fb8aa3b
	v_mul_f32_e32 v17, 0x3fb8aa3b, v15
	v_fma_f32 v18, v15, s6, -v17
	v_rndne_f32_e32 v19, v17
	v_fmac_f32_e32 v18, 0x32a5705f, v15
	v_sub_f32_e32 v17, v17, v19
	v_add_f32_e32 v17, v17, v18
	v_exp_f32_e32 v17, v17
	v_cvt_i32_f32_e32 v18, v19
	s_mov_b32 s6, 0xc2ce8ed0
	v_cmp_ngt_f32_e32 vcc, s6, v15
	s_mov_b32 s6, 0x42b17218
	v_ldexp_f32 v17, v17, v18
	v_cndmask_b32_e32 v17, 0, v17, vcc
	v_mov_b32_e32 v18, 0x7f800000
	v_cmp_nlt_f32_e32 vcc, s6, v15
	v_cndmask_b32_e32 v17, v18, v17, vcc
	v_add_f32_e32 v15, 1.0, v17
	v_add_f32_e32 v18, -1.0, v15
	v_sub_f32_e32 v19, v18, v15
	v_add_f32_e32 v19, 1.0, v19
	v_sub_f32_e32 v18, v17, v18
	v_add_f32_e32 v20, v18, v19
	v_frexp_mant_f32_e32 v21, v15
	s_mov_b32 s6, 0x3f2aaaab
	v_cvt_f64_f32_e32 v[18:19], v15
	v_frexp_exp_i32_f64_e32 v18, v[18:19]
	v_cmp_gt_f32_e32 vcc, s6, v21
	v_subbrev_co_u32_e32 v38, vcc, 0, v18, vcc
	v_sub_u32_e32 v18, 0, v38
	v_ldexp_f32 v15, v15, v18
	v_ldexp_f32 v18, v20, v18
	v_add_f32_e32 v20, -1.0, v15
	v_add_f32_e32 v19, 1.0, v20
	v_sub_f32_e32 v19, v15, v19
	v_add_f32_e32 v21, v18, v19
	v_add_f32_e32 v19, 1.0, v15
	v_add_f32_e32 v34, -1.0, v19
	v_sub_f32_e32 v15, v15, v34
	v_add_f32_e32 v15, v18, v15
	v_add_f32_e32 v43, v19, v15
	v_rcp_f32_e32 v44, v43
	v_sub_f32_e32 v18, v19, v43
	v_add_f32_e32 v19, v20, v21
	v_add_f32_e32 v15, v15, v18
	v_mul_f32_e32 v46, v19, v44
	v_sub_f32_e32 v18, v20, v19
	v_mul_f32_e32 v20, v43, v46
	v_fma_f32 v34, v46, v43, -v20
	v_fmac_f32_e32 v34, v46, v15
	v_add_f32_e32 v45, v21, v18
	v_add_f32_e32 v18, v20, v34
	v_sub_f32_e32 v21, v19, v18
	v_pk_add_f32 v[36:37], v[18:19], v[20:21] neg_lo:[0,1] neg_hi:[0,1]
	v_mov_b32_e32 v35, v18
	v_pk_add_f32 v[18:19], v[36:37], v[34:35] neg_lo:[0,1] neg_hi:[0,1]
	v_add_f32_e32 v19, v45, v19
	v_add_f32_e32 v18, v18, v19
	;; [unrolled: 1-line block ×3, first 2 shown]
	v_mul_f32_e32 v45, v44, v19
	v_mul_f32_e32 v20, v43, v45
	v_fma_f32 v34, v45, v43, -v20
	v_fmac_f32_e32 v34, v45, v15
	v_sub_f32_e32 v15, v21, v19
	v_add_f32_e32 v15, v18, v15
	v_add_f32_e32 v18, v20, v34
	v_sub_f32_e32 v21, v19, v18
	v_pk_add_f32 v[36:37], v[18:19], v[20:21] neg_lo:[0,1] neg_hi:[0,1]
	v_mov_b32_e32 v35, v18
	v_pk_add_f32 v[18:19], v[36:37], v[34:35] neg_lo:[0,1] neg_hi:[0,1]
	v_add_f32_e32 v15, v15, v19
	v_add_f32_e32 v15, v18, v15
	v_add_f32_e32 v18, v46, v45
	v_add_f32_e32 v15, v21, v15
	v_sub_f32_e32 v19, v18, v46
	v_mul_f32_e32 v15, v44, v15
	v_sub_f32_e32 v19, v45, v19
	v_add_f32_e32 v15, v19, v15
	v_add_f32_e32 v21, v18, v15
	v_mul_f32_e32 v34, v21, v21
	v_mov_b32_e32 v20, 0x3ecc95a3
	v_fmac_f32_e32 v20, 0x3e9b6dac, v34
	v_mov_b32_e32 v19, 0x3f2aaada
	v_fmac_f32_e32 v19, v34, v20
	v_cvt_f32_i32_e32 v20, v38
	v_sub_f32_e32 v18, v21, v18
	v_sub_f32_e32 v15, v15, v18
	v_ldexp_f32 v35, v21, 1
	v_mul_f32_e32 v21, v21, v34
	v_mov_b32_e32 v18, 0x3f317218
	s_mov_b32 s6, 0x3f317218
	v_pk_mul_f32 v[18:19], v[20:21], v[18:19]
	v_fma_f32 v34, v20, s6, -v18
	v_fmac_f32_e32 v34, 0xb102e308, v20
	v_pk_add_f32 v[20:21], v[18:19], v[34:35]
	v_sub_f32_e32 v35, v21, v35
	v_ldexp_f32 v15, v15, 1
	v_sub_f32_e32 v35, v19, v35
	v_add_f32_e32 v37, v15, v35
	v_mov_b32_e32 v36, v18
	v_pk_add_f32 v[18:19], v[20:21], v[18:19] neg_lo:[0,1] neg_hi:[0,1]
	v_pk_add_f32 v[44:45], v[20:21], v[36:37]
	v_mov_b32_e32 v19, v45
	v_mov_b32_e32 v35, v20
	v_pk_add_f32 v[46:47], v[34:35], v[18:19] neg_lo:[0,1] neg_hi:[0,1]
	v_pk_add_f32 v[18:19], v[34:35], v[18:19]
	v_mov_b32_e32 v34, v19
	v_pk_add_f32 v[48:49], v[34:35], v[20:21] neg_lo:[0,1] neg_hi:[0,1]
	v_mov_b32_e32 v15, v48
	v_pk_add_f32 v[50:51], v[44:45], v[14:15] neg_lo:[0,1] neg_hi:[0,1]
	v_mov_b32_e32 v18, v45
	v_mov_b32_e32 v44, v21
	v_mov_b32_e32 v45, v48
	v_mov_b32_e32 v47, v19
	v_pk_add_f32 v[18:19], v[18:19], v[44:45] neg_lo:[0,1] neg_hi:[0,1]
	v_mov_b32_e32 v36, v37
	v_mov_b32_e32 v37, v20
	v_pk_add_f32 v[18:19], v[36:37], v[18:19] neg_lo:[0,1] neg_hi:[0,1]
	v_mov_b32_e32 v50, v46
	v_pk_add_f32 v[20:21], v[50:51], v[18:19]
	v_mov_b32_e32 v36, v21
	v_pk_add_f32 v[36:37], v[20:21], v[36:37]
	v_pk_add_f32 v[34:35], v[34:35], v[36:37]
	v_mov_b32_e32 v21, v34
	v_pk_add_f32 v[44:45], v[20:21], v[46:47] neg_lo:[0,1] neg_hi:[0,1]
	v_mov_b32_e32 v19, v36
	v_sub_f32_e32 v15, v20, v44
	v_pk_add_f32 v[18:19], v[18:19], v[44:45] neg_lo:[0,1] neg_hi:[0,1]
	v_sub_f32_e32 v15, v46, v15
	s_mov_b32 s7, 0x7f800000
	v_add_f32_e32 v15, v18, v15
	s_mov_b32 s6, 0x33800000
	v_add_f32_e32 v15, v15, v19
	v_cmp_eq_f32_e32 vcc, s7, v17
	v_cmp_lt_f32_e64 s[6:7], |v17|, s6
	v_add_f32_e32 v15, v34, v15
	s_or_b64 vcc, vcc, s[6:7]
	v_cndmask_b32_e32 v15, v15, v17, vcc
	v_add_f32_e32 v15, v16, v15
.LBB117_196:
	s_or_b64 exec, exec, s[4:5]
	v_max_f32_e32 v16, v15, v15
	v_min_f32_e32 v17, v16, v39
	v_cmp_u_f32_e32 vcc, v15, v15
	v_max_f32_e32 v16, v16, v39
	v_cndmask_b32_e32 v17, v17, v15, vcc
	v_cndmask_b32_e32 v16, v16, v15, vcc
	v_cndmask_b32_e64 v18, v17, v24, s[22:23]
	v_cndmask_b32_e64 v17, v16, v24, s[22:23]
	s_movk_i32 s6, 0x1f8
	v_cmp_neq_f32_e32 vcc, v18, v17
	v_cmp_class_f32_e64 s[4:5], v18, s6
	s_or_b64 s[8:9], vcc, s[4:5]
	v_mov_b32_e32 v16, v15
	s_and_saveexec_b64 s[4:5], s[8:9]
	s_cbranch_execz .LBB117_198
; %bb.197:
	v_sub_f32_e32 v16, v18, v17
	s_mov_b32 s7, 0x3fb8aa3b
	v_mul_f32_e32 v18, 0x3fb8aa3b, v16
	v_fma_f32 v19, v16, s7, -v18
	v_rndne_f32_e32 v20, v18
	v_fmac_f32_e32 v19, 0x32a5705f, v16
	v_sub_f32_e32 v18, v18, v20
	v_add_f32_e32 v18, v18, v19
	v_exp_f32_e32 v18, v18
	v_cvt_i32_f32_e32 v19, v20
	s_mov_b32 s7, 0xc2ce8ed0
	v_cmp_ngt_f32_e32 vcc, s7, v16
	s_mov_b32 s7, 0x42b17218
	v_ldexp_f32 v18, v18, v19
	v_cndmask_b32_e32 v18, 0, v18, vcc
	v_mov_b32_e32 v19, 0x7f800000
	v_cmp_nlt_f32_e32 vcc, s7, v16
	v_cndmask_b32_e32 v43, v19, v18, vcc
	v_add_f32_e32 v16, 1.0, v43
	v_add_f32_e32 v18, -1.0, v16
	v_sub_f32_e32 v19, v18, v16
	v_add_f32_e32 v19, 1.0, v19
	v_sub_f32_e32 v18, v43, v18
	v_add_f32_e32 v20, v18, v19
	v_frexp_mant_f32_e32 v21, v16
	s_mov_b32 s7, 0x3f2aaaab
	v_cvt_f64_f32_e32 v[18:19], v16
	v_frexp_exp_i32_f64_e32 v18, v[18:19]
	v_cmp_gt_f32_e32 vcc, s7, v21
	v_subbrev_co_u32_e32 v38, vcc, 0, v18, vcc
	v_sub_u32_e32 v18, 0, v38
	v_ldexp_f32 v16, v16, v18
	v_ldexp_f32 v18, v20, v18
	v_add_f32_e32 v20, -1.0, v16
	v_add_f32_e32 v19, 1.0, v20
	v_sub_f32_e32 v19, v16, v19
	v_add_f32_e32 v21, v18, v19
	v_add_f32_e32 v19, 1.0, v16
	v_add_f32_e32 v34, -1.0, v19
	v_sub_f32_e32 v16, v16, v34
	v_add_f32_e32 v16, v18, v16
	v_add_f32_e32 v39, v19, v16
	v_rcp_f32_e32 v44, v39
	v_sub_f32_e32 v18, v19, v39
	v_add_f32_e32 v19, v20, v21
	v_add_f32_e32 v16, v16, v18
	v_mul_f32_e32 v46, v19, v44
	v_sub_f32_e32 v18, v20, v19
	v_mul_f32_e32 v20, v39, v46
	v_fma_f32 v34, v46, v39, -v20
	v_fmac_f32_e32 v34, v46, v16
	v_add_f32_e32 v45, v21, v18
	v_add_f32_e32 v18, v20, v34
	v_sub_f32_e32 v21, v19, v18
	v_pk_add_f32 v[36:37], v[18:19], v[20:21] neg_lo:[0,1] neg_hi:[0,1]
	v_mov_b32_e32 v35, v18
	v_pk_add_f32 v[18:19], v[36:37], v[34:35] neg_lo:[0,1] neg_hi:[0,1]
	v_add_f32_e32 v19, v45, v19
	v_add_f32_e32 v18, v18, v19
	;; [unrolled: 1-line block ×3, first 2 shown]
	v_mul_f32_e32 v45, v44, v19
	v_mul_f32_e32 v20, v39, v45
	v_fma_f32 v34, v45, v39, -v20
	v_fmac_f32_e32 v34, v45, v16
	v_sub_f32_e32 v16, v21, v19
	v_add_f32_e32 v16, v18, v16
	v_add_f32_e32 v18, v20, v34
	v_sub_f32_e32 v21, v19, v18
	v_pk_add_f32 v[36:37], v[18:19], v[20:21] neg_lo:[0,1] neg_hi:[0,1]
	v_mov_b32_e32 v35, v18
	v_pk_add_f32 v[18:19], v[36:37], v[34:35] neg_lo:[0,1] neg_hi:[0,1]
	v_add_f32_e32 v16, v16, v19
	v_add_f32_e32 v16, v18, v16
	;; [unrolled: 1-line block ×4, first 2 shown]
	v_sub_f32_e32 v19, v18, v46
	v_mul_f32_e32 v16, v44, v16
	v_sub_f32_e32 v19, v45, v19
	v_add_f32_e32 v16, v19, v16
	v_add_f32_e32 v21, v18, v16
	v_mul_f32_e32 v34, v21, v21
	v_mov_b32_e32 v20, 0x3ecc95a3
	v_fmac_f32_e32 v20, 0x3e9b6dac, v34
	v_mov_b32_e32 v19, 0x3f2aaada
	v_fmac_f32_e32 v19, v34, v20
	v_cvt_f32_i32_e32 v20, v38
	v_sub_f32_e32 v18, v21, v18
	v_sub_f32_e32 v16, v16, v18
	v_ldexp_f32 v35, v21, 1
	v_mul_f32_e32 v21, v21, v34
	v_mov_b32_e32 v18, 0x3f317218
	s_mov_b32 s7, 0x3f317218
	v_pk_mul_f32 v[18:19], v[20:21], v[18:19]
	v_fma_f32 v34, v20, s7, -v18
	v_fmac_f32_e32 v34, 0xb102e308, v20
	v_pk_add_f32 v[20:21], v[18:19], v[34:35]
	v_sub_f32_e32 v35, v21, v35
	v_ldexp_f32 v16, v16, 1
	v_sub_f32_e32 v35, v19, v35
	v_add_f32_e32 v37, v16, v35
	v_mov_b32_e32 v36, v18
	v_pk_add_f32 v[18:19], v[20:21], v[18:19] neg_lo:[0,1] neg_hi:[0,1]
	v_pk_add_f32 v[38:39], v[20:21], v[36:37]
	v_mov_b32_e32 v19, v39
	v_mov_b32_e32 v35, v20
	v_pk_add_f32 v[44:45], v[34:35], v[18:19] neg_lo:[0,1] neg_hi:[0,1]
	v_pk_add_f32 v[18:19], v[34:35], v[18:19]
	v_mov_b32_e32 v16, v19
	v_pk_add_f32 v[34:35], v[16:17], v[20:21] neg_lo:[0,1] neg_hi:[0,1]
	v_mov_b32_e32 v35, v34
	v_pk_add_f32 v[46:47], v[38:39], v[34:35] neg_lo:[0,1] neg_hi:[0,1]
	v_mov_b32_e32 v18, v39
	v_mov_b32_e32 v38, v21
	;; [unrolled: 1-line block ×4, first 2 shown]
	v_pk_add_f32 v[18:19], v[18:19], v[38:39] neg_lo:[0,1] neg_hi:[0,1]
	v_mov_b32_e32 v34, v37
	v_mov_b32_e32 v35, v20
	v_pk_add_f32 v[18:19], v[34:35], v[18:19] neg_lo:[0,1] neg_hi:[0,1]
	v_mov_b32_e32 v46, v44
	v_pk_add_f32 v[20:21], v[46:47], v[18:19]
	v_mov_b32_e32 v34, v21
	v_pk_add_f32 v[34:35], v[20:21], v[34:35]
	v_pk_add_f32 v[36:37], v[16:17], v[34:35]
	v_mov_b32_e32 v21, v36
	v_pk_add_f32 v[38:39], v[20:21], v[44:45] neg_lo:[0,1] neg_hi:[0,1]
	v_mov_b32_e32 v19, v34
	v_sub_f32_e32 v16, v20, v38
	v_pk_add_f32 v[18:19], v[18:19], v[38:39] neg_lo:[0,1] neg_hi:[0,1]
	v_sub_f32_e32 v16, v44, v16
	s_mov_b32 s8, 0x7f800000
	v_add_f32_e32 v16, v18, v16
	s_mov_b32 s7, 0x33800000
	v_add_f32_e32 v16, v16, v19
	v_cmp_eq_f32_e32 vcc, s8, v43
	v_cmp_lt_f32_e64 s[8:9], |v43|, s7
	v_add_f32_e32 v16, v36, v16
	s_or_b64 vcc, vcc, s[8:9]
	v_cndmask_b32_e32 v16, v16, v43, vcc
	v_add_f32_e32 v16, v17, v16
.LBB117_198:
	s_or_b64 exec, exec, s[4:5]
	v_max_f32_e32 v17, v16, v16
	v_min_f32_e32 v18, v17, v40
	v_cmp_u_f32_e32 vcc, v16, v16
	v_max_f32_e32 v17, v17, v40
	v_cndmask_b32_e32 v18, v18, v16, vcc
	v_cndmask_b32_e32 v17, v17, v16, vcc
	v_cndmask_b32_e64 v19, v18, v25, s[24:25]
	v_cndmask_b32_e64 v18, v17, v25, s[24:25]
	v_cmp_neq_f32_e32 vcc, v19, v18
	v_cmp_class_f32_e64 s[4:5], v19, s6
	s_or_b64 s[6:7], vcc, s[4:5]
	v_mov_b32_e32 v17, v16
	s_and_saveexec_b64 s[4:5], s[6:7]
	s_cbranch_execz .LBB117_200
; %bb.199:
	v_sub_f32_e32 v17, v19, v18
	s_mov_b32 s6, 0x3fb8aa3b
	v_mul_f32_e32 v19, 0x3fb8aa3b, v17
	v_fma_f32 v20, v17, s6, -v19
	v_rndne_f32_e32 v21, v19
	v_fmac_f32_e32 v20, 0x32a5705f, v17
	v_sub_f32_e32 v19, v19, v21
	v_add_f32_e32 v19, v19, v20
	v_exp_f32_e32 v19, v19
	v_cvt_i32_f32_e32 v20, v21
	s_mov_b32 s6, 0xc2ce8ed0
	v_cmp_ngt_f32_e32 vcc, s6, v17
	s_mov_b32 s6, 0x42b17218
	v_ldexp_f32 v19, v19, v20
	v_cndmask_b32_e32 v19, 0, v19, vcc
	v_mov_b32_e32 v20, 0x7f800000
	v_cmp_nlt_f32_e32 vcc, s6, v17
	v_cndmask_b32_e32 v19, v20, v19, vcc
	v_add_f32_e32 v17, 1.0, v19
	v_add_f32_e32 v20, -1.0, v17
	v_sub_f32_e32 v21, v20, v17
	v_add_f32_e32 v21, 1.0, v21
	v_sub_f32_e32 v20, v19, v20
	v_add_f32_e32 v34, v20, v21
	v_frexp_mant_f32_e32 v35, v17
	s_mov_b32 s6, 0x3f2aaaab
	v_cvt_f64_f32_e32 v[20:21], v17
	v_frexp_exp_i32_f64_e32 v20, v[20:21]
	v_cmp_gt_f32_e32 vcc, s6, v35
	v_subbrev_co_u32_e32 v40, vcc, 0, v20, vcc
	v_sub_u32_e32 v20, 0, v40
	v_ldexp_f32 v17, v17, v20
	v_ldexp_f32 v20, v34, v20
	v_add_f32_e32 v34, -1.0, v17
	v_add_f32_e32 v21, 1.0, v34
	v_sub_f32_e32 v21, v17, v21
	v_add_f32_e32 v35, v20, v21
	v_add_f32_e32 v21, 1.0, v17
	v_add_f32_e32 v36, -1.0, v21
	v_sub_f32_e32 v17, v17, v36
	v_add_f32_e32 v17, v20, v17
	v_add_f32_e32 v43, v21, v17
	v_rcp_f32_e32 v44, v43
	v_sub_f32_e32 v20, v21, v43
	v_add_f32_e32 v21, v34, v35
	v_add_f32_e32 v17, v17, v20
	v_mul_f32_e32 v46, v21, v44
	v_sub_f32_e32 v20, v34, v21
	v_mul_f32_e32 v34, v43, v46
	v_fma_f32 v36, v46, v43, -v34
	v_fmac_f32_e32 v36, v46, v17
	v_add_f32_e32 v45, v35, v20
	v_add_f32_e32 v20, v34, v36
	v_sub_f32_e32 v35, v21, v20
	v_pk_add_f32 v[38:39], v[20:21], v[34:35] neg_lo:[0,1] neg_hi:[0,1]
	v_mov_b32_e32 v37, v20
	v_pk_add_f32 v[20:21], v[38:39], v[36:37] neg_lo:[0,1] neg_hi:[0,1]
	v_add_f32_e32 v21, v45, v21
	v_add_f32_e32 v20, v20, v21
	;; [unrolled: 1-line block ×3, first 2 shown]
	v_mul_f32_e32 v45, v44, v21
	v_mul_f32_e32 v34, v43, v45
	v_fma_f32 v36, v45, v43, -v34
	v_fmac_f32_e32 v36, v45, v17
	v_sub_f32_e32 v17, v35, v21
	v_add_f32_e32 v17, v20, v17
	v_add_f32_e32 v20, v34, v36
	v_sub_f32_e32 v35, v21, v20
	v_pk_add_f32 v[38:39], v[20:21], v[34:35] neg_lo:[0,1] neg_hi:[0,1]
	v_mov_b32_e32 v37, v20
	v_pk_add_f32 v[20:21], v[38:39], v[36:37] neg_lo:[0,1] neg_hi:[0,1]
	v_add_f32_e32 v17, v17, v21
	v_add_f32_e32 v17, v20, v17
	;; [unrolled: 1-line block ×4, first 2 shown]
	v_sub_f32_e32 v21, v20, v46
	v_mul_f32_e32 v17, v44, v17
	v_sub_f32_e32 v21, v45, v21
	v_add_f32_e32 v17, v21, v17
	v_add_f32_e32 v35, v20, v17
	v_mul_f32_e32 v36, v35, v35
	v_mov_b32_e32 v34, 0x3ecc95a3
	v_fmac_f32_e32 v34, 0x3e9b6dac, v36
	v_mov_b32_e32 v21, 0x3f2aaada
	v_fmac_f32_e32 v21, v36, v34
	v_cvt_f32_i32_e32 v34, v40
	v_sub_f32_e32 v20, v35, v20
	v_sub_f32_e32 v17, v17, v20
	v_ldexp_f32 v37, v35, 1
	v_mul_f32_e32 v35, v35, v36
	v_mov_b32_e32 v20, 0x3f317218
	s_mov_b32 s6, 0x3f317218
	v_pk_mul_f32 v[20:21], v[34:35], v[20:21]
	v_fma_f32 v36, v34, s6, -v20
	v_fmac_f32_e32 v36, 0xb102e308, v34
	v_pk_add_f32 v[34:35], v[20:21], v[36:37]
	v_sub_f32_e32 v37, v35, v37
	v_ldexp_f32 v17, v17, 1
	v_sub_f32_e32 v37, v21, v37
	v_add_f32_e32 v39, v17, v37
	v_mov_b32_e32 v38, v20
	v_pk_add_f32 v[20:21], v[34:35], v[20:21] neg_lo:[0,1] neg_hi:[0,1]
	v_pk_add_f32 v[44:45], v[34:35], v[38:39]
	v_mov_b32_e32 v21, v45
	v_mov_b32_e32 v37, v34
	v_pk_add_f32 v[46:47], v[36:37], v[20:21] neg_lo:[0,1] neg_hi:[0,1]
	v_pk_add_f32 v[20:21], v[36:37], v[20:21]
	v_mov_b32_e32 v36, v21
	v_pk_add_f32 v[48:49], v[36:37], v[34:35] neg_lo:[0,1] neg_hi:[0,1]
	v_mov_b32_e32 v17, v48
	v_pk_add_f32 v[50:51], v[44:45], v[16:17] neg_lo:[0,1] neg_hi:[0,1]
	v_mov_b32_e32 v20, v45
	v_mov_b32_e32 v44, v35
	;; [unrolled: 1-line block ×4, first 2 shown]
	v_pk_add_f32 v[20:21], v[20:21], v[44:45] neg_lo:[0,1] neg_hi:[0,1]
	v_mov_b32_e32 v38, v39
	v_mov_b32_e32 v39, v34
	v_pk_add_f32 v[20:21], v[38:39], v[20:21] neg_lo:[0,1] neg_hi:[0,1]
	v_mov_b32_e32 v50, v46
	v_pk_add_f32 v[34:35], v[50:51], v[20:21]
	v_mov_b32_e32 v38, v35
	v_pk_add_f32 v[38:39], v[34:35], v[38:39]
	v_pk_add_f32 v[36:37], v[36:37], v[38:39]
	v_mov_b32_e32 v35, v36
	v_pk_add_f32 v[44:45], v[34:35], v[46:47] neg_lo:[0,1] neg_hi:[0,1]
	v_mov_b32_e32 v21, v38
	v_sub_f32_e32 v17, v34, v44
	v_pk_add_f32 v[20:21], v[20:21], v[44:45] neg_lo:[0,1] neg_hi:[0,1]
	v_sub_f32_e32 v17, v46, v17
	s_mov_b32 s7, 0x7f800000
	v_add_f32_e32 v17, v20, v17
	s_mov_b32 s6, 0x33800000
	v_add_f32_e32 v17, v17, v21
	v_cmp_eq_f32_e32 vcc, s7, v19
	v_cmp_lt_f32_e64 s[6:7], |v19|, s6
	v_add_f32_e32 v17, v36, v17
	s_or_b64 vcc, vcc, s[6:7]
	v_cndmask_b32_e32 v17, v17, v19, vcc
	v_add_f32_e32 v17, v18, v17
.LBB117_200:
	s_or_b64 exec, exec, s[4:5]
	v_max_f32_e32 v18, v17, v17
	v_min_f32_e32 v19, v18, v41
	v_cmp_u_f32_e32 vcc, v17, v17
	v_max_f32_e32 v18, v18, v41
	v_cndmask_b32_e32 v19, v19, v17, vcc
	v_cndmask_b32_e32 v18, v18, v17, vcc
	v_cndmask_b32_e64 v20, v19, v30, s[26:27]
	v_cndmask_b32_e64 v19, v18, v30, s[26:27]
	s_movk_i32 s6, 0x1f8
	v_cmp_neq_f32_e32 vcc, v20, v19
	v_cmp_class_f32_e64 s[4:5], v20, s6
	s_or_b64 s[8:9], vcc, s[4:5]
	v_mov_b32_e32 v18, v17
	s_and_saveexec_b64 s[4:5], s[8:9]
	s_cbranch_execz .LBB117_202
; %bb.201:
	v_sub_f32_e32 v18, v20, v19
	s_mov_b32 s7, 0x3fb8aa3b
	v_mul_f32_e32 v20, 0x3fb8aa3b, v18
	v_fma_f32 v21, v18, s7, -v20
	v_rndne_f32_e32 v34, v20
	v_fmac_f32_e32 v21, 0x32a5705f, v18
	v_sub_f32_e32 v20, v20, v34
	v_add_f32_e32 v20, v20, v21
	v_exp_f32_e32 v20, v20
	v_cvt_i32_f32_e32 v21, v34
	s_mov_b32 s7, 0xc2ce8ed0
	v_cmp_ngt_f32_e32 vcc, s7, v18
	s_mov_b32 s7, 0x42b17218
	v_ldexp_f32 v20, v20, v21
	v_cndmask_b32_e32 v20, 0, v20, vcc
	v_mov_b32_e32 v21, 0x7f800000
	v_cmp_nlt_f32_e32 vcc, s7, v18
	v_cndmask_b32_e32 v43, v21, v20, vcc
	v_add_f32_e32 v18, 1.0, v43
	v_add_f32_e32 v20, -1.0, v18
	v_sub_f32_e32 v21, v20, v18
	v_add_f32_e32 v21, 1.0, v21
	v_sub_f32_e32 v20, v43, v20
	v_add_f32_e32 v34, v20, v21
	v_frexp_mant_f32_e32 v35, v18
	s_mov_b32 s7, 0x3f2aaaab
	v_cvt_f64_f32_e32 v[20:21], v18
	v_frexp_exp_i32_f64_e32 v20, v[20:21]
	v_cmp_gt_f32_e32 vcc, s7, v35
	v_subbrev_co_u32_e32 v40, vcc, 0, v20, vcc
	v_sub_u32_e32 v20, 0, v40
	v_ldexp_f32 v18, v18, v20
	v_ldexp_f32 v20, v34, v20
	v_add_f32_e32 v34, -1.0, v18
	v_add_f32_e32 v21, 1.0, v34
	v_sub_f32_e32 v21, v18, v21
	v_add_f32_e32 v35, v20, v21
	v_add_f32_e32 v21, 1.0, v18
	v_add_f32_e32 v36, -1.0, v21
	v_sub_f32_e32 v18, v18, v36
	v_add_f32_e32 v18, v20, v18
	v_add_f32_e32 v41, v21, v18
	v_rcp_f32_e32 v44, v41
	v_sub_f32_e32 v20, v21, v41
	v_add_f32_e32 v21, v34, v35
	v_add_f32_e32 v18, v18, v20
	v_mul_f32_e32 v46, v21, v44
	v_sub_f32_e32 v20, v34, v21
	v_mul_f32_e32 v34, v41, v46
	v_fma_f32 v36, v46, v41, -v34
	v_fmac_f32_e32 v36, v46, v18
	v_add_f32_e32 v45, v35, v20
	v_add_f32_e32 v20, v34, v36
	v_sub_f32_e32 v35, v21, v20
	v_pk_add_f32 v[38:39], v[20:21], v[34:35] neg_lo:[0,1] neg_hi:[0,1]
	v_mov_b32_e32 v37, v20
	v_pk_add_f32 v[20:21], v[38:39], v[36:37] neg_lo:[0,1] neg_hi:[0,1]
	v_add_f32_e32 v21, v45, v21
	v_add_f32_e32 v20, v20, v21
	;; [unrolled: 1-line block ×3, first 2 shown]
	v_mul_f32_e32 v45, v44, v21
	v_mul_f32_e32 v34, v41, v45
	v_fma_f32 v36, v45, v41, -v34
	v_fmac_f32_e32 v36, v45, v18
	v_sub_f32_e32 v18, v35, v21
	v_add_f32_e32 v18, v20, v18
	v_add_f32_e32 v20, v34, v36
	v_sub_f32_e32 v35, v21, v20
	v_pk_add_f32 v[38:39], v[20:21], v[34:35] neg_lo:[0,1] neg_hi:[0,1]
	v_mov_b32_e32 v37, v20
	v_pk_add_f32 v[20:21], v[38:39], v[36:37] neg_lo:[0,1] neg_hi:[0,1]
	v_add_f32_e32 v18, v18, v21
	v_add_f32_e32 v18, v20, v18
	;; [unrolled: 1-line block ×4, first 2 shown]
	v_sub_f32_e32 v21, v20, v46
	v_mul_f32_e32 v18, v44, v18
	v_sub_f32_e32 v21, v45, v21
	v_add_f32_e32 v18, v21, v18
	v_add_f32_e32 v35, v20, v18
	v_mul_f32_e32 v36, v35, v35
	v_mov_b32_e32 v34, 0x3ecc95a3
	v_fmac_f32_e32 v34, 0x3e9b6dac, v36
	v_mov_b32_e32 v21, 0x3f2aaada
	v_fmac_f32_e32 v21, v36, v34
	v_cvt_f32_i32_e32 v34, v40
	v_sub_f32_e32 v20, v35, v20
	v_sub_f32_e32 v18, v18, v20
	v_ldexp_f32 v37, v35, 1
	v_mul_f32_e32 v35, v35, v36
	v_mov_b32_e32 v20, 0x3f317218
	s_mov_b32 s7, 0x3f317218
	v_pk_mul_f32 v[20:21], v[34:35], v[20:21]
	v_fma_f32 v36, v34, s7, -v20
	v_fmac_f32_e32 v36, 0xb102e308, v34
	v_pk_add_f32 v[34:35], v[20:21], v[36:37]
	v_sub_f32_e32 v37, v35, v37
	v_ldexp_f32 v18, v18, 1
	v_sub_f32_e32 v37, v21, v37
	v_add_f32_e32 v39, v18, v37
	v_mov_b32_e32 v38, v20
	v_pk_add_f32 v[20:21], v[34:35], v[20:21] neg_lo:[0,1] neg_hi:[0,1]
	v_pk_add_f32 v[40:41], v[34:35], v[38:39]
	v_mov_b32_e32 v21, v41
	v_mov_b32_e32 v37, v34
	v_pk_add_f32 v[44:45], v[36:37], v[20:21] neg_lo:[0,1] neg_hi:[0,1]
	v_pk_add_f32 v[20:21], v[36:37], v[20:21]
	v_mov_b32_e32 v18, v21
	v_pk_add_f32 v[36:37], v[18:19], v[34:35] neg_lo:[0,1] neg_hi:[0,1]
	v_mov_b32_e32 v37, v36
	v_pk_add_f32 v[46:47], v[40:41], v[36:37] neg_lo:[0,1] neg_hi:[0,1]
	v_mov_b32_e32 v20, v41
	v_mov_b32_e32 v40, v35
	v_mov_b32_e32 v41, v36
	v_mov_b32_e32 v45, v21
	v_pk_add_f32 v[20:21], v[20:21], v[40:41] neg_lo:[0,1] neg_hi:[0,1]
	v_mov_b32_e32 v36, v39
	v_mov_b32_e32 v37, v34
	v_pk_add_f32 v[20:21], v[36:37], v[20:21] neg_lo:[0,1] neg_hi:[0,1]
	v_mov_b32_e32 v46, v44
	v_pk_add_f32 v[34:35], v[46:47], v[20:21]
	v_mov_b32_e32 v36, v35
	v_pk_add_f32 v[36:37], v[34:35], v[36:37]
	v_pk_add_f32 v[38:39], v[18:19], v[36:37]
	v_mov_b32_e32 v35, v38
	v_pk_add_f32 v[40:41], v[34:35], v[44:45] neg_lo:[0,1] neg_hi:[0,1]
	v_mov_b32_e32 v21, v36
	v_sub_f32_e32 v18, v34, v40
	v_pk_add_f32 v[20:21], v[20:21], v[40:41] neg_lo:[0,1] neg_hi:[0,1]
	v_sub_f32_e32 v18, v44, v18
	s_mov_b32 s8, 0x7f800000
	v_add_f32_e32 v18, v20, v18
	s_mov_b32 s7, 0x33800000
	v_add_f32_e32 v18, v18, v21
	v_cmp_eq_f32_e32 vcc, s8, v43
	v_cmp_lt_f32_e64 s[8:9], |v43|, s7
	v_add_f32_e32 v18, v38, v18
	s_or_b64 vcc, vcc, s[8:9]
	v_cndmask_b32_e32 v18, v18, v43, vcc
	v_add_f32_e32 v18, v19, v18
.LBB117_202:
	s_or_b64 exec, exec, s[4:5]
	v_max_f32_e32 v19, v18, v18
	v_min_f32_e32 v20, v19, v42
	v_cmp_u_f32_e32 vcc, v18, v18
	v_max_f32_e32 v19, v19, v42
	v_cndmask_b32_e32 v20, v20, v18, vcc
	v_cndmask_b32_e32 v19, v19, v18, vcc
	v_cndmask_b32_e64 v21, v20, v31, s[28:29]
	v_cndmask_b32_e64 v20, v19, v31, s[28:29]
	v_cmp_neq_f32_e32 vcc, v21, v20
	v_cmp_class_f32_e64 s[4:5], v21, s6
	s_or_b64 s[6:7], vcc, s[4:5]
	v_mov_b32_e32 v19, v18
	s_and_saveexec_b64 s[4:5], s[6:7]
	s_cbranch_execz .LBB117_204
; %bb.203:
	v_sub_f32_e32 v19, v21, v20
	s_mov_b32 s6, 0x3fb8aa3b
	v_mul_f32_e32 v21, 0x3fb8aa3b, v19
	v_fma_f32 v34, v19, s6, -v21
	v_rndne_f32_e32 v35, v21
	v_fmac_f32_e32 v34, 0x32a5705f, v19
	v_sub_f32_e32 v21, v21, v35
	v_add_f32_e32 v21, v21, v34
	v_exp_f32_e32 v21, v21
	v_cvt_i32_f32_e32 v34, v35
	s_mov_b32 s6, 0xc2ce8ed0
	v_cmp_ngt_f32_e32 vcc, s6, v19
	s_mov_b32 s6, 0x42b17218
	v_ldexp_f32 v21, v21, v34
	v_cndmask_b32_e32 v21, 0, v21, vcc
	v_mov_b32_e32 v34, 0x7f800000
	v_cmp_nlt_f32_e32 vcc, s6, v19
	v_cndmask_b32_e32 v21, v34, v21, vcc
	v_add_f32_e32 v19, 1.0, v21
	v_add_f32_e32 v34, -1.0, v19
	v_sub_f32_e32 v35, v34, v19
	v_add_f32_e32 v35, 1.0, v35
	v_sub_f32_e32 v34, v21, v34
	v_add_f32_e32 v36, v34, v35
	v_frexp_mant_f32_e32 v37, v19
	s_mov_b32 s6, 0x3f2aaaab
	v_cvt_f64_f32_e32 v[34:35], v19
	v_frexp_exp_i32_f64_e32 v34, v[34:35]
	v_cmp_gt_f32_e32 vcc, s6, v37
	v_subbrev_co_u32_e32 v42, vcc, 0, v34, vcc
	v_sub_u32_e32 v34, 0, v42
	v_ldexp_f32 v19, v19, v34
	v_ldexp_f32 v34, v36, v34
	v_add_f32_e32 v36, -1.0, v19
	v_add_f32_e32 v35, 1.0, v36
	v_sub_f32_e32 v35, v19, v35
	v_add_f32_e32 v37, v34, v35
	v_add_f32_e32 v35, 1.0, v19
	v_add_f32_e32 v38, -1.0, v35
	v_sub_f32_e32 v19, v19, v38
	v_add_f32_e32 v19, v34, v19
	v_add_f32_e32 v43, v35, v19
	v_rcp_f32_e32 v44, v43
	v_sub_f32_e32 v34, v35, v43
	v_add_f32_e32 v35, v36, v37
	v_add_f32_e32 v19, v19, v34
	v_mul_f32_e32 v46, v35, v44
	v_sub_f32_e32 v34, v36, v35
	v_mul_f32_e32 v36, v43, v46
	v_fma_f32 v38, v46, v43, -v36
	v_fmac_f32_e32 v38, v46, v19
	v_add_f32_e32 v45, v37, v34
	v_add_f32_e32 v34, v36, v38
	v_sub_f32_e32 v37, v35, v34
	v_pk_add_f32 v[40:41], v[34:35], v[36:37] neg_lo:[0,1] neg_hi:[0,1]
	v_mov_b32_e32 v39, v34
	v_pk_add_f32 v[34:35], v[40:41], v[38:39] neg_lo:[0,1] neg_hi:[0,1]
	v_add_f32_e32 v35, v45, v35
	v_add_f32_e32 v34, v34, v35
	;; [unrolled: 1-line block ×3, first 2 shown]
	v_mul_f32_e32 v45, v44, v35
	v_mul_f32_e32 v36, v43, v45
	v_fma_f32 v38, v45, v43, -v36
	v_fmac_f32_e32 v38, v45, v19
	v_sub_f32_e32 v19, v37, v35
	v_add_f32_e32 v19, v34, v19
	v_add_f32_e32 v34, v36, v38
	v_sub_f32_e32 v37, v35, v34
	v_pk_add_f32 v[40:41], v[34:35], v[36:37] neg_lo:[0,1] neg_hi:[0,1]
	v_mov_b32_e32 v39, v34
	v_pk_add_f32 v[34:35], v[40:41], v[38:39] neg_lo:[0,1] neg_hi:[0,1]
	v_add_f32_e32 v19, v19, v35
	v_add_f32_e32 v19, v34, v19
	;; [unrolled: 1-line block ×4, first 2 shown]
	v_sub_f32_e32 v35, v34, v46
	v_mul_f32_e32 v19, v44, v19
	v_sub_f32_e32 v35, v45, v35
	v_add_f32_e32 v19, v35, v19
	v_add_f32_e32 v37, v34, v19
	v_mul_f32_e32 v38, v37, v37
	v_mov_b32_e32 v36, 0x3ecc95a3
	v_fmac_f32_e32 v36, 0x3e9b6dac, v38
	v_mov_b32_e32 v35, 0x3f2aaada
	v_fmac_f32_e32 v35, v38, v36
	v_cvt_f32_i32_e32 v36, v42
	v_sub_f32_e32 v34, v37, v34
	v_sub_f32_e32 v19, v19, v34
	v_ldexp_f32 v39, v37, 1
	v_mul_f32_e32 v37, v37, v38
	v_mov_b32_e32 v34, 0x3f317218
	s_mov_b32 s6, 0x3f317218
	v_pk_mul_f32 v[34:35], v[36:37], v[34:35]
	v_fma_f32 v38, v36, s6, -v34
	v_fmac_f32_e32 v38, 0xb102e308, v36
	v_pk_add_f32 v[36:37], v[34:35], v[38:39]
	v_sub_f32_e32 v39, v37, v39
	v_ldexp_f32 v19, v19, 1
	v_sub_f32_e32 v39, v35, v39
	v_add_f32_e32 v41, v19, v39
	v_mov_b32_e32 v40, v34
	v_pk_add_f32 v[34:35], v[36:37], v[34:35] neg_lo:[0,1] neg_hi:[0,1]
	v_pk_add_f32 v[42:43], v[36:37], v[40:41]
	v_mov_b32_e32 v35, v43
	v_mov_b32_e32 v39, v36
	v_pk_add_f32 v[44:45], v[38:39], v[34:35] neg_lo:[0,1] neg_hi:[0,1]
	v_pk_add_f32 v[34:35], v[38:39], v[34:35]
	v_mov_b32_e32 v38, v35
	v_pk_add_f32 v[46:47], v[38:39], v[36:37] neg_lo:[0,1] neg_hi:[0,1]
	v_mov_b32_e32 v19, v46
	v_pk_add_f32 v[48:49], v[42:43], v[18:19] neg_lo:[0,1] neg_hi:[0,1]
	v_mov_b32_e32 v34, v43
	v_mov_b32_e32 v42, v37
	;; [unrolled: 1-line block ×4, first 2 shown]
	v_pk_add_f32 v[34:35], v[34:35], v[42:43] neg_lo:[0,1] neg_hi:[0,1]
	v_mov_b32_e32 v40, v41
	v_mov_b32_e32 v41, v36
	v_pk_add_f32 v[34:35], v[40:41], v[34:35] neg_lo:[0,1] neg_hi:[0,1]
	v_mov_b32_e32 v48, v44
	v_pk_add_f32 v[36:37], v[48:49], v[34:35]
	v_mov_b32_e32 v40, v37
	v_pk_add_f32 v[40:41], v[36:37], v[40:41]
	v_pk_add_f32 v[38:39], v[38:39], v[40:41]
	v_mov_b32_e32 v37, v38
	v_pk_add_f32 v[42:43], v[36:37], v[44:45] neg_lo:[0,1] neg_hi:[0,1]
	v_mov_b32_e32 v35, v40
	v_sub_f32_e32 v19, v36, v42
	v_pk_add_f32 v[34:35], v[34:35], v[42:43] neg_lo:[0,1] neg_hi:[0,1]
	v_sub_f32_e32 v19, v44, v19
	s_mov_b32 s7, 0x7f800000
	v_add_f32_e32 v19, v34, v19
	s_mov_b32 s6, 0x33800000
	v_add_f32_e32 v19, v19, v35
	v_cmp_eq_f32_e32 vcc, s7, v21
	v_cmp_lt_f32_e64 s[6:7], |v21|, s6
	v_add_f32_e32 v19, v38, v19
	s_or_b64 vcc, vcc, s[6:7]
	v_cndmask_b32_e32 v19, v19, v21, vcc
	v_add_f32_e32 v19, v20, v19
.LBB117_204:
	s_or_b64 exec, exec, s[4:5]
	s_branch .LBB117_303
.LBB117_205:
                                        ; implicit-def: $vgpr6_vgpr7_vgpr8_vgpr9_vgpr10_vgpr11_vgpr12_vgpr13_vgpr14_vgpr15_vgpr16_vgpr17_vgpr18_vgpr19_vgpr20_vgpr21
	s_cbranch_execz .LBB117_303
; %bb.206:
	s_cmp_lg_u64 s[44:45], 0
	s_cselect_b64 s[4:5], -1, 0
	s_and_b64 s[6:7], s[2:3], s[4:5]
	s_and_saveexec_b64 s[4:5], s[6:7]
	s_cbranch_execz .LBB117_210
; %bb.207:
	v_mov_b32_e32 v6, 0
	global_load_dword v6, v6, s[40:41]
	v_max_f32_e32 v7, v2, v2
	s_movk_i32 s6, 0x1f8
	s_waitcnt vmcnt(0)
	v_max_f32_e32 v8, v6, v6
	v_min_f32_e32 v9, v8, v7
	v_max_f32_e32 v7, v8, v7
	v_cmp_u_f32_e32 vcc, v6, v6
	v_cndmask_b32_e32 v8, v9, v6, vcc
	v_cndmask_b32_e32 v9, v7, v6, vcc
	v_cmp_u_f32_e32 vcc, v2, v2
	v_cndmask_b32_e32 v7, v8, v2, vcc
	v_cndmask_b32_e32 v2, v9, v2, vcc
	v_cmp_neq_f32_e32 vcc, v7, v2
	v_cmp_class_f32_e64 s[6:7], v7, s6
	s_or_b64 s[8:9], vcc, s[6:7]
	s_and_saveexec_b64 s[6:7], s[8:9]
	s_cbranch_execz .LBB117_209
; %bb.208:
	v_sub_f32_e32 v6, v7, v2
	s_mov_b32 s8, 0x3fb8aa3b
	v_mul_f32_e32 v7, 0x3fb8aa3b, v6
	v_fma_f32 v8, v6, s8, -v7
	v_rndne_f32_e32 v9, v7
	v_fmac_f32_e32 v8, 0x32a5705f, v6
	v_sub_f32_e32 v7, v7, v9
	v_add_f32_e32 v7, v7, v8
	v_exp_f32_e32 v7, v7
	v_cvt_i32_f32_e32 v8, v9
	s_mov_b32 s8, 0xc2ce8ed0
	v_cmp_ngt_f32_e32 vcc, s8, v6
	s_mov_b32 s8, 0x42b17218
	v_ldexp_f32 v7, v7, v8
	v_cndmask_b32_e32 v7, 0, v7, vcc
	v_mov_b32_e32 v8, 0x7f800000
	v_cmp_nlt_f32_e32 vcc, s8, v6
	v_cndmask_b32_e32 v34, v8, v7, vcc
	v_add_f32_e32 v8, 1.0, v34
	v_add_f32_e32 v6, -1.0, v8
	v_sub_f32_e32 v7, v6, v8
	v_add_f32_e32 v7, 1.0, v7
	v_sub_f32_e32 v6, v34, v6
	v_add_f32_e32 v9, v6, v7
	v_frexp_mant_f32_e32 v10, v8
	s_mov_b32 s8, 0x3f2aaaab
	v_cvt_f64_f32_e32 v[6:7], v8
	v_frexp_exp_i32_f64_e32 v6, v[6:7]
	v_cmp_gt_f32_e32 vcc, s8, v10
	v_subbrev_co_u32_e32 v14, vcc, 0, v6, vcc
	v_sub_u32_e32 v6, 0, v14
	v_ldexp_f32 v7, v8, v6
	v_add_f32_e32 v8, -1.0, v7
	v_add_f32_e32 v10, 1.0, v7
	v_ldexp_f32 v6, v9, v6
	v_add_f32_e32 v9, 1.0, v8
	v_add_f32_e32 v11, -1.0, v10
	v_sub_f32_e32 v9, v7, v9
	v_sub_f32_e32 v7, v7, v11
	v_add_f32_e32 v9, v6, v9
	v_add_f32_e32 v6, v6, v7
	;; [unrolled: 1-line block ×3, first 2 shown]
	v_rcp_f32_e32 v17, v15
	v_sub_f32_e32 v7, v10, v15
	v_add_f32_e32 v16, v6, v7
	v_add_f32_e32 v7, v8, v9
	v_mul_f32_e32 v19, v7, v17
	v_sub_f32_e32 v6, v8, v7
	v_mul_f32_e32 v8, v15, v19
	v_fma_f32 v10, v19, v15, -v8
	v_fmac_f32_e32 v10, v19, v16
	v_add_f32_e32 v18, v9, v6
	v_add_f32_e32 v6, v8, v10
	v_sub_f32_e32 v9, v7, v6
	v_pk_add_f32 v[12:13], v[6:7], v[8:9] neg_lo:[0,1] neg_hi:[0,1]
	v_mov_b32_e32 v11, v6
	v_pk_add_f32 v[6:7], v[12:13], v[10:11] neg_lo:[0,1] neg_hi:[0,1]
	v_add_f32_e32 v7, v18, v7
	v_add_f32_e32 v6, v6, v7
	;; [unrolled: 1-line block ×3, first 2 shown]
	v_mul_f32_e32 v18, v17, v7
	v_mul_f32_e32 v8, v15, v18
	v_fma_f32 v10, v18, v15, -v8
	v_fmac_f32_e32 v10, v18, v16
	v_sub_f32_e32 v9, v9, v7
	v_add_f32_e32 v15, v6, v9
	v_add_f32_e32 v6, v8, v10
	v_sub_f32_e32 v9, v7, v6
	v_pk_add_f32 v[12:13], v[6:7], v[8:9] neg_lo:[0,1] neg_hi:[0,1]
	v_mov_b32_e32 v11, v6
	v_pk_add_f32 v[6:7], v[12:13], v[10:11] neg_lo:[0,1] neg_hi:[0,1]
	v_add_f32_e32 v7, v15, v7
	v_add_f32_e32 v6, v6, v7
	;; [unrolled: 1-line block ×4, first 2 shown]
	v_sub_f32_e32 v7, v9, v19
	v_mul_f32_e32 v6, v17, v6
	v_sub_f32_e32 v7, v18, v7
	v_add_f32_e32 v6, v7, v6
	v_add_f32_e32 v10, v9, v6
	v_mul_f32_e32 v12, v10, v10
	v_mov_b32_e32 v8, 0x3ecc95a3
	v_fmac_f32_e32 v8, 0x3e9b6dac, v12
	v_mov_b32_e32 v7, 0x3f2aaada
	v_fmac_f32_e32 v7, v12, v8
	v_cvt_f32_i32_e32 v8, v14
	v_sub_f32_e32 v9, v10, v9
	v_sub_f32_e32 v6, v6, v9
	v_ldexp_f32 v13, v6, 1
	v_mul_f32_e32 v9, v10, v12
	v_mov_b32_e32 v6, 0x3f317218
	s_mov_b32 s8, 0x3f317218
	v_pk_mul_f32 v[6:7], v[8:9], v[6:7]
	v_ldexp_f32 v11, v10, 1
	v_fma_f32 v10, v8, s8, -v6
	v_fmac_f32_e32 v10, 0xb102e308, v8
	v_pk_add_f32 v[8:9], v[6:7], v[10:11]
	v_sub_f32_e32 v11, v9, v11
	v_sub_f32_e32 v11, v7, v11
	v_add_f32_e32 v13, v13, v11
	v_mov_b32_e32 v12, v6
	v_pk_add_f32 v[6:7], v[8:9], v[6:7] neg_lo:[0,1] neg_hi:[0,1]
	v_pk_add_f32 v[14:15], v[8:9], v[12:13]
	v_mov_b32_e32 v7, v15
	v_mov_b32_e32 v11, v8
	v_pk_add_f32 v[16:17], v[10:11], v[6:7] neg_lo:[0,1] neg_hi:[0,1]
	v_pk_add_f32 v[6:7], v[10:11], v[6:7]
	v_mov_b32_e32 v10, v7
	v_pk_add_f32 v[18:19], v[10:11], v[8:9] neg_lo:[0,1] neg_hi:[0,1]
	v_mov_b32_e32 v11, v18
	v_pk_add_f32 v[20:21], v[14:15], v[10:11] neg_lo:[0,1] neg_hi:[0,1]
	v_mov_b32_e32 v6, v15
	v_mov_b32_e32 v14, v9
	;; [unrolled: 1-line block ×4, first 2 shown]
	v_pk_add_f32 v[6:7], v[6:7], v[14:15] neg_lo:[0,1] neg_hi:[0,1]
	v_mov_b32_e32 v12, v13
	v_mov_b32_e32 v13, v8
	v_pk_add_f32 v[6:7], v[12:13], v[6:7] neg_lo:[0,1] neg_hi:[0,1]
	v_mov_b32_e32 v20, v16
	v_pk_add_f32 v[8:9], v[20:21], v[6:7]
	v_mov_b32_e32 v12, v9
	v_pk_add_f32 v[12:13], v[8:9], v[12:13]
	v_pk_add_f32 v[10:11], v[10:11], v[12:13]
	v_mov_b32_e32 v9, v10
	v_pk_add_f32 v[14:15], v[8:9], v[16:17] neg_lo:[0,1] neg_hi:[0,1]
	v_mov_b32_e32 v7, v12
	v_sub_f32_e32 v8, v8, v14
	v_pk_add_f32 v[6:7], v[6:7], v[14:15] neg_lo:[0,1] neg_hi:[0,1]
	v_sub_f32_e32 v8, v16, v8
	s_mov_b32 s9, 0x7f800000
	v_add_f32_e32 v6, v6, v8
	s_mov_b32 s8, 0x33800000
	v_add_f32_e32 v6, v6, v7
	v_cmp_eq_f32_e32 vcc, s9, v34
	v_cmp_lt_f32_e64 s[8:9], |v34|, s8
	v_add_f32_e32 v6, v10, v6
	s_or_b64 vcc, vcc, s[8:9]
	v_cndmask_b32_e32 v6, v6, v34, vcc
	v_add_f32_e32 v6, v2, v6
.LBB117_209:
	s_or_b64 exec, exec, s[6:7]
	v_mov_b32_e32 v2, v6
.LBB117_210:
	s_or_b64 exec, exec, s[4:5]
	v_max_f32_e32 v14, v3, v3
	v_max_f32_e32 v35, v2, v2
	v_min_f32_e32 v21, v35, v14
	v_cmp_u_f32_e64 s[28:29], v2, v2
	v_cndmask_b32_e64 v6, v21, v2, s[28:29]
	v_cmp_u_f32_e32 vcc, v3, v3
	v_max_f32_e32 v34, v35, v14
	v_cndmask_b32_e32 v7, v6, v3, vcc
	v_cndmask_b32_e64 v6, v34, v2, s[28:29]
	v_cndmask_b32_e32 v6, v6, v3, vcc
	s_movk_i32 s8, 0x1f8
	v_cmp_neq_f32_e64 s[4:5], v7, v6
	v_cmp_class_f32_e64 s[6:7], v7, s8
	s_or_b64 s[4:5], s[4:5], s[6:7]
	v_mov_b32_e32 v36, v2
	s_and_saveexec_b64 s[6:7], s[4:5]
	s_cbranch_execz .LBB117_212
; %bb.211:
	v_sub_f32_e32 v7, v7, v6
	s_mov_b32 s4, 0x3fb8aa3b
	v_mul_f32_e32 v8, 0x3fb8aa3b, v7
	v_fma_f32 v9, v7, s4, -v8
	v_rndne_f32_e32 v10, v8
	v_fmac_f32_e32 v9, 0x32a5705f, v7
	v_sub_f32_e32 v8, v8, v10
	v_add_f32_e32 v8, v8, v9
	v_exp_f32_e32 v8, v8
	v_cvt_i32_f32_e32 v9, v10
	s_mov_b32 s4, 0xc2ce8ed0
	v_cmp_ngt_f32_e64 s[4:5], s4, v7
	s_mov_b32 s9, 0x7f800000
	v_ldexp_f32 v8, v8, v9
	v_cndmask_b32_e64 v8, 0, v8, s[4:5]
	s_mov_b32 s4, 0x42b17218
	v_mov_b32_e32 v9, 0x7f800000
	v_cmp_nlt_f32_e64 s[4:5], s4, v7
	v_cndmask_b32_e64 v15, v9, v8, s[4:5]
	v_add_f32_e32 v7, 1.0, v15
	v_add_f32_e32 v8, -1.0, v7
	v_sub_f32_e32 v9, v8, v7
	v_add_f32_e32 v9, 1.0, v9
	v_sub_f32_e32 v8, v15, v8
	v_add_f32_e32 v10, v8, v9
	v_frexp_mant_f32_e32 v11, v7
	s_mov_b32 s4, 0x3f2aaaab
	v_cvt_f64_f32_e32 v[8:9], v7
	v_frexp_exp_i32_f64_e32 v8, v[8:9]
	v_cmp_gt_f32_e64 s[4:5], s4, v11
	v_subbrev_co_u32_e64 v18, s[4:5], 0, v8, s[4:5]
	v_sub_u32_e32 v8, 0, v18
	v_ldexp_f32 v7, v7, v8
	v_ldexp_f32 v8, v10, v8
	v_add_f32_e32 v10, -1.0, v7
	v_add_f32_e32 v9, 1.0, v10
	v_sub_f32_e32 v9, v7, v9
	v_add_f32_e32 v11, v8, v9
	v_add_f32_e32 v9, 1.0, v7
	v_add_f32_e32 v12, -1.0, v9
	v_sub_f32_e32 v7, v7, v12
	v_add_f32_e32 v7, v8, v7
	v_add_f32_e32 v19, v9, v7
	v_rcp_f32_e32 v20, v19
	v_sub_f32_e32 v8, v9, v19
	v_add_f32_e32 v9, v10, v11
	v_add_f32_e32 v7, v7, v8
	v_mul_f32_e32 v37, v9, v20
	v_sub_f32_e32 v8, v10, v9
	v_mul_f32_e32 v10, v19, v37
	v_fma_f32 v12, v37, v19, -v10
	v_fmac_f32_e32 v12, v37, v7
	v_add_f32_e32 v36, v11, v8
	v_add_f32_e32 v8, v10, v12
	v_sub_f32_e32 v11, v9, v8
	v_pk_add_f32 v[16:17], v[8:9], v[10:11] neg_lo:[0,1] neg_hi:[0,1]
	v_mov_b32_e32 v13, v8
	v_pk_add_f32 v[8:9], v[16:17], v[12:13] neg_lo:[0,1] neg_hi:[0,1]
	v_add_f32_e32 v9, v36, v9
	v_add_f32_e32 v8, v8, v9
	;; [unrolled: 1-line block ×3, first 2 shown]
	v_mul_f32_e32 v36, v20, v9
	v_mul_f32_e32 v10, v19, v36
	v_fma_f32 v12, v36, v19, -v10
	v_fmac_f32_e32 v12, v36, v7
	v_sub_f32_e32 v7, v11, v9
	v_add_f32_e32 v7, v8, v7
	v_add_f32_e32 v8, v10, v12
	v_sub_f32_e32 v11, v9, v8
	v_pk_add_f32 v[16:17], v[8:9], v[10:11] neg_lo:[0,1] neg_hi:[0,1]
	v_mov_b32_e32 v13, v8
	v_pk_add_f32 v[8:9], v[16:17], v[12:13] neg_lo:[0,1] neg_hi:[0,1]
	v_add_f32_e32 v7, v7, v9
	v_add_f32_e32 v7, v8, v7
	;; [unrolled: 1-line block ×4, first 2 shown]
	v_sub_f32_e32 v9, v8, v37
	v_mul_f32_e32 v7, v20, v7
	v_sub_f32_e32 v9, v36, v9
	v_add_f32_e32 v7, v9, v7
	v_add_f32_e32 v11, v8, v7
	v_mul_f32_e32 v12, v11, v11
	v_mov_b32_e32 v10, 0x3ecc95a3
	v_fmac_f32_e32 v10, 0x3e9b6dac, v12
	v_mov_b32_e32 v9, 0x3f2aaada
	v_fmac_f32_e32 v9, v12, v10
	v_cvt_f32_i32_e32 v10, v18
	v_sub_f32_e32 v8, v11, v8
	v_sub_f32_e32 v7, v7, v8
	v_ldexp_f32 v13, v11, 1
	v_mul_f32_e32 v11, v11, v12
	v_mov_b32_e32 v8, 0x3f317218
	s_mov_b32 s4, 0x3f317218
	v_pk_mul_f32 v[8:9], v[10:11], v[8:9]
	v_fma_f32 v12, v10, s4, -v8
	v_fmac_f32_e32 v12, 0xb102e308, v10
	v_pk_add_f32 v[10:11], v[8:9], v[12:13]
	v_sub_f32_e32 v13, v11, v13
	v_ldexp_f32 v7, v7, 1
	v_sub_f32_e32 v13, v9, v13
	v_add_f32_e32 v17, v7, v13
	v_mov_b32_e32 v16, v8
	v_pk_add_f32 v[8:9], v[10:11], v[8:9] neg_lo:[0,1] neg_hi:[0,1]
	v_pk_add_f32 v[18:19], v[10:11], v[16:17]
	v_mov_b32_e32 v9, v19
	v_mov_b32_e32 v13, v10
	v_pk_add_f32 v[36:37], v[12:13], v[8:9] neg_lo:[0,1] neg_hi:[0,1]
	v_pk_add_f32 v[8:9], v[12:13], v[8:9]
	v_mov_b32_e32 v12, v9
	v_pk_add_f32 v[38:39], v[12:13], v[10:11] neg_lo:[0,1] neg_hi:[0,1]
	v_mov_b32_e32 v7, v38
	v_pk_add_f32 v[40:41], v[18:19], v[6:7] neg_lo:[0,1] neg_hi:[0,1]
	v_mov_b32_e32 v8, v19
	v_mov_b32_e32 v18, v11
	;; [unrolled: 1-line block ×4, first 2 shown]
	v_pk_add_f32 v[8:9], v[8:9], v[18:19] neg_lo:[0,1] neg_hi:[0,1]
	v_mov_b32_e32 v16, v17
	v_mov_b32_e32 v17, v10
	v_pk_add_f32 v[8:9], v[16:17], v[8:9] neg_lo:[0,1] neg_hi:[0,1]
	v_mov_b32_e32 v40, v36
	v_pk_add_f32 v[10:11], v[40:41], v[8:9]
	v_mov_b32_e32 v16, v11
	v_pk_add_f32 v[16:17], v[10:11], v[16:17]
	v_pk_add_f32 v[12:13], v[12:13], v[16:17]
	v_mov_b32_e32 v11, v12
	v_pk_add_f32 v[18:19], v[10:11], v[36:37] neg_lo:[0,1] neg_hi:[0,1]
	v_mov_b32_e32 v9, v16
	v_sub_f32_e32 v7, v10, v18
	v_pk_add_f32 v[8:9], v[8:9], v[18:19] neg_lo:[0,1] neg_hi:[0,1]
	v_sub_f32_e32 v7, v36, v7
	v_add_f32_e32 v7, v8, v7
	v_cmp_eq_f32_e64 s[4:5], s9, v15
	s_mov_b32 s9, 0x33800000
	v_add_f32_e32 v7, v7, v9
	v_cmp_lt_f32_e64 s[10:11], |v15|, s9
	v_add_f32_e32 v7, v12, v7
	s_or_b64 s[4:5], s[4:5], s[10:11]
	v_cndmask_b32_e64 v7, v7, v15, s[4:5]
	v_add_f32_e32 v36, v6, v7
.LBB117_212:
	s_or_b64 exec, exec, s[6:7]
	v_max_f32_e32 v8, v4, v4
	v_max_f32_e32 v6, v36, v36
	v_min_f32_e32 v7, v6, v8
	v_cmp_u_f32_e64 s[6:7], v36, v36
	v_max_f32_e32 v6, v6, v8
	v_cndmask_b32_e64 v7, v7, v36, s[6:7]
	v_cmp_u_f32_e64 s[4:5], v4, v4
	v_cndmask_b32_e64 v6, v6, v36, s[6:7]
	v_cndmask_b32_e64 v7, v7, v4, s[4:5]
	;; [unrolled: 1-line block ×3, first 2 shown]
	v_cmp_neq_f32_e64 s[6:7], v7, v6
	v_cmp_class_f32_e64 s[8:9], v7, s8
	s_or_b64 s[6:7], s[6:7], s[8:9]
	s_and_saveexec_b64 s[8:9], s[6:7]
	s_cbranch_execz .LBB117_214
; %bb.213:
	v_sub_f32_e32 v7, v7, v6
	s_mov_b32 s6, 0x3fb8aa3b
	v_mul_f32_e32 v9, 0x3fb8aa3b, v7
	v_fma_f32 v10, v7, s6, -v9
	v_rndne_f32_e32 v11, v9
	v_fmac_f32_e32 v10, 0x32a5705f, v7
	v_sub_f32_e32 v9, v9, v11
	v_add_f32_e32 v9, v9, v10
	v_exp_f32_e32 v9, v9
	v_cvt_i32_f32_e32 v10, v11
	s_mov_b32 s6, 0xc2ce8ed0
	v_cmp_ngt_f32_e64 s[6:7], s6, v7
	s_mov_b32 s10, 0x7f800000
	v_ldexp_f32 v9, v9, v10
	v_cndmask_b32_e64 v9, 0, v9, s[6:7]
	s_mov_b32 s6, 0x42b17218
	v_mov_b32_e32 v10, 0x7f800000
	v_cmp_nlt_f32_e64 s[6:7], s6, v7
	v_cndmask_b32_e64 v9, v10, v9, s[6:7]
	v_add_f32_e32 v7, 1.0, v9
	v_add_f32_e32 v10, -1.0, v7
	v_sub_f32_e32 v11, v10, v7
	v_add_f32_e32 v11, 1.0, v11
	v_sub_f32_e32 v10, v9, v10
	v_add_f32_e32 v12, v10, v11
	v_frexp_mant_f32_e32 v13, v7
	s_mov_b32 s6, 0x3f2aaaab
	v_cvt_f64_f32_e32 v[10:11], v7
	v_frexp_exp_i32_f64_e32 v10, v[10:11]
	v_cmp_gt_f32_e64 s[6:7], s6, v13
	v_subbrev_co_u32_e64 v15, s[6:7], 0, v10, s[6:7]
	v_sub_u32_e32 v10, 0, v15
	v_ldexp_f32 v7, v7, v10
	v_ldexp_f32 v10, v12, v10
	v_add_f32_e32 v12, -1.0, v7
	v_add_f32_e32 v11, 1.0, v12
	v_sub_f32_e32 v11, v7, v11
	v_add_f32_e32 v13, v10, v11
	v_add_f32_e32 v11, 1.0, v7
	v_add_f32_e32 v16, -1.0, v11
	v_sub_f32_e32 v7, v7, v16
	v_add_f32_e32 v7, v10, v7
	v_add_f32_e32 v20, v11, v7
	v_rcp_f32_e32 v36, v20
	v_sub_f32_e32 v10, v11, v20
	v_add_f32_e32 v11, v12, v13
	v_add_f32_e32 v7, v7, v10
	v_mul_f32_e32 v38, v11, v36
	v_sub_f32_e32 v10, v12, v11
	v_mul_f32_e32 v12, v20, v38
	v_fma_f32 v16, v38, v20, -v12
	v_fmac_f32_e32 v16, v38, v7
	v_add_f32_e32 v37, v13, v10
	v_add_f32_e32 v10, v12, v16
	v_sub_f32_e32 v13, v11, v10
	v_pk_add_f32 v[18:19], v[10:11], v[12:13] neg_lo:[0,1] neg_hi:[0,1]
	v_mov_b32_e32 v17, v10
	v_pk_add_f32 v[10:11], v[18:19], v[16:17] neg_lo:[0,1] neg_hi:[0,1]
	v_add_f32_e32 v11, v37, v11
	v_add_f32_e32 v10, v10, v11
	;; [unrolled: 1-line block ×3, first 2 shown]
	v_mul_f32_e32 v37, v36, v11
	v_mul_f32_e32 v12, v20, v37
	v_fma_f32 v16, v37, v20, -v12
	v_fmac_f32_e32 v16, v37, v7
	v_sub_f32_e32 v7, v13, v11
	v_add_f32_e32 v7, v10, v7
	v_add_f32_e32 v10, v12, v16
	v_sub_f32_e32 v13, v11, v10
	v_pk_add_f32 v[18:19], v[10:11], v[12:13] neg_lo:[0,1] neg_hi:[0,1]
	v_mov_b32_e32 v17, v10
	v_pk_add_f32 v[10:11], v[18:19], v[16:17] neg_lo:[0,1] neg_hi:[0,1]
	v_add_f32_e32 v7, v7, v11
	v_add_f32_e32 v7, v10, v7
	;; [unrolled: 1-line block ×4, first 2 shown]
	v_sub_f32_e32 v11, v10, v38
	v_mul_f32_e32 v7, v36, v7
	v_sub_f32_e32 v11, v37, v11
	v_add_f32_e32 v7, v11, v7
	v_add_f32_e32 v13, v10, v7
	v_mul_f32_e32 v16, v13, v13
	v_mov_b32_e32 v12, 0x3ecc95a3
	v_fmac_f32_e32 v12, 0x3e9b6dac, v16
	v_mov_b32_e32 v11, 0x3f2aaada
	v_fmac_f32_e32 v11, v16, v12
	v_cvt_f32_i32_e32 v12, v15
	v_sub_f32_e32 v10, v13, v10
	v_sub_f32_e32 v7, v7, v10
	v_ldexp_f32 v17, v13, 1
	v_mul_f32_e32 v13, v13, v16
	v_mov_b32_e32 v10, 0x3f317218
	s_mov_b32 s6, 0x3f317218
	v_pk_mul_f32 v[10:11], v[12:13], v[10:11]
	v_fma_f32 v16, v12, s6, -v10
	v_fmac_f32_e32 v16, 0xb102e308, v12
	v_pk_add_f32 v[12:13], v[10:11], v[16:17]
	v_sub_f32_e32 v15, v13, v17
	v_ldexp_f32 v7, v7, 1
	v_sub_f32_e32 v15, v11, v15
	v_add_f32_e32 v19, v7, v15
	v_mov_b32_e32 v18, v10
	v_pk_add_f32 v[10:11], v[12:13], v[10:11] neg_lo:[0,1] neg_hi:[0,1]
	v_pk_add_f32 v[36:37], v[12:13], v[18:19]
	v_mov_b32_e32 v11, v37
	v_mov_b32_e32 v17, v12
	v_pk_add_f32 v[38:39], v[16:17], v[10:11] neg_lo:[0,1] neg_hi:[0,1]
	v_pk_add_f32 v[10:11], v[16:17], v[10:11]
	v_mov_b32_e32 v16, v11
	v_pk_add_f32 v[40:41], v[16:17], v[12:13] neg_lo:[0,1] neg_hi:[0,1]
	v_mov_b32_e32 v7, v40
	v_pk_add_f32 v[42:43], v[36:37], v[6:7] neg_lo:[0,1] neg_hi:[0,1]
	v_mov_b32_e32 v10, v37
	v_mov_b32_e32 v36, v13
	;; [unrolled: 1-line block ×4, first 2 shown]
	v_pk_add_f32 v[10:11], v[10:11], v[36:37] neg_lo:[0,1] neg_hi:[0,1]
	v_mov_b32_e32 v18, v19
	v_mov_b32_e32 v19, v12
	v_pk_add_f32 v[10:11], v[18:19], v[10:11] neg_lo:[0,1] neg_hi:[0,1]
	v_mov_b32_e32 v42, v38
	v_pk_add_f32 v[12:13], v[42:43], v[10:11]
	v_mov_b32_e32 v18, v13
	v_pk_add_f32 v[18:19], v[12:13], v[18:19]
	v_pk_add_f32 v[16:17], v[16:17], v[18:19]
	v_mov_b32_e32 v13, v16
	v_pk_add_f32 v[36:37], v[12:13], v[38:39] neg_lo:[0,1] neg_hi:[0,1]
	v_mov_b32_e32 v11, v18
	v_sub_f32_e32 v7, v12, v36
	v_pk_add_f32 v[10:11], v[10:11], v[36:37] neg_lo:[0,1] neg_hi:[0,1]
	v_sub_f32_e32 v7, v38, v7
	v_add_f32_e32 v7, v10, v7
	v_cmp_eq_f32_e64 s[6:7], s10, v9
	s_mov_b32 s10, 0x33800000
	v_add_f32_e32 v7, v7, v11
	v_cmp_lt_f32_e64 s[10:11], |v9|, s10
	v_add_f32_e32 v7, v16, v7
	s_or_b64 s[6:7], s[6:7], s[10:11]
	v_cndmask_b32_e64 v7, v7, v9, s[6:7]
	v_add_f32_e32 v36, v6, v7
.LBB117_214:
	s_or_b64 exec, exec, s[8:9]
	v_max_f32_e32 v9, v5, v5
	v_max_f32_e32 v6, v36, v36
	v_min_f32_e32 v7, v6, v9
	v_cmp_u_f32_e64 s[8:9], v36, v36
	v_max_f32_e32 v6, v6, v9
	v_cndmask_b32_e64 v7, v7, v36, s[8:9]
	v_cmp_u_f32_e64 s[6:7], v5, v5
	v_cndmask_b32_e64 v6, v6, v36, s[8:9]
	v_cndmask_b32_e64 v7, v7, v5, s[6:7]
	;; [unrolled: 1-line block ×3, first 2 shown]
	s_movk_i32 s12, 0x1f8
	v_cmp_neq_f32_e64 s[8:9], v7, v6
	v_cmp_class_f32_e64 s[10:11], v7, s12
	s_or_b64 s[8:9], s[8:9], s[10:11]
	s_and_saveexec_b64 s[10:11], s[8:9]
	s_cbranch_execz .LBB117_216
; %bb.215:
	v_sub_f32_e32 v7, v7, v6
	s_mov_b32 s8, 0x3fb8aa3b
	v_mul_f32_e32 v10, 0x3fb8aa3b, v7
	v_fma_f32 v11, v7, s8, -v10
	v_rndne_f32_e32 v12, v10
	v_fmac_f32_e32 v11, 0x32a5705f, v7
	v_sub_f32_e32 v10, v10, v12
	v_add_f32_e32 v10, v10, v11
	v_exp_f32_e32 v10, v10
	v_cvt_i32_f32_e32 v11, v12
	s_mov_b32 s8, 0xc2ce8ed0
	v_cmp_ngt_f32_e64 s[8:9], s8, v7
	s_mov_b32 s13, 0x7f800000
	v_ldexp_f32 v10, v10, v11
	v_cndmask_b32_e64 v10, 0, v10, s[8:9]
	s_mov_b32 s8, 0x42b17218
	v_mov_b32_e32 v11, 0x7f800000
	v_cmp_nlt_f32_e64 s[8:9], s8, v7
	v_cndmask_b32_e64 v15, v11, v10, s[8:9]
	v_add_f32_e32 v7, 1.0, v15
	v_add_f32_e32 v10, -1.0, v7
	v_sub_f32_e32 v11, v10, v7
	v_add_f32_e32 v11, 1.0, v11
	v_sub_f32_e32 v10, v15, v10
	v_add_f32_e32 v12, v10, v11
	v_frexp_mant_f32_e32 v13, v7
	s_mov_b32 s8, 0x3f2aaaab
	v_cvt_f64_f32_e32 v[10:11], v7
	v_frexp_exp_i32_f64_e32 v10, v[10:11]
	v_cmp_gt_f32_e64 s[8:9], s8, v13
	v_subbrev_co_u32_e64 v20, s[8:9], 0, v10, s[8:9]
	v_sub_u32_e32 v10, 0, v20
	v_ldexp_f32 v7, v7, v10
	v_ldexp_f32 v10, v12, v10
	v_add_f32_e32 v12, -1.0, v7
	v_add_f32_e32 v11, 1.0, v12
	v_sub_f32_e32 v11, v7, v11
	v_add_f32_e32 v13, v10, v11
	v_add_f32_e32 v11, 1.0, v7
	v_add_f32_e32 v16, -1.0, v11
	v_sub_f32_e32 v7, v7, v16
	v_add_f32_e32 v7, v10, v7
	v_add_f32_e32 v36, v11, v7
	v_rcp_f32_e32 v37, v36
	v_sub_f32_e32 v10, v11, v36
	v_add_f32_e32 v11, v12, v13
	v_add_f32_e32 v7, v7, v10
	v_mul_f32_e32 v39, v11, v37
	v_sub_f32_e32 v10, v12, v11
	v_mul_f32_e32 v12, v36, v39
	v_fma_f32 v16, v39, v36, -v12
	v_fmac_f32_e32 v16, v39, v7
	v_add_f32_e32 v38, v13, v10
	v_add_f32_e32 v10, v12, v16
	v_sub_f32_e32 v13, v11, v10
	v_pk_add_f32 v[18:19], v[10:11], v[12:13] neg_lo:[0,1] neg_hi:[0,1]
	v_mov_b32_e32 v17, v10
	v_pk_add_f32 v[10:11], v[18:19], v[16:17] neg_lo:[0,1] neg_hi:[0,1]
	v_add_f32_e32 v11, v38, v11
	v_add_f32_e32 v10, v10, v11
	;; [unrolled: 1-line block ×3, first 2 shown]
	v_mul_f32_e32 v38, v37, v11
	v_mul_f32_e32 v12, v36, v38
	v_fma_f32 v16, v38, v36, -v12
	v_fmac_f32_e32 v16, v38, v7
	v_sub_f32_e32 v7, v13, v11
	v_add_f32_e32 v7, v10, v7
	v_add_f32_e32 v10, v12, v16
	v_sub_f32_e32 v13, v11, v10
	v_pk_add_f32 v[18:19], v[10:11], v[12:13] neg_lo:[0,1] neg_hi:[0,1]
	v_mov_b32_e32 v17, v10
	v_pk_add_f32 v[10:11], v[18:19], v[16:17] neg_lo:[0,1] neg_hi:[0,1]
	v_add_f32_e32 v7, v7, v11
	v_add_f32_e32 v7, v10, v7
	;; [unrolled: 1-line block ×4, first 2 shown]
	v_sub_f32_e32 v11, v10, v39
	v_mul_f32_e32 v7, v37, v7
	v_sub_f32_e32 v11, v38, v11
	v_add_f32_e32 v7, v11, v7
	v_add_f32_e32 v13, v10, v7
	v_mul_f32_e32 v16, v13, v13
	v_mov_b32_e32 v12, 0x3ecc95a3
	v_fmac_f32_e32 v12, 0x3e9b6dac, v16
	v_mov_b32_e32 v11, 0x3f2aaada
	v_fmac_f32_e32 v11, v16, v12
	v_cvt_f32_i32_e32 v12, v20
	v_sub_f32_e32 v10, v13, v10
	v_sub_f32_e32 v7, v7, v10
	v_ldexp_f32 v17, v13, 1
	v_mul_f32_e32 v13, v13, v16
	v_mov_b32_e32 v10, 0x3f317218
	s_mov_b32 s8, 0x3f317218
	v_pk_mul_f32 v[10:11], v[12:13], v[10:11]
	v_fma_f32 v16, v12, s8, -v10
	v_fmac_f32_e32 v16, 0xb102e308, v12
	v_pk_add_f32 v[12:13], v[10:11], v[16:17]
	v_sub_f32_e32 v17, v13, v17
	v_ldexp_f32 v7, v7, 1
	v_sub_f32_e32 v17, v11, v17
	v_add_f32_e32 v19, v7, v17
	v_mov_b32_e32 v18, v10
	v_pk_add_f32 v[10:11], v[12:13], v[10:11] neg_lo:[0,1] neg_hi:[0,1]
	v_pk_add_f32 v[36:37], v[12:13], v[18:19]
	v_mov_b32_e32 v11, v37
	v_mov_b32_e32 v17, v12
	v_pk_add_f32 v[38:39], v[16:17], v[10:11] neg_lo:[0,1] neg_hi:[0,1]
	v_pk_add_f32 v[10:11], v[16:17], v[10:11]
	v_mov_b32_e32 v16, v11
	v_pk_add_f32 v[40:41], v[16:17], v[12:13] neg_lo:[0,1] neg_hi:[0,1]
	v_mov_b32_e32 v7, v40
	v_pk_add_f32 v[42:43], v[36:37], v[6:7] neg_lo:[0,1] neg_hi:[0,1]
	v_mov_b32_e32 v10, v37
	v_mov_b32_e32 v36, v13
	;; [unrolled: 1-line block ×4, first 2 shown]
	v_pk_add_f32 v[10:11], v[10:11], v[36:37] neg_lo:[0,1] neg_hi:[0,1]
	v_mov_b32_e32 v18, v19
	v_mov_b32_e32 v19, v12
	v_pk_add_f32 v[10:11], v[18:19], v[10:11] neg_lo:[0,1] neg_hi:[0,1]
	v_mov_b32_e32 v42, v38
	v_pk_add_f32 v[12:13], v[42:43], v[10:11]
	v_mov_b32_e32 v18, v13
	v_pk_add_f32 v[18:19], v[12:13], v[18:19]
	v_pk_add_f32 v[16:17], v[16:17], v[18:19]
	v_mov_b32_e32 v13, v16
	v_pk_add_f32 v[36:37], v[12:13], v[38:39] neg_lo:[0,1] neg_hi:[0,1]
	v_mov_b32_e32 v11, v18
	v_sub_f32_e32 v7, v12, v36
	v_pk_add_f32 v[10:11], v[10:11], v[36:37] neg_lo:[0,1] neg_hi:[0,1]
	v_sub_f32_e32 v7, v38, v7
	v_add_f32_e32 v7, v10, v7
	v_cmp_eq_f32_e64 s[8:9], s13, v15
	s_mov_b32 s13, 0x33800000
	v_add_f32_e32 v7, v7, v11
	v_cmp_lt_f32_e64 s[14:15], |v15|, s13
	v_add_f32_e32 v7, v16, v7
	s_or_b64 s[8:9], s[8:9], s[14:15]
	v_cndmask_b32_e64 v7, v7, v15, s[8:9]
	v_add_f32_e32 v36, v6, v7
.LBB117_216:
	s_or_b64 exec, exec, s[10:11]
	v_max_f32_e32 v10, v26, v26
	v_max_f32_e32 v6, v36, v36
	v_min_f32_e32 v7, v6, v10
	v_cmp_u_f32_e64 s[10:11], v36, v36
	v_max_f32_e32 v6, v6, v10
	v_cndmask_b32_e64 v7, v7, v36, s[10:11]
	v_cmp_u_f32_e64 s[8:9], v26, v26
	v_cndmask_b32_e64 v6, v6, v36, s[10:11]
	v_cndmask_b32_e64 v7, v7, v26, s[8:9]
	;; [unrolled: 1-line block ×3, first 2 shown]
	v_cmp_neq_f32_e64 s[10:11], v7, v6
	v_cmp_class_f32_e64 s[12:13], v7, s12
	s_or_b64 s[10:11], s[10:11], s[12:13]
	s_and_saveexec_b64 s[12:13], s[10:11]
	s_cbranch_execz .LBB117_218
; %bb.217:
	v_sub_f32_e32 v7, v7, v6
	s_mov_b32 s10, 0x3fb8aa3b
	v_mul_f32_e32 v11, 0x3fb8aa3b, v7
	v_fma_f32 v12, v7, s10, -v11
	v_rndne_f32_e32 v13, v11
	v_fmac_f32_e32 v12, 0x32a5705f, v7
	v_sub_f32_e32 v11, v11, v13
	v_add_f32_e32 v11, v11, v12
	v_exp_f32_e32 v11, v11
	v_cvt_i32_f32_e32 v12, v13
	s_mov_b32 s10, 0xc2ce8ed0
	v_cmp_ngt_f32_e64 s[10:11], s10, v7
	s_mov_b32 s14, 0x7f800000
	v_ldexp_f32 v11, v11, v12
	v_cndmask_b32_e64 v11, 0, v11, s[10:11]
	s_mov_b32 s10, 0x42b17218
	v_mov_b32_e32 v12, 0x7f800000
	v_cmp_nlt_f32_e64 s[10:11], s10, v7
	v_cndmask_b32_e64 v11, v12, v11, s[10:11]
	v_add_f32_e32 v7, 1.0, v11
	v_add_f32_e32 v12, -1.0, v7
	v_sub_f32_e32 v13, v12, v7
	v_add_f32_e32 v13, 1.0, v13
	v_sub_f32_e32 v12, v11, v12
	v_add_f32_e32 v15, v12, v13
	v_frexp_mant_f32_e32 v16, v7
	s_mov_b32 s10, 0x3f2aaaab
	v_cvt_f64_f32_e32 v[12:13], v7
	v_frexp_exp_i32_f64_e32 v12, v[12:13]
	v_cmp_gt_f32_e64 s[10:11], s10, v16
	v_subbrev_co_u32_e64 v20, s[10:11], 0, v12, s[10:11]
	v_sub_u32_e32 v12, 0, v20
	v_ldexp_f32 v7, v7, v12
	v_ldexp_f32 v12, v15, v12
	v_add_f32_e32 v15, -1.0, v7
	v_add_f32_e32 v13, 1.0, v15
	v_sub_f32_e32 v13, v7, v13
	v_add_f32_e32 v16, v12, v13
	v_add_f32_e32 v13, 1.0, v7
	v_add_f32_e32 v17, -1.0, v13
	v_sub_f32_e32 v7, v7, v17
	v_add_f32_e32 v7, v12, v7
	v_add_f32_e32 v38, v13, v7
	v_rcp_f32_e32 v39, v38
	v_sub_f32_e32 v12, v13, v38
	v_add_f32_e32 v13, v15, v16
	v_add_f32_e32 v7, v7, v12
	v_sub_f32_e32 v12, v15, v13
	v_mul_f32_e32 v40, v13, v39
	v_add_f32_e32 v15, v16, v12
	v_mul_f32_e32 v16, v38, v40
	v_fma_f32 v18, v40, v38, -v16
	v_fmac_f32_e32 v18, v40, v7
	v_add_f32_e32 v12, v16, v18
	v_sub_f32_e32 v17, v13, v12
	v_pk_add_f32 v[36:37], v[12:13], v[16:17] neg_lo:[0,1] neg_hi:[0,1]
	v_mov_b32_e32 v19, v12
	v_pk_add_f32 v[12:13], v[36:37], v[18:19] neg_lo:[0,1] neg_hi:[0,1]
	v_add_f32_e32 v13, v15, v13
	v_add_f32_e32 v12, v12, v13
	;; [unrolled: 1-line block ×3, first 2 shown]
	v_mul_f32_e32 v15, v39, v13
	v_mul_f32_e32 v16, v38, v15
	v_fma_f32 v18, v15, v38, -v16
	v_fmac_f32_e32 v18, v15, v7
	v_sub_f32_e32 v7, v17, v13
	v_add_f32_e32 v7, v12, v7
	v_add_f32_e32 v12, v16, v18
	v_sub_f32_e32 v17, v13, v12
	v_pk_add_f32 v[36:37], v[12:13], v[16:17] neg_lo:[0,1] neg_hi:[0,1]
	v_mov_b32_e32 v19, v12
	v_pk_add_f32 v[12:13], v[36:37], v[18:19] neg_lo:[0,1] neg_hi:[0,1]
	v_add_f32_e32 v7, v7, v13
	v_add_f32_e32 v7, v12, v7
	;; [unrolled: 1-line block ×4, first 2 shown]
	v_sub_f32_e32 v13, v12, v40
	v_mul_f32_e32 v7, v39, v7
	v_sub_f32_e32 v13, v15, v13
	v_add_f32_e32 v7, v13, v7
	v_add_f32_e32 v15, v12, v7
	v_mul_f32_e32 v17, v15, v15
	v_mov_b32_e32 v16, 0x3ecc95a3
	v_fmac_f32_e32 v16, 0x3e9b6dac, v17
	v_mov_b32_e32 v13, 0x3f2aaada
	v_fmac_f32_e32 v13, v17, v16
	v_cvt_f32_i32_e32 v16, v20
	v_sub_f32_e32 v12, v15, v12
	v_sub_f32_e32 v7, v7, v12
	v_mul_f32_e32 v17, v15, v17
	v_mov_b32_e32 v12, 0x3f317218
	s_mov_b32 s10, 0x3f317218
	v_pk_mul_f32 v[12:13], v[16:17], v[12:13]
	v_fma_f32 v18, v16, s10, -v12
	v_ldexp_f32 v19, v15, 1
	v_fmac_f32_e32 v18, 0xb102e308, v16
	v_pk_add_f32 v[16:17], v[12:13], v[18:19]
	v_sub_f32_e32 v15, v17, v19
	v_ldexp_f32 v7, v7, 1
	v_sub_f32_e32 v15, v13, v15
	v_add_f32_e32 v37, v7, v15
	v_mov_b32_e32 v36, v12
	v_pk_add_f32 v[12:13], v[16:17], v[12:13] neg_lo:[0,1] neg_hi:[0,1]
	v_pk_add_f32 v[38:39], v[16:17], v[36:37]
	v_mov_b32_e32 v13, v39
	v_mov_b32_e32 v19, v16
	v_pk_add_f32 v[40:41], v[18:19], v[12:13] neg_lo:[0,1] neg_hi:[0,1]
	v_pk_add_f32 v[12:13], v[18:19], v[12:13]
	v_mov_b32_e32 v18, v13
	v_pk_add_f32 v[42:43], v[18:19], v[16:17] neg_lo:[0,1] neg_hi:[0,1]
	v_mov_b32_e32 v7, v42
	v_pk_add_f32 v[44:45], v[38:39], v[6:7] neg_lo:[0,1] neg_hi:[0,1]
	v_mov_b32_e32 v12, v39
	v_mov_b32_e32 v38, v17
	;; [unrolled: 1-line block ×4, first 2 shown]
	v_pk_add_f32 v[12:13], v[12:13], v[38:39] neg_lo:[0,1] neg_hi:[0,1]
	v_mov_b32_e32 v36, v37
	v_mov_b32_e32 v37, v16
	v_pk_add_f32 v[12:13], v[36:37], v[12:13] neg_lo:[0,1] neg_hi:[0,1]
	v_mov_b32_e32 v44, v40
	v_pk_add_f32 v[16:17], v[44:45], v[12:13]
	v_mov_b32_e32 v20, v17
	v_pk_add_f32 v[36:37], v[16:17], v[20:21]
	v_pk_add_f32 v[18:19], v[18:19], v[36:37]
	v_mov_b32_e32 v17, v18
	v_pk_add_f32 v[38:39], v[16:17], v[40:41] neg_lo:[0,1] neg_hi:[0,1]
	v_mov_b32_e32 v13, v36
	v_sub_f32_e32 v7, v16, v38
	v_pk_add_f32 v[12:13], v[12:13], v[38:39] neg_lo:[0,1] neg_hi:[0,1]
	v_sub_f32_e32 v7, v40, v7
	v_add_f32_e32 v7, v12, v7
	v_cmp_eq_f32_e64 s[10:11], s14, v11
	s_mov_b32 s14, 0x33800000
	v_add_f32_e32 v7, v7, v13
	v_cmp_lt_f32_e64 s[14:15], |v11|, s14
	v_add_f32_e32 v7, v18, v7
	s_or_b64 s[10:11], s[10:11], s[14:15]
	v_cndmask_b32_e64 v7, v7, v11, s[10:11]
	v_add_f32_e32 v36, v6, v7
.LBB117_218:
	s_or_b64 exec, exec, s[12:13]
	v_max_f32_e32 v11, v27, v27
	v_max_f32_e32 v6, v36, v36
	v_min_f32_e32 v7, v6, v11
	v_cmp_u_f32_e64 s[12:13], v36, v36
	v_max_f32_e32 v6, v6, v11
	v_cndmask_b32_e64 v7, v7, v36, s[12:13]
	v_cmp_u_f32_e64 s[10:11], v27, v27
	v_cndmask_b32_e64 v6, v6, v36, s[12:13]
	v_cndmask_b32_e64 v7, v7, v27, s[10:11]
	;; [unrolled: 1-line block ×3, first 2 shown]
	s_movk_i32 s16, 0x1f8
	v_cmp_neq_f32_e64 s[12:13], v7, v6
	v_cmp_class_f32_e64 s[14:15], v7, s16
	s_or_b64 s[12:13], s[12:13], s[14:15]
	s_and_saveexec_b64 s[14:15], s[12:13]
	s_cbranch_execz .LBB117_220
; %bb.219:
	v_sub_f32_e32 v7, v7, v6
	s_mov_b32 s12, 0x3fb8aa3b
	v_mul_f32_e32 v12, 0x3fb8aa3b, v7
	v_fma_f32 v13, v7, s12, -v12
	v_rndne_f32_e32 v15, v12
	v_fmac_f32_e32 v13, 0x32a5705f, v7
	v_sub_f32_e32 v12, v12, v15
	v_add_f32_e32 v12, v12, v13
	v_exp_f32_e32 v12, v12
	v_cvt_i32_f32_e32 v13, v15
	s_mov_b32 s12, 0xc2ce8ed0
	v_cmp_ngt_f32_e64 s[12:13], s12, v7
	s_mov_b32 s17, 0x7f800000
	v_ldexp_f32 v12, v12, v13
	v_cndmask_b32_e64 v12, 0, v12, s[12:13]
	s_mov_b32 s12, 0x42b17218
	v_mov_b32_e32 v13, 0x7f800000
	v_cmp_nlt_f32_e64 s[12:13], s12, v7
	v_cndmask_b32_e64 v15, v13, v12, s[12:13]
	v_add_f32_e32 v7, 1.0, v15
	v_add_f32_e32 v12, -1.0, v7
	v_sub_f32_e32 v13, v12, v7
	v_add_f32_e32 v13, 1.0, v13
	v_sub_f32_e32 v12, v15, v12
	v_add_f32_e32 v16, v12, v13
	v_frexp_mant_f32_e32 v17, v7
	s_mov_b32 s12, 0x3f2aaaab
	v_cvt_f64_f32_e32 v[12:13], v7
	v_frexp_exp_i32_f64_e32 v12, v[12:13]
	v_cmp_gt_f32_e64 s[12:13], s12, v17
	v_subbrev_co_u32_e64 v20, s[12:13], 0, v12, s[12:13]
	v_sub_u32_e32 v12, 0, v20
	v_ldexp_f32 v7, v7, v12
	v_ldexp_f32 v12, v16, v12
	v_add_f32_e32 v16, -1.0, v7
	v_add_f32_e32 v13, 1.0, v16
	v_sub_f32_e32 v13, v7, v13
	v_add_f32_e32 v17, v12, v13
	v_add_f32_e32 v13, 1.0, v7
	v_add_f32_e32 v18, -1.0, v13
	v_sub_f32_e32 v7, v7, v18
	v_add_f32_e32 v7, v12, v7
	v_add_f32_e32 v38, v13, v7
	v_rcp_f32_e32 v39, v38
	v_sub_f32_e32 v12, v13, v38
	v_add_f32_e32 v13, v16, v17
	v_add_f32_e32 v7, v7, v12
	v_mul_f32_e32 v41, v13, v39
	v_sub_f32_e32 v12, v16, v13
	v_mul_f32_e32 v16, v38, v41
	v_fma_f32 v18, v41, v38, -v16
	v_fmac_f32_e32 v18, v41, v7
	v_add_f32_e32 v40, v17, v12
	v_add_f32_e32 v12, v16, v18
	v_sub_f32_e32 v17, v13, v12
	v_pk_add_f32 v[36:37], v[12:13], v[16:17] neg_lo:[0,1] neg_hi:[0,1]
	v_mov_b32_e32 v19, v12
	v_pk_add_f32 v[12:13], v[36:37], v[18:19] neg_lo:[0,1] neg_hi:[0,1]
	v_add_f32_e32 v13, v40, v13
	v_add_f32_e32 v12, v12, v13
	;; [unrolled: 1-line block ×3, first 2 shown]
	v_mul_f32_e32 v40, v39, v13
	v_mul_f32_e32 v16, v38, v40
	v_fma_f32 v18, v40, v38, -v16
	v_fmac_f32_e32 v18, v40, v7
	v_sub_f32_e32 v7, v17, v13
	v_add_f32_e32 v7, v12, v7
	v_add_f32_e32 v12, v16, v18
	v_sub_f32_e32 v17, v13, v12
	v_pk_add_f32 v[36:37], v[12:13], v[16:17] neg_lo:[0,1] neg_hi:[0,1]
	v_mov_b32_e32 v19, v12
	v_pk_add_f32 v[12:13], v[36:37], v[18:19] neg_lo:[0,1] neg_hi:[0,1]
	v_add_f32_e32 v7, v7, v13
	v_add_f32_e32 v7, v12, v7
	;; [unrolled: 1-line block ×4, first 2 shown]
	v_sub_f32_e32 v13, v12, v41
	v_mul_f32_e32 v7, v39, v7
	v_sub_f32_e32 v13, v40, v13
	v_add_f32_e32 v7, v13, v7
	v_add_f32_e32 v17, v12, v7
	v_mul_f32_e32 v18, v17, v17
	v_mov_b32_e32 v16, 0x3ecc95a3
	v_fmac_f32_e32 v16, 0x3e9b6dac, v18
	v_mov_b32_e32 v13, 0x3f2aaada
	v_fmac_f32_e32 v13, v18, v16
	v_cvt_f32_i32_e32 v16, v20
	v_sub_f32_e32 v12, v17, v12
	v_sub_f32_e32 v7, v7, v12
	v_ldexp_f32 v19, v17, 1
	v_mul_f32_e32 v17, v17, v18
	v_mov_b32_e32 v12, 0x3f317218
	s_mov_b32 s12, 0x3f317218
	v_pk_mul_f32 v[12:13], v[16:17], v[12:13]
	v_fma_f32 v18, v16, s12, -v12
	v_fmac_f32_e32 v18, 0xb102e308, v16
	v_pk_add_f32 v[16:17], v[12:13], v[18:19]
	v_sub_f32_e32 v19, v17, v19
	v_ldexp_f32 v7, v7, 1
	v_sub_f32_e32 v19, v13, v19
	v_add_f32_e32 v37, v7, v19
	v_mov_b32_e32 v36, v12
	v_pk_add_f32 v[12:13], v[16:17], v[12:13] neg_lo:[0,1] neg_hi:[0,1]
	v_pk_add_f32 v[38:39], v[16:17], v[36:37]
	v_mov_b32_e32 v13, v39
	v_mov_b32_e32 v19, v16
	v_pk_add_f32 v[40:41], v[18:19], v[12:13] neg_lo:[0,1] neg_hi:[0,1]
	v_pk_add_f32 v[12:13], v[18:19], v[12:13]
	v_mov_b32_e32 v18, v13
	v_pk_add_f32 v[42:43], v[18:19], v[16:17] neg_lo:[0,1] neg_hi:[0,1]
	v_mov_b32_e32 v7, v42
	v_pk_add_f32 v[44:45], v[38:39], v[6:7] neg_lo:[0,1] neg_hi:[0,1]
	v_mov_b32_e32 v12, v39
	v_mov_b32_e32 v38, v17
	;; [unrolled: 1-line block ×4, first 2 shown]
	v_pk_add_f32 v[12:13], v[12:13], v[38:39] neg_lo:[0,1] neg_hi:[0,1]
	v_mov_b32_e32 v36, v37
	v_mov_b32_e32 v37, v16
	v_pk_add_f32 v[12:13], v[36:37], v[12:13] neg_lo:[0,1] neg_hi:[0,1]
	v_mov_b32_e32 v44, v40
	v_pk_add_f32 v[16:17], v[44:45], v[12:13]
	v_mov_b32_e32 v20, v17
	v_pk_add_f32 v[36:37], v[16:17], v[20:21]
	v_pk_add_f32 v[18:19], v[18:19], v[36:37]
	v_mov_b32_e32 v17, v18
	v_pk_add_f32 v[38:39], v[16:17], v[40:41] neg_lo:[0,1] neg_hi:[0,1]
	v_mov_b32_e32 v13, v36
	v_sub_f32_e32 v7, v16, v38
	v_pk_add_f32 v[12:13], v[12:13], v[38:39] neg_lo:[0,1] neg_hi:[0,1]
	v_sub_f32_e32 v7, v40, v7
	v_add_f32_e32 v7, v12, v7
	v_cmp_eq_f32_e64 s[12:13], s17, v15
	s_mov_b32 s17, 0x33800000
	v_add_f32_e32 v7, v7, v13
	v_cmp_lt_f32_e64 s[18:19], |v15|, s17
	v_add_f32_e32 v7, v18, v7
	s_or_b64 s[12:13], s[12:13], s[18:19]
	v_cndmask_b32_e64 v7, v7, v15, s[12:13]
	v_add_f32_e32 v36, v6, v7
.LBB117_220:
	s_or_b64 exec, exec, s[14:15]
	v_max_f32_e32 v12, v28, v28
	v_max_f32_e32 v6, v36, v36
	v_min_f32_e32 v7, v6, v12
	v_cmp_u_f32_e64 s[14:15], v36, v36
	v_max_f32_e32 v6, v6, v12
	v_cndmask_b32_e64 v7, v7, v36, s[14:15]
	v_cmp_u_f32_e64 s[12:13], v28, v28
	v_cndmask_b32_e64 v6, v6, v36, s[14:15]
	v_cndmask_b32_e64 v7, v7, v28, s[12:13]
	;; [unrolled: 1-line block ×3, first 2 shown]
	v_cmp_neq_f32_e64 s[14:15], v7, v6
	v_cmp_class_f32_e64 s[16:17], v7, s16
	s_or_b64 s[14:15], s[14:15], s[16:17]
	s_and_saveexec_b64 s[16:17], s[14:15]
	s_cbranch_execz .LBB117_222
; %bb.221:
	v_sub_f32_e32 v7, v7, v6
	s_mov_b32 s14, 0x3fb8aa3b
	v_mul_f32_e32 v13, 0x3fb8aa3b, v7
	v_fma_f32 v15, v7, s14, -v13
	v_rndne_f32_e32 v16, v13
	v_fmac_f32_e32 v15, 0x32a5705f, v7
	v_sub_f32_e32 v13, v13, v16
	v_add_f32_e32 v13, v13, v15
	v_exp_f32_e32 v13, v13
	v_cvt_i32_f32_e32 v15, v16
	s_mov_b32 s14, 0xc2ce8ed0
	v_cmp_ngt_f32_e64 s[14:15], s14, v7
	s_mov_b32 s18, 0x7f800000
	v_ldexp_f32 v13, v13, v15
	v_cndmask_b32_e64 v13, 0, v13, s[14:15]
	s_mov_b32 s14, 0x42b17218
	v_mov_b32_e32 v15, 0x7f800000
	v_cmp_nlt_f32_e64 s[14:15], s14, v7
	v_cndmask_b32_e64 v13, v15, v13, s[14:15]
	v_add_f32_e32 v7, 1.0, v13
	v_add_f32_e32 v15, -1.0, v7
	v_sub_f32_e32 v16, v15, v7
	v_add_f32_e32 v16, 1.0, v16
	v_sub_f32_e32 v15, v13, v15
	v_add_f32_e32 v15, v15, v16
	v_frexp_mant_f32_e32 v18, v7
	s_mov_b32 s14, 0x3f2aaaab
	v_cvt_f64_f32_e32 v[16:17], v7
	v_frexp_exp_i32_f64_e32 v16, v[16:17]
	v_cmp_gt_f32_e64 s[14:15], s14, v18
	v_subbrev_co_u32_e64 v20, s[14:15], 0, v16, s[14:15]
	v_sub_u32_e32 v16, 0, v20
	v_ldexp_f32 v7, v7, v16
	v_ldexp_f32 v15, v15, v16
	v_add_f32_e32 v16, -1.0, v7
	v_add_f32_e32 v17, 1.0, v16
	v_sub_f32_e32 v17, v7, v17
	v_add_f32_e32 v18, v15, v17
	v_add_f32_e32 v17, 1.0, v7
	v_add_f32_e32 v19, -1.0, v17
	v_sub_f32_e32 v7, v7, v19
	v_add_f32_e32 v7, v15, v7
	v_add_f32_e32 v15, v17, v7
	v_rcp_f32_e32 v40, v15
	v_sub_f32_e32 v17, v17, v15
	v_add_f32_e32 v7, v7, v17
	v_add_f32_e32 v17, v16, v18
	v_sub_f32_e32 v16, v16, v17
	v_mul_f32_e32 v42, v17, v40
	v_add_f32_e32 v41, v18, v16
	v_mul_f32_e32 v18, v15, v42
	v_fma_f32 v36, v42, v15, -v18
	v_fmac_f32_e32 v36, v42, v7
	v_add_f32_e32 v16, v18, v36
	v_sub_f32_e32 v19, v17, v16
	v_pk_add_f32 v[38:39], v[16:17], v[18:19] neg_lo:[0,1] neg_hi:[0,1]
	v_mov_b32_e32 v37, v16
	v_pk_add_f32 v[16:17], v[38:39], v[36:37] neg_lo:[0,1] neg_hi:[0,1]
	v_add_f32_e32 v17, v41, v17
	v_add_f32_e32 v16, v16, v17
	;; [unrolled: 1-line block ×3, first 2 shown]
	v_mul_f32_e32 v41, v40, v17
	v_mul_f32_e32 v18, v15, v41
	v_fma_f32 v36, v41, v15, -v18
	v_fmac_f32_e32 v36, v41, v7
	v_sub_f32_e32 v7, v19, v17
	v_add_f32_e32 v7, v16, v7
	v_add_f32_e32 v16, v18, v36
	v_sub_f32_e32 v19, v17, v16
	v_pk_add_f32 v[38:39], v[16:17], v[18:19] neg_lo:[0,1] neg_hi:[0,1]
	v_mov_b32_e32 v37, v16
	v_pk_add_f32 v[16:17], v[38:39], v[36:37] neg_lo:[0,1] neg_hi:[0,1]
	v_add_f32_e32 v7, v7, v17
	v_add_f32_e32 v7, v16, v7
	;; [unrolled: 1-line block ×4, first 2 shown]
	v_sub_f32_e32 v16, v15, v42
	v_mul_f32_e32 v7, v40, v7
	v_sub_f32_e32 v16, v41, v16
	v_add_f32_e32 v7, v16, v7
	v_add_f32_e32 v16, v15, v7
	v_mul_f32_e32 v19, v16, v16
	v_mov_b32_e32 v18, 0x3ecc95a3
	v_fmac_f32_e32 v18, 0x3e9b6dac, v19
	v_mov_b32_e32 v17, 0x3f2aaada
	v_fmac_f32_e32 v17, v19, v18
	v_cvt_f32_i32_e32 v18, v20
	v_sub_f32_e32 v15, v16, v15
	v_ldexp_f32 v37, v16, 1
	v_mul_f32_e32 v19, v16, v19
	v_mov_b32_e32 v16, 0x3f317218
	s_mov_b32 s14, 0x3f317218
	v_pk_mul_f32 v[16:17], v[18:19], v[16:17]
	v_fma_f32 v36, v18, s14, -v16
	v_fmac_f32_e32 v36, 0xb102e308, v18
	v_pk_add_f32 v[18:19], v[16:17], v[36:37]
	v_sub_f32_e32 v7, v7, v15
	v_sub_f32_e32 v15, v19, v37
	v_ldexp_f32 v7, v7, 1
	v_sub_f32_e32 v15, v17, v15
	v_add_f32_e32 v39, v7, v15
	v_mov_b32_e32 v38, v16
	v_pk_add_f32 v[16:17], v[18:19], v[16:17] neg_lo:[0,1] neg_hi:[0,1]
	v_pk_add_f32 v[40:41], v[18:19], v[38:39]
	v_mov_b32_e32 v17, v41
	v_mov_b32_e32 v37, v18
	v_pk_add_f32 v[42:43], v[36:37], v[16:17] neg_lo:[0,1] neg_hi:[0,1]
	v_pk_add_f32 v[16:17], v[36:37], v[16:17]
	v_mov_b32_e32 v20, v17
	v_pk_add_f32 v[36:37], v[20:21], v[18:19] neg_lo:[0,1] neg_hi:[0,1]
	v_mov_b32_e32 v7, v36
	v_pk_add_f32 v[44:45], v[40:41], v[6:7] neg_lo:[0,1] neg_hi:[0,1]
	v_mov_b32_e32 v16, v41
	v_mov_b32_e32 v40, v19
	;; [unrolled: 1-line block ×4, first 2 shown]
	v_pk_add_f32 v[16:17], v[16:17], v[40:41] neg_lo:[0,1] neg_hi:[0,1]
	v_mov_b32_e32 v36, v39
	v_mov_b32_e32 v37, v18
	v_pk_add_f32 v[16:17], v[36:37], v[16:17] neg_lo:[0,1] neg_hi:[0,1]
	v_mov_b32_e32 v44, v42
	v_pk_add_f32 v[18:19], v[44:45], v[16:17]
	v_mov_b32_e32 v36, v19
	v_pk_add_f32 v[36:37], v[18:19], v[36:37]
	v_pk_add_f32 v[38:39], v[20:21], v[36:37]
	v_mov_b32_e32 v19, v38
	v_pk_add_f32 v[40:41], v[18:19], v[42:43] neg_lo:[0,1] neg_hi:[0,1]
	v_mov_b32_e32 v17, v36
	v_sub_f32_e32 v7, v18, v40
	v_pk_add_f32 v[16:17], v[16:17], v[40:41] neg_lo:[0,1] neg_hi:[0,1]
	v_sub_f32_e32 v7, v42, v7
	v_add_f32_e32 v7, v16, v7
	v_cmp_eq_f32_e64 s[14:15], s18, v13
	s_mov_b32 s18, 0x33800000
	v_add_f32_e32 v7, v7, v17
	v_cmp_lt_f32_e64 s[18:19], |v13|, s18
	v_add_f32_e32 v7, v38, v7
	s_or_b64 s[14:15], s[14:15], s[18:19]
	v_cndmask_b32_e64 v7, v7, v13, s[14:15]
	v_add_f32_e32 v36, v6, v7
.LBB117_222:
	s_or_b64 exec, exec, s[16:17]
	v_max_f32_e32 v13, v29, v29
	v_max_f32_e32 v6, v36, v36
	v_min_f32_e32 v7, v6, v13
	v_cmp_u_f32_e64 s[16:17], v36, v36
	v_max_f32_e32 v6, v6, v13
	v_cndmask_b32_e64 v7, v7, v36, s[16:17]
	v_cmp_u_f32_e64 s[14:15], v29, v29
	v_cndmask_b32_e64 v6, v6, v36, s[16:17]
	v_cndmask_b32_e64 v7, v7, v29, s[14:15]
	;; [unrolled: 1-line block ×3, first 2 shown]
	s_movk_i32 s20, 0x1f8
	v_cmp_neq_f32_e64 s[16:17], v7, v6
	v_cmp_class_f32_e64 s[18:19], v7, s20
	s_or_b64 s[16:17], s[16:17], s[18:19]
	s_and_saveexec_b64 s[18:19], s[16:17]
	s_cbranch_execz .LBB117_224
; %bb.223:
	v_sub_f32_e32 v7, v7, v6
	s_mov_b32 s16, 0x3fb8aa3b
	v_mul_f32_e32 v15, 0x3fb8aa3b, v7
	v_fma_f32 v16, v7, s16, -v15
	v_rndne_f32_e32 v17, v15
	v_fmac_f32_e32 v16, 0x32a5705f, v7
	v_sub_f32_e32 v15, v15, v17
	v_add_f32_e32 v15, v15, v16
	v_exp_f32_e32 v15, v15
	v_cvt_i32_f32_e32 v16, v17
	s_mov_b32 s16, 0xc2ce8ed0
	v_cmp_ngt_f32_e64 s[16:17], s16, v7
	s_mov_b32 s21, 0x7f800000
	v_ldexp_f32 v15, v15, v16
	v_cndmask_b32_e64 v15, 0, v15, s[16:17]
	s_mov_b32 s16, 0x42b17218
	v_mov_b32_e32 v16, 0x7f800000
	v_cmp_nlt_f32_e64 s[16:17], s16, v7
	v_cndmask_b32_e64 v15, v16, v15, s[16:17]
	v_add_f32_e32 v7, 1.0, v15
	v_add_f32_e32 v16, -1.0, v7
	v_sub_f32_e32 v17, v16, v7
	v_add_f32_e32 v17, 1.0, v17
	v_sub_f32_e32 v16, v15, v16
	v_add_f32_e32 v18, v16, v17
	v_frexp_mant_f32_e32 v19, v7
	s_mov_b32 s16, 0x3f2aaaab
	v_cvt_f64_f32_e32 v[16:17], v7
	v_frexp_exp_i32_f64_e32 v16, v[16:17]
	v_cmp_gt_f32_e64 s[16:17], s16, v19
	v_subbrev_co_u32_e64 v20, s[16:17], 0, v16, s[16:17]
	v_sub_u32_e32 v16, 0, v20
	v_ldexp_f32 v7, v7, v16
	v_ldexp_f32 v16, v18, v16
	v_add_f32_e32 v18, -1.0, v7
	v_add_f32_e32 v17, 1.0, v18
	v_sub_f32_e32 v17, v7, v17
	v_add_f32_e32 v19, v16, v17
	v_add_f32_e32 v17, 1.0, v7
	v_add_f32_e32 v36, -1.0, v17
	v_sub_f32_e32 v7, v7, v36
	v_add_f32_e32 v7, v16, v7
	v_add_f32_e32 v40, v17, v7
	v_rcp_f32_e32 v41, v40
	v_sub_f32_e32 v16, v17, v40
	v_add_f32_e32 v17, v18, v19
	v_add_f32_e32 v7, v7, v16
	v_mul_f32_e32 v43, v17, v41
	v_sub_f32_e32 v16, v18, v17
	v_mul_f32_e32 v18, v40, v43
	v_fma_f32 v36, v43, v40, -v18
	v_fmac_f32_e32 v36, v43, v7
	v_add_f32_e32 v42, v19, v16
	v_add_f32_e32 v16, v18, v36
	v_sub_f32_e32 v19, v17, v16
	v_pk_add_f32 v[38:39], v[16:17], v[18:19] neg_lo:[0,1] neg_hi:[0,1]
	v_mov_b32_e32 v37, v16
	v_pk_add_f32 v[16:17], v[38:39], v[36:37] neg_lo:[0,1] neg_hi:[0,1]
	v_add_f32_e32 v17, v42, v17
	v_add_f32_e32 v16, v16, v17
	v_add_f32_e32 v17, v19, v16
	v_mul_f32_e32 v42, v41, v17
	v_mul_f32_e32 v18, v40, v42
	v_fma_f32 v36, v42, v40, -v18
	v_fmac_f32_e32 v36, v42, v7
	v_sub_f32_e32 v7, v19, v17
	v_add_f32_e32 v7, v16, v7
	v_add_f32_e32 v16, v18, v36
	v_sub_f32_e32 v19, v17, v16
	v_pk_add_f32 v[38:39], v[16:17], v[18:19] neg_lo:[0,1] neg_hi:[0,1]
	v_mov_b32_e32 v37, v16
	v_pk_add_f32 v[16:17], v[38:39], v[36:37] neg_lo:[0,1] neg_hi:[0,1]
	v_add_f32_e32 v7, v7, v17
	v_add_f32_e32 v7, v16, v7
	;; [unrolled: 1-line block ×4, first 2 shown]
	v_sub_f32_e32 v17, v16, v43
	v_mul_f32_e32 v7, v41, v7
	v_sub_f32_e32 v17, v42, v17
	v_add_f32_e32 v7, v17, v7
	v_add_f32_e32 v19, v16, v7
	v_mul_f32_e32 v36, v19, v19
	v_mov_b32_e32 v18, 0x3ecc95a3
	v_fmac_f32_e32 v18, 0x3e9b6dac, v36
	v_mov_b32_e32 v17, 0x3f2aaada
	v_fmac_f32_e32 v17, v36, v18
	v_cvt_f32_i32_e32 v18, v20
	v_sub_f32_e32 v16, v19, v16
	v_sub_f32_e32 v7, v7, v16
	v_ldexp_f32 v37, v19, 1
	v_mul_f32_e32 v19, v19, v36
	v_mov_b32_e32 v16, 0x3f317218
	s_mov_b32 s16, 0x3f317218
	v_pk_mul_f32 v[16:17], v[18:19], v[16:17]
	v_fma_f32 v36, v18, s16, -v16
	v_fmac_f32_e32 v36, 0xb102e308, v18
	v_pk_add_f32 v[18:19], v[16:17], v[36:37]
	v_sub_f32_e32 v20, v19, v37
	v_ldexp_f32 v7, v7, 1
	v_sub_f32_e32 v20, v17, v20
	v_add_f32_e32 v39, v7, v20
	v_mov_b32_e32 v38, v16
	v_pk_add_f32 v[16:17], v[18:19], v[16:17] neg_lo:[0,1] neg_hi:[0,1]
	v_pk_add_f32 v[40:41], v[18:19], v[38:39]
	v_mov_b32_e32 v17, v41
	v_mov_b32_e32 v37, v18
	v_pk_add_f32 v[42:43], v[36:37], v[16:17] neg_lo:[0,1] neg_hi:[0,1]
	v_pk_add_f32 v[16:17], v[36:37], v[16:17]
	v_mov_b32_e32 v20, v17
	v_pk_add_f32 v[36:37], v[20:21], v[18:19] neg_lo:[0,1] neg_hi:[0,1]
	v_mov_b32_e32 v7, v36
	v_pk_add_f32 v[44:45], v[40:41], v[6:7] neg_lo:[0,1] neg_hi:[0,1]
	v_mov_b32_e32 v16, v41
	v_mov_b32_e32 v40, v19
	;; [unrolled: 1-line block ×4, first 2 shown]
	v_pk_add_f32 v[16:17], v[16:17], v[40:41] neg_lo:[0,1] neg_hi:[0,1]
	v_mov_b32_e32 v36, v39
	v_mov_b32_e32 v37, v18
	v_pk_add_f32 v[16:17], v[36:37], v[16:17] neg_lo:[0,1] neg_hi:[0,1]
	v_mov_b32_e32 v44, v42
	v_pk_add_f32 v[18:19], v[44:45], v[16:17]
	v_mov_b32_e32 v36, v19
	v_pk_add_f32 v[36:37], v[18:19], v[36:37]
	v_pk_add_f32 v[38:39], v[20:21], v[36:37]
	v_mov_b32_e32 v19, v38
	v_pk_add_f32 v[40:41], v[18:19], v[42:43] neg_lo:[0,1] neg_hi:[0,1]
	v_mov_b32_e32 v17, v36
	v_sub_f32_e32 v7, v18, v40
	v_pk_add_f32 v[16:17], v[16:17], v[40:41] neg_lo:[0,1] neg_hi:[0,1]
	v_sub_f32_e32 v7, v42, v7
	v_add_f32_e32 v7, v16, v7
	v_cmp_eq_f32_e64 s[16:17], s21, v15
	s_mov_b32 s21, 0x33800000
	v_add_f32_e32 v7, v7, v17
	v_cmp_lt_f32_e64 s[22:23], |v15|, s21
	v_add_f32_e32 v7, v38, v7
	s_or_b64 s[16:17], s[16:17], s[22:23]
	v_cndmask_b32_e64 v7, v7, v15, s[16:17]
	v_add_f32_e32 v36, v6, v7
.LBB117_224:
	s_or_b64 exec, exec, s[18:19]
	v_max_f32_e32 v15, v22, v22
	v_max_f32_e32 v6, v36, v36
	v_min_f32_e32 v7, v6, v15
	v_cmp_u_f32_e64 s[18:19], v36, v36
	v_max_f32_e32 v6, v6, v15
	v_cndmask_b32_e64 v7, v7, v36, s[18:19]
	v_cmp_u_f32_e64 s[16:17], v22, v22
	v_cndmask_b32_e64 v6, v6, v36, s[18:19]
	v_cndmask_b32_e64 v7, v7, v22, s[16:17]
	;; [unrolled: 1-line block ×3, first 2 shown]
	v_cmp_neq_f32_e64 s[18:19], v7, v6
	v_cmp_class_f32_e64 s[20:21], v7, s20
	s_or_b64 s[18:19], s[18:19], s[20:21]
	s_and_saveexec_b64 s[20:21], s[18:19]
	s_cbranch_execz .LBB117_226
; %bb.225:
	v_sub_f32_e32 v7, v7, v6
	s_mov_b32 s18, 0x3fb8aa3b
	v_mul_f32_e32 v16, 0x3fb8aa3b, v7
	v_fma_f32 v17, v7, s18, -v16
	v_rndne_f32_e32 v18, v16
	v_fmac_f32_e32 v17, 0x32a5705f, v7
	v_sub_f32_e32 v16, v16, v18
	v_add_f32_e32 v16, v16, v17
	v_exp_f32_e32 v16, v16
	v_cvt_i32_f32_e32 v17, v18
	s_mov_b32 s18, 0xc2ce8ed0
	v_cmp_ngt_f32_e64 s[18:19], s18, v7
	s_mov_b32 s22, 0x7f800000
	v_ldexp_f32 v16, v16, v17
	v_cndmask_b32_e64 v16, 0, v16, s[18:19]
	s_mov_b32 s18, 0x42b17218
	v_mov_b32_e32 v17, 0x7f800000
	v_cmp_nlt_f32_e64 s[18:19], s18, v7
	v_cndmask_b32_e64 v46, v17, v16, s[18:19]
	v_add_f32_e32 v7, 1.0, v46
	v_add_f32_e32 v16, -1.0, v7
	v_sub_f32_e32 v17, v16, v7
	v_add_f32_e32 v17, 1.0, v17
	v_sub_f32_e32 v16, v46, v16
	v_add_f32_e32 v18, v16, v17
	v_frexp_mant_f32_e32 v19, v7
	s_mov_b32 s18, 0x3f2aaaab
	v_cvt_f64_f32_e32 v[16:17], v7
	v_frexp_exp_i32_f64_e32 v16, v[16:17]
	v_cmp_gt_f32_e64 s[18:19], s18, v19
	v_subbrev_co_u32_e64 v20, s[18:19], 0, v16, s[18:19]
	v_sub_u32_e32 v16, 0, v20
	v_ldexp_f32 v7, v7, v16
	v_ldexp_f32 v16, v18, v16
	v_add_f32_e32 v18, -1.0, v7
	v_add_f32_e32 v17, 1.0, v18
	v_sub_f32_e32 v17, v7, v17
	v_add_f32_e32 v19, v16, v17
	v_add_f32_e32 v17, 1.0, v7
	v_add_f32_e32 v36, -1.0, v17
	v_sub_f32_e32 v7, v7, v36
	v_add_f32_e32 v7, v16, v7
	v_add_f32_e32 v40, v17, v7
	v_rcp_f32_e32 v41, v40
	v_sub_f32_e32 v16, v17, v40
	v_add_f32_e32 v17, v18, v19
	v_add_f32_e32 v7, v7, v16
	v_mul_f32_e32 v43, v17, v41
	v_sub_f32_e32 v16, v18, v17
	v_mul_f32_e32 v18, v40, v43
	v_fma_f32 v36, v43, v40, -v18
	v_fmac_f32_e32 v36, v43, v7
	v_add_f32_e32 v42, v19, v16
	v_add_f32_e32 v16, v18, v36
	v_sub_f32_e32 v19, v17, v16
	v_pk_add_f32 v[38:39], v[16:17], v[18:19] neg_lo:[0,1] neg_hi:[0,1]
	v_mov_b32_e32 v37, v16
	v_pk_add_f32 v[16:17], v[38:39], v[36:37] neg_lo:[0,1] neg_hi:[0,1]
	v_add_f32_e32 v17, v42, v17
	v_add_f32_e32 v16, v16, v17
	;; [unrolled: 1-line block ×3, first 2 shown]
	v_mul_f32_e32 v42, v41, v17
	v_mul_f32_e32 v18, v40, v42
	v_fma_f32 v36, v42, v40, -v18
	v_fmac_f32_e32 v36, v42, v7
	v_sub_f32_e32 v7, v19, v17
	v_add_f32_e32 v7, v16, v7
	v_add_f32_e32 v16, v18, v36
	v_sub_f32_e32 v19, v17, v16
	v_pk_add_f32 v[38:39], v[16:17], v[18:19] neg_lo:[0,1] neg_hi:[0,1]
	v_mov_b32_e32 v37, v16
	v_pk_add_f32 v[16:17], v[38:39], v[36:37] neg_lo:[0,1] neg_hi:[0,1]
	v_add_f32_e32 v7, v7, v17
	v_add_f32_e32 v7, v16, v7
	;; [unrolled: 1-line block ×4, first 2 shown]
	v_sub_f32_e32 v17, v16, v43
	v_mul_f32_e32 v7, v41, v7
	v_sub_f32_e32 v17, v42, v17
	v_add_f32_e32 v7, v17, v7
	v_add_f32_e32 v19, v16, v7
	v_mul_f32_e32 v36, v19, v19
	v_mov_b32_e32 v18, 0x3ecc95a3
	v_fmac_f32_e32 v18, 0x3e9b6dac, v36
	v_mov_b32_e32 v17, 0x3f2aaada
	v_fmac_f32_e32 v17, v36, v18
	v_cvt_f32_i32_e32 v18, v20
	v_sub_f32_e32 v16, v19, v16
	v_sub_f32_e32 v7, v7, v16
	v_ldexp_f32 v37, v19, 1
	v_mul_f32_e32 v19, v19, v36
	v_mov_b32_e32 v16, 0x3f317218
	s_mov_b32 s18, 0x3f317218
	v_pk_mul_f32 v[16:17], v[18:19], v[16:17]
	v_fma_f32 v36, v18, s18, -v16
	v_fmac_f32_e32 v36, 0xb102e308, v18
	v_pk_add_f32 v[18:19], v[16:17], v[36:37]
	v_sub_f32_e32 v20, v19, v37
	v_ldexp_f32 v7, v7, 1
	v_sub_f32_e32 v20, v17, v20
	v_add_f32_e32 v39, v7, v20
	v_mov_b32_e32 v38, v16
	v_pk_add_f32 v[16:17], v[18:19], v[16:17] neg_lo:[0,1] neg_hi:[0,1]
	v_pk_add_f32 v[40:41], v[18:19], v[38:39]
	v_mov_b32_e32 v17, v41
	v_mov_b32_e32 v37, v18
	v_pk_add_f32 v[42:43], v[36:37], v[16:17] neg_lo:[0,1] neg_hi:[0,1]
	v_pk_add_f32 v[16:17], v[36:37], v[16:17]
	v_mov_b32_e32 v20, v17
	v_pk_add_f32 v[36:37], v[20:21], v[18:19] neg_lo:[0,1] neg_hi:[0,1]
	v_mov_b32_e32 v7, v36
	v_pk_add_f32 v[44:45], v[40:41], v[6:7] neg_lo:[0,1] neg_hi:[0,1]
	v_mov_b32_e32 v16, v41
	v_mov_b32_e32 v40, v19
	;; [unrolled: 1-line block ×4, first 2 shown]
	v_pk_add_f32 v[16:17], v[16:17], v[40:41] neg_lo:[0,1] neg_hi:[0,1]
	v_mov_b32_e32 v36, v39
	v_mov_b32_e32 v37, v18
	v_pk_add_f32 v[16:17], v[36:37], v[16:17] neg_lo:[0,1] neg_hi:[0,1]
	v_mov_b32_e32 v44, v42
	v_pk_add_f32 v[18:19], v[44:45], v[16:17]
	v_mov_b32_e32 v36, v19
	v_pk_add_f32 v[36:37], v[18:19], v[36:37]
	v_pk_add_f32 v[38:39], v[20:21], v[36:37]
	v_mov_b32_e32 v19, v38
	v_pk_add_f32 v[40:41], v[18:19], v[42:43] neg_lo:[0,1] neg_hi:[0,1]
	v_mov_b32_e32 v17, v36
	v_sub_f32_e32 v7, v18, v40
	v_pk_add_f32 v[16:17], v[16:17], v[40:41] neg_lo:[0,1] neg_hi:[0,1]
	v_sub_f32_e32 v7, v42, v7
	v_add_f32_e32 v7, v16, v7
	v_cmp_eq_f32_e64 s[18:19], s22, v46
	s_mov_b32 s22, 0x33800000
	v_add_f32_e32 v7, v7, v17
	v_cmp_lt_f32_e64 s[22:23], |v46|, s22
	v_add_f32_e32 v7, v38, v7
	s_or_b64 s[18:19], s[18:19], s[22:23]
	v_cndmask_b32_e64 v7, v7, v46, s[18:19]
	v_add_f32_e32 v36, v6, v7
.LBB117_226:
	s_or_b64 exec, exec, s[20:21]
	v_max_f32_e32 v16, v23, v23
	v_max_f32_e32 v6, v36, v36
	v_min_f32_e32 v7, v6, v16
	v_cmp_u_f32_e64 s[20:21], v36, v36
	v_max_f32_e32 v6, v6, v16
	v_cndmask_b32_e64 v7, v7, v36, s[20:21]
	v_cmp_u_f32_e64 s[18:19], v23, v23
	v_cndmask_b32_e64 v6, v6, v36, s[20:21]
	v_cndmask_b32_e64 v7, v7, v23, s[18:19]
	;; [unrolled: 1-line block ×3, first 2 shown]
	s_movk_i32 s24, 0x1f8
	v_cmp_neq_f32_e64 s[20:21], v7, v6
	v_cmp_class_f32_e64 s[22:23], v7, s24
	s_or_b64 s[20:21], s[20:21], s[22:23]
	s_and_saveexec_b64 s[22:23], s[20:21]
	s_cbranch_execz .LBB117_228
; %bb.227:
	v_sub_f32_e32 v7, v7, v6
	s_mov_b32 s20, 0x3fb8aa3b
	v_mul_f32_e32 v17, 0x3fb8aa3b, v7
	v_fma_f32 v18, v7, s20, -v17
	v_rndne_f32_e32 v19, v17
	v_fmac_f32_e32 v18, 0x32a5705f, v7
	v_sub_f32_e32 v17, v17, v19
	v_add_f32_e32 v17, v17, v18
	v_exp_f32_e32 v17, v17
	v_cvt_i32_f32_e32 v18, v19
	s_mov_b32 s20, 0xc2ce8ed0
	v_cmp_ngt_f32_e64 s[20:21], s20, v7
	s_mov_b32 s25, 0x7f800000
	v_ldexp_f32 v17, v17, v18
	v_cndmask_b32_e64 v17, 0, v17, s[20:21]
	s_mov_b32 s20, 0x42b17218
	v_mov_b32_e32 v18, 0x7f800000
	v_cmp_nlt_f32_e64 s[20:21], s20, v7
	v_cndmask_b32_e64 v17, v18, v17, s[20:21]
	v_add_f32_e32 v7, 1.0, v17
	v_add_f32_e32 v18, -1.0, v7
	v_sub_f32_e32 v19, v18, v7
	v_add_f32_e32 v19, 1.0, v19
	v_sub_f32_e32 v18, v17, v18
	v_add_f32_e32 v20, v18, v19
	v_frexp_mant_f32_e32 v36, v7
	s_mov_b32 s20, 0x3f2aaaab
	v_cvt_f64_f32_e32 v[18:19], v7
	v_frexp_exp_i32_f64_e32 v18, v[18:19]
	v_cmp_gt_f32_e64 s[20:21], s20, v36
	v_subbrev_co_u32_e64 v42, s[20:21], 0, v18, s[20:21]
	v_sub_u32_e32 v18, 0, v42
	v_ldexp_f32 v7, v7, v18
	v_ldexp_f32 v18, v20, v18
	v_add_f32_e32 v20, -1.0, v7
	v_add_f32_e32 v19, 1.0, v20
	v_sub_f32_e32 v19, v7, v19
	v_add_f32_e32 v36, v18, v19
	v_add_f32_e32 v19, 1.0, v7
	v_add_f32_e32 v37, -1.0, v19
	v_sub_f32_e32 v7, v7, v37
	v_add_f32_e32 v7, v18, v7
	v_add_f32_e32 v43, v19, v7
	v_rcp_f32_e32 v44, v43
	v_sub_f32_e32 v18, v19, v43
	v_add_f32_e32 v19, v20, v36
	v_add_f32_e32 v7, v7, v18
	v_sub_f32_e32 v18, v20, v19
	v_mul_f32_e32 v45, v19, v44
	v_add_f32_e32 v20, v36, v18
	v_mul_f32_e32 v36, v43, v45
	v_fma_f32 v38, v45, v43, -v36
	v_fmac_f32_e32 v38, v45, v7
	v_add_f32_e32 v18, v36, v38
	v_sub_f32_e32 v37, v19, v18
	v_pk_add_f32 v[40:41], v[18:19], v[36:37] neg_lo:[0,1] neg_hi:[0,1]
	v_mov_b32_e32 v39, v18
	v_pk_add_f32 v[18:19], v[40:41], v[38:39] neg_lo:[0,1] neg_hi:[0,1]
	v_add_f32_e32 v19, v20, v19
	v_add_f32_e32 v18, v18, v19
	;; [unrolled: 1-line block ×3, first 2 shown]
	v_mul_f32_e32 v20, v44, v19
	v_mul_f32_e32 v36, v43, v20
	v_fma_f32 v38, v20, v43, -v36
	v_fmac_f32_e32 v38, v20, v7
	v_sub_f32_e32 v7, v37, v19
	v_add_f32_e32 v7, v18, v7
	v_add_f32_e32 v18, v36, v38
	v_sub_f32_e32 v37, v19, v18
	v_pk_add_f32 v[40:41], v[18:19], v[36:37] neg_lo:[0,1] neg_hi:[0,1]
	v_mov_b32_e32 v39, v18
	v_pk_add_f32 v[18:19], v[40:41], v[38:39] neg_lo:[0,1] neg_hi:[0,1]
	v_add_f32_e32 v7, v7, v19
	v_add_f32_e32 v7, v18, v7
	;; [unrolled: 1-line block ×4, first 2 shown]
	v_sub_f32_e32 v19, v18, v45
	v_mul_f32_e32 v7, v44, v7
	v_sub_f32_e32 v19, v20, v19
	v_add_f32_e32 v7, v19, v7
	v_add_f32_e32 v20, v18, v7
	v_mul_f32_e32 v37, v20, v20
	v_mov_b32_e32 v36, 0x3ecc95a3
	v_fmac_f32_e32 v36, 0x3e9b6dac, v37
	v_mov_b32_e32 v19, 0x3f2aaada
	v_fmac_f32_e32 v19, v37, v36
	v_cvt_f32_i32_e32 v36, v42
	v_sub_f32_e32 v18, v20, v18
	v_sub_f32_e32 v7, v7, v18
	v_mul_f32_e32 v37, v20, v37
	v_mov_b32_e32 v18, 0x3f317218
	s_mov_b32 s20, 0x3f317218
	v_pk_mul_f32 v[18:19], v[36:37], v[18:19]
	v_fma_f32 v38, v36, s20, -v18
	v_ldexp_f32 v39, v20, 1
	v_fmac_f32_e32 v38, 0xb102e308, v36
	v_pk_add_f32 v[36:37], v[18:19], v[38:39]
	v_sub_f32_e32 v20, v37, v39
	v_ldexp_f32 v7, v7, 1
	v_sub_f32_e32 v20, v19, v20
	v_add_f32_e32 v41, v7, v20
	v_mov_b32_e32 v40, v18
	v_pk_add_f32 v[18:19], v[36:37], v[18:19] neg_lo:[0,1] neg_hi:[0,1]
	v_pk_add_f32 v[42:43], v[36:37], v[40:41]
	v_mov_b32_e32 v19, v43
	v_mov_b32_e32 v39, v36
	v_pk_add_f32 v[44:45], v[38:39], v[18:19] neg_lo:[0,1] neg_hi:[0,1]
	v_pk_add_f32 v[18:19], v[38:39], v[18:19]
	v_mov_b32_e32 v20, v19
	v_pk_add_f32 v[38:39], v[20:21], v[36:37] neg_lo:[0,1] neg_hi:[0,1]
	v_mov_b32_e32 v7, v38
	v_pk_add_f32 v[46:47], v[42:43], v[6:7] neg_lo:[0,1] neg_hi:[0,1]
	v_mov_b32_e32 v18, v43
	v_mov_b32_e32 v42, v37
	;; [unrolled: 1-line block ×4, first 2 shown]
	v_pk_add_f32 v[18:19], v[18:19], v[42:43] neg_lo:[0,1] neg_hi:[0,1]
	v_mov_b32_e32 v38, v41
	v_mov_b32_e32 v39, v36
	v_pk_add_f32 v[18:19], v[38:39], v[18:19] neg_lo:[0,1] neg_hi:[0,1]
	v_mov_b32_e32 v46, v44
	v_pk_add_f32 v[36:37], v[46:47], v[18:19]
	v_mov_b32_e32 v38, v37
	v_pk_add_f32 v[38:39], v[36:37], v[38:39]
	v_pk_add_f32 v[40:41], v[20:21], v[38:39]
	v_mov_b32_e32 v37, v40
	v_pk_add_f32 v[42:43], v[36:37], v[44:45] neg_lo:[0,1] neg_hi:[0,1]
	v_mov_b32_e32 v19, v38
	v_sub_f32_e32 v7, v36, v42
	v_pk_add_f32 v[18:19], v[18:19], v[42:43] neg_lo:[0,1] neg_hi:[0,1]
	v_sub_f32_e32 v7, v44, v7
	v_add_f32_e32 v7, v18, v7
	v_cmp_eq_f32_e64 s[20:21], s25, v17
	s_mov_b32 s25, 0x33800000
	v_add_f32_e32 v7, v7, v19
	v_cmp_lt_f32_e64 s[26:27], |v17|, s25
	v_add_f32_e32 v7, v40, v7
	s_or_b64 s[20:21], s[20:21], s[26:27]
	v_cndmask_b32_e64 v7, v7, v17, s[20:21]
	v_add_f32_e32 v36, v6, v7
.LBB117_228:
	s_or_b64 exec, exec, s[22:23]
	v_max_f32_e32 v17, v24, v24
	v_max_f32_e32 v6, v36, v36
	v_min_f32_e32 v7, v6, v17
	v_cmp_u_f32_e64 s[22:23], v36, v36
	v_max_f32_e32 v6, v6, v17
	v_cndmask_b32_e64 v7, v7, v36, s[22:23]
	v_cmp_u_f32_e64 s[20:21], v24, v24
	v_cndmask_b32_e64 v6, v6, v36, s[22:23]
	v_cndmask_b32_e64 v7, v7, v24, s[20:21]
	;; [unrolled: 1-line block ×3, first 2 shown]
	v_cmp_neq_f32_e64 s[22:23], v7, v6
	v_cmp_class_f32_e64 s[24:25], v7, s24
	s_or_b64 s[22:23], s[22:23], s[24:25]
	s_and_saveexec_b64 s[24:25], s[22:23]
	s_cbranch_execz .LBB117_230
; %bb.229:
	v_sub_f32_e32 v7, v7, v6
	s_mov_b32 s22, 0x3fb8aa3b
	v_mul_f32_e32 v18, 0x3fb8aa3b, v7
	v_fma_f32 v19, v7, s22, -v18
	v_rndne_f32_e32 v20, v18
	v_fmac_f32_e32 v19, 0x32a5705f, v7
	v_sub_f32_e32 v18, v18, v20
	v_add_f32_e32 v18, v18, v19
	v_exp_f32_e32 v18, v18
	v_cvt_i32_f32_e32 v19, v20
	s_mov_b32 s22, 0xc2ce8ed0
	v_cmp_ngt_f32_e64 s[22:23], s22, v7
	s_mov_b32 s26, 0x7f800000
	v_ldexp_f32 v18, v18, v19
	v_cndmask_b32_e64 v18, 0, v18, s[22:23]
	s_mov_b32 s22, 0x42b17218
	v_mov_b32_e32 v19, 0x7f800000
	v_cmp_nlt_f32_e64 s[22:23], s22, v7
	v_cndmask_b32_e64 v48, v19, v18, s[22:23]
	v_add_f32_e32 v7, 1.0, v48
	v_add_f32_e32 v18, -1.0, v7
	v_sub_f32_e32 v19, v18, v7
	v_add_f32_e32 v19, 1.0, v19
	v_sub_f32_e32 v18, v48, v18
	v_add_f32_e32 v20, v18, v19
	v_frexp_mant_f32_e32 v36, v7
	s_mov_b32 s22, 0x3f2aaaab
	v_cvt_f64_f32_e32 v[18:19], v7
	v_frexp_exp_i32_f64_e32 v18, v[18:19]
	v_cmp_gt_f32_e64 s[22:23], s22, v36
	v_subbrev_co_u32_e64 v42, s[22:23], 0, v18, s[22:23]
	v_sub_u32_e32 v18, 0, v42
	v_ldexp_f32 v7, v7, v18
	v_ldexp_f32 v18, v20, v18
	v_add_f32_e32 v20, -1.0, v7
	v_add_f32_e32 v19, 1.0, v20
	v_sub_f32_e32 v19, v7, v19
	v_add_f32_e32 v36, v18, v19
	v_add_f32_e32 v19, 1.0, v7
	v_add_f32_e32 v37, -1.0, v19
	v_sub_f32_e32 v7, v7, v37
	v_add_f32_e32 v7, v18, v7
	v_add_f32_e32 v43, v19, v7
	v_rcp_f32_e32 v44, v43
	v_sub_f32_e32 v18, v19, v43
	v_add_f32_e32 v19, v20, v36
	v_add_f32_e32 v7, v7, v18
	v_sub_f32_e32 v18, v20, v19
	v_mul_f32_e32 v45, v19, v44
	v_add_f32_e32 v20, v36, v18
	v_mul_f32_e32 v36, v43, v45
	v_fma_f32 v38, v45, v43, -v36
	v_fmac_f32_e32 v38, v45, v7
	v_add_f32_e32 v18, v36, v38
	v_sub_f32_e32 v37, v19, v18
	v_pk_add_f32 v[40:41], v[18:19], v[36:37] neg_lo:[0,1] neg_hi:[0,1]
	v_mov_b32_e32 v39, v18
	v_pk_add_f32 v[18:19], v[40:41], v[38:39] neg_lo:[0,1] neg_hi:[0,1]
	v_add_f32_e32 v19, v20, v19
	v_add_f32_e32 v18, v18, v19
	;; [unrolled: 1-line block ×3, first 2 shown]
	v_mul_f32_e32 v20, v44, v19
	v_mul_f32_e32 v36, v43, v20
	v_fma_f32 v38, v20, v43, -v36
	v_fmac_f32_e32 v38, v20, v7
	v_sub_f32_e32 v7, v37, v19
	v_add_f32_e32 v7, v18, v7
	v_add_f32_e32 v18, v36, v38
	v_sub_f32_e32 v37, v19, v18
	v_pk_add_f32 v[40:41], v[18:19], v[36:37] neg_lo:[0,1] neg_hi:[0,1]
	v_mov_b32_e32 v39, v18
	v_pk_add_f32 v[18:19], v[40:41], v[38:39] neg_lo:[0,1] neg_hi:[0,1]
	v_add_f32_e32 v7, v7, v19
	v_add_f32_e32 v7, v18, v7
	;; [unrolled: 1-line block ×4, first 2 shown]
	v_sub_f32_e32 v19, v18, v45
	v_mul_f32_e32 v7, v44, v7
	v_sub_f32_e32 v19, v20, v19
	v_add_f32_e32 v7, v19, v7
	v_add_f32_e32 v20, v18, v7
	v_mul_f32_e32 v37, v20, v20
	v_mov_b32_e32 v36, 0x3ecc95a3
	v_fmac_f32_e32 v36, 0x3e9b6dac, v37
	v_mov_b32_e32 v19, 0x3f2aaada
	v_fmac_f32_e32 v19, v37, v36
	v_cvt_f32_i32_e32 v36, v42
	v_sub_f32_e32 v18, v20, v18
	v_sub_f32_e32 v7, v7, v18
	v_mul_f32_e32 v37, v20, v37
	v_mov_b32_e32 v18, 0x3f317218
	s_mov_b32 s22, 0x3f317218
	v_pk_mul_f32 v[18:19], v[36:37], v[18:19]
	v_fma_f32 v38, v36, s22, -v18
	v_ldexp_f32 v39, v20, 1
	v_fmac_f32_e32 v38, 0xb102e308, v36
	v_pk_add_f32 v[36:37], v[18:19], v[38:39]
	v_sub_f32_e32 v20, v37, v39
	v_ldexp_f32 v7, v7, 1
	v_sub_f32_e32 v20, v19, v20
	v_add_f32_e32 v41, v7, v20
	v_mov_b32_e32 v40, v18
	v_pk_add_f32 v[18:19], v[36:37], v[18:19] neg_lo:[0,1] neg_hi:[0,1]
	v_pk_add_f32 v[42:43], v[36:37], v[40:41]
	v_mov_b32_e32 v19, v43
	v_mov_b32_e32 v39, v36
	v_pk_add_f32 v[44:45], v[38:39], v[18:19] neg_lo:[0,1] neg_hi:[0,1]
	v_pk_add_f32 v[18:19], v[38:39], v[18:19]
	v_mov_b32_e32 v20, v19
	v_pk_add_f32 v[38:39], v[20:21], v[36:37] neg_lo:[0,1] neg_hi:[0,1]
	v_mov_b32_e32 v7, v38
	v_pk_add_f32 v[46:47], v[42:43], v[6:7] neg_lo:[0,1] neg_hi:[0,1]
	v_mov_b32_e32 v18, v43
	v_mov_b32_e32 v42, v37
	;; [unrolled: 1-line block ×4, first 2 shown]
	v_pk_add_f32 v[18:19], v[18:19], v[42:43] neg_lo:[0,1] neg_hi:[0,1]
	v_mov_b32_e32 v38, v41
	v_mov_b32_e32 v39, v36
	v_pk_add_f32 v[18:19], v[38:39], v[18:19] neg_lo:[0,1] neg_hi:[0,1]
	v_mov_b32_e32 v46, v44
	v_pk_add_f32 v[36:37], v[46:47], v[18:19]
	v_mov_b32_e32 v38, v37
	v_pk_add_f32 v[38:39], v[36:37], v[38:39]
	v_pk_add_f32 v[40:41], v[20:21], v[38:39]
	v_mov_b32_e32 v37, v40
	v_pk_add_f32 v[42:43], v[36:37], v[44:45] neg_lo:[0,1] neg_hi:[0,1]
	v_mov_b32_e32 v19, v38
	v_sub_f32_e32 v7, v36, v42
	v_pk_add_f32 v[18:19], v[18:19], v[42:43] neg_lo:[0,1] neg_hi:[0,1]
	v_sub_f32_e32 v7, v44, v7
	v_add_f32_e32 v7, v18, v7
	v_cmp_eq_f32_e64 s[22:23], s26, v48
	s_mov_b32 s26, 0x33800000
	v_add_f32_e32 v7, v7, v19
	v_cmp_lt_f32_e64 s[26:27], |v48|, s26
	v_add_f32_e32 v7, v40, v7
	s_or_b64 s[22:23], s[22:23], s[26:27]
	v_cndmask_b32_e64 v7, v7, v48, s[22:23]
	v_add_f32_e32 v36, v6, v7
.LBB117_230:
	s_or_b64 exec, exec, s[24:25]
	v_max_f32_e32 v18, v25, v25
	v_max_f32_e32 v6, v36, v36
	v_min_f32_e32 v7, v6, v18
	v_cmp_u_f32_e64 s[24:25], v36, v36
	v_max_f32_e32 v6, v6, v18
	v_cndmask_b32_e64 v7, v7, v36, s[24:25]
	v_cmp_u_f32_e64 s[22:23], v25, v25
	v_cndmask_b32_e64 v6, v6, v36, s[24:25]
	v_cndmask_b32_e64 v7, v7, v25, s[22:23]
	;; [unrolled: 1-line block ×3, first 2 shown]
	s_movk_i32 s30, 0x1f8
	v_cmp_neq_f32_e64 s[24:25], v7, v6
	v_cmp_class_f32_e64 s[26:27], v7, s30
	s_or_b64 s[24:25], s[24:25], s[26:27]
	s_and_saveexec_b64 s[26:27], s[24:25]
	s_cbranch_execz .LBB117_232
; %bb.231:
	v_sub_f32_e32 v7, v7, v6
	s_mov_b32 s24, 0x3fb8aa3b
	v_mul_f32_e32 v19, 0x3fb8aa3b, v7
	v_fma_f32 v20, v7, s24, -v19
	v_rndne_f32_e32 v36, v19
	v_fmac_f32_e32 v20, 0x32a5705f, v7
	v_sub_f32_e32 v19, v19, v36
	v_add_f32_e32 v19, v19, v20
	v_exp_f32_e32 v19, v19
	v_cvt_i32_f32_e32 v20, v36
	s_mov_b32 s24, 0xc2ce8ed0
	v_cmp_ngt_f32_e64 s[24:25], s24, v7
	s_mov_b32 s31, 0x7f800000
	v_ldexp_f32 v19, v19, v20
	v_cndmask_b32_e64 v19, 0, v19, s[24:25]
	s_mov_b32 s24, 0x42b17218
	v_mov_b32_e32 v20, 0x7f800000
	v_cmp_nlt_f32_e64 s[24:25], s24, v7
	v_cndmask_b32_e64 v19, v20, v19, s[24:25]
	v_add_f32_e32 v7, 1.0, v19
	v_add_f32_e32 v20, -1.0, v7
	v_sub_f32_e32 v36, v20, v7
	v_add_f32_e32 v36, 1.0, v36
	v_sub_f32_e32 v20, v19, v20
	v_add_f32_e32 v20, v20, v36
	v_frexp_mant_f32_e32 v38, v7
	s_mov_b32 s24, 0x3f2aaaab
	v_cvt_f64_f32_e32 v[36:37], v7
	v_frexp_exp_i32_f64_e32 v36, v[36:37]
	v_cmp_gt_f32_e64 s[24:25], s24, v38
	v_subbrev_co_u32_e64 v44, s[24:25], 0, v36, s[24:25]
	v_sub_u32_e32 v36, 0, v44
	v_ldexp_f32 v7, v7, v36
	v_ldexp_f32 v20, v20, v36
	v_add_f32_e32 v36, -1.0, v7
	v_add_f32_e32 v37, 1.0, v36
	v_sub_f32_e32 v37, v7, v37
	v_add_f32_e32 v38, v20, v37
	v_add_f32_e32 v37, 1.0, v7
	v_add_f32_e32 v39, -1.0, v37
	v_sub_f32_e32 v7, v7, v39
	v_add_f32_e32 v7, v20, v7
	v_add_f32_e32 v20, v37, v7
	v_rcp_f32_e32 v45, v20
	v_sub_f32_e32 v37, v37, v20
	v_add_f32_e32 v7, v7, v37
	v_add_f32_e32 v37, v36, v38
	v_sub_f32_e32 v36, v36, v37
	v_mul_f32_e32 v47, v37, v45
	v_add_f32_e32 v46, v38, v36
	v_mul_f32_e32 v38, v20, v47
	v_fma_f32 v40, v47, v20, -v38
	v_fmac_f32_e32 v40, v47, v7
	v_add_f32_e32 v36, v38, v40
	v_sub_f32_e32 v39, v37, v36
	v_pk_add_f32 v[42:43], v[36:37], v[38:39] neg_lo:[0,1] neg_hi:[0,1]
	v_mov_b32_e32 v41, v36
	v_pk_add_f32 v[36:37], v[42:43], v[40:41] neg_lo:[0,1] neg_hi:[0,1]
	v_add_f32_e32 v37, v46, v37
	v_add_f32_e32 v36, v36, v37
	;; [unrolled: 1-line block ×3, first 2 shown]
	v_mul_f32_e32 v46, v45, v37
	v_mul_f32_e32 v38, v20, v46
	v_fma_f32 v40, v46, v20, -v38
	v_fmac_f32_e32 v40, v46, v7
	v_sub_f32_e32 v7, v39, v37
	v_add_f32_e32 v7, v36, v7
	v_add_f32_e32 v36, v38, v40
	v_sub_f32_e32 v39, v37, v36
	v_pk_add_f32 v[42:43], v[36:37], v[38:39] neg_lo:[0,1] neg_hi:[0,1]
	v_mov_b32_e32 v41, v36
	v_pk_add_f32 v[36:37], v[42:43], v[40:41] neg_lo:[0,1] neg_hi:[0,1]
	v_add_f32_e32 v7, v7, v37
	v_add_f32_e32 v7, v36, v7
	;; [unrolled: 1-line block ×4, first 2 shown]
	v_sub_f32_e32 v36, v20, v47
	v_mul_f32_e32 v7, v45, v7
	v_sub_f32_e32 v36, v46, v36
	v_add_f32_e32 v7, v36, v7
	v_add_f32_e32 v36, v20, v7
	v_mul_f32_e32 v39, v36, v36
	v_mov_b32_e32 v38, 0x3ecc95a3
	v_fmac_f32_e32 v38, 0x3e9b6dac, v39
	v_mov_b32_e32 v37, 0x3f2aaada
	v_fmac_f32_e32 v37, v39, v38
	v_cvt_f32_i32_e32 v38, v44
	v_sub_f32_e32 v20, v36, v20
	v_ldexp_f32 v41, v36, 1
	v_mul_f32_e32 v39, v36, v39
	v_mov_b32_e32 v36, 0x3f317218
	s_mov_b32 s24, 0x3f317218
	v_pk_mul_f32 v[36:37], v[38:39], v[36:37]
	v_fma_f32 v40, v38, s24, -v36
	v_fmac_f32_e32 v40, 0xb102e308, v38
	v_pk_add_f32 v[38:39], v[36:37], v[40:41]
	v_sub_f32_e32 v7, v7, v20
	v_sub_f32_e32 v20, v39, v41
	v_ldexp_f32 v7, v7, 1
	v_sub_f32_e32 v20, v37, v20
	v_add_f32_e32 v43, v7, v20
	v_mov_b32_e32 v42, v36
	v_pk_add_f32 v[36:37], v[38:39], v[36:37] neg_lo:[0,1] neg_hi:[0,1]
	v_pk_add_f32 v[44:45], v[38:39], v[42:43]
	v_mov_b32_e32 v37, v45
	v_mov_b32_e32 v41, v38
	v_pk_add_f32 v[46:47], v[40:41], v[36:37] neg_lo:[0,1] neg_hi:[0,1]
	v_pk_add_f32 v[36:37], v[40:41], v[36:37]
	v_mov_b32_e32 v20, v37
	v_pk_add_f32 v[40:41], v[20:21], v[38:39] neg_lo:[0,1] neg_hi:[0,1]
	v_mov_b32_e32 v7, v40
	v_pk_add_f32 v[48:49], v[44:45], v[6:7] neg_lo:[0,1] neg_hi:[0,1]
	v_mov_b32_e32 v36, v45
	v_mov_b32_e32 v44, v39
	;; [unrolled: 1-line block ×4, first 2 shown]
	v_pk_add_f32 v[36:37], v[36:37], v[44:45] neg_lo:[0,1] neg_hi:[0,1]
	v_mov_b32_e32 v40, v43
	v_mov_b32_e32 v41, v38
	v_pk_add_f32 v[36:37], v[40:41], v[36:37] neg_lo:[0,1] neg_hi:[0,1]
	v_mov_b32_e32 v48, v46
	v_pk_add_f32 v[38:39], v[48:49], v[36:37]
	v_mov_b32_e32 v40, v39
	v_pk_add_f32 v[40:41], v[38:39], v[40:41]
	v_pk_add_f32 v[42:43], v[20:21], v[40:41]
	v_mov_b32_e32 v39, v42
	v_pk_add_f32 v[44:45], v[38:39], v[46:47] neg_lo:[0,1] neg_hi:[0,1]
	v_mov_b32_e32 v37, v40
	v_sub_f32_e32 v7, v38, v44
	v_pk_add_f32 v[36:37], v[36:37], v[44:45] neg_lo:[0,1] neg_hi:[0,1]
	v_sub_f32_e32 v7, v46, v7
	v_add_f32_e32 v7, v36, v7
	v_cmp_eq_f32_e64 s[24:25], s31, v19
	s_mov_b32 s31, 0x33800000
	v_add_f32_e32 v7, v7, v37
	v_cmp_lt_f32_e64 s[34:35], |v19|, s31
	v_add_f32_e32 v7, v42, v7
	s_or_b64 s[24:25], s[24:25], s[34:35]
	v_cndmask_b32_e64 v7, v7, v19, s[24:25]
	v_add_f32_e32 v36, v6, v7
.LBB117_232:
	s_or_b64 exec, exec, s[26:27]
	v_max_f32_e32 v19, v30, v30
	v_max_f32_e32 v6, v36, v36
	v_min_f32_e32 v7, v6, v19
	v_cmp_u_f32_e64 s[26:27], v36, v36
	v_max_f32_e32 v6, v6, v19
	v_cndmask_b32_e64 v7, v7, v36, s[26:27]
	v_cmp_u_f32_e64 s[24:25], v30, v30
	v_cndmask_b32_e64 v6, v6, v36, s[26:27]
	v_cndmask_b32_e64 v7, v7, v30, s[24:25]
	;; [unrolled: 1-line block ×3, first 2 shown]
	v_cmp_neq_f32_e64 s[26:27], v7, v6
	v_cmp_class_f32_e64 s[30:31], v7, s30
	s_or_b64 s[26:27], s[26:27], s[30:31]
	s_and_saveexec_b64 s[30:31], s[26:27]
	s_cbranch_execz .LBB117_234
; %bb.233:
	v_sub_f32_e32 v7, v7, v6
	s_mov_b32 s26, 0x3fb8aa3b
	v_mul_f32_e32 v20, 0x3fb8aa3b, v7
	v_fma_f32 v36, v7, s26, -v20
	v_rndne_f32_e32 v37, v20
	v_fmac_f32_e32 v36, 0x32a5705f, v7
	v_sub_f32_e32 v20, v20, v37
	v_add_f32_e32 v20, v20, v36
	v_exp_f32_e32 v20, v20
	v_cvt_i32_f32_e32 v36, v37
	s_mov_b32 s26, 0xc2ce8ed0
	v_cmp_ngt_f32_e64 s[26:27], s26, v7
	s_mov_b32 s34, 0x7f800000
	v_ldexp_f32 v20, v20, v36
	v_cndmask_b32_e64 v20, 0, v20, s[26:27]
	s_mov_b32 s26, 0x42b17218
	v_mov_b32_e32 v36, 0x7f800000
	v_cmp_nlt_f32_e64 s[26:27], s26, v7
	v_cndmask_b32_e64 v50, v36, v20, s[26:27]
	v_add_f32_e32 v7, 1.0, v50
	v_add_f32_e32 v20, -1.0, v7
	v_sub_f32_e32 v36, v20, v7
	v_add_f32_e32 v36, 1.0, v36
	v_sub_f32_e32 v20, v50, v20
	v_add_f32_e32 v20, v20, v36
	v_frexp_mant_f32_e32 v38, v7
	s_mov_b32 s26, 0x3f2aaaab
	v_cvt_f64_f32_e32 v[36:37], v7
	v_frexp_exp_i32_f64_e32 v36, v[36:37]
	v_cmp_gt_f32_e64 s[26:27], s26, v38
	v_subbrev_co_u32_e64 v44, s[26:27], 0, v36, s[26:27]
	v_sub_u32_e32 v36, 0, v44
	v_ldexp_f32 v7, v7, v36
	v_ldexp_f32 v20, v20, v36
	v_add_f32_e32 v36, -1.0, v7
	v_add_f32_e32 v37, 1.0, v36
	v_sub_f32_e32 v37, v7, v37
	v_add_f32_e32 v38, v20, v37
	v_add_f32_e32 v37, 1.0, v7
	v_add_f32_e32 v39, -1.0, v37
	v_sub_f32_e32 v7, v7, v39
	v_add_f32_e32 v7, v20, v7
	v_add_f32_e32 v20, v37, v7
	v_rcp_f32_e32 v45, v20
	v_sub_f32_e32 v37, v37, v20
	v_add_f32_e32 v7, v7, v37
	v_add_f32_e32 v37, v36, v38
	v_sub_f32_e32 v36, v36, v37
	v_mul_f32_e32 v47, v37, v45
	v_add_f32_e32 v46, v38, v36
	v_mul_f32_e32 v38, v20, v47
	v_fma_f32 v40, v47, v20, -v38
	v_fmac_f32_e32 v40, v47, v7
	v_add_f32_e32 v36, v38, v40
	v_sub_f32_e32 v39, v37, v36
	v_pk_add_f32 v[42:43], v[36:37], v[38:39] neg_lo:[0,1] neg_hi:[0,1]
	v_mov_b32_e32 v41, v36
	v_pk_add_f32 v[36:37], v[42:43], v[40:41] neg_lo:[0,1] neg_hi:[0,1]
	v_add_f32_e32 v37, v46, v37
	v_add_f32_e32 v36, v36, v37
	;; [unrolled: 1-line block ×3, first 2 shown]
	v_mul_f32_e32 v46, v45, v37
	v_mul_f32_e32 v38, v20, v46
	v_fma_f32 v40, v46, v20, -v38
	v_fmac_f32_e32 v40, v46, v7
	v_sub_f32_e32 v7, v39, v37
	v_add_f32_e32 v7, v36, v7
	v_add_f32_e32 v36, v38, v40
	v_sub_f32_e32 v39, v37, v36
	v_pk_add_f32 v[42:43], v[36:37], v[38:39] neg_lo:[0,1] neg_hi:[0,1]
	v_mov_b32_e32 v41, v36
	v_pk_add_f32 v[36:37], v[42:43], v[40:41] neg_lo:[0,1] neg_hi:[0,1]
	v_add_f32_e32 v7, v7, v37
	v_add_f32_e32 v7, v36, v7
	v_add_f32_e32 v20, v47, v46
	v_add_f32_e32 v7, v39, v7
	v_sub_f32_e32 v36, v20, v47
	v_mul_f32_e32 v7, v45, v7
	v_sub_f32_e32 v36, v46, v36
	v_add_f32_e32 v7, v36, v7
	v_add_f32_e32 v36, v20, v7
	v_mul_f32_e32 v39, v36, v36
	v_mov_b32_e32 v38, 0x3ecc95a3
	v_fmac_f32_e32 v38, 0x3e9b6dac, v39
	v_mov_b32_e32 v37, 0x3f2aaada
	v_fmac_f32_e32 v37, v39, v38
	v_cvt_f32_i32_e32 v38, v44
	v_sub_f32_e32 v20, v36, v20
	v_ldexp_f32 v41, v36, 1
	v_mul_f32_e32 v39, v36, v39
	v_mov_b32_e32 v36, 0x3f317218
	s_mov_b32 s26, 0x3f317218
	v_pk_mul_f32 v[36:37], v[38:39], v[36:37]
	v_fma_f32 v40, v38, s26, -v36
	v_fmac_f32_e32 v40, 0xb102e308, v38
	v_pk_add_f32 v[38:39], v[36:37], v[40:41]
	v_sub_f32_e32 v7, v7, v20
	v_sub_f32_e32 v20, v39, v41
	v_ldexp_f32 v7, v7, 1
	v_sub_f32_e32 v20, v37, v20
	v_add_f32_e32 v43, v7, v20
	v_mov_b32_e32 v42, v36
	v_pk_add_f32 v[36:37], v[38:39], v[36:37] neg_lo:[0,1] neg_hi:[0,1]
	v_pk_add_f32 v[44:45], v[38:39], v[42:43]
	v_mov_b32_e32 v37, v45
	v_mov_b32_e32 v41, v38
	v_pk_add_f32 v[46:47], v[40:41], v[36:37] neg_lo:[0,1] neg_hi:[0,1]
	v_pk_add_f32 v[36:37], v[40:41], v[36:37]
	v_mov_b32_e32 v20, v37
	v_pk_add_f32 v[40:41], v[20:21], v[38:39] neg_lo:[0,1] neg_hi:[0,1]
	v_mov_b32_e32 v7, v40
	v_pk_add_f32 v[48:49], v[44:45], v[6:7] neg_lo:[0,1] neg_hi:[0,1]
	v_mov_b32_e32 v36, v45
	v_mov_b32_e32 v44, v39
	;; [unrolled: 1-line block ×4, first 2 shown]
	v_pk_add_f32 v[36:37], v[36:37], v[44:45] neg_lo:[0,1] neg_hi:[0,1]
	v_mov_b32_e32 v40, v43
	v_mov_b32_e32 v41, v38
	v_pk_add_f32 v[36:37], v[40:41], v[36:37] neg_lo:[0,1] neg_hi:[0,1]
	v_mov_b32_e32 v48, v46
	v_pk_add_f32 v[38:39], v[48:49], v[36:37]
	v_mov_b32_e32 v40, v39
	v_pk_add_f32 v[40:41], v[38:39], v[40:41]
	v_pk_add_f32 v[42:43], v[20:21], v[40:41]
	v_mov_b32_e32 v39, v42
	v_pk_add_f32 v[44:45], v[38:39], v[46:47] neg_lo:[0,1] neg_hi:[0,1]
	v_mov_b32_e32 v37, v40
	v_sub_f32_e32 v7, v38, v44
	v_pk_add_f32 v[36:37], v[36:37], v[44:45] neg_lo:[0,1] neg_hi:[0,1]
	v_sub_f32_e32 v7, v46, v7
	v_add_f32_e32 v7, v36, v7
	v_cmp_eq_f32_e64 s[26:27], s34, v50
	s_mov_b32 s34, 0x33800000
	v_add_f32_e32 v7, v7, v37
	v_cmp_lt_f32_e64 s[34:35], |v50|, s34
	v_add_f32_e32 v7, v42, v7
	s_or_b64 s[26:27], s[26:27], s[34:35]
	v_cndmask_b32_e64 v7, v7, v50, s[26:27]
	v_add_f32_e32 v36, v6, v7
.LBB117_234:
	s_or_b64 exec, exec, s[30:31]
	v_max_f32_e32 v20, v31, v31
	v_max_f32_e32 v6, v36, v36
	v_min_f32_e32 v7, v6, v20
	v_cmp_u_f32_e64 s[30:31], v36, v36
	v_max_f32_e32 v6, v6, v20
	v_cndmask_b32_e64 v7, v7, v36, s[30:31]
	v_cmp_u_f32_e64 s[26:27], v31, v31
	v_cndmask_b32_e64 v6, v6, v36, s[30:31]
	v_cndmask_b32_e64 v7, v7, v31, s[26:27]
	;; [unrolled: 1-line block ×3, first 2 shown]
	s_movk_i32 s34, 0x1f8
	v_cmp_neq_f32_e64 s[30:31], v7, v6
	v_cmp_class_f32_e64 s[34:35], v7, s34
	s_or_b64 s[30:31], s[30:31], s[34:35]
	s_and_saveexec_b64 s[34:35], s[30:31]
	s_cbranch_execz .LBB117_236
; %bb.235:
	v_sub_f32_e32 v7, v7, v6
	s_mov_b32 s30, 0x3fb8aa3b
	v_mul_f32_e32 v36, 0x3fb8aa3b, v7
	v_fma_f32 v37, v7, s30, -v36
	v_rndne_f32_e32 v38, v36
	v_fmac_f32_e32 v37, 0x32a5705f, v7
	v_sub_f32_e32 v36, v36, v38
	v_add_f32_e32 v36, v36, v37
	v_exp_f32_e32 v36, v36
	v_cvt_i32_f32_e32 v37, v38
	s_mov_b32 s30, 0xc2ce8ed0
	v_cmp_ngt_f32_e64 s[30:31], s30, v7
	s_mov_b32 s36, 0x7f800000
	v_ldexp_f32 v36, v36, v37
	v_cndmask_b32_e64 v36, 0, v36, s[30:31]
	s_mov_b32 s30, 0x42b17218
	v_mov_b32_e32 v37, 0x7f800000
	v_cmp_nlt_f32_e64 s[30:31], s30, v7
	v_cndmask_b32_e64 v52, v37, v36, s[30:31]
	v_add_f32_e32 v7, 1.0, v52
	v_add_f32_e32 v36, -1.0, v7
	v_sub_f32_e32 v37, v36, v7
	v_add_f32_e32 v37, 1.0, v37
	v_sub_f32_e32 v36, v52, v36
	v_add_f32_e32 v38, v36, v37
	v_frexp_mant_f32_e32 v39, v7
	s_mov_b32 s30, 0x3f2aaaab
	v_cvt_f64_f32_e32 v[36:37], v7
	v_frexp_exp_i32_f64_e32 v36, v[36:37]
	v_cmp_gt_f32_e64 s[30:31], s30, v39
	v_subbrev_co_u32_e64 v44, s[30:31], 0, v36, s[30:31]
	v_sub_u32_e32 v36, 0, v44
	v_ldexp_f32 v7, v7, v36
	v_ldexp_f32 v36, v38, v36
	v_add_f32_e32 v38, -1.0, v7
	v_add_f32_e32 v37, 1.0, v38
	v_sub_f32_e32 v37, v7, v37
	v_add_f32_e32 v39, v36, v37
	v_add_f32_e32 v37, 1.0, v7
	v_add_f32_e32 v40, -1.0, v37
	v_sub_f32_e32 v7, v7, v40
	v_add_f32_e32 v7, v36, v7
	v_add_f32_e32 v45, v37, v7
	v_rcp_f32_e32 v46, v45
	v_sub_f32_e32 v36, v37, v45
	v_add_f32_e32 v37, v38, v39
	v_add_f32_e32 v7, v7, v36
	v_mul_f32_e32 v48, v37, v46
	v_sub_f32_e32 v36, v38, v37
	v_mul_f32_e32 v38, v45, v48
	v_fma_f32 v40, v48, v45, -v38
	v_fmac_f32_e32 v40, v48, v7
	v_add_f32_e32 v47, v39, v36
	v_add_f32_e32 v36, v38, v40
	v_sub_f32_e32 v39, v37, v36
	v_pk_add_f32 v[42:43], v[36:37], v[38:39] neg_lo:[0,1] neg_hi:[0,1]
	v_mov_b32_e32 v41, v36
	v_pk_add_f32 v[36:37], v[42:43], v[40:41] neg_lo:[0,1] neg_hi:[0,1]
	v_add_f32_e32 v37, v47, v37
	v_add_f32_e32 v36, v36, v37
	;; [unrolled: 1-line block ×3, first 2 shown]
	v_mul_f32_e32 v47, v46, v37
	v_mul_f32_e32 v38, v45, v47
	v_fma_f32 v40, v47, v45, -v38
	v_fmac_f32_e32 v40, v47, v7
	v_sub_f32_e32 v7, v39, v37
	v_add_f32_e32 v7, v36, v7
	v_add_f32_e32 v36, v38, v40
	v_sub_f32_e32 v39, v37, v36
	v_pk_add_f32 v[42:43], v[36:37], v[38:39] neg_lo:[0,1] neg_hi:[0,1]
	v_mov_b32_e32 v41, v36
	v_pk_add_f32 v[36:37], v[42:43], v[40:41] neg_lo:[0,1] neg_hi:[0,1]
	v_add_f32_e32 v7, v7, v37
	v_add_f32_e32 v7, v36, v7
	;; [unrolled: 1-line block ×4, first 2 shown]
	v_sub_f32_e32 v37, v36, v48
	v_mul_f32_e32 v7, v46, v7
	v_sub_f32_e32 v37, v47, v37
	v_add_f32_e32 v7, v37, v7
	v_add_f32_e32 v39, v36, v7
	v_mul_f32_e32 v40, v39, v39
	v_mov_b32_e32 v38, 0x3ecc95a3
	v_fmac_f32_e32 v38, 0x3e9b6dac, v40
	v_mov_b32_e32 v37, 0x3f2aaada
	v_fmac_f32_e32 v37, v40, v38
	v_cvt_f32_i32_e32 v38, v44
	v_sub_f32_e32 v36, v39, v36
	v_sub_f32_e32 v7, v7, v36
	v_ldexp_f32 v41, v39, 1
	v_mul_f32_e32 v39, v39, v40
	v_mov_b32_e32 v36, 0x3f317218
	s_mov_b32 s30, 0x3f317218
	v_pk_mul_f32 v[36:37], v[38:39], v[36:37]
	v_fma_f32 v40, v38, s30, -v36
	v_fmac_f32_e32 v40, 0xb102e308, v38
	v_pk_add_f32 v[38:39], v[36:37], v[40:41]
	v_sub_f32_e32 v41, v39, v41
	v_ldexp_f32 v7, v7, 1
	v_sub_f32_e32 v41, v37, v41
	v_add_f32_e32 v43, v7, v41
	v_mov_b32_e32 v42, v36
	v_pk_add_f32 v[36:37], v[38:39], v[36:37] neg_lo:[0,1] neg_hi:[0,1]
	v_pk_add_f32 v[44:45], v[38:39], v[42:43]
	v_mov_b32_e32 v37, v45
	v_mov_b32_e32 v41, v38
	v_pk_add_f32 v[46:47], v[40:41], v[36:37] neg_lo:[0,1] neg_hi:[0,1]
	v_pk_add_f32 v[36:37], v[40:41], v[36:37]
	v_mov_b32_e32 v40, v37
	v_pk_add_f32 v[48:49], v[40:41], v[38:39] neg_lo:[0,1] neg_hi:[0,1]
	v_mov_b32_e32 v7, v48
	v_pk_add_f32 v[50:51], v[44:45], v[6:7] neg_lo:[0,1] neg_hi:[0,1]
	v_mov_b32_e32 v36, v45
	v_mov_b32_e32 v44, v39
	;; [unrolled: 1-line block ×4, first 2 shown]
	v_pk_add_f32 v[36:37], v[36:37], v[44:45] neg_lo:[0,1] neg_hi:[0,1]
	v_mov_b32_e32 v42, v43
	v_mov_b32_e32 v43, v38
	v_pk_add_f32 v[36:37], v[42:43], v[36:37] neg_lo:[0,1] neg_hi:[0,1]
	v_mov_b32_e32 v50, v46
	v_pk_add_f32 v[38:39], v[50:51], v[36:37]
	v_mov_b32_e32 v42, v39
	v_pk_add_f32 v[42:43], v[38:39], v[42:43]
	v_pk_add_f32 v[40:41], v[40:41], v[42:43]
	v_mov_b32_e32 v39, v40
	v_pk_add_f32 v[44:45], v[38:39], v[46:47] neg_lo:[0,1] neg_hi:[0,1]
	v_mov_b32_e32 v37, v42
	v_sub_f32_e32 v7, v38, v44
	v_pk_add_f32 v[36:37], v[36:37], v[44:45] neg_lo:[0,1] neg_hi:[0,1]
	v_sub_f32_e32 v7, v46, v7
	v_add_f32_e32 v7, v36, v7
	v_cmp_eq_f32_e64 s[30:31], s36, v52
	s_mov_b32 s36, 0x33800000
	v_add_f32_e32 v7, v7, v37
	v_cmp_lt_f32_e64 s[36:37], |v52|, s36
	v_add_f32_e32 v7, v40, v7
	s_or_b64 s[30:31], s[30:31], s[36:37]
	v_cndmask_b32_e64 v7, v7, v52, s[30:31]
	v_add_f32_e32 v36, v6, v7
.LBB117_236:
	s_or_b64 exec, exec, s[34:35]
	v_lshrrev_b32_e32 v6, 5, v0
	v_add_lshl_u32 v6, v6, v0, 2
	v_cmp_gt_u32_e64 s[30:31], 64, v0
	ds_write_b32 v6, v36
	s_waitcnt lgkmcnt(0)
	s_barrier
	s_and_saveexec_b64 s[38:39], s[30:31]
	s_cbranch_execz .LBB117_268
; %bb.237:
	v_lshlrev_b32_e32 v6, 1, v0
	v_lshrrev_b32_e32 v7, 4, v0
	v_add_lshl_u32 v37, v7, v6, 2
	ds_read2_b32 v[6:7], v37 offset1:1
	s_movk_i32 s36, 0x1f8
	s_waitcnt lgkmcnt(0)
	v_max_f32_e32 v40, v7, v7
	v_max_f32_e32 v38, v6, v6
	v_min_f32_e32 v39, v38, v40
	v_cmp_u_f32_e64 s[30:31], v6, v6
	v_max_f32_e32 v40, v38, v40
	v_cndmask_b32_e64 v39, v39, v6, s[30:31]
	v_cmp_u_f32_e64 s[34:35], v7, v7
	v_cndmask_b32_e64 v40, v40, v6, s[30:31]
	v_cndmask_b32_e64 v39, v39, v7, s[34:35]
	;; [unrolled: 1-line block ×3, first 2 shown]
	v_cmp_neq_f32_e64 s[34:35], v39, v7
	v_cmp_class_f32_e64 s[36:37], v39, s36
	s_or_b64 s[34:35], s[34:35], s[36:37]
	v_mov_b32_e32 v40, v6
	s_and_saveexec_b64 s[36:37], s[34:35]
	s_cbranch_execz .LBB117_239
; %bb.238:
	v_sub_f32_e32 v39, v39, v7
	s_mov_b32 s34, 0x3fb8aa3b
	v_mul_f32_e32 v40, 0x3fb8aa3b, v39
	v_fma_f32 v41, v39, s34, -v40
	v_rndne_f32_e32 v42, v40
	v_fmac_f32_e32 v41, 0x32a5705f, v39
	v_sub_f32_e32 v40, v40, v42
	v_add_f32_e32 v40, v40, v41
	v_exp_f32_e32 v40, v40
	v_cvt_i32_f32_e32 v41, v42
	s_mov_b32 s34, 0xc2ce8ed0
	v_cmp_ngt_f32_e64 s[34:35], s34, v39
	s_mov_b32 s40, 0x7f800000
	v_ldexp_f32 v40, v40, v41
	v_cndmask_b32_e64 v40, 0, v40, s[34:35]
	s_mov_b32 s34, 0x42b17218
	v_mov_b32_e32 v41, 0x7f800000
	v_cmp_nlt_f32_e64 s[34:35], s34, v39
	v_cndmask_b32_e64 v56, v41, v40, s[34:35]
	v_add_f32_e32 v39, 1.0, v56
	v_add_f32_e32 v40, -1.0, v39
	v_sub_f32_e32 v41, v40, v39
	v_add_f32_e32 v41, 1.0, v41
	v_sub_f32_e32 v40, v56, v40
	v_add_f32_e32 v42, v40, v41
	v_frexp_mant_f32_e32 v43, v39
	s_mov_b32 s34, 0x3f2aaaab
	v_cvt_f64_f32_e32 v[40:41], v39
	v_frexp_exp_i32_f64_e32 v40, v[40:41]
	v_cmp_gt_f32_e64 s[34:35], s34, v43
	v_subbrev_co_u32_e64 v48, s[34:35], 0, v40, s[34:35]
	v_sub_u32_e32 v40, 0, v48
	v_ldexp_f32 v39, v39, v40
	v_ldexp_f32 v40, v42, v40
	v_add_f32_e32 v42, -1.0, v39
	v_add_f32_e32 v41, 1.0, v42
	v_sub_f32_e32 v41, v39, v41
	v_add_f32_e32 v43, v40, v41
	v_add_f32_e32 v41, 1.0, v39
	v_add_f32_e32 v44, -1.0, v41
	v_sub_f32_e32 v39, v39, v44
	v_add_f32_e32 v39, v40, v39
	v_add_f32_e32 v49, v41, v39
	v_rcp_f32_e32 v50, v49
	v_sub_f32_e32 v40, v41, v49
	v_add_f32_e32 v41, v42, v43
	v_add_f32_e32 v39, v39, v40
	v_mul_f32_e32 v52, v41, v50
	v_sub_f32_e32 v40, v42, v41
	v_mul_f32_e32 v42, v49, v52
	v_fma_f32 v44, v52, v49, -v42
	v_fmac_f32_e32 v44, v52, v39
	v_add_f32_e32 v51, v43, v40
	v_add_f32_e32 v40, v42, v44
	v_sub_f32_e32 v43, v41, v40
	v_pk_add_f32 v[46:47], v[40:41], v[42:43] neg_lo:[0,1] neg_hi:[0,1]
	v_mov_b32_e32 v45, v40
	v_pk_add_f32 v[40:41], v[46:47], v[44:45] neg_lo:[0,1] neg_hi:[0,1]
	v_add_f32_e32 v41, v51, v41
	v_add_f32_e32 v40, v40, v41
	;; [unrolled: 1-line block ×3, first 2 shown]
	v_mul_f32_e32 v51, v50, v41
	v_mul_f32_e32 v42, v49, v51
	v_fma_f32 v44, v51, v49, -v42
	v_fmac_f32_e32 v44, v51, v39
	v_sub_f32_e32 v39, v43, v41
	v_add_f32_e32 v39, v40, v39
	v_add_f32_e32 v40, v42, v44
	v_sub_f32_e32 v43, v41, v40
	v_pk_add_f32 v[46:47], v[40:41], v[42:43] neg_lo:[0,1] neg_hi:[0,1]
	v_mov_b32_e32 v45, v40
	v_pk_add_f32 v[40:41], v[46:47], v[44:45] neg_lo:[0,1] neg_hi:[0,1]
	v_add_f32_e32 v39, v39, v41
	v_add_f32_e32 v39, v40, v39
	;; [unrolled: 1-line block ×4, first 2 shown]
	v_sub_f32_e32 v41, v40, v52
	v_mul_f32_e32 v39, v50, v39
	v_sub_f32_e32 v41, v51, v41
	v_add_f32_e32 v39, v41, v39
	v_add_f32_e32 v43, v40, v39
	v_mul_f32_e32 v44, v43, v43
	v_mov_b32_e32 v42, 0x3ecc95a3
	v_fmac_f32_e32 v42, 0x3e9b6dac, v44
	v_mov_b32_e32 v41, 0x3f2aaada
	v_fmac_f32_e32 v41, v44, v42
	v_cvt_f32_i32_e32 v42, v48
	v_sub_f32_e32 v40, v43, v40
	v_sub_f32_e32 v39, v39, v40
	v_ldexp_f32 v45, v43, 1
	v_mul_f32_e32 v43, v43, v44
	v_mov_b32_e32 v40, 0x3f317218
	s_mov_b32 s34, 0x3f317218
	v_pk_mul_f32 v[40:41], v[42:43], v[40:41]
	v_fma_f32 v44, v42, s34, -v40
	v_fmac_f32_e32 v44, 0xb102e308, v42
	v_pk_add_f32 v[42:43], v[40:41], v[44:45]
	v_sub_f32_e32 v45, v43, v45
	v_ldexp_f32 v39, v39, 1
	v_sub_f32_e32 v45, v41, v45
	v_add_f32_e32 v47, v39, v45
	v_mov_b32_e32 v46, v40
	v_pk_add_f32 v[40:41], v[42:43], v[40:41] neg_lo:[0,1] neg_hi:[0,1]
	v_pk_add_f32 v[48:49], v[42:43], v[46:47]
	v_mov_b32_e32 v41, v49
	v_mov_b32_e32 v45, v42
	v_pk_add_f32 v[50:51], v[44:45], v[40:41] neg_lo:[0,1] neg_hi:[0,1]
	v_pk_add_f32 v[40:41], v[44:45], v[40:41]
	v_mov_b32_e32 v44, v41
	v_pk_add_f32 v[52:53], v[44:45], v[42:43] neg_lo:[0,1] neg_hi:[0,1]
	v_mov_b32_e32 v39, v52
	v_pk_add_f32 v[54:55], v[48:49], v[38:39] neg_lo:[0,1] neg_hi:[0,1]
	v_mov_b32_e32 v40, v49
	v_mov_b32_e32 v48, v43
	v_mov_b32_e32 v49, v52
	v_mov_b32_e32 v51, v41
	v_pk_add_f32 v[40:41], v[40:41], v[48:49] neg_lo:[0,1] neg_hi:[0,1]
	v_mov_b32_e32 v46, v47
	v_mov_b32_e32 v47, v42
	v_pk_add_f32 v[40:41], v[46:47], v[40:41] neg_lo:[0,1] neg_hi:[0,1]
	v_mov_b32_e32 v54, v50
	v_pk_add_f32 v[42:43], v[54:55], v[40:41]
	v_mov_b32_e32 v46, v43
	v_pk_add_f32 v[46:47], v[42:43], v[46:47]
	v_pk_add_f32 v[44:45], v[44:45], v[46:47]
	v_mov_b32_e32 v43, v44
	v_pk_add_f32 v[48:49], v[42:43], v[50:51] neg_lo:[0,1] neg_hi:[0,1]
	v_mov_b32_e32 v41, v46
	v_sub_f32_e32 v39, v42, v48
	v_pk_add_f32 v[40:41], v[40:41], v[48:49] neg_lo:[0,1] neg_hi:[0,1]
	v_sub_f32_e32 v39, v50, v39
	v_add_f32_e32 v39, v40, v39
	v_cmp_eq_f32_e64 s[34:35], s40, v56
	s_mov_b32 s40, 0x33800000
	v_add_f32_e32 v39, v39, v41
	v_cmp_lt_f32_e64 s[40:41], |v56|, s40
	v_add_f32_e32 v39, v44, v39
	s_or_b64 s[34:35], s[34:35], s[40:41]
	v_cndmask_b32_e64 v39, v39, v56, s[34:35]
	v_add_f32_e32 v40, v7, v39
.LBB117_239:
	s_or_b64 exec, exec, s[36:37]
	v_mbcnt_lo_u32_b32 v7, -1, 0
	v_mbcnt_hi_u32_b32 v7, -1, v7
	v_and_b32_e32 v39, 15, v7
	v_mov_b32_dpp v41, v40 row_shr:1 row_mask:0xf bank_mask:0xf
	v_cmp_ne_u32_e64 s[34:35], 0, v39
	s_and_saveexec_b64 s[40:41], s[34:35]
	s_cbranch_execz .LBB117_243
; %bb.240:
	v_max_f32_e32 v43, v40, v40
	v_max_f32_e32 v44, v41, v41
	v_min_f32_e32 v42, v44, v43
	v_cmp_u_f32_e64 s[34:35], v41, v41
	v_max_f32_e32 v43, v44, v43
	v_cndmask_b32_e64 v42, v42, v41, s[34:35]
	v_cmp_u_f32_e64 s[36:37], v40, v40
	v_cndmask_b32_e64 v43, v43, v41, s[34:35]
	v_cndmask_b32_e64 v42, v42, v40, s[36:37]
	;; [unrolled: 1-line block ×3, first 2 shown]
	s_movk_i32 s36, 0x1f8
	v_cmp_neq_f32_e64 s[34:35], v42, v40
	v_cmp_class_f32_e64 s[36:37], v42, s36
	s_or_b64 s[34:35], s[34:35], s[36:37]
	s_and_saveexec_b64 s[36:37], s[34:35]
	s_cbranch_execz .LBB117_242
; %bb.241:
	v_sub_f32_e32 v41, v42, v40
	s_mov_b32 s34, 0x3fb8aa3b
	v_mul_f32_e32 v42, 0x3fb8aa3b, v41
	v_fma_f32 v43, v41, s34, -v42
	v_rndne_f32_e32 v44, v42
	v_fmac_f32_e32 v43, 0x32a5705f, v41
	v_sub_f32_e32 v42, v42, v44
	v_add_f32_e32 v42, v42, v43
	v_exp_f32_e32 v42, v42
	v_cvt_i32_f32_e32 v43, v44
	s_mov_b32 s34, 0xc2ce8ed0
	v_cmp_ngt_f32_e64 s[34:35], s34, v41
	s_mov_b32 s44, 0x7f800000
	v_ldexp_f32 v42, v42, v43
	v_cndmask_b32_e64 v42, 0, v42, s[34:35]
	s_mov_b32 s34, 0x42b17218
	v_mov_b32_e32 v43, 0x7f800000
	v_cmp_nlt_f32_e64 s[34:35], s34, v41
	v_cndmask_b32_e64 v58, v43, v42, s[34:35]
	v_add_f32_e32 v41, 1.0, v58
	v_add_f32_e32 v42, -1.0, v41
	v_sub_f32_e32 v43, v42, v41
	v_add_f32_e32 v43, 1.0, v43
	v_sub_f32_e32 v42, v58, v42
	v_add_f32_e32 v44, v42, v43
	v_frexp_mant_f32_e32 v45, v41
	s_mov_b32 s34, 0x3f2aaaab
	v_cvt_f64_f32_e32 v[42:43], v41
	v_frexp_exp_i32_f64_e32 v42, v[42:43]
	v_cmp_gt_f32_e64 s[34:35], s34, v45
	v_subbrev_co_u32_e64 v50, s[34:35], 0, v42, s[34:35]
	v_sub_u32_e32 v42, 0, v50
	v_ldexp_f32 v41, v41, v42
	v_ldexp_f32 v42, v44, v42
	v_add_f32_e32 v44, -1.0, v41
	v_add_f32_e32 v43, 1.0, v44
	v_sub_f32_e32 v43, v41, v43
	v_add_f32_e32 v45, v42, v43
	v_add_f32_e32 v43, 1.0, v41
	v_add_f32_e32 v46, -1.0, v43
	v_sub_f32_e32 v41, v41, v46
	v_add_f32_e32 v41, v42, v41
	v_add_f32_e32 v51, v43, v41
	v_rcp_f32_e32 v52, v51
	v_sub_f32_e32 v42, v43, v51
	v_add_f32_e32 v43, v44, v45
	v_add_f32_e32 v41, v41, v42
	v_mul_f32_e32 v54, v43, v52
	v_sub_f32_e32 v42, v44, v43
	v_mul_f32_e32 v44, v51, v54
	v_fma_f32 v46, v54, v51, -v44
	v_fmac_f32_e32 v46, v54, v41
	v_add_f32_e32 v53, v45, v42
	v_add_f32_e32 v42, v44, v46
	v_sub_f32_e32 v45, v43, v42
	v_pk_add_f32 v[48:49], v[42:43], v[44:45] neg_lo:[0,1] neg_hi:[0,1]
	v_mov_b32_e32 v47, v42
	v_pk_add_f32 v[42:43], v[48:49], v[46:47] neg_lo:[0,1] neg_hi:[0,1]
	v_add_f32_e32 v43, v53, v43
	v_add_f32_e32 v42, v42, v43
	v_add_f32_e32 v43, v45, v42
	v_mul_f32_e32 v53, v52, v43
	v_mul_f32_e32 v44, v51, v53
	v_fma_f32 v46, v53, v51, -v44
	v_fmac_f32_e32 v46, v53, v41
	v_sub_f32_e32 v41, v45, v43
	v_add_f32_e32 v41, v42, v41
	v_add_f32_e32 v42, v44, v46
	v_sub_f32_e32 v45, v43, v42
	v_pk_add_f32 v[48:49], v[42:43], v[44:45] neg_lo:[0,1] neg_hi:[0,1]
	v_mov_b32_e32 v47, v42
	v_pk_add_f32 v[42:43], v[48:49], v[46:47] neg_lo:[0,1] neg_hi:[0,1]
	v_add_f32_e32 v41, v41, v43
	v_add_f32_e32 v41, v42, v41
	;; [unrolled: 1-line block ×4, first 2 shown]
	v_sub_f32_e32 v43, v42, v54
	v_mul_f32_e32 v41, v52, v41
	v_sub_f32_e32 v43, v53, v43
	v_add_f32_e32 v41, v43, v41
	v_add_f32_e32 v45, v42, v41
	v_mul_f32_e32 v46, v45, v45
	v_mov_b32_e32 v44, 0x3ecc95a3
	v_fmac_f32_e32 v44, 0x3e9b6dac, v46
	v_mov_b32_e32 v43, 0x3f2aaada
	v_fmac_f32_e32 v43, v46, v44
	v_cvt_f32_i32_e32 v44, v50
	v_sub_f32_e32 v42, v45, v42
	v_sub_f32_e32 v41, v41, v42
	v_ldexp_f32 v47, v45, 1
	v_mul_f32_e32 v45, v45, v46
	v_mov_b32_e32 v42, 0x3f317218
	s_mov_b32 s34, 0x3f317218
	v_pk_mul_f32 v[42:43], v[44:45], v[42:43]
	v_fma_f32 v46, v44, s34, -v42
	v_fmac_f32_e32 v46, 0xb102e308, v44
	v_pk_add_f32 v[44:45], v[42:43], v[46:47]
	v_sub_f32_e32 v47, v45, v47
	v_ldexp_f32 v41, v41, 1
	v_sub_f32_e32 v47, v43, v47
	v_add_f32_e32 v49, v41, v47
	v_mov_b32_e32 v48, v42
	v_pk_add_f32 v[42:43], v[44:45], v[42:43] neg_lo:[0,1] neg_hi:[0,1]
	v_pk_add_f32 v[50:51], v[44:45], v[48:49]
	v_mov_b32_e32 v43, v51
	v_mov_b32_e32 v47, v44
	v_pk_add_f32 v[52:53], v[46:47], v[42:43] neg_lo:[0,1] neg_hi:[0,1]
	v_pk_add_f32 v[42:43], v[46:47], v[42:43]
	v_mov_b32_e32 v46, v43
	v_pk_add_f32 v[54:55], v[46:47], v[44:45] neg_lo:[0,1] neg_hi:[0,1]
	v_mov_b32_e32 v41, v54
	v_pk_add_f32 v[56:57], v[50:51], v[40:41] neg_lo:[0,1] neg_hi:[0,1]
	v_mov_b32_e32 v42, v51
	v_mov_b32_e32 v50, v45
	;; [unrolled: 1-line block ×4, first 2 shown]
	v_pk_add_f32 v[42:43], v[42:43], v[50:51] neg_lo:[0,1] neg_hi:[0,1]
	v_mov_b32_e32 v48, v49
	v_mov_b32_e32 v49, v44
	v_pk_add_f32 v[42:43], v[48:49], v[42:43] neg_lo:[0,1] neg_hi:[0,1]
	v_mov_b32_e32 v56, v52
	v_pk_add_f32 v[44:45], v[56:57], v[42:43]
	v_mov_b32_e32 v48, v45
	v_pk_add_f32 v[48:49], v[44:45], v[48:49]
	v_pk_add_f32 v[46:47], v[46:47], v[48:49]
	v_mov_b32_e32 v45, v46
	v_pk_add_f32 v[50:51], v[44:45], v[52:53] neg_lo:[0,1] neg_hi:[0,1]
	v_mov_b32_e32 v43, v48
	v_sub_f32_e32 v41, v44, v50
	v_pk_add_f32 v[42:43], v[42:43], v[50:51] neg_lo:[0,1] neg_hi:[0,1]
	v_sub_f32_e32 v41, v52, v41
	v_add_f32_e32 v41, v42, v41
	v_cmp_eq_f32_e64 s[34:35], s44, v58
	s_mov_b32 s44, 0x33800000
	v_add_f32_e32 v41, v41, v43
	v_cmp_lt_f32_e64 s[44:45], |v58|, s44
	v_add_f32_e32 v41, v46, v41
	s_or_b64 s[34:35], s[34:35], s[44:45]
	v_cndmask_b32_e64 v41, v41, v58, s[34:35]
	v_add_f32_e32 v41, v40, v41
.LBB117_242:
	s_or_b64 exec, exec, s[36:37]
	v_mov_b32_e32 v40, v41
.LBB117_243:
	s_or_b64 exec, exec, s[40:41]
	s_nop 0
	v_mov_b32_dpp v41, v40 row_shr:2 row_mask:0xf bank_mask:0xf
	v_cmp_lt_u32_e64 s[34:35], 1, v39
	s_and_saveexec_b64 s[40:41], s[34:35]
	s_cbranch_execz .LBB117_247
; %bb.244:
	v_max_f32_e32 v43, v40, v40
	v_max_f32_e32 v44, v41, v41
	v_min_f32_e32 v42, v44, v43
	v_cmp_u_f32_e64 s[34:35], v41, v41
	v_max_f32_e32 v43, v44, v43
	v_cndmask_b32_e64 v42, v42, v41, s[34:35]
	v_cmp_u_f32_e64 s[36:37], v40, v40
	v_cndmask_b32_e64 v43, v43, v41, s[34:35]
	v_cndmask_b32_e64 v42, v42, v40, s[36:37]
	;; [unrolled: 1-line block ×3, first 2 shown]
	s_movk_i32 s36, 0x1f8
	v_cmp_neq_f32_e64 s[34:35], v42, v40
	v_cmp_class_f32_e64 s[36:37], v42, s36
	s_or_b64 s[34:35], s[34:35], s[36:37]
	s_and_saveexec_b64 s[36:37], s[34:35]
	s_cbranch_execz .LBB117_246
; %bb.245:
	v_sub_f32_e32 v41, v42, v40
	s_mov_b32 s34, 0x3fb8aa3b
	v_mul_f32_e32 v42, 0x3fb8aa3b, v41
	v_fma_f32 v43, v41, s34, -v42
	v_rndne_f32_e32 v44, v42
	v_fmac_f32_e32 v43, 0x32a5705f, v41
	v_sub_f32_e32 v42, v42, v44
	v_add_f32_e32 v42, v42, v43
	v_exp_f32_e32 v42, v42
	v_cvt_i32_f32_e32 v43, v44
	s_mov_b32 s34, 0xc2ce8ed0
	v_cmp_ngt_f32_e64 s[34:35], s34, v41
	s_mov_b32 s44, 0x7f800000
	v_ldexp_f32 v42, v42, v43
	v_cndmask_b32_e64 v42, 0, v42, s[34:35]
	s_mov_b32 s34, 0x42b17218
	v_mov_b32_e32 v43, 0x7f800000
	v_cmp_nlt_f32_e64 s[34:35], s34, v41
	v_cndmask_b32_e64 v58, v43, v42, s[34:35]
	v_add_f32_e32 v41, 1.0, v58
	v_add_f32_e32 v42, -1.0, v41
	v_sub_f32_e32 v43, v42, v41
	v_add_f32_e32 v43, 1.0, v43
	v_sub_f32_e32 v42, v58, v42
	v_add_f32_e32 v44, v42, v43
	v_frexp_mant_f32_e32 v45, v41
	s_mov_b32 s34, 0x3f2aaaab
	v_cvt_f64_f32_e32 v[42:43], v41
	v_frexp_exp_i32_f64_e32 v42, v[42:43]
	v_cmp_gt_f32_e64 s[34:35], s34, v45
	v_subbrev_co_u32_e64 v50, s[34:35], 0, v42, s[34:35]
	v_sub_u32_e32 v42, 0, v50
	v_ldexp_f32 v41, v41, v42
	v_ldexp_f32 v42, v44, v42
	v_add_f32_e32 v44, -1.0, v41
	v_add_f32_e32 v43, 1.0, v44
	v_sub_f32_e32 v43, v41, v43
	v_add_f32_e32 v45, v42, v43
	v_add_f32_e32 v43, 1.0, v41
	v_add_f32_e32 v46, -1.0, v43
	v_sub_f32_e32 v41, v41, v46
	v_add_f32_e32 v41, v42, v41
	v_add_f32_e32 v51, v43, v41
	v_rcp_f32_e32 v52, v51
	v_sub_f32_e32 v42, v43, v51
	v_add_f32_e32 v43, v44, v45
	v_add_f32_e32 v41, v41, v42
	v_mul_f32_e32 v54, v43, v52
	v_sub_f32_e32 v42, v44, v43
	v_mul_f32_e32 v44, v51, v54
	v_fma_f32 v46, v54, v51, -v44
	v_fmac_f32_e32 v46, v54, v41
	v_add_f32_e32 v53, v45, v42
	v_add_f32_e32 v42, v44, v46
	v_sub_f32_e32 v45, v43, v42
	v_pk_add_f32 v[48:49], v[42:43], v[44:45] neg_lo:[0,1] neg_hi:[0,1]
	v_mov_b32_e32 v47, v42
	v_pk_add_f32 v[42:43], v[48:49], v[46:47] neg_lo:[0,1] neg_hi:[0,1]
	v_add_f32_e32 v43, v53, v43
	v_add_f32_e32 v42, v42, v43
	;; [unrolled: 1-line block ×3, first 2 shown]
	v_mul_f32_e32 v53, v52, v43
	v_mul_f32_e32 v44, v51, v53
	v_fma_f32 v46, v53, v51, -v44
	v_fmac_f32_e32 v46, v53, v41
	v_sub_f32_e32 v41, v45, v43
	v_add_f32_e32 v41, v42, v41
	v_add_f32_e32 v42, v44, v46
	v_sub_f32_e32 v45, v43, v42
	v_pk_add_f32 v[48:49], v[42:43], v[44:45] neg_lo:[0,1] neg_hi:[0,1]
	v_mov_b32_e32 v47, v42
	v_pk_add_f32 v[42:43], v[48:49], v[46:47] neg_lo:[0,1] neg_hi:[0,1]
	v_add_f32_e32 v41, v41, v43
	v_add_f32_e32 v41, v42, v41
	;; [unrolled: 1-line block ×4, first 2 shown]
	v_sub_f32_e32 v43, v42, v54
	v_mul_f32_e32 v41, v52, v41
	v_sub_f32_e32 v43, v53, v43
	v_add_f32_e32 v41, v43, v41
	v_add_f32_e32 v45, v42, v41
	v_mul_f32_e32 v46, v45, v45
	v_mov_b32_e32 v44, 0x3ecc95a3
	v_fmac_f32_e32 v44, 0x3e9b6dac, v46
	v_mov_b32_e32 v43, 0x3f2aaada
	v_fmac_f32_e32 v43, v46, v44
	v_cvt_f32_i32_e32 v44, v50
	v_sub_f32_e32 v42, v45, v42
	v_sub_f32_e32 v41, v41, v42
	v_ldexp_f32 v47, v45, 1
	v_mul_f32_e32 v45, v45, v46
	v_mov_b32_e32 v42, 0x3f317218
	s_mov_b32 s34, 0x3f317218
	v_pk_mul_f32 v[42:43], v[44:45], v[42:43]
	v_fma_f32 v46, v44, s34, -v42
	v_fmac_f32_e32 v46, 0xb102e308, v44
	v_pk_add_f32 v[44:45], v[42:43], v[46:47]
	v_sub_f32_e32 v47, v45, v47
	v_ldexp_f32 v41, v41, 1
	v_sub_f32_e32 v47, v43, v47
	v_add_f32_e32 v49, v41, v47
	v_mov_b32_e32 v48, v42
	v_pk_add_f32 v[42:43], v[44:45], v[42:43] neg_lo:[0,1] neg_hi:[0,1]
	v_pk_add_f32 v[50:51], v[44:45], v[48:49]
	v_mov_b32_e32 v43, v51
	v_mov_b32_e32 v47, v44
	v_pk_add_f32 v[52:53], v[46:47], v[42:43] neg_lo:[0,1] neg_hi:[0,1]
	v_pk_add_f32 v[42:43], v[46:47], v[42:43]
	v_mov_b32_e32 v46, v43
	v_pk_add_f32 v[54:55], v[46:47], v[44:45] neg_lo:[0,1] neg_hi:[0,1]
	v_mov_b32_e32 v41, v54
	v_pk_add_f32 v[56:57], v[50:51], v[40:41] neg_lo:[0,1] neg_hi:[0,1]
	v_mov_b32_e32 v42, v51
	v_mov_b32_e32 v50, v45
	;; [unrolled: 1-line block ×4, first 2 shown]
	v_pk_add_f32 v[42:43], v[42:43], v[50:51] neg_lo:[0,1] neg_hi:[0,1]
	v_mov_b32_e32 v48, v49
	v_mov_b32_e32 v49, v44
	v_pk_add_f32 v[42:43], v[48:49], v[42:43] neg_lo:[0,1] neg_hi:[0,1]
	v_mov_b32_e32 v56, v52
	v_pk_add_f32 v[44:45], v[56:57], v[42:43]
	v_mov_b32_e32 v48, v45
	v_pk_add_f32 v[48:49], v[44:45], v[48:49]
	v_pk_add_f32 v[46:47], v[46:47], v[48:49]
	v_mov_b32_e32 v45, v46
	v_pk_add_f32 v[50:51], v[44:45], v[52:53] neg_lo:[0,1] neg_hi:[0,1]
	v_mov_b32_e32 v43, v48
	v_sub_f32_e32 v41, v44, v50
	v_pk_add_f32 v[42:43], v[42:43], v[50:51] neg_lo:[0,1] neg_hi:[0,1]
	v_sub_f32_e32 v41, v52, v41
	v_add_f32_e32 v41, v42, v41
	v_cmp_eq_f32_e64 s[34:35], s44, v58
	s_mov_b32 s44, 0x33800000
	v_add_f32_e32 v41, v41, v43
	v_cmp_lt_f32_e64 s[44:45], |v58|, s44
	v_add_f32_e32 v41, v46, v41
	s_or_b64 s[34:35], s[34:35], s[44:45]
	v_cndmask_b32_e64 v41, v41, v58, s[34:35]
	v_add_f32_e32 v41, v40, v41
.LBB117_246:
	s_or_b64 exec, exec, s[36:37]
	v_mov_b32_e32 v40, v41
.LBB117_247:
	s_or_b64 exec, exec, s[40:41]
	s_nop 0
	v_mov_b32_dpp v41, v40 row_shr:4 row_mask:0xf bank_mask:0xf
	v_cmp_lt_u32_e64 s[34:35], 3, v39
	s_and_saveexec_b64 s[40:41], s[34:35]
	s_cbranch_execz .LBB117_251
; %bb.248:
	v_max_f32_e32 v43, v40, v40
	v_max_f32_e32 v44, v41, v41
	v_min_f32_e32 v42, v44, v43
	v_cmp_u_f32_e64 s[34:35], v41, v41
	v_max_f32_e32 v43, v44, v43
	v_cndmask_b32_e64 v42, v42, v41, s[34:35]
	v_cmp_u_f32_e64 s[36:37], v40, v40
	v_cndmask_b32_e64 v43, v43, v41, s[34:35]
	v_cndmask_b32_e64 v42, v42, v40, s[36:37]
	;; [unrolled: 1-line block ×3, first 2 shown]
	s_movk_i32 s36, 0x1f8
	v_cmp_neq_f32_e64 s[34:35], v42, v40
	v_cmp_class_f32_e64 s[36:37], v42, s36
	s_or_b64 s[34:35], s[34:35], s[36:37]
	s_and_saveexec_b64 s[36:37], s[34:35]
	s_cbranch_execz .LBB117_250
; %bb.249:
	v_sub_f32_e32 v41, v42, v40
	s_mov_b32 s34, 0x3fb8aa3b
	v_mul_f32_e32 v42, 0x3fb8aa3b, v41
	v_fma_f32 v43, v41, s34, -v42
	v_rndne_f32_e32 v44, v42
	v_fmac_f32_e32 v43, 0x32a5705f, v41
	v_sub_f32_e32 v42, v42, v44
	v_add_f32_e32 v42, v42, v43
	v_exp_f32_e32 v42, v42
	v_cvt_i32_f32_e32 v43, v44
	s_mov_b32 s34, 0xc2ce8ed0
	v_cmp_ngt_f32_e64 s[34:35], s34, v41
	s_mov_b32 s44, 0x7f800000
	v_ldexp_f32 v42, v42, v43
	v_cndmask_b32_e64 v42, 0, v42, s[34:35]
	s_mov_b32 s34, 0x42b17218
	v_mov_b32_e32 v43, 0x7f800000
	v_cmp_nlt_f32_e64 s[34:35], s34, v41
	v_cndmask_b32_e64 v58, v43, v42, s[34:35]
	v_add_f32_e32 v41, 1.0, v58
	v_add_f32_e32 v42, -1.0, v41
	v_sub_f32_e32 v43, v42, v41
	v_add_f32_e32 v43, 1.0, v43
	v_sub_f32_e32 v42, v58, v42
	v_add_f32_e32 v44, v42, v43
	v_frexp_mant_f32_e32 v45, v41
	s_mov_b32 s34, 0x3f2aaaab
	v_cvt_f64_f32_e32 v[42:43], v41
	v_frexp_exp_i32_f64_e32 v42, v[42:43]
	v_cmp_gt_f32_e64 s[34:35], s34, v45
	v_subbrev_co_u32_e64 v50, s[34:35], 0, v42, s[34:35]
	v_sub_u32_e32 v42, 0, v50
	v_ldexp_f32 v41, v41, v42
	v_ldexp_f32 v42, v44, v42
	v_add_f32_e32 v44, -1.0, v41
	v_add_f32_e32 v43, 1.0, v44
	v_sub_f32_e32 v43, v41, v43
	v_add_f32_e32 v45, v42, v43
	v_add_f32_e32 v43, 1.0, v41
	v_add_f32_e32 v46, -1.0, v43
	v_sub_f32_e32 v41, v41, v46
	v_add_f32_e32 v41, v42, v41
	v_add_f32_e32 v51, v43, v41
	v_rcp_f32_e32 v52, v51
	v_sub_f32_e32 v42, v43, v51
	v_add_f32_e32 v43, v44, v45
	v_add_f32_e32 v41, v41, v42
	v_mul_f32_e32 v54, v43, v52
	v_sub_f32_e32 v42, v44, v43
	v_mul_f32_e32 v44, v51, v54
	v_fma_f32 v46, v54, v51, -v44
	v_fmac_f32_e32 v46, v54, v41
	v_add_f32_e32 v53, v45, v42
	v_add_f32_e32 v42, v44, v46
	v_sub_f32_e32 v45, v43, v42
	v_pk_add_f32 v[48:49], v[42:43], v[44:45] neg_lo:[0,1] neg_hi:[0,1]
	v_mov_b32_e32 v47, v42
	v_pk_add_f32 v[42:43], v[48:49], v[46:47] neg_lo:[0,1] neg_hi:[0,1]
	v_add_f32_e32 v43, v53, v43
	v_add_f32_e32 v42, v42, v43
	;; [unrolled: 1-line block ×3, first 2 shown]
	v_mul_f32_e32 v53, v52, v43
	v_mul_f32_e32 v44, v51, v53
	v_fma_f32 v46, v53, v51, -v44
	v_fmac_f32_e32 v46, v53, v41
	v_sub_f32_e32 v41, v45, v43
	v_add_f32_e32 v41, v42, v41
	v_add_f32_e32 v42, v44, v46
	v_sub_f32_e32 v45, v43, v42
	v_pk_add_f32 v[48:49], v[42:43], v[44:45] neg_lo:[0,1] neg_hi:[0,1]
	v_mov_b32_e32 v47, v42
	v_pk_add_f32 v[42:43], v[48:49], v[46:47] neg_lo:[0,1] neg_hi:[0,1]
	v_add_f32_e32 v41, v41, v43
	v_add_f32_e32 v41, v42, v41
	;; [unrolled: 1-line block ×4, first 2 shown]
	v_sub_f32_e32 v43, v42, v54
	v_mul_f32_e32 v41, v52, v41
	v_sub_f32_e32 v43, v53, v43
	v_add_f32_e32 v41, v43, v41
	v_add_f32_e32 v45, v42, v41
	v_mul_f32_e32 v46, v45, v45
	v_mov_b32_e32 v44, 0x3ecc95a3
	v_fmac_f32_e32 v44, 0x3e9b6dac, v46
	v_mov_b32_e32 v43, 0x3f2aaada
	v_fmac_f32_e32 v43, v46, v44
	v_cvt_f32_i32_e32 v44, v50
	v_sub_f32_e32 v42, v45, v42
	v_sub_f32_e32 v41, v41, v42
	v_ldexp_f32 v47, v45, 1
	v_mul_f32_e32 v45, v45, v46
	v_mov_b32_e32 v42, 0x3f317218
	s_mov_b32 s34, 0x3f317218
	v_pk_mul_f32 v[42:43], v[44:45], v[42:43]
	v_fma_f32 v46, v44, s34, -v42
	v_fmac_f32_e32 v46, 0xb102e308, v44
	v_pk_add_f32 v[44:45], v[42:43], v[46:47]
	v_sub_f32_e32 v47, v45, v47
	v_ldexp_f32 v41, v41, 1
	v_sub_f32_e32 v47, v43, v47
	v_add_f32_e32 v49, v41, v47
	v_mov_b32_e32 v48, v42
	v_pk_add_f32 v[42:43], v[44:45], v[42:43] neg_lo:[0,1] neg_hi:[0,1]
	v_pk_add_f32 v[50:51], v[44:45], v[48:49]
	v_mov_b32_e32 v43, v51
	v_mov_b32_e32 v47, v44
	v_pk_add_f32 v[52:53], v[46:47], v[42:43] neg_lo:[0,1] neg_hi:[0,1]
	v_pk_add_f32 v[42:43], v[46:47], v[42:43]
	v_mov_b32_e32 v46, v43
	v_pk_add_f32 v[54:55], v[46:47], v[44:45] neg_lo:[0,1] neg_hi:[0,1]
	v_mov_b32_e32 v41, v54
	v_pk_add_f32 v[56:57], v[50:51], v[40:41] neg_lo:[0,1] neg_hi:[0,1]
	v_mov_b32_e32 v42, v51
	v_mov_b32_e32 v50, v45
	;; [unrolled: 1-line block ×4, first 2 shown]
	v_pk_add_f32 v[42:43], v[42:43], v[50:51] neg_lo:[0,1] neg_hi:[0,1]
	v_mov_b32_e32 v48, v49
	v_mov_b32_e32 v49, v44
	v_pk_add_f32 v[42:43], v[48:49], v[42:43] neg_lo:[0,1] neg_hi:[0,1]
	v_mov_b32_e32 v56, v52
	v_pk_add_f32 v[44:45], v[56:57], v[42:43]
	v_mov_b32_e32 v48, v45
	v_pk_add_f32 v[48:49], v[44:45], v[48:49]
	v_pk_add_f32 v[46:47], v[46:47], v[48:49]
	v_mov_b32_e32 v45, v46
	v_pk_add_f32 v[50:51], v[44:45], v[52:53] neg_lo:[0,1] neg_hi:[0,1]
	v_mov_b32_e32 v43, v48
	v_sub_f32_e32 v41, v44, v50
	v_pk_add_f32 v[42:43], v[42:43], v[50:51] neg_lo:[0,1] neg_hi:[0,1]
	v_sub_f32_e32 v41, v52, v41
	v_add_f32_e32 v41, v42, v41
	v_cmp_eq_f32_e64 s[34:35], s44, v58
	s_mov_b32 s44, 0x33800000
	v_add_f32_e32 v41, v41, v43
	v_cmp_lt_f32_e64 s[44:45], |v58|, s44
	v_add_f32_e32 v41, v46, v41
	s_or_b64 s[34:35], s[34:35], s[44:45]
	v_cndmask_b32_e64 v41, v41, v58, s[34:35]
	v_add_f32_e32 v41, v40, v41
.LBB117_250:
	s_or_b64 exec, exec, s[36:37]
	v_mov_b32_e32 v40, v41
.LBB117_251:
	s_or_b64 exec, exec, s[40:41]
	s_nop 0
	v_mov_b32_dpp v41, v40 row_shr:8 row_mask:0xf bank_mask:0xf
	v_cmp_lt_u32_e64 s[34:35], 7, v39
	s_and_saveexec_b64 s[40:41], s[34:35]
	s_cbranch_execz .LBB117_255
; %bb.252:
	v_max_f32_e32 v39, v40, v40
	v_max_f32_e32 v43, v41, v41
	v_min_f32_e32 v42, v43, v39
	v_cmp_u_f32_e64 s[34:35], v41, v41
	v_max_f32_e32 v39, v43, v39
	v_cndmask_b32_e64 v42, v42, v41, s[34:35]
	v_cmp_u_f32_e64 s[36:37], v40, v40
	v_cndmask_b32_e64 v39, v39, v41, s[34:35]
	v_cndmask_b32_e64 v42, v42, v40, s[36:37]
	;; [unrolled: 1-line block ×3, first 2 shown]
	s_movk_i32 s36, 0x1f8
	v_cmp_neq_f32_e64 s[34:35], v42, v39
	v_cmp_class_f32_e64 s[36:37], v42, s36
	s_or_b64 s[34:35], s[34:35], s[36:37]
	s_and_saveexec_b64 s[36:37], s[34:35]
	s_cbranch_execz .LBB117_254
; %bb.253:
	v_sub_f32_e32 v40, v42, v39
	s_mov_b32 s34, 0x3fb8aa3b
	v_mul_f32_e32 v41, 0x3fb8aa3b, v40
	v_fma_f32 v42, v40, s34, -v41
	v_rndne_f32_e32 v43, v41
	v_fmac_f32_e32 v42, 0x32a5705f, v40
	v_sub_f32_e32 v41, v41, v43
	v_add_f32_e32 v41, v41, v42
	v_exp_f32_e32 v41, v41
	v_cvt_i32_f32_e32 v42, v43
	s_mov_b32 s34, 0xc2ce8ed0
	v_cmp_ngt_f32_e64 s[34:35], s34, v40
	s_mov_b32 s44, 0x7f800000
	v_ldexp_f32 v41, v41, v42
	v_cndmask_b32_e64 v41, 0, v41, s[34:35]
	s_mov_b32 s34, 0x42b17218
	v_mov_b32_e32 v42, 0x7f800000
	v_cmp_nlt_f32_e64 s[34:35], s34, v40
	v_cndmask_b32_e64 v56, v42, v41, s[34:35]
	v_add_f32_e32 v42, 1.0, v56
	v_add_f32_e32 v40, -1.0, v42
	v_sub_f32_e32 v41, v40, v42
	v_add_f32_e32 v41, 1.0, v41
	v_sub_f32_e32 v40, v56, v40
	v_add_f32_e32 v43, v40, v41
	v_frexp_mant_f32_e32 v44, v42
	s_mov_b32 s34, 0x3f2aaaab
	v_cvt_f64_f32_e32 v[40:41], v42
	v_frexp_exp_i32_f64_e32 v40, v[40:41]
	v_cmp_gt_f32_e64 s[34:35], s34, v44
	v_subbrev_co_u32_e64 v48, s[34:35], 0, v40, s[34:35]
	v_sub_u32_e32 v40, 0, v48
	v_ldexp_f32 v41, v42, v40
	v_add_f32_e32 v42, -1.0, v41
	v_add_f32_e32 v44, 1.0, v41
	v_ldexp_f32 v40, v43, v40
	v_add_f32_e32 v43, 1.0, v42
	v_add_f32_e32 v45, -1.0, v44
	v_sub_f32_e32 v43, v41, v43
	v_sub_f32_e32 v41, v41, v45
	v_add_f32_e32 v43, v40, v43
	v_add_f32_e32 v40, v40, v41
	;; [unrolled: 1-line block ×3, first 2 shown]
	v_rcp_f32_e32 v51, v49
	v_sub_f32_e32 v41, v44, v49
	v_add_f32_e32 v50, v40, v41
	v_add_f32_e32 v41, v42, v43
	v_mul_f32_e32 v53, v41, v51
	v_sub_f32_e32 v40, v42, v41
	v_mul_f32_e32 v42, v49, v53
	v_fma_f32 v44, v53, v49, -v42
	v_fmac_f32_e32 v44, v53, v50
	v_add_f32_e32 v52, v43, v40
	v_add_f32_e32 v40, v42, v44
	v_sub_f32_e32 v43, v41, v40
	v_pk_add_f32 v[46:47], v[40:41], v[42:43] neg_lo:[0,1] neg_hi:[0,1]
	v_mov_b32_e32 v45, v40
	v_pk_add_f32 v[40:41], v[46:47], v[44:45] neg_lo:[0,1] neg_hi:[0,1]
	v_add_f32_e32 v41, v52, v41
	v_add_f32_e32 v40, v40, v41
	;; [unrolled: 1-line block ×3, first 2 shown]
	v_mul_f32_e32 v52, v51, v41
	v_mul_f32_e32 v42, v49, v52
	v_fma_f32 v44, v52, v49, -v42
	v_fmac_f32_e32 v44, v52, v50
	v_sub_f32_e32 v43, v43, v41
	v_add_f32_e32 v49, v40, v43
	v_add_f32_e32 v40, v42, v44
	v_sub_f32_e32 v43, v41, v40
	v_pk_add_f32 v[46:47], v[40:41], v[42:43] neg_lo:[0,1] neg_hi:[0,1]
	v_mov_b32_e32 v45, v40
	v_pk_add_f32 v[40:41], v[46:47], v[44:45] neg_lo:[0,1] neg_hi:[0,1]
	v_add_f32_e32 v41, v49, v41
	v_add_f32_e32 v40, v40, v41
	;; [unrolled: 1-line block ×4, first 2 shown]
	v_sub_f32_e32 v41, v43, v53
	v_mul_f32_e32 v40, v51, v40
	v_sub_f32_e32 v41, v52, v41
	v_add_f32_e32 v40, v41, v40
	v_add_f32_e32 v44, v43, v40
	v_mul_f32_e32 v46, v44, v44
	v_mov_b32_e32 v42, 0x3ecc95a3
	v_fmac_f32_e32 v42, 0x3e9b6dac, v46
	v_mov_b32_e32 v41, 0x3f2aaada
	v_fmac_f32_e32 v41, v46, v42
	v_cvt_f32_i32_e32 v42, v48
	v_sub_f32_e32 v43, v44, v43
	v_sub_f32_e32 v40, v40, v43
	v_ldexp_f32 v47, v40, 1
	v_mul_f32_e32 v43, v44, v46
	v_mov_b32_e32 v40, 0x3f317218
	s_mov_b32 s34, 0x3f317218
	v_pk_mul_f32 v[40:41], v[42:43], v[40:41]
	v_ldexp_f32 v45, v44, 1
	v_fma_f32 v44, v42, s34, -v40
	v_fmac_f32_e32 v44, 0xb102e308, v42
	v_pk_add_f32 v[42:43], v[40:41], v[44:45]
	v_sub_f32_e32 v45, v43, v45
	v_sub_f32_e32 v45, v41, v45
	v_add_f32_e32 v47, v47, v45
	v_mov_b32_e32 v46, v40
	v_pk_add_f32 v[40:41], v[42:43], v[40:41] neg_lo:[0,1] neg_hi:[0,1]
	v_pk_add_f32 v[48:49], v[42:43], v[46:47]
	v_mov_b32_e32 v41, v49
	v_mov_b32_e32 v45, v42
	v_pk_add_f32 v[50:51], v[44:45], v[40:41] neg_lo:[0,1] neg_hi:[0,1]
	v_pk_add_f32 v[40:41], v[44:45], v[40:41]
	v_mov_b32_e32 v44, v41
	v_pk_add_f32 v[52:53], v[44:45], v[42:43] neg_lo:[0,1] neg_hi:[0,1]
	v_mov_b32_e32 v45, v52
	v_pk_add_f32 v[54:55], v[48:49], v[44:45] neg_lo:[0,1] neg_hi:[0,1]
	v_mov_b32_e32 v40, v49
	v_mov_b32_e32 v48, v43
	;; [unrolled: 1-line block ×4, first 2 shown]
	v_pk_add_f32 v[40:41], v[40:41], v[48:49] neg_lo:[0,1] neg_hi:[0,1]
	v_mov_b32_e32 v46, v47
	v_mov_b32_e32 v47, v42
	v_pk_add_f32 v[40:41], v[46:47], v[40:41] neg_lo:[0,1] neg_hi:[0,1]
	v_mov_b32_e32 v54, v50
	v_pk_add_f32 v[42:43], v[54:55], v[40:41]
	v_mov_b32_e32 v46, v43
	v_pk_add_f32 v[46:47], v[42:43], v[46:47]
	v_pk_add_f32 v[44:45], v[44:45], v[46:47]
	v_mov_b32_e32 v43, v44
	v_pk_add_f32 v[48:49], v[42:43], v[50:51] neg_lo:[0,1] neg_hi:[0,1]
	v_mov_b32_e32 v41, v46
	v_sub_f32_e32 v42, v42, v48
	v_pk_add_f32 v[40:41], v[40:41], v[48:49] neg_lo:[0,1] neg_hi:[0,1]
	v_sub_f32_e32 v42, v50, v42
	v_add_f32_e32 v40, v40, v42
	v_cmp_eq_f32_e64 s[34:35], s44, v56
	s_mov_b32 s44, 0x33800000
	v_add_f32_e32 v40, v40, v41
	v_cmp_lt_f32_e64 s[44:45], |v56|, s44
	v_add_f32_e32 v40, v44, v40
	s_or_b64 s[34:35], s[34:35], s[44:45]
	v_cndmask_b32_e64 v40, v40, v56, s[34:35]
	v_add_f32_e32 v41, v39, v40
.LBB117_254:
	s_or_b64 exec, exec, s[36:37]
	v_mov_b32_e32 v40, v41
.LBB117_255:
	s_or_b64 exec, exec, s[40:41]
	v_and_b32_e32 v39, 16, v7
	v_mov_b32_dpp v41, v40 row_bcast:15 row_mask:0xf bank_mask:0xf
	v_cmp_ne_u32_e64 s[34:35], 0, v39
	s_and_saveexec_b64 s[40:41], s[34:35]
	s_cbranch_execz .LBB117_259
; %bb.256:
	v_max_f32_e32 v39, v40, v40
	v_max_f32_e32 v43, v41, v41
	v_min_f32_e32 v42, v43, v39
	v_cmp_u_f32_e64 s[34:35], v41, v41
	v_max_f32_e32 v39, v43, v39
	v_cndmask_b32_e64 v42, v42, v41, s[34:35]
	v_cmp_u_f32_e64 s[36:37], v40, v40
	v_cndmask_b32_e64 v39, v39, v41, s[34:35]
	v_cndmask_b32_e64 v42, v42, v40, s[36:37]
	;; [unrolled: 1-line block ×3, first 2 shown]
	s_movk_i32 s36, 0x1f8
	v_cmp_neq_f32_e64 s[34:35], v42, v39
	v_cmp_class_f32_e64 s[36:37], v42, s36
	s_or_b64 s[34:35], s[34:35], s[36:37]
	s_and_saveexec_b64 s[36:37], s[34:35]
	s_cbranch_execz .LBB117_258
; %bb.257:
	v_sub_f32_e32 v40, v42, v39
	s_mov_b32 s34, 0x3fb8aa3b
	v_mul_f32_e32 v41, 0x3fb8aa3b, v40
	v_fma_f32 v42, v40, s34, -v41
	v_rndne_f32_e32 v43, v41
	v_fmac_f32_e32 v42, 0x32a5705f, v40
	v_sub_f32_e32 v41, v41, v43
	v_add_f32_e32 v41, v41, v42
	v_exp_f32_e32 v41, v41
	v_cvt_i32_f32_e32 v42, v43
	s_mov_b32 s34, 0xc2ce8ed0
	v_cmp_ngt_f32_e64 s[34:35], s34, v40
	s_mov_b32 s44, 0x7f800000
	v_ldexp_f32 v41, v41, v42
	v_cndmask_b32_e64 v41, 0, v41, s[34:35]
	s_mov_b32 s34, 0x42b17218
	v_mov_b32_e32 v42, 0x7f800000
	v_cmp_nlt_f32_e64 s[34:35], s34, v40
	v_cndmask_b32_e64 v56, v42, v41, s[34:35]
	v_add_f32_e32 v42, 1.0, v56
	v_add_f32_e32 v40, -1.0, v42
	v_sub_f32_e32 v41, v40, v42
	v_add_f32_e32 v41, 1.0, v41
	v_sub_f32_e32 v40, v56, v40
	v_add_f32_e32 v43, v40, v41
	v_frexp_mant_f32_e32 v44, v42
	s_mov_b32 s34, 0x3f2aaaab
	v_cvt_f64_f32_e32 v[40:41], v42
	v_frexp_exp_i32_f64_e32 v40, v[40:41]
	v_cmp_gt_f32_e64 s[34:35], s34, v44
	v_subbrev_co_u32_e64 v48, s[34:35], 0, v40, s[34:35]
	v_sub_u32_e32 v40, 0, v48
	v_ldexp_f32 v41, v42, v40
	v_add_f32_e32 v42, -1.0, v41
	v_add_f32_e32 v44, 1.0, v41
	v_ldexp_f32 v40, v43, v40
	v_add_f32_e32 v43, 1.0, v42
	v_add_f32_e32 v45, -1.0, v44
	v_sub_f32_e32 v43, v41, v43
	v_sub_f32_e32 v41, v41, v45
	v_add_f32_e32 v43, v40, v43
	v_add_f32_e32 v40, v40, v41
	;; [unrolled: 1-line block ×3, first 2 shown]
	v_rcp_f32_e32 v51, v49
	v_sub_f32_e32 v41, v44, v49
	v_add_f32_e32 v50, v40, v41
	v_add_f32_e32 v41, v42, v43
	v_mul_f32_e32 v53, v41, v51
	v_sub_f32_e32 v40, v42, v41
	v_mul_f32_e32 v42, v49, v53
	v_fma_f32 v44, v53, v49, -v42
	v_fmac_f32_e32 v44, v53, v50
	v_add_f32_e32 v52, v43, v40
	v_add_f32_e32 v40, v42, v44
	v_sub_f32_e32 v43, v41, v40
	v_pk_add_f32 v[46:47], v[40:41], v[42:43] neg_lo:[0,1] neg_hi:[0,1]
	v_mov_b32_e32 v45, v40
	v_pk_add_f32 v[40:41], v[46:47], v[44:45] neg_lo:[0,1] neg_hi:[0,1]
	v_add_f32_e32 v41, v52, v41
	v_add_f32_e32 v40, v40, v41
	;; [unrolled: 1-line block ×3, first 2 shown]
	v_mul_f32_e32 v52, v51, v41
	v_mul_f32_e32 v42, v49, v52
	v_fma_f32 v44, v52, v49, -v42
	v_fmac_f32_e32 v44, v52, v50
	v_sub_f32_e32 v43, v43, v41
	v_add_f32_e32 v49, v40, v43
	v_add_f32_e32 v40, v42, v44
	v_sub_f32_e32 v43, v41, v40
	v_pk_add_f32 v[46:47], v[40:41], v[42:43] neg_lo:[0,1] neg_hi:[0,1]
	v_mov_b32_e32 v45, v40
	v_pk_add_f32 v[40:41], v[46:47], v[44:45] neg_lo:[0,1] neg_hi:[0,1]
	v_add_f32_e32 v41, v49, v41
	v_add_f32_e32 v40, v40, v41
	;; [unrolled: 1-line block ×4, first 2 shown]
	v_sub_f32_e32 v41, v43, v53
	v_mul_f32_e32 v40, v51, v40
	v_sub_f32_e32 v41, v52, v41
	v_add_f32_e32 v40, v41, v40
	v_add_f32_e32 v44, v43, v40
	v_mul_f32_e32 v46, v44, v44
	v_mov_b32_e32 v42, 0x3ecc95a3
	v_fmac_f32_e32 v42, 0x3e9b6dac, v46
	v_mov_b32_e32 v41, 0x3f2aaada
	v_fmac_f32_e32 v41, v46, v42
	v_cvt_f32_i32_e32 v42, v48
	v_sub_f32_e32 v43, v44, v43
	v_sub_f32_e32 v40, v40, v43
	v_ldexp_f32 v47, v40, 1
	v_mul_f32_e32 v43, v44, v46
	v_mov_b32_e32 v40, 0x3f317218
	s_mov_b32 s34, 0x3f317218
	v_pk_mul_f32 v[40:41], v[42:43], v[40:41]
	v_ldexp_f32 v45, v44, 1
	v_fma_f32 v44, v42, s34, -v40
	v_fmac_f32_e32 v44, 0xb102e308, v42
	v_pk_add_f32 v[42:43], v[40:41], v[44:45]
	v_sub_f32_e32 v45, v43, v45
	v_sub_f32_e32 v45, v41, v45
	v_add_f32_e32 v47, v47, v45
	v_mov_b32_e32 v46, v40
	v_pk_add_f32 v[40:41], v[42:43], v[40:41] neg_lo:[0,1] neg_hi:[0,1]
	v_pk_add_f32 v[48:49], v[42:43], v[46:47]
	v_mov_b32_e32 v41, v49
	v_mov_b32_e32 v45, v42
	v_pk_add_f32 v[50:51], v[44:45], v[40:41] neg_lo:[0,1] neg_hi:[0,1]
	v_pk_add_f32 v[40:41], v[44:45], v[40:41]
	v_mov_b32_e32 v44, v41
	v_pk_add_f32 v[52:53], v[44:45], v[42:43] neg_lo:[0,1] neg_hi:[0,1]
	v_mov_b32_e32 v45, v52
	v_pk_add_f32 v[54:55], v[48:49], v[44:45] neg_lo:[0,1] neg_hi:[0,1]
	v_mov_b32_e32 v40, v49
	v_mov_b32_e32 v48, v43
	;; [unrolled: 1-line block ×4, first 2 shown]
	v_pk_add_f32 v[40:41], v[40:41], v[48:49] neg_lo:[0,1] neg_hi:[0,1]
	v_mov_b32_e32 v46, v47
	v_mov_b32_e32 v47, v42
	v_pk_add_f32 v[40:41], v[46:47], v[40:41] neg_lo:[0,1] neg_hi:[0,1]
	v_mov_b32_e32 v54, v50
	v_pk_add_f32 v[42:43], v[54:55], v[40:41]
	v_mov_b32_e32 v46, v43
	v_pk_add_f32 v[46:47], v[42:43], v[46:47]
	v_pk_add_f32 v[44:45], v[44:45], v[46:47]
	v_mov_b32_e32 v43, v44
	v_pk_add_f32 v[48:49], v[42:43], v[50:51] neg_lo:[0,1] neg_hi:[0,1]
	v_mov_b32_e32 v41, v46
	v_sub_f32_e32 v42, v42, v48
	v_pk_add_f32 v[40:41], v[40:41], v[48:49] neg_lo:[0,1] neg_hi:[0,1]
	v_sub_f32_e32 v42, v50, v42
	v_add_f32_e32 v40, v40, v42
	v_cmp_eq_f32_e64 s[34:35], s44, v56
	s_mov_b32 s44, 0x33800000
	v_add_f32_e32 v40, v40, v41
	v_cmp_lt_f32_e64 s[44:45], |v56|, s44
	v_add_f32_e32 v40, v44, v40
	s_or_b64 s[34:35], s[34:35], s[44:45]
	v_cndmask_b32_e64 v40, v40, v56, s[34:35]
	v_add_f32_e32 v41, v39, v40
.LBB117_258:
	s_or_b64 exec, exec, s[36:37]
	v_mov_b32_e32 v40, v41
.LBB117_259:
	s_or_b64 exec, exec, s[40:41]
	s_nop 0
	v_mov_b32_dpp v41, v40 row_bcast:31 row_mask:0xf bank_mask:0xf
	v_cmp_lt_u32_e64 s[34:35], 31, v7
	s_and_saveexec_b64 s[40:41], s[34:35]
	s_cbranch_execz .LBB117_263
; %bb.260:
	v_max_f32_e32 v39, v40, v40
	v_max_f32_e32 v43, v41, v41
	v_min_f32_e32 v42, v43, v39
	v_cmp_u_f32_e64 s[34:35], v41, v41
	v_max_f32_e32 v39, v43, v39
	v_cndmask_b32_e64 v42, v42, v41, s[34:35]
	v_cmp_u_f32_e64 s[36:37], v40, v40
	v_cndmask_b32_e64 v39, v39, v41, s[34:35]
	v_cndmask_b32_e64 v42, v42, v40, s[36:37]
	;; [unrolled: 1-line block ×3, first 2 shown]
	s_movk_i32 s36, 0x1f8
	v_cmp_neq_f32_e64 s[34:35], v42, v39
	v_cmp_class_f32_e64 s[36:37], v42, s36
	s_or_b64 s[34:35], s[34:35], s[36:37]
	s_and_saveexec_b64 s[36:37], s[34:35]
	s_cbranch_execz .LBB117_262
; %bb.261:
	v_sub_f32_e32 v40, v42, v39
	s_mov_b32 s34, 0x3fb8aa3b
	v_mul_f32_e32 v41, 0x3fb8aa3b, v40
	v_fma_f32 v42, v40, s34, -v41
	v_rndne_f32_e32 v43, v41
	v_fmac_f32_e32 v42, 0x32a5705f, v40
	v_sub_f32_e32 v41, v41, v43
	v_add_f32_e32 v41, v41, v42
	v_exp_f32_e32 v41, v41
	v_cvt_i32_f32_e32 v42, v43
	s_mov_b32 s34, 0xc2ce8ed0
	v_cmp_ngt_f32_e64 s[34:35], s34, v40
	s_mov_b32 s44, 0x7f800000
	v_ldexp_f32 v41, v41, v42
	v_cndmask_b32_e64 v41, 0, v41, s[34:35]
	s_mov_b32 s34, 0x42b17218
	v_mov_b32_e32 v42, 0x7f800000
	v_cmp_nlt_f32_e64 s[34:35], s34, v40
	v_cndmask_b32_e64 v56, v42, v41, s[34:35]
	v_add_f32_e32 v42, 1.0, v56
	v_add_f32_e32 v40, -1.0, v42
	v_sub_f32_e32 v41, v40, v42
	v_add_f32_e32 v41, 1.0, v41
	v_sub_f32_e32 v40, v56, v40
	v_add_f32_e32 v43, v40, v41
	v_frexp_mant_f32_e32 v44, v42
	s_mov_b32 s34, 0x3f2aaaab
	v_cvt_f64_f32_e32 v[40:41], v42
	v_frexp_exp_i32_f64_e32 v40, v[40:41]
	v_cmp_gt_f32_e64 s[34:35], s34, v44
	v_subbrev_co_u32_e64 v48, s[34:35], 0, v40, s[34:35]
	v_sub_u32_e32 v40, 0, v48
	v_ldexp_f32 v41, v42, v40
	v_add_f32_e32 v42, -1.0, v41
	v_add_f32_e32 v44, 1.0, v41
	v_ldexp_f32 v40, v43, v40
	v_add_f32_e32 v43, 1.0, v42
	v_add_f32_e32 v45, -1.0, v44
	v_sub_f32_e32 v43, v41, v43
	v_sub_f32_e32 v41, v41, v45
	v_add_f32_e32 v43, v40, v43
	v_add_f32_e32 v40, v40, v41
	;; [unrolled: 1-line block ×3, first 2 shown]
	v_rcp_f32_e32 v51, v49
	v_sub_f32_e32 v41, v44, v49
	v_add_f32_e32 v50, v40, v41
	v_add_f32_e32 v41, v42, v43
	v_mul_f32_e32 v53, v41, v51
	v_sub_f32_e32 v40, v42, v41
	v_mul_f32_e32 v42, v49, v53
	v_fma_f32 v44, v53, v49, -v42
	v_fmac_f32_e32 v44, v53, v50
	v_add_f32_e32 v52, v43, v40
	v_add_f32_e32 v40, v42, v44
	v_sub_f32_e32 v43, v41, v40
	v_pk_add_f32 v[46:47], v[40:41], v[42:43] neg_lo:[0,1] neg_hi:[0,1]
	v_mov_b32_e32 v45, v40
	v_pk_add_f32 v[40:41], v[46:47], v[44:45] neg_lo:[0,1] neg_hi:[0,1]
	v_add_f32_e32 v41, v52, v41
	v_add_f32_e32 v40, v40, v41
	;; [unrolled: 1-line block ×3, first 2 shown]
	v_mul_f32_e32 v52, v51, v41
	v_mul_f32_e32 v42, v49, v52
	v_fma_f32 v44, v52, v49, -v42
	v_fmac_f32_e32 v44, v52, v50
	v_sub_f32_e32 v43, v43, v41
	v_add_f32_e32 v49, v40, v43
	v_add_f32_e32 v40, v42, v44
	v_sub_f32_e32 v43, v41, v40
	v_pk_add_f32 v[46:47], v[40:41], v[42:43] neg_lo:[0,1] neg_hi:[0,1]
	v_mov_b32_e32 v45, v40
	v_pk_add_f32 v[40:41], v[46:47], v[44:45] neg_lo:[0,1] neg_hi:[0,1]
	v_add_f32_e32 v41, v49, v41
	v_add_f32_e32 v40, v40, v41
	;; [unrolled: 1-line block ×4, first 2 shown]
	v_sub_f32_e32 v41, v43, v53
	v_mul_f32_e32 v40, v51, v40
	v_sub_f32_e32 v41, v52, v41
	v_add_f32_e32 v40, v41, v40
	v_add_f32_e32 v44, v43, v40
	v_mul_f32_e32 v46, v44, v44
	v_mov_b32_e32 v42, 0x3ecc95a3
	v_fmac_f32_e32 v42, 0x3e9b6dac, v46
	v_mov_b32_e32 v41, 0x3f2aaada
	v_fmac_f32_e32 v41, v46, v42
	v_cvt_f32_i32_e32 v42, v48
	v_sub_f32_e32 v43, v44, v43
	v_sub_f32_e32 v40, v40, v43
	v_ldexp_f32 v47, v40, 1
	v_mul_f32_e32 v43, v44, v46
	v_mov_b32_e32 v40, 0x3f317218
	s_mov_b32 s34, 0x3f317218
	v_pk_mul_f32 v[40:41], v[42:43], v[40:41]
	v_ldexp_f32 v45, v44, 1
	v_fma_f32 v44, v42, s34, -v40
	v_fmac_f32_e32 v44, 0xb102e308, v42
	v_pk_add_f32 v[42:43], v[40:41], v[44:45]
	v_sub_f32_e32 v45, v43, v45
	v_sub_f32_e32 v45, v41, v45
	v_add_f32_e32 v47, v47, v45
	v_mov_b32_e32 v46, v40
	v_pk_add_f32 v[40:41], v[42:43], v[40:41] neg_lo:[0,1] neg_hi:[0,1]
	v_pk_add_f32 v[48:49], v[42:43], v[46:47]
	v_mov_b32_e32 v41, v49
	v_mov_b32_e32 v45, v42
	v_pk_add_f32 v[50:51], v[44:45], v[40:41] neg_lo:[0,1] neg_hi:[0,1]
	v_pk_add_f32 v[40:41], v[44:45], v[40:41]
	v_mov_b32_e32 v44, v41
	v_pk_add_f32 v[52:53], v[44:45], v[42:43] neg_lo:[0,1] neg_hi:[0,1]
	v_mov_b32_e32 v45, v52
	v_pk_add_f32 v[54:55], v[48:49], v[44:45] neg_lo:[0,1] neg_hi:[0,1]
	v_mov_b32_e32 v40, v49
	v_mov_b32_e32 v48, v43
	v_mov_b32_e32 v49, v52
	v_mov_b32_e32 v51, v41
	v_pk_add_f32 v[40:41], v[40:41], v[48:49] neg_lo:[0,1] neg_hi:[0,1]
	v_mov_b32_e32 v46, v47
	v_mov_b32_e32 v47, v42
	v_pk_add_f32 v[40:41], v[46:47], v[40:41] neg_lo:[0,1] neg_hi:[0,1]
	v_mov_b32_e32 v54, v50
	v_pk_add_f32 v[42:43], v[54:55], v[40:41]
	v_mov_b32_e32 v46, v43
	v_pk_add_f32 v[46:47], v[42:43], v[46:47]
	v_pk_add_f32 v[44:45], v[44:45], v[46:47]
	v_mov_b32_e32 v43, v44
	v_pk_add_f32 v[48:49], v[42:43], v[50:51] neg_lo:[0,1] neg_hi:[0,1]
	v_mov_b32_e32 v41, v46
	v_sub_f32_e32 v42, v42, v48
	v_pk_add_f32 v[40:41], v[40:41], v[48:49] neg_lo:[0,1] neg_hi:[0,1]
	v_sub_f32_e32 v42, v50, v42
	v_add_f32_e32 v40, v40, v42
	v_cmp_eq_f32_e64 s[34:35], s44, v56
	s_mov_b32 s44, 0x33800000
	v_add_f32_e32 v40, v40, v41
	v_cmp_lt_f32_e64 s[44:45], |v56|, s44
	v_add_f32_e32 v40, v44, v40
	s_or_b64 s[34:35], s[34:35], s[44:45]
	v_cndmask_b32_e64 v40, v40, v56, s[34:35]
	v_add_f32_e32 v41, v39, v40
.LBB117_262:
	s_or_b64 exec, exec, s[36:37]
	v_mov_b32_e32 v40, v41
.LBB117_263:
	s_or_b64 exec, exec, s[40:41]
	v_add_u32_e32 v39, -1, v7
	v_and_b32_e32 v41, 64, v7
	v_cmp_lt_i32_e64 s[34:35], v39, v41
	v_cndmask_b32_e64 v7, v39, v7, s[34:35]
	v_lshlrev_b32_e32 v7, 2, v7
	ds_bpermute_b32 v7, v7, v40
	s_movk_i32 s36, 0x1f8
	s_waitcnt lgkmcnt(0)
	v_max_f32_e32 v39, v7, v7
	v_min_f32_e32 v40, v39, v38
	v_max_f32_e32 v39, v39, v38
	v_cmp_u_f32_e64 s[34:35], v7, v7
	v_cndmask_b32_e64 v38, v40, v7, s[34:35]
	v_cndmask_b32_e64 v39, v39, v7, s[34:35]
	v_cndmask_b32_e64 v38, v38, v6, s[30:31]
	v_cndmask_b32_e64 v6, v39, v6, s[30:31]
	v_cmp_neq_f32_e64 s[30:31], v38, v6
	v_cmp_class_f32_e64 s[34:35], v38, s36
	s_or_b64 s[30:31], s[30:31], s[34:35]
	s_and_saveexec_b64 s[34:35], s[30:31]
	s_cbranch_execz .LBB117_265
; %bb.264:
	v_sub_f32_e32 v7, v38, v6
	s_mov_b32 s30, 0x3fb8aa3b
	v_mul_f32_e32 v38, 0x3fb8aa3b, v7
	v_fma_f32 v39, v7, s30, -v38
	v_rndne_f32_e32 v40, v38
	v_fmac_f32_e32 v39, 0x32a5705f, v7
	v_sub_f32_e32 v38, v38, v40
	v_add_f32_e32 v38, v38, v39
	v_exp_f32_e32 v38, v38
	v_cvt_i32_f32_e32 v39, v40
	s_mov_b32 s30, 0xc2ce8ed0
	v_cmp_ngt_f32_e64 s[30:31], s30, v7
	s_mov_b32 s37, 0x7f800000
	v_ldexp_f32 v38, v38, v39
	v_cndmask_b32_e64 v38, 0, v38, s[30:31]
	s_mov_b32 s30, 0x42b17218
	v_mov_b32_e32 v39, 0x7f800000
	v_cmp_nlt_f32_e64 s[30:31], s30, v7
	v_cndmask_b32_e64 v54, v39, v38, s[30:31]
	v_add_f32_e32 v7, 1.0, v54
	v_add_f32_e32 v38, -1.0, v7
	v_sub_f32_e32 v39, v38, v7
	v_add_f32_e32 v39, 1.0, v39
	v_sub_f32_e32 v38, v54, v38
	v_add_f32_e32 v40, v38, v39
	v_frexp_mant_f32_e32 v41, v7
	s_mov_b32 s30, 0x3f2aaaab
	v_cvt_f64_f32_e32 v[38:39], v7
	v_frexp_exp_i32_f64_e32 v38, v[38:39]
	v_cmp_gt_f32_e64 s[30:31], s30, v41
	v_subbrev_co_u32_e64 v46, s[30:31], 0, v38, s[30:31]
	v_sub_u32_e32 v38, 0, v46
	v_ldexp_f32 v7, v7, v38
	v_ldexp_f32 v38, v40, v38
	v_add_f32_e32 v40, -1.0, v7
	v_add_f32_e32 v39, 1.0, v40
	v_sub_f32_e32 v39, v7, v39
	v_add_f32_e32 v41, v38, v39
	v_add_f32_e32 v39, 1.0, v7
	v_add_f32_e32 v42, -1.0, v39
	v_sub_f32_e32 v7, v7, v42
	v_add_f32_e32 v7, v38, v7
	v_add_f32_e32 v47, v39, v7
	v_rcp_f32_e32 v48, v47
	v_sub_f32_e32 v38, v39, v47
	v_add_f32_e32 v39, v40, v41
	v_add_f32_e32 v7, v7, v38
	v_mul_f32_e32 v50, v39, v48
	v_sub_f32_e32 v38, v40, v39
	v_mul_f32_e32 v40, v47, v50
	v_fma_f32 v42, v50, v47, -v40
	v_fmac_f32_e32 v42, v50, v7
	v_add_f32_e32 v49, v41, v38
	v_add_f32_e32 v38, v40, v42
	v_sub_f32_e32 v41, v39, v38
	v_pk_add_f32 v[44:45], v[38:39], v[40:41] neg_lo:[0,1] neg_hi:[0,1]
	v_mov_b32_e32 v43, v38
	v_pk_add_f32 v[38:39], v[44:45], v[42:43] neg_lo:[0,1] neg_hi:[0,1]
	v_add_f32_e32 v39, v49, v39
	v_add_f32_e32 v38, v38, v39
	;; [unrolled: 1-line block ×3, first 2 shown]
	v_mul_f32_e32 v49, v48, v39
	v_mul_f32_e32 v40, v47, v49
	v_fma_f32 v42, v49, v47, -v40
	v_fmac_f32_e32 v42, v49, v7
	v_sub_f32_e32 v7, v41, v39
	v_add_f32_e32 v7, v38, v7
	v_add_f32_e32 v38, v40, v42
	v_sub_f32_e32 v41, v39, v38
	v_pk_add_f32 v[44:45], v[38:39], v[40:41] neg_lo:[0,1] neg_hi:[0,1]
	v_mov_b32_e32 v43, v38
	v_pk_add_f32 v[38:39], v[44:45], v[42:43] neg_lo:[0,1] neg_hi:[0,1]
	v_add_f32_e32 v7, v7, v39
	v_add_f32_e32 v7, v38, v7
	;; [unrolled: 1-line block ×4, first 2 shown]
	v_sub_f32_e32 v39, v38, v50
	v_mul_f32_e32 v7, v48, v7
	v_sub_f32_e32 v39, v49, v39
	v_add_f32_e32 v7, v39, v7
	v_add_f32_e32 v41, v38, v7
	v_mul_f32_e32 v42, v41, v41
	v_mov_b32_e32 v40, 0x3ecc95a3
	v_fmac_f32_e32 v40, 0x3e9b6dac, v42
	v_mov_b32_e32 v39, 0x3f2aaada
	v_fmac_f32_e32 v39, v42, v40
	v_cvt_f32_i32_e32 v40, v46
	v_sub_f32_e32 v38, v41, v38
	v_sub_f32_e32 v7, v7, v38
	v_ldexp_f32 v43, v41, 1
	v_mul_f32_e32 v41, v41, v42
	v_mov_b32_e32 v38, 0x3f317218
	s_mov_b32 s30, 0x3f317218
	v_pk_mul_f32 v[38:39], v[40:41], v[38:39]
	v_fma_f32 v42, v40, s30, -v38
	v_fmac_f32_e32 v42, 0xb102e308, v40
	v_pk_add_f32 v[40:41], v[38:39], v[42:43]
	v_sub_f32_e32 v43, v41, v43
	v_ldexp_f32 v7, v7, 1
	v_sub_f32_e32 v43, v39, v43
	v_add_f32_e32 v45, v7, v43
	v_mov_b32_e32 v44, v38
	v_pk_add_f32 v[38:39], v[40:41], v[38:39] neg_lo:[0,1] neg_hi:[0,1]
	v_pk_add_f32 v[46:47], v[40:41], v[44:45]
	v_mov_b32_e32 v39, v47
	v_mov_b32_e32 v43, v40
	v_pk_add_f32 v[48:49], v[42:43], v[38:39] neg_lo:[0,1] neg_hi:[0,1]
	v_pk_add_f32 v[38:39], v[42:43], v[38:39]
	v_mov_b32_e32 v42, v39
	v_pk_add_f32 v[50:51], v[42:43], v[40:41] neg_lo:[0,1] neg_hi:[0,1]
	v_mov_b32_e32 v7, v50
	v_pk_add_f32 v[52:53], v[46:47], v[6:7] neg_lo:[0,1] neg_hi:[0,1]
	v_mov_b32_e32 v38, v47
	v_mov_b32_e32 v46, v41
	v_mov_b32_e32 v47, v50
	v_mov_b32_e32 v49, v39
	v_pk_add_f32 v[38:39], v[38:39], v[46:47] neg_lo:[0,1] neg_hi:[0,1]
	v_mov_b32_e32 v44, v45
	v_mov_b32_e32 v45, v40
	v_pk_add_f32 v[38:39], v[44:45], v[38:39] neg_lo:[0,1] neg_hi:[0,1]
	v_mov_b32_e32 v52, v48
	v_pk_add_f32 v[40:41], v[52:53], v[38:39]
	v_mov_b32_e32 v44, v41
	v_pk_add_f32 v[44:45], v[40:41], v[44:45]
	v_pk_add_f32 v[42:43], v[42:43], v[44:45]
	v_mov_b32_e32 v41, v42
	v_pk_add_f32 v[46:47], v[40:41], v[48:49] neg_lo:[0,1] neg_hi:[0,1]
	v_mov_b32_e32 v39, v44
	v_sub_f32_e32 v7, v40, v46
	v_pk_add_f32 v[38:39], v[38:39], v[46:47] neg_lo:[0,1] neg_hi:[0,1]
	v_sub_f32_e32 v7, v48, v7
	v_add_f32_e32 v7, v38, v7
	v_cmp_eq_f32_e64 s[30:31], s37, v54
	s_mov_b32 s37, 0x33800000
	v_add_f32_e32 v7, v7, v39
	v_cmp_lt_f32_e64 s[40:41], |v54|, s37
	v_add_f32_e32 v7, v42, v7
	s_or_b64 s[30:31], s[30:31], s[40:41]
	v_cndmask_b32_e64 v7, v7, v54, s[30:31]
	v_add_f32_e32 v7, v6, v7
.LBB117_265:
	s_or_b64 exec, exec, s[34:35]
	v_cndmask_b32_e64 v7, v7, v36, s[2:3]
	; wave barrier
	ds_write_b32 v37, v7
	; wave barrier
	ds_read_b32 v6, v37 offset:4
	v_max_f32_e32 v39, v7, v7
	v_cmp_u_f32_e64 s[2:3], v7, v7
	s_waitcnt lgkmcnt(0)
	v_max_f32_e32 v40, v6, v6
	v_min_f32_e32 v38, v39, v40
	v_max_f32_e32 v39, v39, v40
	v_cndmask_b32_e64 v38, v38, v7, s[2:3]
	v_cmp_u_f32_e64 s[30:31], v6, v6
	v_cndmask_b32_e64 v39, v39, v7, s[2:3]
	v_cndmask_b32_e64 v38, v38, v6, s[30:31]
	;; [unrolled: 1-line block ×3, first 2 shown]
	v_cmp_neq_f32_e64 s[2:3], v38, v6
	v_cmp_class_f32_e64 s[30:31], v38, s36
	s_or_b64 s[2:3], s[2:3], s[30:31]
	s_and_saveexec_b64 s[30:31], s[2:3]
	s_cbranch_execz .LBB117_267
; %bb.266:
	v_sub_f32_e32 v7, v38, v6
	s_mov_b32 s2, 0x3fb8aa3b
	v_mul_f32_e32 v38, 0x3fb8aa3b, v7
	v_fma_f32 v39, v7, s2, -v38
	v_rndne_f32_e32 v40, v38
	v_fmac_f32_e32 v39, 0x32a5705f, v7
	v_sub_f32_e32 v38, v38, v40
	v_add_f32_e32 v38, v38, v39
	v_exp_f32_e32 v38, v38
	v_cvt_i32_f32_e32 v39, v40
	s_mov_b32 s2, 0xc2ce8ed0
	v_cmp_ngt_f32_e64 s[2:3], s2, v7
	s_mov_b32 s34, 0x7f800000
	v_ldexp_f32 v38, v38, v39
	v_cndmask_b32_e64 v38, 0, v38, s[2:3]
	s_mov_b32 s2, 0x42b17218
	v_mov_b32_e32 v39, 0x7f800000
	v_cmp_nlt_f32_e64 s[2:3], s2, v7
	v_cndmask_b32_e64 v54, v39, v38, s[2:3]
	v_add_f32_e32 v7, 1.0, v54
	v_add_f32_e32 v38, -1.0, v7
	v_sub_f32_e32 v39, v38, v7
	v_add_f32_e32 v39, 1.0, v39
	v_sub_f32_e32 v38, v54, v38
	v_add_f32_e32 v40, v38, v39
	v_frexp_mant_f32_e32 v41, v7
	s_mov_b32 s2, 0x3f2aaaab
	v_cvt_f64_f32_e32 v[38:39], v7
	v_frexp_exp_i32_f64_e32 v38, v[38:39]
	v_cmp_gt_f32_e64 s[2:3], s2, v41
	v_subbrev_co_u32_e64 v46, s[2:3], 0, v38, s[2:3]
	v_sub_u32_e32 v38, 0, v46
	v_ldexp_f32 v7, v7, v38
	v_ldexp_f32 v38, v40, v38
	v_add_f32_e32 v40, -1.0, v7
	v_add_f32_e32 v39, 1.0, v40
	v_sub_f32_e32 v39, v7, v39
	v_add_f32_e32 v41, v38, v39
	v_add_f32_e32 v39, 1.0, v7
	v_add_f32_e32 v42, -1.0, v39
	v_sub_f32_e32 v7, v7, v42
	v_add_f32_e32 v7, v38, v7
	v_add_f32_e32 v47, v39, v7
	v_rcp_f32_e32 v48, v47
	v_sub_f32_e32 v38, v39, v47
	v_add_f32_e32 v39, v40, v41
	v_add_f32_e32 v7, v7, v38
	v_mul_f32_e32 v50, v39, v48
	v_sub_f32_e32 v38, v40, v39
	v_mul_f32_e32 v40, v47, v50
	v_fma_f32 v42, v50, v47, -v40
	v_fmac_f32_e32 v42, v50, v7
	v_add_f32_e32 v49, v41, v38
	v_add_f32_e32 v38, v40, v42
	v_sub_f32_e32 v41, v39, v38
	v_pk_add_f32 v[44:45], v[38:39], v[40:41] neg_lo:[0,1] neg_hi:[0,1]
	v_mov_b32_e32 v43, v38
	v_pk_add_f32 v[38:39], v[44:45], v[42:43] neg_lo:[0,1] neg_hi:[0,1]
	v_add_f32_e32 v39, v49, v39
	v_add_f32_e32 v38, v38, v39
	;; [unrolled: 1-line block ×3, first 2 shown]
	v_mul_f32_e32 v49, v48, v39
	v_mul_f32_e32 v40, v47, v49
	v_fma_f32 v42, v49, v47, -v40
	v_fmac_f32_e32 v42, v49, v7
	v_sub_f32_e32 v7, v41, v39
	v_add_f32_e32 v7, v38, v7
	v_add_f32_e32 v38, v40, v42
	v_sub_f32_e32 v41, v39, v38
	v_pk_add_f32 v[44:45], v[38:39], v[40:41] neg_lo:[0,1] neg_hi:[0,1]
	v_mov_b32_e32 v43, v38
	v_pk_add_f32 v[38:39], v[44:45], v[42:43] neg_lo:[0,1] neg_hi:[0,1]
	v_add_f32_e32 v7, v7, v39
	v_add_f32_e32 v7, v38, v7
	;; [unrolled: 1-line block ×4, first 2 shown]
	v_sub_f32_e32 v39, v38, v50
	v_mul_f32_e32 v7, v48, v7
	v_sub_f32_e32 v39, v49, v39
	v_add_f32_e32 v7, v39, v7
	v_add_f32_e32 v41, v38, v7
	v_mul_f32_e32 v42, v41, v41
	v_mov_b32_e32 v40, 0x3ecc95a3
	v_fmac_f32_e32 v40, 0x3e9b6dac, v42
	v_mov_b32_e32 v39, 0x3f2aaada
	v_fmac_f32_e32 v39, v42, v40
	v_cvt_f32_i32_e32 v40, v46
	v_sub_f32_e32 v38, v41, v38
	v_sub_f32_e32 v7, v7, v38
	v_ldexp_f32 v43, v41, 1
	v_mul_f32_e32 v41, v41, v42
	v_mov_b32_e32 v38, 0x3f317218
	s_mov_b32 s2, 0x3f317218
	v_pk_mul_f32 v[38:39], v[40:41], v[38:39]
	v_fma_f32 v42, v40, s2, -v38
	v_fmac_f32_e32 v42, 0xb102e308, v40
	v_pk_add_f32 v[40:41], v[38:39], v[42:43]
	v_sub_f32_e32 v43, v41, v43
	v_ldexp_f32 v7, v7, 1
	v_sub_f32_e32 v43, v39, v43
	v_add_f32_e32 v45, v7, v43
	v_mov_b32_e32 v44, v38
	v_pk_add_f32 v[38:39], v[40:41], v[38:39] neg_lo:[0,1] neg_hi:[0,1]
	v_pk_add_f32 v[46:47], v[40:41], v[44:45]
	v_mov_b32_e32 v39, v47
	v_mov_b32_e32 v43, v40
	v_pk_add_f32 v[48:49], v[42:43], v[38:39] neg_lo:[0,1] neg_hi:[0,1]
	v_pk_add_f32 v[38:39], v[42:43], v[38:39]
	v_mov_b32_e32 v42, v39
	v_pk_add_f32 v[50:51], v[42:43], v[40:41] neg_lo:[0,1] neg_hi:[0,1]
	v_mov_b32_e32 v7, v50
	v_pk_add_f32 v[52:53], v[46:47], v[6:7] neg_lo:[0,1] neg_hi:[0,1]
	v_mov_b32_e32 v38, v47
	v_mov_b32_e32 v46, v41
	;; [unrolled: 1-line block ×4, first 2 shown]
	v_pk_add_f32 v[38:39], v[38:39], v[46:47] neg_lo:[0,1] neg_hi:[0,1]
	v_mov_b32_e32 v44, v45
	v_mov_b32_e32 v45, v40
	v_pk_add_f32 v[38:39], v[44:45], v[38:39] neg_lo:[0,1] neg_hi:[0,1]
	v_mov_b32_e32 v52, v48
	v_pk_add_f32 v[40:41], v[52:53], v[38:39]
	v_mov_b32_e32 v44, v41
	v_pk_add_f32 v[44:45], v[40:41], v[44:45]
	v_pk_add_f32 v[42:43], v[42:43], v[44:45]
	v_mov_b32_e32 v41, v42
	v_pk_add_f32 v[46:47], v[40:41], v[48:49] neg_lo:[0,1] neg_hi:[0,1]
	v_mov_b32_e32 v39, v44
	v_sub_f32_e32 v7, v40, v46
	v_pk_add_f32 v[38:39], v[38:39], v[46:47] neg_lo:[0,1] neg_hi:[0,1]
	v_sub_f32_e32 v7, v48, v7
	v_add_f32_e32 v7, v38, v7
	v_cmp_eq_f32_e64 s[2:3], s34, v54
	s_mov_b32 s34, 0x33800000
	v_add_f32_e32 v7, v7, v39
	v_cmp_lt_f32_e64 s[34:35], |v54|, s34
	v_add_f32_e32 v7, v42, v7
	s_or_b64 s[2:3], s[2:3], s[34:35]
	v_cndmask_b32_e64 v7, v7, v54, s[2:3]
	v_add_f32_e32 v7, v6, v7
.LBB117_267:
	s_or_b64 exec, exec, s[30:31]
	ds_write_b32 v37, v7 offset:4
.LBB117_268:
	s_or_b64 exec, exec, s[38:39]
	s_waitcnt lgkmcnt(0)
	s_barrier
	s_and_saveexec_b64 s[2:3], s[0:1]
	s_cbranch_execz .LBB117_270
; %bb.269:
	v_add_u32_e32 v6, -1, v0
	v_lshrrev_b32_e32 v7, 5, v6
	v_add_lshl_u32 v6, v7, v6, 2
	ds_read_b32 v36, v6
.LBB117_270:
	s_or_b64 exec, exec, s[2:3]
	s_and_saveexec_b64 s[2:3], s[0:1]
	s_cbranch_execz .LBB117_274
; %bb.271:
	s_waitcnt lgkmcnt(0)
	v_max_f32_e32 v7, v36, v36
	v_min_f32_e32 v6, v7, v35
	v_cmp_u_f32_e64 s[0:1], v36, v36
	v_max_f32_e32 v7, v7, v35
	v_cndmask_b32_e64 v6, v6, v36, s[0:1]
	v_cndmask_b32_e64 v7, v7, v36, s[0:1]
	;; [unrolled: 1-line block ×4, first 2 shown]
	s_movk_i32 s28, 0x1f8
	v_cmp_neq_f32_e64 s[0:1], v6, v2
	v_cmp_class_f32_e64 s[28:29], v6, s28
	s_or_b64 s[0:1], s[0:1], s[28:29]
	s_and_saveexec_b64 s[28:29], s[0:1]
	s_cbranch_execz .LBB117_273
; %bb.272:
	v_sub_f32_e32 v6, v6, v2
	s_mov_b32 s0, 0x3fb8aa3b
	v_mul_f32_e32 v7, 0x3fb8aa3b, v6
	v_fma_f32 v21, v6, s0, -v7
	v_rndne_f32_e32 v34, v7
	v_fmac_f32_e32 v21, 0x32a5705f, v6
	v_sub_f32_e32 v7, v7, v34
	v_add_f32_e32 v7, v7, v21
	v_exp_f32_e32 v7, v7
	v_cvt_i32_f32_e32 v21, v34
	s_mov_b32 s0, 0xc2ce8ed0
	v_cmp_ngt_f32_e64 s[0:1], s0, v6
	s_mov_b32 s30, 0x7f800000
	v_ldexp_f32 v7, v7, v21
	v_cndmask_b32_e64 v7, 0, v7, s[0:1]
	s_mov_b32 s0, 0x42b17218
	v_mov_b32_e32 v21, 0x7f800000
	v_cmp_nlt_f32_e64 s[0:1], s0, v6
	v_cndmask_b32_e64 v48, v21, v7, s[0:1]
	v_add_f32_e32 v21, 1.0, v48
	v_add_f32_e32 v6, -1.0, v21
	v_sub_f32_e32 v7, v6, v21
	v_add_f32_e32 v7, 1.0, v7
	v_sub_f32_e32 v6, v48, v6
	v_add_f32_e32 v34, v6, v7
	v_frexp_mant_f32_e32 v35, v21
	s_mov_b32 s0, 0x3f2aaaab
	v_cvt_f64_f32_e32 v[6:7], v21
	v_frexp_exp_i32_f64_e32 v6, v[6:7]
	v_cmp_gt_f32_e64 s[0:1], s0, v35
	v_subbrev_co_u32_e64 v40, s[0:1], 0, v6, s[0:1]
	v_sub_u32_e32 v6, 0, v40
	v_ldexp_f32 v7, v21, v6
	v_add_f32_e32 v21, -1.0, v7
	v_add_f32_e32 v35, 1.0, v7
	v_ldexp_f32 v6, v34, v6
	v_add_f32_e32 v34, 1.0, v21
	v_add_f32_e32 v36, -1.0, v35
	v_sub_f32_e32 v34, v7, v34
	v_sub_f32_e32 v7, v7, v36
	v_add_f32_e32 v34, v6, v34
	v_add_f32_e32 v6, v6, v7
	;; [unrolled: 1-line block ×3, first 2 shown]
	v_rcp_f32_e32 v43, v41
	v_sub_f32_e32 v7, v35, v41
	v_add_f32_e32 v42, v6, v7
	v_add_f32_e32 v7, v21, v34
	v_sub_f32_e32 v6, v21, v7
	v_mul_f32_e32 v44, v7, v43
	v_add_f32_e32 v21, v34, v6
	v_mul_f32_e32 v34, v41, v44
	v_fma_f32 v36, v44, v41, -v34
	v_fmac_f32_e32 v36, v44, v42
	v_add_f32_e32 v6, v34, v36
	v_sub_f32_e32 v35, v7, v6
	v_pk_add_f32 v[38:39], v[6:7], v[34:35] neg_lo:[0,1] neg_hi:[0,1]
	v_mov_b32_e32 v37, v6
	v_pk_add_f32 v[6:7], v[38:39], v[36:37] neg_lo:[0,1] neg_hi:[0,1]
	v_add_f32_e32 v7, v21, v7
	v_add_f32_e32 v6, v6, v7
	;; [unrolled: 1-line block ×3, first 2 shown]
	v_mul_f32_e32 v21, v43, v7
	v_mul_f32_e32 v34, v41, v21
	v_fma_f32 v36, v21, v41, -v34
	v_fmac_f32_e32 v36, v21, v42
	v_sub_f32_e32 v35, v35, v7
	v_add_f32_e32 v41, v6, v35
	v_add_f32_e32 v6, v34, v36
	v_sub_f32_e32 v35, v7, v6
	v_pk_add_f32 v[38:39], v[6:7], v[34:35] neg_lo:[0,1] neg_hi:[0,1]
	v_mov_b32_e32 v37, v6
	v_pk_add_f32 v[6:7], v[38:39], v[36:37] neg_lo:[0,1] neg_hi:[0,1]
	v_add_f32_e32 v7, v41, v7
	v_add_f32_e32 v6, v6, v7
	;; [unrolled: 1-line block ×4, first 2 shown]
	v_sub_f32_e32 v7, v35, v44
	v_mul_f32_e32 v6, v43, v6
	v_sub_f32_e32 v7, v21, v7
	v_add_f32_e32 v6, v7, v6
	v_add_f32_e32 v21, v35, v6
	v_mul_f32_e32 v36, v21, v21
	v_mov_b32_e32 v34, 0x3ecc95a3
	v_fmac_f32_e32 v34, 0x3e9b6dac, v36
	v_mov_b32_e32 v7, 0x3f2aaada
	v_fmac_f32_e32 v7, v36, v34
	v_cvt_f32_i32_e32 v34, v40
	v_sub_f32_e32 v35, v21, v35
	v_sub_f32_e32 v6, v6, v35
	v_ldexp_f32 v38, v6, 1
	v_mul_f32_e32 v35, v21, v36
	v_mov_b32_e32 v6, 0x3f317218
	s_mov_b32 s0, 0x3f317218
	v_pk_mul_f32 v[6:7], v[34:35], v[6:7]
	v_fma_f32 v36, v34, s0, -v6
	v_ldexp_f32 v37, v21, 1
	v_fmac_f32_e32 v36, 0xb102e308, v34
	v_pk_add_f32 v[34:35], v[6:7], v[36:37]
	v_sub_f32_e32 v21, v35, v37
	v_sub_f32_e32 v21, v7, v21
	v_add_f32_e32 v39, v38, v21
	v_mov_b32_e32 v38, v6
	v_pk_add_f32 v[6:7], v[34:35], v[6:7] neg_lo:[0,1] neg_hi:[0,1]
	v_pk_add_f32 v[40:41], v[34:35], v[38:39]
	v_mov_b32_e32 v7, v41
	v_mov_b32_e32 v37, v34
	v_pk_add_f32 v[42:43], v[36:37], v[6:7] neg_lo:[0,1] neg_hi:[0,1]
	v_pk_add_f32 v[6:7], v[36:37], v[6:7]
	v_mov_b32_e32 v36, v7
	v_pk_add_f32 v[44:45], v[36:37], v[34:35] neg_lo:[0,1] neg_hi:[0,1]
	v_mov_b32_e32 v21, v44
	v_pk_add_f32 v[46:47], v[40:41], v[20:21] neg_lo:[0,1] neg_hi:[0,1]
	v_mov_b32_e32 v6, v41
	v_mov_b32_e32 v40, v35
	;; [unrolled: 1-line block ×4, first 2 shown]
	v_pk_add_f32 v[6:7], v[6:7], v[40:41] neg_lo:[0,1] neg_hi:[0,1]
	v_mov_b32_e32 v38, v39
	v_mov_b32_e32 v39, v34
	v_pk_add_f32 v[6:7], v[38:39], v[6:7] neg_lo:[0,1] neg_hi:[0,1]
	v_mov_b32_e32 v46, v42
	v_pk_add_f32 v[34:35], v[46:47], v[6:7]
	v_mov_b32_e32 v38, v35
	v_pk_add_f32 v[38:39], v[34:35], v[38:39]
	v_pk_add_f32 v[36:37], v[36:37], v[38:39]
	v_mov_b32_e32 v35, v36
	v_pk_add_f32 v[40:41], v[34:35], v[42:43] neg_lo:[0,1] neg_hi:[0,1]
	v_mov_b32_e32 v7, v38
	v_sub_f32_e32 v21, v34, v40
	v_pk_add_f32 v[6:7], v[6:7], v[40:41] neg_lo:[0,1] neg_hi:[0,1]
	v_sub_f32_e32 v21, v42, v21
	v_add_f32_e32 v6, v6, v21
	v_cmp_eq_f32_e64 s[0:1], s30, v48
	s_mov_b32 s30, 0x33800000
	v_add_f32_e32 v6, v6, v7
	v_cmp_lt_f32_e64 s[30:31], |v48|, s30
	v_add_f32_e32 v6, v36, v6
	s_or_b64 s[0:1], s[0:1], s[30:31]
	v_cndmask_b32_e64 v6, v6, v48, s[0:1]
	v_add_f32_e32 v36, v2, v6
.LBB117_273:
	s_or_b64 exec, exec, s[28:29]
	v_max_f32_e32 v2, v36, v36
	v_min_f32_e32 v21, v2, v14
	v_max_f32_e32 v34, v2, v14
	v_mov_b32_e32 v2, v36
	;;#ASMSTART
	;;#ASMEND
.LBB117_274:
	s_or_b64 exec, exec, s[2:3]
	v_cmp_u_f32_e64 s[0:1], v2, v2
	v_cndmask_b32_e64 v6, v21, v2, s[0:1]
	v_cndmask_b32_e32 v7, v6, v3, vcc
	v_cndmask_b32_e64 v6, v34, v2, s[0:1]
	v_cndmask_b32_e32 v6, v6, v3, vcc
	s_movk_i32 s2, 0x1f8
	v_cmp_neq_f32_e32 vcc, v7, v6
	v_cmp_class_f32_e64 s[0:1], v7, s2
	s_or_b64 s[28:29], vcc, s[0:1]
	v_mov_b32_e32 v3, v2
	s_and_saveexec_b64 s[0:1], s[28:29]
	s_cbranch_execz .LBB117_276
; %bb.275:
	v_sub_f32_e32 v3, v7, v6
	s_mov_b32 s3, 0x3fb8aa3b
	v_mul_f32_e32 v7, 0x3fb8aa3b, v3
	v_fma_f32 v14, v3, s3, -v7
	v_rndne_f32_e32 v21, v7
	v_fmac_f32_e32 v14, 0x32a5705f, v3
	v_sub_f32_e32 v7, v7, v21
	v_add_f32_e32 v7, v7, v14
	v_exp_f32_e32 v7, v7
	v_cvt_i32_f32_e32 v14, v21
	s_mov_b32 s3, 0xc2ce8ed0
	v_cmp_ngt_f32_e32 vcc, s3, v3
	s_mov_b32 s3, 0x42b17218
	v_ldexp_f32 v7, v7, v14
	v_cndmask_b32_e32 v7, 0, v7, vcc
	v_mov_b32_e32 v14, 0x7f800000
	v_cmp_nlt_f32_e32 vcc, s3, v3
	v_cndmask_b32_e32 v7, v14, v7, vcc
	v_add_f32_e32 v3, 1.0, v7
	v_add_f32_e32 v14, -1.0, v3
	v_sub_f32_e32 v21, v14, v3
	v_add_f32_e32 v21, 1.0, v21
	v_sub_f32_e32 v14, v7, v14
	v_add_f32_e32 v14, v14, v21
	v_frexp_mant_f32_e32 v21, v3
	s_mov_b32 s3, 0x3f2aaaab
	v_cvt_f64_f32_e32 v[34:35], v3
	v_frexp_exp_i32_f64_e32 v34, v[34:35]
	v_cmp_gt_f32_e32 vcc, s3, v21
	v_subbrev_co_u32_e32 v21, vcc, 0, v34, vcc
	v_sub_u32_e32 v34, 0, v21
	v_ldexp_f32 v3, v3, v34
	v_ldexp_f32 v14, v14, v34
	v_add_f32_e32 v34, -1.0, v3
	v_add_f32_e32 v35, 1.0, v34
	v_sub_f32_e32 v35, v3, v35
	s_waitcnt lgkmcnt(0)
	v_add_f32_e32 v36, v14, v35
	v_add_f32_e32 v35, 1.0, v3
	v_add_f32_e32 v37, -1.0, v35
	v_sub_f32_e32 v3, v3, v37
	v_add_f32_e32 v3, v14, v3
	v_add_f32_e32 v14, v35, v3
	v_rcp_f32_e32 v42, v14
	v_sub_f32_e32 v35, v35, v14
	v_add_f32_e32 v3, v3, v35
	v_add_f32_e32 v35, v34, v36
	v_sub_f32_e32 v34, v34, v35
	v_mul_f32_e32 v44, v35, v42
	v_add_f32_e32 v43, v36, v34
	v_mul_f32_e32 v36, v14, v44
	v_fma_f32 v38, v44, v14, -v36
	v_fmac_f32_e32 v38, v44, v3
	v_add_f32_e32 v34, v36, v38
	v_sub_f32_e32 v37, v35, v34
	v_pk_add_f32 v[40:41], v[34:35], v[36:37] neg_lo:[0,1] neg_hi:[0,1]
	v_mov_b32_e32 v39, v34
	v_pk_add_f32 v[34:35], v[40:41], v[38:39] neg_lo:[0,1] neg_hi:[0,1]
	v_add_f32_e32 v35, v43, v35
	v_add_f32_e32 v34, v34, v35
	v_add_f32_e32 v35, v37, v34
	v_mul_f32_e32 v43, v42, v35
	v_mul_f32_e32 v36, v14, v43
	v_fma_f32 v38, v43, v14, -v36
	v_fmac_f32_e32 v38, v43, v3
	v_sub_f32_e32 v3, v37, v35
	v_add_f32_e32 v3, v34, v3
	v_add_f32_e32 v34, v36, v38
	v_sub_f32_e32 v37, v35, v34
	v_pk_add_f32 v[40:41], v[34:35], v[36:37] neg_lo:[0,1] neg_hi:[0,1]
	v_mov_b32_e32 v39, v34
	v_pk_add_f32 v[34:35], v[40:41], v[38:39] neg_lo:[0,1] neg_hi:[0,1]
	v_add_f32_e32 v3, v3, v35
	v_add_f32_e32 v3, v34, v3
	;; [unrolled: 1-line block ×4, first 2 shown]
	v_sub_f32_e32 v34, v14, v44
	v_mul_f32_e32 v3, v42, v3
	v_sub_f32_e32 v34, v43, v34
	v_add_f32_e32 v3, v34, v3
	v_add_f32_e32 v34, v14, v3
	v_mul_f32_e32 v37, v34, v34
	v_mov_b32_e32 v36, 0x3ecc95a3
	v_fmac_f32_e32 v36, 0x3e9b6dac, v37
	v_mov_b32_e32 v35, 0x3f2aaada
	v_fmac_f32_e32 v35, v37, v36
	v_cvt_f32_i32_e32 v36, v21
	v_sub_f32_e32 v14, v34, v14
	v_ldexp_f32 v39, v34, 1
	v_mul_f32_e32 v37, v34, v37
	v_mov_b32_e32 v34, 0x3f317218
	s_mov_b32 s3, 0x3f317218
	v_pk_mul_f32 v[34:35], v[36:37], v[34:35]
	v_fma_f32 v38, v36, s3, -v34
	v_fmac_f32_e32 v38, 0xb102e308, v36
	v_pk_add_f32 v[36:37], v[34:35], v[38:39]
	v_sub_f32_e32 v3, v3, v14
	v_sub_f32_e32 v14, v37, v39
	v_ldexp_f32 v3, v3, 1
	v_sub_f32_e32 v14, v35, v14
	v_add_f32_e32 v41, v3, v14
	v_mov_b32_e32 v40, v34
	v_pk_add_f32 v[34:35], v[36:37], v[34:35] neg_lo:[0,1] neg_hi:[0,1]
	v_pk_add_f32 v[42:43], v[36:37], v[40:41]
	v_mov_b32_e32 v35, v43
	v_mov_b32_e32 v39, v36
	v_pk_add_f32 v[44:45], v[38:39], v[34:35] neg_lo:[0,1] neg_hi:[0,1]
	v_pk_add_f32 v[34:35], v[38:39], v[34:35]
	v_mov_b32_e32 v14, v35
	v_pk_add_f32 v[38:39], v[14:15], v[36:37] neg_lo:[0,1] neg_hi:[0,1]
	v_mov_b32_e32 v3, v38
	v_pk_add_f32 v[46:47], v[42:43], v[2:3] neg_lo:[0,1] neg_hi:[0,1]
	v_mov_b32_e32 v34, v43
	v_mov_b32_e32 v42, v37
	;; [unrolled: 1-line block ×4, first 2 shown]
	v_pk_add_f32 v[34:35], v[34:35], v[42:43] neg_lo:[0,1] neg_hi:[0,1]
	v_mov_b32_e32 v38, v41
	v_mov_b32_e32 v39, v36
	v_pk_add_f32 v[34:35], v[38:39], v[34:35] neg_lo:[0,1] neg_hi:[0,1]
	v_mov_b32_e32 v46, v44
	v_pk_add_f32 v[36:37], v[46:47], v[34:35]
	v_mov_b32_e32 v38, v37
	v_pk_add_f32 v[38:39], v[36:37], v[38:39]
	v_pk_add_f32 v[40:41], v[14:15], v[38:39]
	v_mov_b32_e32 v37, v40
	v_pk_add_f32 v[42:43], v[36:37], v[44:45] neg_lo:[0,1] neg_hi:[0,1]
	v_mov_b32_e32 v35, v38
	v_sub_f32_e32 v3, v36, v42
	v_pk_add_f32 v[34:35], v[34:35], v[42:43] neg_lo:[0,1] neg_hi:[0,1]
	v_sub_f32_e32 v3, v44, v3
	s_mov_b32 s28, 0x7f800000
	v_add_f32_e32 v3, v34, v3
	s_mov_b32 s3, 0x33800000
	v_add_f32_e32 v3, v3, v35
	v_cmp_eq_f32_e32 vcc, s28, v7
	v_cmp_lt_f32_e64 s[28:29], |v7|, s3
	v_add_f32_e32 v3, v40, v3
	s_or_b64 vcc, vcc, s[28:29]
	v_cndmask_b32_e32 v3, v3, v7, vcc
	v_add_f32_e32 v3, v6, v3
.LBB117_276:
	s_or_b64 exec, exec, s[0:1]
	v_max_f32_e32 v6, v3, v3
	v_min_f32_e32 v7, v6, v8
	v_cmp_u_f32_e32 vcc, v3, v3
	v_max_f32_e32 v6, v6, v8
	v_cndmask_b32_e32 v7, v7, v3, vcc
	v_cndmask_b32_e32 v6, v6, v3, vcc
	v_cndmask_b32_e64 v7, v7, v4, s[4:5]
	v_cndmask_b32_e64 v6, v6, v4, s[4:5]
	v_cmp_neq_f32_e32 vcc, v7, v6
	v_cmp_class_f32_e64 s[0:1], v7, s2
	s_or_b64 s[2:3], vcc, s[0:1]
	v_mov_b32_e32 v4, v3
	s_and_saveexec_b64 s[0:1], s[2:3]
	s_cbranch_execz .LBB117_278
; %bb.277:
	v_sub_f32_e32 v4, v7, v6
	s_mov_b32 s2, 0x3fb8aa3b
	v_mul_f32_e32 v7, 0x3fb8aa3b, v4
	v_fma_f32 v8, v4, s2, -v7
	v_rndne_f32_e32 v14, v7
	v_fmac_f32_e32 v8, 0x32a5705f, v4
	v_sub_f32_e32 v7, v7, v14
	v_add_f32_e32 v7, v7, v8
	v_exp_f32_e32 v7, v7
	v_cvt_i32_f32_e32 v8, v14
	s_mov_b32 s2, 0xc2ce8ed0
	v_cmp_ngt_f32_e32 vcc, s2, v4
	s_mov_b32 s2, 0x42b17218
	v_ldexp_f32 v7, v7, v8
	v_cndmask_b32_e32 v7, 0, v7, vcc
	v_mov_b32_e32 v8, 0x7f800000
	v_cmp_nlt_f32_e32 vcc, s2, v4
	v_cndmask_b32_e32 v14, v8, v7, vcc
	v_add_f32_e32 v4, 1.0, v14
	v_add_f32_e32 v7, -1.0, v4
	v_sub_f32_e32 v8, v7, v4
	v_add_f32_e32 v8, 1.0, v8
	v_sub_f32_e32 v7, v14, v7
	v_add_f32_e32 v7, v7, v8
	v_frexp_mant_f32_e32 v8, v4
	s_mov_b32 s2, 0x3f2aaaab
	v_cvt_f64_f32_e32 v[34:35], v4
	v_frexp_exp_i32_f64_e32 v21, v[34:35]
	v_cmp_gt_f32_e32 vcc, s2, v8
	v_subbrev_co_u32_e32 v8, vcc, 0, v21, vcc
	v_sub_u32_e32 v21, 0, v8
	v_ldexp_f32 v4, v4, v21
	v_ldexp_f32 v7, v7, v21
	v_add_f32_e32 v21, -1.0, v4
	v_add_f32_e32 v35, 1.0, v4
	v_add_f32_e32 v34, 1.0, v21
	s_waitcnt lgkmcnt(0)
	v_add_f32_e32 v36, -1.0, v35
	v_sub_f32_e32 v34, v4, v34
	v_sub_f32_e32 v4, v4, v36
	v_add_f32_e32 v4, v7, v4
	v_add_f32_e32 v34, v7, v34
	v_add_f32_e32 v7, v35, v4
	v_rcp_f32_e32 v42, v7
	v_sub_f32_e32 v35, v35, v7
	v_add_f32_e32 v4, v4, v35
	v_add_f32_e32 v35, v21, v34
	v_mul_f32_e32 v43, v35, v42
	v_mul_f32_e32 v36, v7, v43
	v_fma_f32 v38, v43, v7, -v36
	v_sub_f32_e32 v21, v21, v35
	v_fmac_f32_e32 v38, v43, v4
	v_add_f32_e32 v21, v34, v21
	v_add_f32_e32 v34, v36, v38
	v_sub_f32_e32 v37, v35, v34
	v_pk_add_f32 v[40:41], v[34:35], v[36:37] neg_lo:[0,1] neg_hi:[0,1]
	v_mov_b32_e32 v39, v34
	v_pk_add_f32 v[34:35], v[40:41], v[38:39] neg_lo:[0,1] neg_hi:[0,1]
	v_add_f32_e32 v21, v21, v35
	v_add_f32_e32 v21, v34, v21
	;; [unrolled: 1-line block ×3, first 2 shown]
	v_mul_f32_e32 v44, v42, v35
	v_mul_f32_e32 v36, v7, v44
	v_fma_f32 v38, v44, v7, -v36
	v_fmac_f32_e32 v38, v44, v4
	v_add_f32_e32 v34, v36, v38
	v_sub_f32_e32 v4, v37, v35
	v_sub_f32_e32 v37, v35, v34
	v_pk_add_f32 v[40:41], v[34:35], v[36:37] neg_lo:[0,1] neg_hi:[0,1]
	v_mov_b32_e32 v39, v34
	v_add_f32_e32 v4, v21, v4
	v_pk_add_f32 v[34:35], v[40:41], v[38:39] neg_lo:[0,1] neg_hi:[0,1]
	v_add_f32_e32 v4, v4, v35
	v_add_f32_e32 v4, v34, v4
	;; [unrolled: 1-line block ×4, first 2 shown]
	v_sub_f32_e32 v21, v7, v43
	v_mul_f32_e32 v4, v42, v4
	v_sub_f32_e32 v21, v44, v21
	v_add_f32_e32 v4, v21, v4
	v_add_f32_e32 v21, v7, v4
	v_mul_f32_e32 v34, v21, v21
	v_mov_b32_e32 v36, 0x3ecc95a3
	v_fmac_f32_e32 v36, 0x3e9b6dac, v34
	v_mov_b32_e32 v35, 0x3f2aaada
	v_fmac_f32_e32 v35, v34, v36
	v_cvt_f32_i32_e32 v36, v8
	v_mul_f32_e32 v37, v21, v34
	v_mov_b32_e32 v34, 0x3f317218
	s_mov_b32 s2, 0x3f317218
	v_pk_mul_f32 v[34:35], v[36:37], v[34:35]
	v_fma_f32 v38, v36, s2, -v34
	v_ldexp_f32 v39, v21, 1
	v_fmac_f32_e32 v38, 0xb102e308, v36
	v_sub_f32_e32 v7, v21, v7
	v_pk_add_f32 v[36:37], v[34:35], v[38:39]
	v_sub_f32_e32 v4, v4, v7
	v_sub_f32_e32 v7, v37, v39
	v_ldexp_f32 v4, v4, 1
	v_sub_f32_e32 v7, v35, v7
	v_add_f32_e32 v41, v4, v7
	v_mov_b32_e32 v40, v34
	v_pk_add_f32 v[34:35], v[36:37], v[34:35] neg_lo:[0,1] neg_hi:[0,1]
	v_pk_add_f32 v[42:43], v[36:37], v[40:41]
	v_mov_b32_e32 v35, v43
	v_mov_b32_e32 v39, v36
	v_pk_add_f32 v[44:45], v[38:39], v[34:35] neg_lo:[0,1] neg_hi:[0,1]
	v_pk_add_f32 v[34:35], v[38:39], v[34:35]
	v_mov_b32_e32 v4, v35
	v_pk_add_f32 v[38:39], v[4:5], v[36:37] neg_lo:[0,1] neg_hi:[0,1]
	v_mov_b32_e32 v7, v38
	v_pk_add_f32 v[46:47], v[42:43], v[6:7] neg_lo:[0,1] neg_hi:[0,1]
	v_mov_b32_e32 v34, v43
	v_mov_b32_e32 v42, v37
	;; [unrolled: 1-line block ×4, first 2 shown]
	v_pk_add_f32 v[34:35], v[34:35], v[42:43] neg_lo:[0,1] neg_hi:[0,1]
	v_mov_b32_e32 v38, v41
	v_mov_b32_e32 v39, v36
	v_pk_add_f32 v[34:35], v[38:39], v[34:35] neg_lo:[0,1] neg_hi:[0,1]
	v_mov_b32_e32 v46, v44
	v_pk_add_f32 v[36:37], v[46:47], v[34:35]
	v_mov_b32_e32 v8, v37
	v_pk_add_f32 v[38:39], v[36:37], v[8:9]
	v_pk_add_f32 v[40:41], v[4:5], v[38:39]
	v_mov_b32_e32 v37, v40
	v_pk_add_f32 v[42:43], v[36:37], v[44:45] neg_lo:[0,1] neg_hi:[0,1]
	v_mov_b32_e32 v35, v38
	v_sub_f32_e32 v4, v36, v42
	v_pk_add_f32 v[34:35], v[34:35], v[42:43] neg_lo:[0,1] neg_hi:[0,1]
	v_sub_f32_e32 v4, v44, v4
	s_mov_b32 s3, 0x7f800000
	v_add_f32_e32 v4, v34, v4
	s_mov_b32 s2, 0x33800000
	v_add_f32_e32 v4, v4, v35
	v_cmp_eq_f32_e32 vcc, s3, v14
	v_cmp_lt_f32_e64 s[2:3], |v14|, s2
	v_add_f32_e32 v4, v40, v4
	s_or_b64 vcc, vcc, s[2:3]
	v_cndmask_b32_e32 v4, v4, v14, vcc
	v_add_f32_e32 v4, v6, v4
.LBB117_278:
	s_or_b64 exec, exec, s[0:1]
	v_max_f32_e32 v6, v4, v4
	v_min_f32_e32 v7, v6, v9
	v_cmp_u_f32_e32 vcc, v4, v4
	v_max_f32_e32 v6, v6, v9
	v_cndmask_b32_e32 v7, v7, v4, vcc
	v_cndmask_b32_e32 v6, v6, v4, vcc
	v_cndmask_b32_e64 v7, v7, v5, s[6:7]
	v_cndmask_b32_e64 v6, v6, v5, s[6:7]
	s_movk_i32 s2, 0x1f8
	v_cmp_neq_f32_e32 vcc, v7, v6
	v_cmp_class_f32_e64 s[0:1], v7, s2
	s_or_b64 s[4:5], vcc, s[0:1]
	v_mov_b32_e32 v5, v4
	s_and_saveexec_b64 s[0:1], s[4:5]
	s_cbranch_execz .LBB117_280
; %bb.279:
	v_sub_f32_e32 v5, v7, v6
	s_mov_b32 s3, 0x3fb8aa3b
	v_mul_f32_e32 v7, 0x3fb8aa3b, v5
	v_fma_f32 v8, v5, s3, -v7
	v_rndne_f32_e32 v9, v7
	v_fmac_f32_e32 v8, 0x32a5705f, v5
	v_sub_f32_e32 v7, v7, v9
	v_add_f32_e32 v7, v7, v8
	v_exp_f32_e32 v7, v7
	v_cvt_i32_f32_e32 v8, v9
	s_mov_b32 s3, 0xc2ce8ed0
	v_cmp_ngt_f32_e32 vcc, s3, v5
	s_mov_b32 s3, 0x42b17218
	v_ldexp_f32 v7, v7, v8
	v_cndmask_b32_e32 v7, 0, v7, vcc
	v_mov_b32_e32 v8, 0x7f800000
	v_cmp_nlt_f32_e32 vcc, s3, v5
	v_cndmask_b32_e32 v7, v8, v7, vcc
	v_add_f32_e32 v5, 1.0, v7
	v_add_f32_e32 v8, -1.0, v5
	v_sub_f32_e32 v9, v8, v5
	v_add_f32_e32 v9, 1.0, v9
	v_sub_f32_e32 v8, v7, v8
	v_add_f32_e32 v14, v8, v9
	v_frexp_mant_f32_e32 v21, v5
	s_mov_b32 s3, 0x3f2aaaab
	v_cvt_f64_f32_e32 v[8:9], v5
	v_frexp_exp_i32_f64_e32 v8, v[8:9]
	v_cmp_gt_f32_e32 vcc, s3, v21
	v_subbrev_co_u32_e32 v21, vcc, 0, v8, vcc
	v_sub_u32_e32 v8, 0, v21
	v_ldexp_f32 v5, v5, v8
	v_ldexp_f32 v8, v14, v8
	v_add_f32_e32 v14, -1.0, v5
	v_add_f32_e32 v9, 1.0, v14
	v_sub_f32_e32 v9, v5, v9
	v_add_f32_e32 v34, v8, v9
	v_add_f32_e32 v9, 1.0, v5
	v_add_f32_e32 v35, -1.0, v9
	v_sub_f32_e32 v5, v5, v35
	v_add_f32_e32 v5, v8, v5
	v_add_f32_e32 v40, v9, v5
	v_rcp_f32_e32 v41, v40
	v_sub_f32_e32 v8, v9, v40
	v_add_f32_e32 v9, v14, v34
	v_add_f32_e32 v5, v5, v8
	v_sub_f32_e32 v8, v14, v9
	v_mul_f32_e32 v42, v9, v41
	v_add_f32_e32 v14, v34, v8
	v_mul_f32_e32 v34, v40, v42
	s_waitcnt lgkmcnt(0)
	v_fma_f32 v36, v42, v40, -v34
	v_fmac_f32_e32 v36, v42, v5
	v_add_f32_e32 v8, v34, v36
	v_sub_f32_e32 v35, v9, v8
	v_pk_add_f32 v[38:39], v[8:9], v[34:35] neg_lo:[0,1] neg_hi:[0,1]
	v_mov_b32_e32 v37, v8
	v_pk_add_f32 v[8:9], v[38:39], v[36:37] neg_lo:[0,1] neg_hi:[0,1]
	v_add_f32_e32 v9, v14, v9
	v_add_f32_e32 v8, v8, v9
	v_add_f32_e32 v9, v35, v8
	v_mul_f32_e32 v14, v41, v9
	v_mul_f32_e32 v34, v40, v14
	v_fma_f32 v36, v14, v40, -v34
	v_fmac_f32_e32 v36, v14, v5
	v_sub_f32_e32 v5, v35, v9
	v_add_f32_e32 v5, v8, v5
	v_add_f32_e32 v8, v34, v36
	v_sub_f32_e32 v35, v9, v8
	v_pk_add_f32 v[38:39], v[8:9], v[34:35] neg_lo:[0,1] neg_hi:[0,1]
	v_mov_b32_e32 v37, v8
	v_pk_add_f32 v[8:9], v[38:39], v[36:37] neg_lo:[0,1] neg_hi:[0,1]
	v_add_f32_e32 v5, v5, v9
	v_add_f32_e32 v5, v8, v5
	v_add_f32_e32 v8, v42, v14
	v_add_f32_e32 v5, v35, v5
	v_sub_f32_e32 v9, v8, v42
	v_mul_f32_e32 v5, v41, v5
	v_sub_f32_e32 v9, v14, v9
	v_add_f32_e32 v5, v9, v5
	v_add_f32_e32 v14, v8, v5
	v_mul_f32_e32 v35, v14, v14
	v_mov_b32_e32 v34, 0x3ecc95a3
	v_fmac_f32_e32 v34, 0x3e9b6dac, v35
	v_mov_b32_e32 v9, 0x3f2aaada
	v_fmac_f32_e32 v9, v35, v34
	v_cvt_f32_i32_e32 v34, v21
	v_sub_f32_e32 v8, v14, v8
	v_sub_f32_e32 v5, v5, v8
	v_mul_f32_e32 v35, v14, v35
	v_mov_b32_e32 v8, 0x3f317218
	s_mov_b32 s3, 0x3f317218
	v_pk_mul_f32 v[8:9], v[34:35], v[8:9]
	v_fma_f32 v36, v34, s3, -v8
	v_ldexp_f32 v37, v14, 1
	v_fmac_f32_e32 v36, 0xb102e308, v34
	v_pk_add_f32 v[34:35], v[8:9], v[36:37]
	v_sub_f32_e32 v14, v35, v37
	v_ldexp_f32 v5, v5, 1
	v_sub_f32_e32 v14, v9, v14
	v_add_f32_e32 v39, v5, v14
	v_mov_b32_e32 v38, v8
	v_pk_add_f32 v[8:9], v[34:35], v[8:9] neg_lo:[0,1] neg_hi:[0,1]
	v_pk_add_f32 v[40:41], v[34:35], v[38:39]
	v_mov_b32_e32 v9, v41
	v_mov_b32_e32 v37, v34
	v_pk_add_f32 v[42:43], v[36:37], v[8:9] neg_lo:[0,1] neg_hi:[0,1]
	v_pk_add_f32 v[8:9], v[36:37], v[8:9]
	v_mov_b32_e32 v14, v9
	v_pk_add_f32 v[36:37], v[14:15], v[34:35] neg_lo:[0,1] neg_hi:[0,1]
	v_mov_b32_e32 v5, v36
	v_pk_add_f32 v[44:45], v[40:41], v[4:5] neg_lo:[0,1] neg_hi:[0,1]
	v_mov_b32_e32 v8, v41
	v_mov_b32_e32 v40, v35
	;; [unrolled: 1-line block ×4, first 2 shown]
	v_pk_add_f32 v[8:9], v[8:9], v[40:41] neg_lo:[0,1] neg_hi:[0,1]
	v_mov_b32_e32 v36, v39
	v_mov_b32_e32 v37, v34
	v_pk_add_f32 v[8:9], v[36:37], v[8:9] neg_lo:[0,1] neg_hi:[0,1]
	v_mov_b32_e32 v44, v42
	v_pk_add_f32 v[34:35], v[44:45], v[8:9]
	v_mov_b32_e32 v36, v35
	v_pk_add_f32 v[36:37], v[34:35], v[36:37]
	v_pk_add_f32 v[38:39], v[14:15], v[36:37]
	v_mov_b32_e32 v35, v38
	v_pk_add_f32 v[40:41], v[34:35], v[42:43] neg_lo:[0,1] neg_hi:[0,1]
	v_mov_b32_e32 v9, v36
	v_sub_f32_e32 v5, v34, v40
	v_pk_add_f32 v[8:9], v[8:9], v[40:41] neg_lo:[0,1] neg_hi:[0,1]
	v_sub_f32_e32 v5, v42, v5
	s_mov_b32 s4, 0x7f800000
	v_add_f32_e32 v5, v8, v5
	s_mov_b32 s3, 0x33800000
	v_add_f32_e32 v5, v5, v9
	v_cmp_eq_f32_e32 vcc, s4, v7
	v_cmp_lt_f32_e64 s[4:5], |v7|, s3
	v_add_f32_e32 v5, v38, v5
	s_or_b64 vcc, vcc, s[4:5]
	v_cndmask_b32_e32 v5, v5, v7, vcc
	v_add_f32_e32 v5, v6, v5
.LBB117_280:
	s_or_b64 exec, exec, s[0:1]
	v_max_f32_e32 v6, v5, v5
	v_min_f32_e32 v7, v6, v10
	v_cmp_u_f32_e32 vcc, v5, v5
	v_max_f32_e32 v6, v6, v10
	v_cndmask_b32_e32 v7, v7, v5, vcc
	v_cndmask_b32_e32 v6, v6, v5, vcc
	v_cndmask_b32_e64 v8, v7, v26, s[8:9]
	v_cndmask_b32_e64 v7, v6, v26, s[8:9]
	v_cmp_neq_f32_e32 vcc, v8, v7
	v_cmp_class_f32_e64 s[0:1], v8, s2
	s_or_b64 s[2:3], vcc, s[0:1]
	v_mov_b32_e32 v6, v5
	s_and_saveexec_b64 s[0:1], s[2:3]
	s_cbranch_execz .LBB117_282
; %bb.281:
	v_sub_f32_e32 v6, v8, v7
	s_mov_b32 s2, 0x3fb8aa3b
	v_mul_f32_e32 v8, 0x3fb8aa3b, v6
	v_fma_f32 v9, v6, s2, -v8
	v_rndne_f32_e32 v10, v8
	v_fmac_f32_e32 v9, 0x32a5705f, v6
	v_sub_f32_e32 v8, v8, v10
	v_add_f32_e32 v8, v8, v9
	v_exp_f32_e32 v8, v8
	v_cvt_i32_f32_e32 v9, v10
	s_mov_b32 s2, 0xc2ce8ed0
	v_cmp_ngt_f32_e32 vcc, s2, v6
	s_mov_b32 s2, 0x42b17218
	v_ldexp_f32 v8, v8, v9
	v_cndmask_b32_e32 v8, 0, v8, vcc
	v_mov_b32_e32 v9, 0x7f800000
	v_cmp_nlt_f32_e32 vcc, s2, v6
	v_cndmask_b32_e32 v14, v9, v8, vcc
	v_add_f32_e32 v6, 1.0, v14
	v_add_f32_e32 v8, -1.0, v6
	v_sub_f32_e32 v9, v8, v6
	v_add_f32_e32 v9, 1.0, v9
	v_sub_f32_e32 v8, v14, v8
	v_add_f32_e32 v10, v8, v9
	v_frexp_mant_f32_e32 v21, v6
	s_mov_b32 s2, 0x3f2aaaab
	v_cvt_f64_f32_e32 v[8:9], v6
	v_frexp_exp_i32_f64_e32 v8, v[8:9]
	v_cmp_gt_f32_e32 vcc, s2, v21
	v_subbrev_co_u32_e32 v21, vcc, 0, v8, vcc
	v_sub_u32_e32 v8, 0, v21
	v_ldexp_f32 v6, v6, v8
	v_ldexp_f32 v8, v10, v8
	v_add_f32_e32 v10, -1.0, v6
	v_add_f32_e32 v9, 1.0, v10
	v_sub_f32_e32 v9, v6, v9
	v_add_f32_e32 v26, v8, v9
	v_add_f32_e32 v9, 1.0, v6
	v_add_f32_e32 v34, -1.0, v9
	v_sub_f32_e32 v6, v6, v34
	v_add_f32_e32 v6, v8, v6
	v_add_f32_e32 v40, v9, v6
	v_rcp_f32_e32 v41, v40
	v_sub_f32_e32 v8, v9, v40
	v_add_f32_e32 v9, v10, v26
	v_add_f32_e32 v6, v6, v8
	v_sub_f32_e32 v8, v10, v9
	v_add_f32_e32 v10, v26, v8
	v_mul_f32_e32 v26, v9, v41
	v_mul_f32_e32 v34, v40, v26
	s_waitcnt lgkmcnt(0)
	v_fma_f32 v36, v26, v40, -v34
	v_fmac_f32_e32 v36, v26, v6
	v_add_f32_e32 v8, v34, v36
	v_sub_f32_e32 v35, v9, v8
	v_pk_add_f32 v[38:39], v[8:9], v[34:35] neg_lo:[0,1] neg_hi:[0,1]
	v_mov_b32_e32 v37, v8
	v_pk_add_f32 v[8:9], v[38:39], v[36:37] neg_lo:[0,1] neg_hi:[0,1]
	v_add_f32_e32 v9, v10, v9
	v_add_f32_e32 v8, v8, v9
	;; [unrolled: 1-line block ×3, first 2 shown]
	v_mul_f32_e32 v10, v41, v9
	v_mul_f32_e32 v34, v40, v10
	v_fma_f32 v36, v10, v40, -v34
	v_fmac_f32_e32 v36, v10, v6
	v_sub_f32_e32 v6, v35, v9
	v_add_f32_e32 v6, v8, v6
	v_add_f32_e32 v8, v34, v36
	v_sub_f32_e32 v35, v9, v8
	v_pk_add_f32 v[38:39], v[8:9], v[34:35] neg_lo:[0,1] neg_hi:[0,1]
	v_mov_b32_e32 v37, v8
	v_pk_add_f32 v[8:9], v[38:39], v[36:37] neg_lo:[0,1] neg_hi:[0,1]
	v_add_f32_e32 v6, v6, v9
	v_add_f32_e32 v6, v8, v6
	;; [unrolled: 1-line block ×4, first 2 shown]
	v_sub_f32_e32 v9, v8, v26
	v_mul_f32_e32 v6, v41, v6
	v_sub_f32_e32 v9, v10, v9
	v_add_f32_e32 v6, v9, v6
	v_add_f32_e32 v10, v8, v6
	v_mul_f32_e32 v26, v10, v10
	v_mov_b32_e32 v34, 0x3ecc95a3
	v_fmac_f32_e32 v34, 0x3e9b6dac, v26
	v_mov_b32_e32 v9, 0x3f2aaada
	v_fmac_f32_e32 v9, v26, v34
	v_cvt_f32_i32_e32 v34, v21
	v_sub_f32_e32 v8, v10, v8
	v_sub_f32_e32 v6, v6, v8
	v_mul_f32_e32 v35, v10, v26
	v_mov_b32_e32 v8, 0x3f317218
	s_mov_b32 s2, 0x3f317218
	v_pk_mul_f32 v[8:9], v[34:35], v[8:9]
	v_fma_f32 v36, v34, s2, -v8
	v_ldexp_f32 v37, v10, 1
	v_fmac_f32_e32 v36, 0xb102e308, v34
	v_pk_add_f32 v[34:35], v[8:9], v[36:37]
	v_sub_f32_e32 v10, v35, v37
	v_ldexp_f32 v6, v6, 1
	v_sub_f32_e32 v10, v9, v10
	v_add_f32_e32 v39, v6, v10
	v_mov_b32_e32 v38, v8
	v_pk_add_f32 v[8:9], v[34:35], v[8:9] neg_lo:[0,1] neg_hi:[0,1]
	v_pk_add_f32 v[40:41], v[34:35], v[38:39]
	v_mov_b32_e32 v9, v41
	v_mov_b32_e32 v37, v34
	v_pk_add_f32 v[42:43], v[36:37], v[8:9] neg_lo:[0,1] neg_hi:[0,1]
	v_pk_add_f32 v[8:9], v[36:37], v[8:9]
	v_mov_b32_e32 v6, v9
	v_pk_add_f32 v[36:37], v[6:7], v[34:35] neg_lo:[0,1] neg_hi:[0,1]
	v_mov_b32_e32 v21, v36
	v_pk_add_f32 v[44:45], v[40:41], v[20:21] neg_lo:[0,1] neg_hi:[0,1]
	v_mov_b32_e32 v8, v41
	v_mov_b32_e32 v40, v35
	;; [unrolled: 1-line block ×4, first 2 shown]
	v_pk_add_f32 v[8:9], v[8:9], v[40:41] neg_lo:[0,1] neg_hi:[0,1]
	v_mov_b32_e32 v36, v39
	v_mov_b32_e32 v37, v34
	v_pk_add_f32 v[8:9], v[36:37], v[8:9] neg_lo:[0,1] neg_hi:[0,1]
	v_mov_b32_e32 v44, v42
	v_pk_add_f32 v[34:35], v[44:45], v[8:9]
	v_mov_b32_e32 v10, v35
	v_pk_add_f32 v[36:37], v[34:35], v[10:11]
	v_pk_add_f32 v[38:39], v[6:7], v[36:37]
	v_mov_b32_e32 v35, v38
	v_pk_add_f32 v[40:41], v[34:35], v[42:43] neg_lo:[0,1] neg_hi:[0,1]
	v_mov_b32_e32 v9, v36
	v_sub_f32_e32 v6, v34, v40
	v_pk_add_f32 v[8:9], v[8:9], v[40:41] neg_lo:[0,1] neg_hi:[0,1]
	v_sub_f32_e32 v6, v42, v6
	s_mov_b32 s3, 0x7f800000
	v_add_f32_e32 v6, v8, v6
	s_mov_b32 s2, 0x33800000
	v_add_f32_e32 v6, v6, v9
	v_cmp_eq_f32_e32 vcc, s3, v14
	v_cmp_lt_f32_e64 s[2:3], |v14|, s2
	v_add_f32_e32 v6, v38, v6
	s_or_b64 vcc, vcc, s[2:3]
	v_cndmask_b32_e32 v6, v6, v14, vcc
	v_add_f32_e32 v6, v7, v6
.LBB117_282:
	s_or_b64 exec, exec, s[0:1]
	v_max_f32_e32 v7, v6, v6
	v_min_f32_e32 v8, v7, v11
	v_cmp_u_f32_e32 vcc, v6, v6
	v_max_f32_e32 v7, v7, v11
	v_cndmask_b32_e32 v8, v8, v6, vcc
	v_cndmask_b32_e32 v7, v7, v6, vcc
	v_cndmask_b32_e64 v9, v8, v27, s[10:11]
	v_cndmask_b32_e64 v8, v7, v27, s[10:11]
	s_movk_i32 s2, 0x1f8
	v_cmp_neq_f32_e32 vcc, v9, v8
	v_cmp_class_f32_e64 s[0:1], v9, s2
	s_or_b64 s[4:5], vcc, s[0:1]
	v_mov_b32_e32 v7, v6
	s_and_saveexec_b64 s[0:1], s[4:5]
	s_cbranch_execz .LBB117_284
; %bb.283:
	v_sub_f32_e32 v7, v9, v8
	s_mov_b32 s3, 0x3fb8aa3b
	v_mul_f32_e32 v9, 0x3fb8aa3b, v7
	v_fma_f32 v10, v7, s3, -v9
	v_rndne_f32_e32 v11, v9
	v_fmac_f32_e32 v10, 0x32a5705f, v7
	v_sub_f32_e32 v9, v9, v11
	v_add_f32_e32 v9, v9, v10
	v_exp_f32_e32 v9, v9
	v_cvt_i32_f32_e32 v10, v11
	s_mov_b32 s3, 0xc2ce8ed0
	v_cmp_ngt_f32_e32 vcc, s3, v7
	s_mov_b32 s3, 0x42b17218
	v_ldexp_f32 v9, v9, v10
	v_cndmask_b32_e32 v9, 0, v9, vcc
	v_mov_b32_e32 v10, 0x7f800000
	v_cmp_nlt_f32_e32 vcc, s3, v7
	v_cndmask_b32_e32 v9, v10, v9, vcc
	v_add_f32_e32 v7, 1.0, v9
	v_add_f32_e32 v10, -1.0, v7
	v_sub_f32_e32 v11, v10, v7
	v_add_f32_e32 v11, 1.0, v11
	v_sub_f32_e32 v10, v9, v10
	v_add_f32_e32 v14, v10, v11
	v_frexp_mant_f32_e32 v21, v7
	s_mov_b32 s3, 0x3f2aaaab
	v_cvt_f64_f32_e32 v[10:11], v7
	v_frexp_exp_i32_f64_e32 v10, v[10:11]
	v_cmp_gt_f32_e32 vcc, s3, v21
	v_subbrev_co_u32_e32 v21, vcc, 0, v10, vcc
	v_sub_u32_e32 v10, 0, v21
	v_ldexp_f32 v7, v7, v10
	v_ldexp_f32 v10, v14, v10
	v_add_f32_e32 v14, -1.0, v7
	v_add_f32_e32 v11, 1.0, v14
	v_sub_f32_e32 v11, v7, v11
	v_add_f32_e32 v26, v10, v11
	v_add_f32_e32 v11, 1.0, v7
	v_add_f32_e32 v27, -1.0, v11
	v_sub_f32_e32 v7, v7, v27
	v_add_f32_e32 v7, v10, v7
	v_add_f32_e32 v38, v11, v7
	v_rcp_f32_e32 v39, v38
	v_sub_f32_e32 v10, v11, v38
	v_add_f32_e32 v11, v14, v26
	v_add_f32_e32 v7, v7, v10
	v_sub_f32_e32 v10, v14, v11
	v_mul_f32_e32 v40, v11, v39
	v_add_f32_e32 v14, v26, v10
	v_mul_f32_e32 v26, v38, v40
	v_fma_f32 v34, v40, v38, -v26
	v_fmac_f32_e32 v34, v40, v7
	v_add_f32_e32 v10, v26, v34
	v_sub_f32_e32 v27, v11, v10
	s_waitcnt lgkmcnt(0)
	v_pk_add_f32 v[36:37], v[10:11], v[26:27] neg_lo:[0,1] neg_hi:[0,1]
	v_mov_b32_e32 v35, v10
	v_pk_add_f32 v[10:11], v[36:37], v[34:35] neg_lo:[0,1] neg_hi:[0,1]
	v_add_f32_e32 v11, v14, v11
	v_add_f32_e32 v10, v10, v11
	v_add_f32_e32 v11, v27, v10
	v_mul_f32_e32 v14, v39, v11
	v_mul_f32_e32 v26, v38, v14
	v_fma_f32 v34, v14, v38, -v26
	v_fmac_f32_e32 v34, v14, v7
	v_sub_f32_e32 v7, v27, v11
	v_add_f32_e32 v7, v10, v7
	v_add_f32_e32 v10, v26, v34
	v_sub_f32_e32 v27, v11, v10
	v_pk_add_f32 v[36:37], v[10:11], v[26:27] neg_lo:[0,1] neg_hi:[0,1]
	v_mov_b32_e32 v35, v10
	v_pk_add_f32 v[10:11], v[36:37], v[34:35] neg_lo:[0,1] neg_hi:[0,1]
	v_add_f32_e32 v7, v7, v11
	v_add_f32_e32 v7, v10, v7
	;; [unrolled: 1-line block ×4, first 2 shown]
	v_sub_f32_e32 v11, v10, v40
	v_mul_f32_e32 v7, v39, v7
	v_sub_f32_e32 v11, v14, v11
	v_add_f32_e32 v7, v11, v7
	v_add_f32_e32 v14, v10, v7
	v_mul_f32_e32 v27, v14, v14
	v_mov_b32_e32 v26, 0x3ecc95a3
	v_fmac_f32_e32 v26, 0x3e9b6dac, v27
	v_mov_b32_e32 v11, 0x3f2aaada
	v_fmac_f32_e32 v11, v27, v26
	v_cvt_f32_i32_e32 v26, v21
	v_sub_f32_e32 v10, v14, v10
	v_sub_f32_e32 v7, v7, v10
	v_mul_f32_e32 v27, v14, v27
	v_mov_b32_e32 v10, 0x3f317218
	s_mov_b32 s3, 0x3f317218
	v_pk_mul_f32 v[10:11], v[26:27], v[10:11]
	v_fma_f32 v34, v26, s3, -v10
	v_ldexp_f32 v35, v14, 1
	v_fmac_f32_e32 v34, 0xb102e308, v26
	v_pk_add_f32 v[26:27], v[10:11], v[34:35]
	v_sub_f32_e32 v14, v27, v35
	v_ldexp_f32 v7, v7, 1
	v_sub_f32_e32 v14, v11, v14
	v_add_f32_e32 v37, v7, v14
	v_mov_b32_e32 v36, v10
	v_pk_add_f32 v[10:11], v[26:27], v[10:11] neg_lo:[0,1] neg_hi:[0,1]
	v_pk_add_f32 v[38:39], v[26:27], v[36:37]
	v_mov_b32_e32 v11, v39
	v_mov_b32_e32 v35, v26
	v_pk_add_f32 v[40:41], v[34:35], v[10:11] neg_lo:[0,1] neg_hi:[0,1]
	v_pk_add_f32 v[10:11], v[34:35], v[10:11]
	v_mov_b32_e32 v14, v11
	v_pk_add_f32 v[34:35], v[14:15], v[26:27] neg_lo:[0,1] neg_hi:[0,1]
	v_mov_b32_e32 v7, v34
	v_pk_add_f32 v[42:43], v[38:39], v[6:7] neg_lo:[0,1] neg_hi:[0,1]
	v_mov_b32_e32 v10, v39
	v_mov_b32_e32 v38, v27
	;; [unrolled: 1-line block ×4, first 2 shown]
	v_pk_add_f32 v[10:11], v[10:11], v[38:39] neg_lo:[0,1] neg_hi:[0,1]
	v_mov_b32_e32 v34, v37
	v_mov_b32_e32 v35, v26
	v_pk_add_f32 v[10:11], v[34:35], v[10:11] neg_lo:[0,1] neg_hi:[0,1]
	v_mov_b32_e32 v42, v40
	v_pk_add_f32 v[26:27], v[42:43], v[10:11]
	v_mov_b32_e32 v34, v27
	v_pk_add_f32 v[34:35], v[26:27], v[34:35]
	v_pk_add_f32 v[36:37], v[14:15], v[34:35]
	v_mov_b32_e32 v27, v36
	v_pk_add_f32 v[38:39], v[26:27], v[40:41] neg_lo:[0,1] neg_hi:[0,1]
	v_mov_b32_e32 v11, v34
	v_sub_f32_e32 v7, v26, v38
	v_pk_add_f32 v[10:11], v[10:11], v[38:39] neg_lo:[0,1] neg_hi:[0,1]
	v_sub_f32_e32 v7, v40, v7
	s_mov_b32 s4, 0x7f800000
	v_add_f32_e32 v7, v10, v7
	s_mov_b32 s3, 0x33800000
	v_add_f32_e32 v7, v7, v11
	v_cmp_eq_f32_e32 vcc, s4, v9
	v_cmp_lt_f32_e64 s[4:5], |v9|, s3
	v_add_f32_e32 v7, v36, v7
	s_or_b64 vcc, vcc, s[4:5]
	v_cndmask_b32_e32 v7, v7, v9, vcc
	v_add_f32_e32 v7, v8, v7
.LBB117_284:
	s_or_b64 exec, exec, s[0:1]
	v_max_f32_e32 v8, v7, v7
	v_min_f32_e32 v9, v8, v12
	v_cmp_u_f32_e32 vcc, v7, v7
	v_max_f32_e32 v8, v8, v12
	v_cndmask_b32_e32 v9, v9, v7, vcc
	v_cndmask_b32_e32 v8, v8, v7, vcc
	v_cndmask_b32_e64 v10, v9, v28, s[12:13]
	v_cndmask_b32_e64 v9, v8, v28, s[12:13]
	v_cmp_neq_f32_e32 vcc, v10, v9
	v_cmp_class_f32_e64 s[0:1], v10, s2
	s_or_b64 s[2:3], vcc, s[0:1]
	v_mov_b32_e32 v8, v7
	s_and_saveexec_b64 s[0:1], s[2:3]
	s_cbranch_execz .LBB117_286
; %bb.285:
	v_sub_f32_e32 v8, v10, v9
	s_mov_b32 s2, 0x3fb8aa3b
	v_mul_f32_e32 v10, 0x3fb8aa3b, v8
	v_fma_f32 v11, v8, s2, -v10
	v_rndne_f32_e32 v12, v10
	v_fmac_f32_e32 v11, 0x32a5705f, v8
	v_sub_f32_e32 v10, v10, v12
	v_add_f32_e32 v10, v10, v11
	v_exp_f32_e32 v10, v10
	v_cvt_i32_f32_e32 v11, v12
	s_mov_b32 s2, 0xc2ce8ed0
	v_cmp_ngt_f32_e32 vcc, s2, v8
	s_mov_b32 s2, 0x42b17218
	v_ldexp_f32 v10, v10, v11
	v_cndmask_b32_e32 v10, 0, v10, vcc
	v_mov_b32_e32 v11, 0x7f800000
	v_cmp_nlt_f32_e32 vcc, s2, v8
	v_cndmask_b32_e32 v14, v11, v10, vcc
	v_add_f32_e32 v8, 1.0, v14
	v_add_f32_e32 v10, -1.0, v8
	v_sub_f32_e32 v11, v10, v8
	v_add_f32_e32 v11, 1.0, v11
	v_sub_f32_e32 v10, v14, v10
	v_add_f32_e32 v12, v10, v11
	v_frexp_mant_f32_e32 v21, v8
	s_mov_b32 s2, 0x3f2aaaab
	v_cvt_f64_f32_e32 v[10:11], v8
	v_frexp_exp_i32_f64_e32 v10, v[10:11]
	v_cmp_gt_f32_e32 vcc, s2, v21
	v_subbrev_co_u32_e32 v21, vcc, 0, v10, vcc
	v_sub_u32_e32 v10, 0, v21
	v_ldexp_f32 v8, v8, v10
	v_ldexp_f32 v10, v12, v10
	v_add_f32_e32 v12, -1.0, v8
	v_add_f32_e32 v11, 1.0, v12
	v_sub_f32_e32 v11, v8, v11
	v_add_f32_e32 v26, v10, v11
	v_add_f32_e32 v11, 1.0, v8
	v_add_f32_e32 v27, -1.0, v11
	v_sub_f32_e32 v8, v8, v27
	v_add_f32_e32 v8, v10, v8
	v_add_f32_e32 v28, v11, v8
	v_rcp_f32_e32 v38, v28
	v_sub_f32_e32 v10, v11, v28
	v_add_f32_e32 v11, v12, v26
	v_add_f32_e32 v8, v8, v10
	v_sub_f32_e32 v10, v12, v11
	v_mul_f32_e32 v39, v11, v38
	v_add_f32_e32 v12, v26, v10
	v_mul_f32_e32 v26, v28, v39
	v_fma_f32 v34, v39, v28, -v26
	v_fmac_f32_e32 v34, v39, v8
	v_add_f32_e32 v10, v26, v34
	v_sub_f32_e32 v27, v11, v10
	s_waitcnt lgkmcnt(0)
	v_pk_add_f32 v[36:37], v[10:11], v[26:27] neg_lo:[0,1] neg_hi:[0,1]
	v_mov_b32_e32 v35, v10
	v_pk_add_f32 v[10:11], v[36:37], v[34:35] neg_lo:[0,1] neg_hi:[0,1]
	v_add_f32_e32 v11, v12, v11
	v_add_f32_e32 v10, v10, v11
	;; [unrolled: 1-line block ×3, first 2 shown]
	v_mul_f32_e32 v12, v38, v11
	v_mul_f32_e32 v26, v28, v12
	v_fma_f32 v34, v12, v28, -v26
	v_fmac_f32_e32 v34, v12, v8
	v_sub_f32_e32 v8, v27, v11
	v_add_f32_e32 v8, v10, v8
	v_add_f32_e32 v10, v26, v34
	v_sub_f32_e32 v27, v11, v10
	v_pk_add_f32 v[36:37], v[10:11], v[26:27] neg_lo:[0,1] neg_hi:[0,1]
	v_mov_b32_e32 v35, v10
	v_pk_add_f32 v[10:11], v[36:37], v[34:35] neg_lo:[0,1] neg_hi:[0,1]
	v_add_f32_e32 v8, v8, v11
	v_add_f32_e32 v8, v10, v8
	;; [unrolled: 1-line block ×4, first 2 shown]
	v_sub_f32_e32 v11, v10, v39
	v_mul_f32_e32 v8, v38, v8
	v_sub_f32_e32 v11, v12, v11
	v_add_f32_e32 v8, v11, v8
	v_add_f32_e32 v12, v10, v8
	v_mul_f32_e32 v27, v12, v12
	v_mov_b32_e32 v26, 0x3ecc95a3
	v_fmac_f32_e32 v26, 0x3e9b6dac, v27
	v_mov_b32_e32 v11, 0x3f2aaada
	v_fmac_f32_e32 v11, v27, v26
	v_cvt_f32_i32_e32 v26, v21
	v_sub_f32_e32 v10, v12, v10
	v_sub_f32_e32 v8, v8, v10
	v_mul_f32_e32 v27, v12, v27
	v_mov_b32_e32 v10, 0x3f317218
	s_mov_b32 s2, 0x3f317218
	v_pk_mul_f32 v[10:11], v[26:27], v[10:11]
	v_fma_f32 v34, v26, s2, -v10
	v_ldexp_f32 v35, v12, 1
	v_fmac_f32_e32 v34, 0xb102e308, v26
	v_pk_add_f32 v[26:27], v[10:11], v[34:35]
	v_sub_f32_e32 v12, v27, v35
	v_ldexp_f32 v8, v8, 1
	v_sub_f32_e32 v12, v11, v12
	v_add_f32_e32 v37, v8, v12
	v_mov_b32_e32 v36, v10
	v_pk_add_f32 v[10:11], v[26:27], v[10:11] neg_lo:[0,1] neg_hi:[0,1]
	v_pk_add_f32 v[38:39], v[26:27], v[36:37]
	v_mov_b32_e32 v11, v39
	v_mov_b32_e32 v35, v26
	v_pk_add_f32 v[40:41], v[34:35], v[10:11] neg_lo:[0,1] neg_hi:[0,1]
	v_pk_add_f32 v[10:11], v[34:35], v[10:11]
	v_mov_b32_e32 v8, v11
	v_pk_add_f32 v[34:35], v[8:9], v[26:27] neg_lo:[0,1] neg_hi:[0,1]
	v_mov_b32_e32 v21, v34
	v_pk_add_f32 v[42:43], v[38:39], v[20:21] neg_lo:[0,1] neg_hi:[0,1]
	v_mov_b32_e32 v10, v39
	v_mov_b32_e32 v38, v27
	;; [unrolled: 1-line block ×4, first 2 shown]
	v_pk_add_f32 v[10:11], v[10:11], v[38:39] neg_lo:[0,1] neg_hi:[0,1]
	v_mov_b32_e32 v34, v37
	v_mov_b32_e32 v35, v26
	v_pk_add_f32 v[10:11], v[34:35], v[10:11] neg_lo:[0,1] neg_hi:[0,1]
	v_mov_b32_e32 v42, v40
	v_pk_add_f32 v[26:27], v[42:43], v[10:11]
	v_mov_b32_e32 v12, v27
	v_pk_add_f32 v[34:35], v[26:27], v[12:13]
	v_pk_add_f32 v[36:37], v[8:9], v[34:35]
	v_mov_b32_e32 v27, v36
	v_pk_add_f32 v[38:39], v[26:27], v[40:41] neg_lo:[0,1] neg_hi:[0,1]
	v_mov_b32_e32 v11, v34
	v_sub_f32_e32 v8, v26, v38
	v_pk_add_f32 v[10:11], v[10:11], v[38:39] neg_lo:[0,1] neg_hi:[0,1]
	v_sub_f32_e32 v8, v40, v8
	s_mov_b32 s3, 0x7f800000
	v_add_f32_e32 v8, v10, v8
	s_mov_b32 s2, 0x33800000
	v_add_f32_e32 v8, v8, v11
	v_cmp_eq_f32_e32 vcc, s3, v14
	v_cmp_lt_f32_e64 s[2:3], |v14|, s2
	v_add_f32_e32 v8, v36, v8
	s_or_b64 vcc, vcc, s[2:3]
	v_cndmask_b32_e32 v8, v8, v14, vcc
	v_add_f32_e32 v8, v9, v8
.LBB117_286:
	s_or_b64 exec, exec, s[0:1]
	v_max_f32_e32 v9, v8, v8
	v_min_f32_e32 v10, v9, v13
	v_cmp_u_f32_e32 vcc, v8, v8
	v_max_f32_e32 v9, v9, v13
	v_cndmask_b32_e32 v10, v10, v8, vcc
	v_cndmask_b32_e32 v9, v9, v8, vcc
	v_cndmask_b32_e64 v11, v10, v29, s[14:15]
	v_cndmask_b32_e64 v10, v9, v29, s[14:15]
	s_movk_i32 s2, 0x1f8
	v_cmp_neq_f32_e32 vcc, v11, v10
	v_cmp_class_f32_e64 s[0:1], v11, s2
	s_or_b64 s[4:5], vcc, s[0:1]
	v_mov_b32_e32 v9, v8
	s_and_saveexec_b64 s[0:1], s[4:5]
	s_cbranch_execz .LBB117_288
; %bb.287:
	v_sub_f32_e32 v9, v11, v10
	s_mov_b32 s3, 0x3fb8aa3b
	v_mul_f32_e32 v11, 0x3fb8aa3b, v9
	v_fma_f32 v12, v9, s3, -v11
	v_rndne_f32_e32 v13, v11
	v_fmac_f32_e32 v12, 0x32a5705f, v9
	v_sub_f32_e32 v11, v11, v13
	v_add_f32_e32 v11, v11, v12
	v_exp_f32_e32 v11, v11
	v_cvt_i32_f32_e32 v12, v13
	s_mov_b32 s3, 0xc2ce8ed0
	v_cmp_ngt_f32_e32 vcc, s3, v9
	s_mov_b32 s3, 0x42b17218
	v_ldexp_f32 v11, v11, v12
	v_cndmask_b32_e32 v11, 0, v11, vcc
	v_mov_b32_e32 v12, 0x7f800000
	v_cmp_nlt_f32_e32 vcc, s3, v9
	v_cndmask_b32_e32 v11, v12, v11, vcc
	v_add_f32_e32 v9, 1.0, v11
	v_add_f32_e32 v12, -1.0, v9
	v_sub_f32_e32 v13, v12, v9
	v_add_f32_e32 v13, 1.0, v13
	v_sub_f32_e32 v12, v11, v12
	v_add_f32_e32 v14, v12, v13
	v_frexp_mant_f32_e32 v21, v9
	s_mov_b32 s3, 0x3f2aaaab
	v_cvt_f64_f32_e32 v[12:13], v9
	v_frexp_exp_i32_f64_e32 v12, v[12:13]
	v_cmp_gt_f32_e32 vcc, s3, v21
	v_subbrev_co_u32_e32 v21, vcc, 0, v12, vcc
	v_sub_u32_e32 v12, 0, v21
	v_ldexp_f32 v9, v9, v12
	v_ldexp_f32 v12, v14, v12
	v_add_f32_e32 v14, -1.0, v9
	v_add_f32_e32 v13, 1.0, v14
	v_sub_f32_e32 v13, v9, v13
	v_add_f32_e32 v26, v12, v13
	v_add_f32_e32 v13, 1.0, v9
	v_add_f32_e32 v27, -1.0, v13
	v_sub_f32_e32 v9, v9, v27
	v_add_f32_e32 v9, v12, v9
	s_waitcnt lgkmcnt(0)
	v_add_f32_e32 v36, v13, v9
	v_rcp_f32_e32 v37, v36
	v_sub_f32_e32 v12, v13, v36
	v_add_f32_e32 v13, v14, v26
	v_add_f32_e32 v9, v9, v12
	v_sub_f32_e32 v12, v14, v13
	v_mul_f32_e32 v38, v13, v37
	v_add_f32_e32 v14, v26, v12
	v_mul_f32_e32 v26, v36, v38
	v_fma_f32 v28, v38, v36, -v26
	v_fmac_f32_e32 v28, v38, v9
	v_add_f32_e32 v12, v26, v28
	v_sub_f32_e32 v27, v13, v12
	v_pk_add_f32 v[34:35], v[12:13], v[26:27] neg_lo:[0,1] neg_hi:[0,1]
	v_mov_b32_e32 v29, v12
	v_pk_add_f32 v[12:13], v[34:35], v[28:29] neg_lo:[0,1] neg_hi:[0,1]
	v_add_f32_e32 v13, v14, v13
	v_add_f32_e32 v12, v12, v13
	;; [unrolled: 1-line block ×3, first 2 shown]
	v_mul_f32_e32 v14, v37, v13
	v_mul_f32_e32 v26, v36, v14
	v_fma_f32 v28, v14, v36, -v26
	v_fmac_f32_e32 v28, v14, v9
	v_sub_f32_e32 v9, v27, v13
	v_add_f32_e32 v9, v12, v9
	v_add_f32_e32 v12, v26, v28
	v_sub_f32_e32 v27, v13, v12
	v_pk_add_f32 v[34:35], v[12:13], v[26:27] neg_lo:[0,1] neg_hi:[0,1]
	v_mov_b32_e32 v29, v12
	v_pk_add_f32 v[12:13], v[34:35], v[28:29] neg_lo:[0,1] neg_hi:[0,1]
	v_add_f32_e32 v9, v9, v13
	v_add_f32_e32 v9, v12, v9
	;; [unrolled: 1-line block ×4, first 2 shown]
	v_sub_f32_e32 v13, v12, v38
	v_mul_f32_e32 v9, v37, v9
	v_sub_f32_e32 v13, v14, v13
	v_add_f32_e32 v9, v13, v9
	v_add_f32_e32 v14, v12, v9
	v_mul_f32_e32 v27, v14, v14
	v_mov_b32_e32 v26, 0x3ecc95a3
	v_fmac_f32_e32 v26, 0x3e9b6dac, v27
	v_mov_b32_e32 v13, 0x3f2aaada
	v_fmac_f32_e32 v13, v27, v26
	v_cvt_f32_i32_e32 v26, v21
	v_sub_f32_e32 v12, v14, v12
	v_sub_f32_e32 v9, v9, v12
	v_mul_f32_e32 v27, v14, v27
	v_mov_b32_e32 v12, 0x3f317218
	s_mov_b32 s3, 0x3f317218
	v_pk_mul_f32 v[12:13], v[26:27], v[12:13]
	v_fma_f32 v28, v26, s3, -v12
	v_ldexp_f32 v29, v14, 1
	v_fmac_f32_e32 v28, 0xb102e308, v26
	v_pk_add_f32 v[26:27], v[12:13], v[28:29]
	v_sub_f32_e32 v14, v27, v29
	v_ldexp_f32 v9, v9, 1
	v_sub_f32_e32 v14, v13, v14
	v_add_f32_e32 v35, v9, v14
	v_mov_b32_e32 v34, v12
	v_pk_add_f32 v[12:13], v[26:27], v[12:13] neg_lo:[0,1] neg_hi:[0,1]
	v_pk_add_f32 v[36:37], v[26:27], v[34:35]
	v_mov_b32_e32 v13, v37
	v_mov_b32_e32 v29, v26
	v_pk_add_f32 v[38:39], v[28:29], v[12:13] neg_lo:[0,1] neg_hi:[0,1]
	v_pk_add_f32 v[12:13], v[28:29], v[12:13]
	v_mov_b32_e32 v14, v13
	v_pk_add_f32 v[28:29], v[14:15], v[26:27] neg_lo:[0,1] neg_hi:[0,1]
	v_mov_b32_e32 v9, v28
	v_pk_add_f32 v[40:41], v[36:37], v[8:9] neg_lo:[0,1] neg_hi:[0,1]
	v_mov_b32_e32 v12, v37
	v_mov_b32_e32 v36, v27
	;; [unrolled: 1-line block ×4, first 2 shown]
	v_pk_add_f32 v[12:13], v[12:13], v[36:37] neg_lo:[0,1] neg_hi:[0,1]
	v_mov_b32_e32 v28, v35
	v_mov_b32_e32 v29, v26
	v_pk_add_f32 v[12:13], v[28:29], v[12:13] neg_lo:[0,1] neg_hi:[0,1]
	v_mov_b32_e32 v40, v38
	v_pk_add_f32 v[26:27], v[40:41], v[12:13]
	v_mov_b32_e32 v28, v27
	v_pk_add_f32 v[28:29], v[26:27], v[28:29]
	v_pk_add_f32 v[34:35], v[14:15], v[28:29]
	v_mov_b32_e32 v27, v34
	v_pk_add_f32 v[36:37], v[26:27], v[38:39] neg_lo:[0,1] neg_hi:[0,1]
	v_mov_b32_e32 v13, v28
	v_sub_f32_e32 v9, v26, v36
	v_pk_add_f32 v[12:13], v[12:13], v[36:37] neg_lo:[0,1] neg_hi:[0,1]
	v_sub_f32_e32 v9, v38, v9
	s_mov_b32 s4, 0x7f800000
	v_add_f32_e32 v9, v12, v9
	s_mov_b32 s3, 0x33800000
	v_add_f32_e32 v9, v9, v13
	v_cmp_eq_f32_e32 vcc, s4, v11
	v_cmp_lt_f32_e64 s[4:5], |v11|, s3
	v_add_f32_e32 v9, v34, v9
	s_or_b64 vcc, vcc, s[4:5]
	v_cndmask_b32_e32 v9, v9, v11, vcc
	v_add_f32_e32 v9, v10, v9
.LBB117_288:
	s_or_b64 exec, exec, s[0:1]
	v_max_f32_e32 v10, v9, v9
	v_min_f32_e32 v11, v10, v15
	v_cmp_u_f32_e32 vcc, v9, v9
	v_max_f32_e32 v10, v10, v15
	v_cndmask_b32_e32 v11, v11, v9, vcc
	v_cndmask_b32_e32 v10, v10, v9, vcc
	v_cndmask_b32_e64 v12, v11, v22, s[16:17]
	v_cndmask_b32_e64 v11, v10, v22, s[16:17]
	v_cmp_neq_f32_e32 vcc, v12, v11
	v_cmp_class_f32_e64 s[0:1], v12, s2
	s_or_b64 s[2:3], vcc, s[0:1]
	v_mov_b32_e32 v10, v9
	s_and_saveexec_b64 s[0:1], s[2:3]
	s_cbranch_execz .LBB117_290
; %bb.289:
	v_sub_f32_e32 v10, v12, v11
	s_mov_b32 s2, 0x3fb8aa3b
	v_mul_f32_e32 v12, 0x3fb8aa3b, v10
	v_fma_f32 v13, v10, s2, -v12
	v_rndne_f32_e32 v14, v12
	v_fmac_f32_e32 v13, 0x32a5705f, v10
	v_sub_f32_e32 v12, v12, v14
	v_add_f32_e32 v12, v12, v13
	v_exp_f32_e32 v12, v12
	v_cvt_i32_f32_e32 v13, v14
	s_mov_b32 s2, 0xc2ce8ed0
	v_cmp_ngt_f32_e32 vcc, s2, v10
	s_mov_b32 s2, 0x42b17218
	v_ldexp_f32 v12, v12, v13
	v_cndmask_b32_e32 v12, 0, v12, vcc
	v_mov_b32_e32 v13, 0x7f800000
	v_cmp_nlt_f32_e32 vcc, s2, v10
	v_cndmask_b32_e32 v40, v13, v12, vcc
	v_add_f32_e32 v10, 1.0, v40
	v_add_f32_e32 v12, -1.0, v10
	v_sub_f32_e32 v13, v12, v10
	v_add_f32_e32 v13, 1.0, v13
	v_sub_f32_e32 v12, v40, v12
	v_add_f32_e32 v14, v12, v13
	v_frexp_mant_f32_e32 v15, v10
	s_mov_b32 s2, 0x3f2aaaab
	v_cvt_f64_f32_e32 v[12:13], v10
	v_frexp_exp_i32_f64_e32 v12, v[12:13]
	v_cmp_gt_f32_e32 vcc, s2, v15
	v_subbrev_co_u32_e32 v21, vcc, 0, v12, vcc
	v_sub_u32_e32 v12, 0, v21
	v_ldexp_f32 v10, v10, v12
	v_ldexp_f32 v12, v14, v12
	v_add_f32_e32 v14, -1.0, v10
	v_add_f32_e32 v13, 1.0, v14
	v_sub_f32_e32 v13, v10, v13
	v_add_f32_e32 v15, v12, v13
	v_add_f32_e32 v13, 1.0, v10
	v_add_f32_e32 v22, -1.0, v13
	v_sub_f32_e32 v10, v10, v22
	v_add_f32_e32 v10, v12, v10
	v_add_f32_e32 v22, v13, v10
	v_rcp_f32_e32 v34, v22
	v_sub_f32_e32 v12, v13, v22
	v_add_f32_e32 v13, v14, v15
	v_add_f32_e32 v10, v10, v12
	s_waitcnt lgkmcnt(0)
	v_mul_f32_e32 v36, v13, v34
	v_sub_f32_e32 v12, v14, v13
	v_mul_f32_e32 v14, v22, v36
	v_fma_f32 v26, v36, v22, -v14
	v_fmac_f32_e32 v26, v36, v10
	v_add_f32_e32 v35, v15, v12
	v_add_f32_e32 v12, v14, v26
	v_sub_f32_e32 v15, v13, v12
	v_pk_add_f32 v[28:29], v[12:13], v[14:15] neg_lo:[0,1] neg_hi:[0,1]
	v_mov_b32_e32 v27, v12
	v_pk_add_f32 v[12:13], v[28:29], v[26:27] neg_lo:[0,1] neg_hi:[0,1]
	v_add_f32_e32 v13, v35, v13
	v_add_f32_e32 v12, v12, v13
	v_add_f32_e32 v13, v15, v12
	v_mul_f32_e32 v35, v34, v13
	v_mul_f32_e32 v14, v22, v35
	v_fma_f32 v26, v35, v22, -v14
	v_fmac_f32_e32 v26, v35, v10
	v_sub_f32_e32 v10, v15, v13
	v_add_f32_e32 v10, v12, v10
	v_add_f32_e32 v12, v14, v26
	v_sub_f32_e32 v15, v13, v12
	v_pk_add_f32 v[28:29], v[12:13], v[14:15] neg_lo:[0,1] neg_hi:[0,1]
	v_mov_b32_e32 v27, v12
	v_pk_add_f32 v[12:13], v[28:29], v[26:27] neg_lo:[0,1] neg_hi:[0,1]
	v_add_f32_e32 v10, v10, v13
	v_add_f32_e32 v10, v12, v10
	;; [unrolled: 1-line block ×4, first 2 shown]
	v_sub_f32_e32 v13, v12, v36
	v_mul_f32_e32 v10, v34, v10
	v_sub_f32_e32 v13, v35, v13
	v_add_f32_e32 v10, v13, v10
	v_add_f32_e32 v15, v12, v10
	v_mul_f32_e32 v22, v15, v15
	v_mov_b32_e32 v14, 0x3ecc95a3
	v_fmac_f32_e32 v14, 0x3e9b6dac, v22
	v_mov_b32_e32 v13, 0x3f2aaada
	v_fmac_f32_e32 v13, v22, v14
	v_cvt_f32_i32_e32 v14, v21
	v_sub_f32_e32 v12, v15, v12
	v_sub_f32_e32 v10, v10, v12
	v_ldexp_f32 v27, v15, 1
	v_mul_f32_e32 v15, v15, v22
	v_mov_b32_e32 v12, 0x3f317218
	s_mov_b32 s2, 0x3f317218
	v_pk_mul_f32 v[12:13], v[14:15], v[12:13]
	v_fma_f32 v26, v14, s2, -v12
	v_fmac_f32_e32 v26, 0xb102e308, v14
	v_pk_add_f32 v[14:15], v[12:13], v[26:27]
	v_sub_f32_e32 v21, v15, v27
	v_ldexp_f32 v10, v10, 1
	v_sub_f32_e32 v21, v13, v21
	v_add_f32_e32 v29, v10, v21
	v_mov_b32_e32 v28, v12
	v_pk_add_f32 v[12:13], v[14:15], v[12:13] neg_lo:[0,1] neg_hi:[0,1]
	v_pk_add_f32 v[34:35], v[14:15], v[28:29]
	v_mov_b32_e32 v13, v35
	v_mov_b32_e32 v27, v14
	v_pk_add_f32 v[36:37], v[26:27], v[12:13] neg_lo:[0,1] neg_hi:[0,1]
	v_pk_add_f32 v[12:13], v[26:27], v[12:13]
	v_mov_b32_e32 v10, v13
	v_pk_add_f32 v[26:27], v[10:11], v[14:15] neg_lo:[0,1] neg_hi:[0,1]
	v_mov_b32_e32 v21, v26
	v_pk_add_f32 v[38:39], v[34:35], v[20:21] neg_lo:[0,1] neg_hi:[0,1]
	v_mov_b32_e32 v12, v35
	v_mov_b32_e32 v34, v15
	;; [unrolled: 1-line block ×4, first 2 shown]
	v_pk_add_f32 v[12:13], v[12:13], v[34:35] neg_lo:[0,1] neg_hi:[0,1]
	v_mov_b32_e32 v26, v29
	v_mov_b32_e32 v27, v14
	v_pk_add_f32 v[12:13], v[26:27], v[12:13] neg_lo:[0,1] neg_hi:[0,1]
	v_mov_b32_e32 v38, v36
	v_pk_add_f32 v[14:15], v[38:39], v[12:13]
	v_mov_b32_e32 v22, v15
	v_pk_add_f32 v[26:27], v[14:15], v[22:23]
	v_pk_add_f32 v[28:29], v[10:11], v[26:27]
	v_mov_b32_e32 v15, v28
	v_pk_add_f32 v[34:35], v[14:15], v[36:37] neg_lo:[0,1] neg_hi:[0,1]
	v_mov_b32_e32 v13, v26
	v_sub_f32_e32 v10, v14, v34
	v_pk_add_f32 v[12:13], v[12:13], v[34:35] neg_lo:[0,1] neg_hi:[0,1]
	v_sub_f32_e32 v10, v36, v10
	s_mov_b32 s3, 0x7f800000
	v_add_f32_e32 v10, v12, v10
	s_mov_b32 s2, 0x33800000
	v_add_f32_e32 v10, v10, v13
	v_cmp_eq_f32_e32 vcc, s3, v40
	v_cmp_lt_f32_e64 s[2:3], |v40|, s2
	v_add_f32_e32 v10, v28, v10
	s_or_b64 vcc, vcc, s[2:3]
	v_cndmask_b32_e32 v10, v10, v40, vcc
	v_add_f32_e32 v10, v11, v10
.LBB117_290:
	s_or_b64 exec, exec, s[0:1]
	v_max_f32_e32 v11, v10, v10
	v_min_f32_e32 v12, v11, v16
	v_cmp_u_f32_e32 vcc, v10, v10
	v_max_f32_e32 v11, v11, v16
	v_cndmask_b32_e32 v12, v12, v10, vcc
	v_cndmask_b32_e32 v11, v11, v10, vcc
	v_cndmask_b32_e64 v13, v12, v23, s[18:19]
	v_cndmask_b32_e64 v12, v11, v23, s[18:19]
	s_movk_i32 s2, 0x1f8
	v_cmp_neq_f32_e32 vcc, v13, v12
	v_cmp_class_f32_e64 s[0:1], v13, s2
	s_or_b64 s[4:5], vcc, s[0:1]
	v_mov_b32_e32 v11, v10
	s_and_saveexec_b64 s[0:1], s[4:5]
	s_cbranch_execz .LBB117_292
; %bb.291:
	v_sub_f32_e32 v11, v13, v12
	s_mov_b32 s3, 0x3fb8aa3b
	v_mul_f32_e32 v13, 0x3fb8aa3b, v11
	v_fma_f32 v14, v11, s3, -v13
	v_rndne_f32_e32 v15, v13
	v_fmac_f32_e32 v14, 0x32a5705f, v11
	v_sub_f32_e32 v13, v13, v15
	v_add_f32_e32 v13, v13, v14
	v_exp_f32_e32 v13, v13
	v_cvt_i32_f32_e32 v14, v15
	s_mov_b32 s3, 0xc2ce8ed0
	v_cmp_ngt_f32_e32 vcc, s3, v11
	s_mov_b32 s3, 0x42b17218
	v_ldexp_f32 v13, v13, v14
	v_cndmask_b32_e32 v13, 0, v13, vcc
	v_mov_b32_e32 v14, 0x7f800000
	v_cmp_nlt_f32_e32 vcc, s3, v11
	v_cndmask_b32_e32 v13, v14, v13, vcc
	v_add_f32_e32 v11, 1.0, v13
	v_add_f32_e32 v14, -1.0, v11
	v_sub_f32_e32 v15, v14, v11
	v_add_f32_e32 v15, 1.0, v15
	v_sub_f32_e32 v14, v13, v14
	v_add_f32_e32 v16, v14, v15
	v_frexp_mant_f32_e32 v21, v11
	s_mov_b32 s3, 0x3f2aaaab
	v_cvt_f64_f32_e32 v[14:15], v11
	v_frexp_exp_i32_f64_e32 v14, v[14:15]
	v_cmp_gt_f32_e32 vcc, s3, v21
	v_subbrev_co_u32_e32 v21, vcc, 0, v14, vcc
	v_sub_u32_e32 v14, 0, v21
	v_ldexp_f32 v11, v11, v14
	v_ldexp_f32 v14, v16, v14
	v_add_f32_e32 v16, -1.0, v11
	v_add_f32_e32 v15, 1.0, v16
	v_sub_f32_e32 v15, v11, v15
	v_add_f32_e32 v22, v14, v15
	v_add_f32_e32 v15, 1.0, v11
	v_add_f32_e32 v23, -1.0, v15
	v_sub_f32_e32 v11, v11, v23
	v_add_f32_e32 v11, v14, v11
	v_add_f32_e32 v34, v15, v11
	v_rcp_f32_e32 v35, v34
	v_sub_f32_e32 v14, v15, v34
	v_add_f32_e32 v15, v16, v22
	v_add_f32_e32 v11, v11, v14
	v_sub_f32_e32 v14, v16, v15
	s_waitcnt lgkmcnt(0)
	v_mul_f32_e32 v36, v15, v35
	v_add_f32_e32 v16, v22, v14
	v_mul_f32_e32 v22, v34, v36
	v_fma_f32 v26, v36, v34, -v22
	v_fmac_f32_e32 v26, v36, v11
	v_add_f32_e32 v14, v22, v26
	v_sub_f32_e32 v23, v15, v14
	v_pk_add_f32 v[28:29], v[14:15], v[22:23] neg_lo:[0,1] neg_hi:[0,1]
	v_mov_b32_e32 v27, v14
	v_pk_add_f32 v[14:15], v[28:29], v[26:27] neg_lo:[0,1] neg_hi:[0,1]
	v_add_f32_e32 v15, v16, v15
	v_add_f32_e32 v14, v14, v15
	v_add_f32_e32 v15, v23, v14
	v_mul_f32_e32 v16, v35, v15
	v_mul_f32_e32 v22, v34, v16
	v_fma_f32 v26, v16, v34, -v22
	v_fmac_f32_e32 v26, v16, v11
	v_sub_f32_e32 v11, v23, v15
	v_add_f32_e32 v11, v14, v11
	v_add_f32_e32 v14, v22, v26
	v_sub_f32_e32 v23, v15, v14
	v_pk_add_f32 v[28:29], v[14:15], v[22:23] neg_lo:[0,1] neg_hi:[0,1]
	v_mov_b32_e32 v27, v14
	v_pk_add_f32 v[14:15], v[28:29], v[26:27] neg_lo:[0,1] neg_hi:[0,1]
	v_add_f32_e32 v11, v11, v15
	v_add_f32_e32 v11, v14, v11
	;; [unrolled: 1-line block ×4, first 2 shown]
	v_sub_f32_e32 v15, v14, v36
	v_mul_f32_e32 v11, v35, v11
	v_sub_f32_e32 v15, v16, v15
	v_add_f32_e32 v11, v15, v11
	v_add_f32_e32 v16, v14, v11
	v_mul_f32_e32 v23, v16, v16
	v_mov_b32_e32 v22, 0x3ecc95a3
	v_fmac_f32_e32 v22, 0x3e9b6dac, v23
	v_mov_b32_e32 v15, 0x3f2aaada
	v_fmac_f32_e32 v15, v23, v22
	v_cvt_f32_i32_e32 v22, v21
	v_sub_f32_e32 v14, v16, v14
	v_sub_f32_e32 v11, v11, v14
	v_mul_f32_e32 v23, v16, v23
	v_mov_b32_e32 v14, 0x3f317218
	s_mov_b32 s3, 0x3f317218
	v_pk_mul_f32 v[14:15], v[22:23], v[14:15]
	v_fma_f32 v26, v22, s3, -v14
	v_ldexp_f32 v27, v16, 1
	v_fmac_f32_e32 v26, 0xb102e308, v22
	v_pk_add_f32 v[22:23], v[14:15], v[26:27]
	v_sub_f32_e32 v16, v23, v27
	v_ldexp_f32 v11, v11, 1
	v_sub_f32_e32 v16, v15, v16
	v_add_f32_e32 v29, v11, v16
	v_mov_b32_e32 v28, v14
	v_pk_add_f32 v[14:15], v[22:23], v[14:15] neg_lo:[0,1] neg_hi:[0,1]
	v_pk_add_f32 v[34:35], v[22:23], v[28:29]
	v_mov_b32_e32 v15, v35
	v_mov_b32_e32 v27, v22
	v_pk_add_f32 v[36:37], v[26:27], v[14:15] neg_lo:[0,1] neg_hi:[0,1]
	v_pk_add_f32 v[14:15], v[26:27], v[14:15]
	v_mov_b32_e32 v16, v15
	v_pk_add_f32 v[26:27], v[16:17], v[22:23] neg_lo:[0,1] neg_hi:[0,1]
	v_mov_b32_e32 v11, v26
	v_pk_add_f32 v[38:39], v[34:35], v[10:11] neg_lo:[0,1] neg_hi:[0,1]
	v_mov_b32_e32 v14, v35
	v_mov_b32_e32 v34, v23
	;; [unrolled: 1-line block ×4, first 2 shown]
	v_pk_add_f32 v[14:15], v[14:15], v[34:35] neg_lo:[0,1] neg_hi:[0,1]
	v_mov_b32_e32 v26, v29
	v_mov_b32_e32 v27, v22
	v_pk_add_f32 v[14:15], v[26:27], v[14:15] neg_lo:[0,1] neg_hi:[0,1]
	v_mov_b32_e32 v38, v36
	v_pk_add_f32 v[22:23], v[38:39], v[14:15]
	v_mov_b32_e32 v26, v23
	v_pk_add_f32 v[26:27], v[22:23], v[26:27]
	v_pk_add_f32 v[28:29], v[16:17], v[26:27]
	v_mov_b32_e32 v23, v28
	v_pk_add_f32 v[34:35], v[22:23], v[36:37] neg_lo:[0,1] neg_hi:[0,1]
	v_mov_b32_e32 v15, v26
	v_sub_f32_e32 v11, v22, v34
	v_pk_add_f32 v[14:15], v[14:15], v[34:35] neg_lo:[0,1] neg_hi:[0,1]
	v_sub_f32_e32 v11, v36, v11
	s_mov_b32 s4, 0x7f800000
	v_add_f32_e32 v11, v14, v11
	s_mov_b32 s3, 0x33800000
	v_add_f32_e32 v11, v11, v15
	v_cmp_eq_f32_e32 vcc, s4, v13
	v_cmp_lt_f32_e64 s[4:5], |v13|, s3
	v_add_f32_e32 v11, v28, v11
	s_or_b64 vcc, vcc, s[4:5]
	v_cndmask_b32_e32 v11, v11, v13, vcc
	v_add_f32_e32 v11, v12, v11
.LBB117_292:
	s_or_b64 exec, exec, s[0:1]
	v_max_f32_e32 v12, v11, v11
	v_min_f32_e32 v13, v12, v17
	v_cmp_u_f32_e32 vcc, v11, v11
	v_max_f32_e32 v12, v12, v17
	v_cndmask_b32_e32 v13, v13, v11, vcc
	v_cndmask_b32_e32 v12, v12, v11, vcc
	v_cndmask_b32_e64 v14, v13, v24, s[20:21]
	v_cndmask_b32_e64 v13, v12, v24, s[20:21]
	v_cmp_neq_f32_e32 vcc, v14, v13
	v_cmp_class_f32_e64 s[0:1], v14, s2
	s_or_b64 s[2:3], vcc, s[0:1]
	v_mov_b32_e32 v12, v11
	s_and_saveexec_b64 s[0:1], s[2:3]
	s_cbranch_execz .LBB117_294
; %bb.293:
	v_sub_f32_e32 v12, v14, v13
	s_mov_b32 s2, 0x3fb8aa3b
	v_mul_f32_e32 v14, 0x3fb8aa3b, v12
	v_fma_f32 v15, v12, s2, -v14
	v_rndne_f32_e32 v16, v14
	v_fmac_f32_e32 v15, 0x32a5705f, v12
	v_sub_f32_e32 v14, v14, v16
	v_add_f32_e32 v14, v14, v15
	v_exp_f32_e32 v14, v14
	v_cvt_i32_f32_e32 v15, v16
	s_mov_b32 s2, 0xc2ce8ed0
	v_cmp_ngt_f32_e32 vcc, s2, v12
	s_mov_b32 s2, 0x42b17218
	v_ldexp_f32 v14, v14, v15
	v_cndmask_b32_e32 v14, 0, v14, vcc
	v_mov_b32_e32 v15, 0x7f800000
	v_cmp_nlt_f32_e32 vcc, s2, v12
	v_cndmask_b32_e32 v24, v15, v14, vcc
	v_add_f32_e32 v12, 1.0, v24
	v_add_f32_e32 v14, -1.0, v12
	v_sub_f32_e32 v15, v14, v12
	v_add_f32_e32 v15, 1.0, v15
	v_sub_f32_e32 v14, v24, v14
	v_add_f32_e32 v16, v14, v15
	v_frexp_mant_f32_e32 v17, v12
	s_mov_b32 s2, 0x3f2aaaab
	v_cvt_f64_f32_e32 v[14:15], v12
	v_frexp_exp_i32_f64_e32 v14, v[14:15]
	v_cmp_gt_f32_e32 vcc, s2, v17
	v_subbrev_co_u32_e32 v21, vcc, 0, v14, vcc
	v_sub_u32_e32 v14, 0, v21
	v_ldexp_f32 v12, v12, v14
	v_ldexp_f32 v14, v16, v14
	v_add_f32_e32 v16, -1.0, v12
	v_add_f32_e32 v15, 1.0, v16
	v_sub_f32_e32 v15, v12, v15
	v_add_f32_e32 v17, v14, v15
	v_add_f32_e32 v15, 1.0, v12
	v_add_f32_e32 v22, -1.0, v15
	v_sub_f32_e32 v12, v12, v22
	v_add_f32_e32 v12, v14, v12
	v_add_f32_e32 v28, v15, v12
	v_rcp_f32_e32 v29, v28
	v_sub_f32_e32 v14, v15, v28
	v_add_f32_e32 v15, v16, v17
	v_add_f32_e32 v12, v12, v14
	v_mul_f32_e32 v35, v15, v29
	v_sub_f32_e32 v14, v16, v15
	v_mul_f32_e32 v16, v28, v35
	v_fma_f32 v22, v35, v28, -v16
	v_fmac_f32_e32 v22, v35, v12
	v_add_f32_e32 v34, v17, v14
	v_add_f32_e32 v14, v16, v22
	v_sub_f32_e32 v17, v15, v14
	v_pk_add_f32 v[26:27], v[14:15], v[16:17] neg_lo:[0,1] neg_hi:[0,1]
	v_mov_b32_e32 v23, v14
	v_pk_add_f32 v[14:15], v[26:27], v[22:23] neg_lo:[0,1] neg_hi:[0,1]
	v_add_f32_e32 v15, v34, v15
	v_add_f32_e32 v14, v14, v15
	;; [unrolled: 1-line block ×3, first 2 shown]
	v_mul_f32_e32 v34, v29, v15
	v_mul_f32_e32 v16, v28, v34
	v_fma_f32 v22, v34, v28, -v16
	v_fmac_f32_e32 v22, v34, v12
	v_sub_f32_e32 v12, v17, v15
	v_add_f32_e32 v12, v14, v12
	v_add_f32_e32 v14, v16, v22
	v_sub_f32_e32 v17, v15, v14
	v_pk_add_f32 v[26:27], v[14:15], v[16:17] neg_lo:[0,1] neg_hi:[0,1]
	v_mov_b32_e32 v23, v14
	v_pk_add_f32 v[14:15], v[26:27], v[22:23] neg_lo:[0,1] neg_hi:[0,1]
	v_add_f32_e32 v12, v12, v15
	v_add_f32_e32 v12, v14, v12
	;; [unrolled: 1-line block ×4, first 2 shown]
	v_sub_f32_e32 v15, v14, v35
	v_mul_f32_e32 v12, v29, v12
	v_sub_f32_e32 v15, v34, v15
	v_add_f32_e32 v12, v15, v12
	v_add_f32_e32 v17, v14, v12
	v_mul_f32_e32 v22, v17, v17
	v_mov_b32_e32 v16, 0x3ecc95a3
	v_fmac_f32_e32 v16, 0x3e9b6dac, v22
	v_mov_b32_e32 v15, 0x3f2aaada
	v_fmac_f32_e32 v15, v22, v16
	v_cvt_f32_i32_e32 v16, v21
	v_sub_f32_e32 v14, v17, v14
	v_sub_f32_e32 v12, v12, v14
	v_ldexp_f32 v23, v17, 1
	v_mul_f32_e32 v17, v17, v22
	v_mov_b32_e32 v14, 0x3f317218
	s_mov_b32 s2, 0x3f317218
	v_pk_mul_f32 v[14:15], v[16:17], v[14:15]
	v_fma_f32 v22, v16, s2, -v14
	v_fmac_f32_e32 v22, 0xb102e308, v16
	v_pk_add_f32 v[16:17], v[14:15], v[22:23]
	v_sub_f32_e32 v21, v17, v23
	v_ldexp_f32 v12, v12, 1
	v_sub_f32_e32 v21, v15, v21
	v_add_f32_e32 v27, v12, v21
	v_mov_b32_e32 v26, v14
	v_pk_add_f32 v[14:15], v[16:17], v[14:15] neg_lo:[0,1] neg_hi:[0,1]
	v_pk_add_f32 v[28:29], v[16:17], v[26:27]
	v_mov_b32_e32 v15, v29
	v_mov_b32_e32 v23, v16
	v_pk_add_f32 v[34:35], v[22:23], v[14:15] neg_lo:[0,1] neg_hi:[0,1]
	v_pk_add_f32 v[14:15], v[22:23], v[14:15]
	v_mov_b32_e32 v12, v15
	v_pk_add_f32 v[22:23], v[12:13], v[16:17] neg_lo:[0,1] neg_hi:[0,1]
	v_mov_b32_e32 v21, v22
	s_waitcnt lgkmcnt(0)
	v_pk_add_f32 v[36:37], v[28:29], v[20:21] neg_lo:[0,1] neg_hi:[0,1]
	v_mov_b32_e32 v14, v29
	v_mov_b32_e32 v28, v17
	;; [unrolled: 1-line block ×4, first 2 shown]
	v_pk_add_f32 v[14:15], v[14:15], v[28:29] neg_lo:[0,1] neg_hi:[0,1]
	v_mov_b32_e32 v22, v27
	v_mov_b32_e32 v23, v16
	v_pk_add_f32 v[14:15], v[22:23], v[14:15] neg_lo:[0,1] neg_hi:[0,1]
	v_mov_b32_e32 v36, v34
	v_pk_add_f32 v[16:17], v[36:37], v[14:15]
	v_mov_b32_e32 v22, v17
	v_pk_add_f32 v[22:23], v[16:17], v[22:23]
	v_pk_add_f32 v[26:27], v[12:13], v[22:23]
	v_mov_b32_e32 v17, v26
	v_pk_add_f32 v[28:29], v[16:17], v[34:35] neg_lo:[0,1] neg_hi:[0,1]
	v_mov_b32_e32 v15, v22
	v_sub_f32_e32 v12, v16, v28
	v_pk_add_f32 v[14:15], v[14:15], v[28:29] neg_lo:[0,1] neg_hi:[0,1]
	v_sub_f32_e32 v12, v34, v12
	s_mov_b32 s3, 0x7f800000
	v_add_f32_e32 v12, v14, v12
	s_mov_b32 s2, 0x33800000
	v_add_f32_e32 v12, v12, v15
	v_cmp_eq_f32_e32 vcc, s3, v24
	v_cmp_lt_f32_e64 s[2:3], |v24|, s2
	v_add_f32_e32 v12, v26, v12
	s_or_b64 vcc, vcc, s[2:3]
	v_cndmask_b32_e32 v12, v12, v24, vcc
	v_add_f32_e32 v12, v13, v12
.LBB117_294:
	s_or_b64 exec, exec, s[0:1]
	v_max_f32_e32 v13, v12, v12
	v_min_f32_e32 v14, v13, v18
	v_cmp_u_f32_e32 vcc, v12, v12
	v_max_f32_e32 v13, v13, v18
	v_cndmask_b32_e32 v14, v14, v12, vcc
	v_cndmask_b32_e32 v13, v13, v12, vcc
	v_cndmask_b32_e64 v15, v14, v25, s[22:23]
	v_cndmask_b32_e64 v14, v13, v25, s[22:23]
	s_movk_i32 s2, 0x1f8
	v_cmp_neq_f32_e32 vcc, v15, v14
	v_cmp_class_f32_e64 s[0:1], v15, s2
	s_or_b64 s[4:5], vcc, s[0:1]
	v_mov_b32_e32 v13, v12
	s_and_saveexec_b64 s[0:1], s[4:5]
	s_cbranch_execz .LBB117_296
; %bb.295:
	v_sub_f32_e32 v13, v15, v14
	s_mov_b32 s3, 0x3fb8aa3b
	v_mul_f32_e32 v15, 0x3fb8aa3b, v13
	v_fma_f32 v16, v13, s3, -v15
	v_rndne_f32_e32 v17, v15
	v_fmac_f32_e32 v16, 0x32a5705f, v13
	v_sub_f32_e32 v15, v15, v17
	v_add_f32_e32 v15, v15, v16
	v_exp_f32_e32 v15, v15
	v_cvt_i32_f32_e32 v16, v17
	s_mov_b32 s3, 0xc2ce8ed0
	v_cmp_ngt_f32_e32 vcc, s3, v13
	s_mov_b32 s3, 0x42b17218
	v_ldexp_f32 v15, v15, v16
	v_cndmask_b32_e32 v15, 0, v15, vcc
	v_mov_b32_e32 v16, 0x7f800000
	v_cmp_nlt_f32_e32 vcc, s3, v13
	v_cndmask_b32_e32 v15, v16, v15, vcc
	v_add_f32_e32 v13, 1.0, v15
	v_add_f32_e32 v16, -1.0, v13
	v_sub_f32_e32 v17, v16, v13
	v_add_f32_e32 v17, 1.0, v17
	v_sub_f32_e32 v16, v15, v16
	v_add_f32_e32 v18, v16, v17
	v_frexp_mant_f32_e32 v21, v13
	s_mov_b32 s3, 0x3f2aaaab
	v_cvt_f64_f32_e32 v[16:17], v13
	v_frexp_exp_i32_f64_e32 v16, v[16:17]
	v_cmp_gt_f32_e32 vcc, s3, v21
	v_subbrev_co_u32_e32 v21, vcc, 0, v16, vcc
	v_sub_u32_e32 v16, 0, v21
	v_ldexp_f32 v13, v13, v16
	v_ldexp_f32 v16, v18, v16
	v_add_f32_e32 v18, -1.0, v13
	v_add_f32_e32 v17, 1.0, v18
	v_sub_f32_e32 v17, v13, v17
	v_add_f32_e32 v22, v16, v17
	v_add_f32_e32 v17, 1.0, v13
	v_add_f32_e32 v23, -1.0, v17
	v_sub_f32_e32 v13, v13, v23
	v_add_f32_e32 v13, v16, v13
	v_add_f32_e32 v28, v17, v13
	v_rcp_f32_e32 v29, v28
	v_sub_f32_e32 v16, v17, v28
	v_add_f32_e32 v17, v18, v22
	v_add_f32_e32 v13, v13, v16
	v_sub_f32_e32 v16, v18, v17
	v_mul_f32_e32 v34, v17, v29
	v_add_f32_e32 v18, v22, v16
	v_mul_f32_e32 v22, v28, v34
	v_fma_f32 v24, v34, v28, -v22
	v_fmac_f32_e32 v24, v34, v13
	v_add_f32_e32 v16, v22, v24
	v_sub_f32_e32 v23, v17, v16
	v_pk_add_f32 v[26:27], v[16:17], v[22:23] neg_lo:[0,1] neg_hi:[0,1]
	v_mov_b32_e32 v25, v16
	v_pk_add_f32 v[16:17], v[26:27], v[24:25] neg_lo:[0,1] neg_hi:[0,1]
	v_add_f32_e32 v17, v18, v17
	v_add_f32_e32 v16, v16, v17
	v_add_f32_e32 v17, v23, v16
	v_mul_f32_e32 v18, v29, v17
	v_mul_f32_e32 v22, v28, v18
	v_fma_f32 v24, v18, v28, -v22
	v_fmac_f32_e32 v24, v18, v13
	v_sub_f32_e32 v13, v23, v17
	v_add_f32_e32 v13, v16, v13
	v_add_f32_e32 v16, v22, v24
	v_sub_f32_e32 v23, v17, v16
	v_pk_add_f32 v[26:27], v[16:17], v[22:23] neg_lo:[0,1] neg_hi:[0,1]
	v_mov_b32_e32 v25, v16
	v_pk_add_f32 v[16:17], v[26:27], v[24:25] neg_lo:[0,1] neg_hi:[0,1]
	v_add_f32_e32 v13, v13, v17
	v_add_f32_e32 v13, v16, v13
	;; [unrolled: 1-line block ×4, first 2 shown]
	v_sub_f32_e32 v17, v16, v34
	v_mul_f32_e32 v13, v29, v13
	v_sub_f32_e32 v17, v18, v17
	v_add_f32_e32 v13, v17, v13
	v_add_f32_e32 v18, v16, v13
	v_mul_f32_e32 v23, v18, v18
	v_mov_b32_e32 v22, 0x3ecc95a3
	v_fmac_f32_e32 v22, 0x3e9b6dac, v23
	v_mov_b32_e32 v17, 0x3f2aaada
	v_fmac_f32_e32 v17, v23, v22
	v_cvt_f32_i32_e32 v22, v21
	v_sub_f32_e32 v16, v18, v16
	v_sub_f32_e32 v13, v13, v16
	v_mul_f32_e32 v23, v18, v23
	v_mov_b32_e32 v16, 0x3f317218
	s_mov_b32 s3, 0x3f317218
	v_pk_mul_f32 v[16:17], v[22:23], v[16:17]
	v_fma_f32 v24, v22, s3, -v16
	v_ldexp_f32 v25, v18, 1
	v_fmac_f32_e32 v24, 0xb102e308, v22
	v_pk_add_f32 v[22:23], v[16:17], v[24:25]
	v_sub_f32_e32 v18, v23, v25
	v_ldexp_f32 v13, v13, 1
	v_sub_f32_e32 v18, v17, v18
	v_add_f32_e32 v27, v13, v18
	v_mov_b32_e32 v26, v16
	v_pk_add_f32 v[16:17], v[22:23], v[16:17] neg_lo:[0,1] neg_hi:[0,1]
	v_pk_add_f32 v[28:29], v[22:23], v[26:27]
	v_mov_b32_e32 v17, v29
	v_mov_b32_e32 v25, v22
	v_pk_add_f32 v[34:35], v[24:25], v[16:17] neg_lo:[0,1] neg_hi:[0,1]
	v_pk_add_f32 v[16:17], v[24:25], v[16:17]
	v_mov_b32_e32 v18, v17
	v_pk_add_f32 v[24:25], v[18:19], v[22:23] neg_lo:[0,1] neg_hi:[0,1]
	v_mov_b32_e32 v13, v24
	s_waitcnt lgkmcnt(0)
	v_pk_add_f32 v[36:37], v[28:29], v[12:13] neg_lo:[0,1] neg_hi:[0,1]
	v_mov_b32_e32 v16, v29
	v_mov_b32_e32 v28, v23
	;; [unrolled: 1-line block ×4, first 2 shown]
	v_pk_add_f32 v[16:17], v[16:17], v[28:29] neg_lo:[0,1] neg_hi:[0,1]
	v_mov_b32_e32 v24, v27
	v_mov_b32_e32 v25, v22
	v_pk_add_f32 v[16:17], v[24:25], v[16:17] neg_lo:[0,1] neg_hi:[0,1]
	v_mov_b32_e32 v36, v34
	v_pk_add_f32 v[22:23], v[36:37], v[16:17]
	v_mov_b32_e32 v24, v23
	v_pk_add_f32 v[24:25], v[22:23], v[24:25]
	v_pk_add_f32 v[26:27], v[18:19], v[24:25]
	v_mov_b32_e32 v23, v26
	v_pk_add_f32 v[28:29], v[22:23], v[34:35] neg_lo:[0,1] neg_hi:[0,1]
	v_mov_b32_e32 v17, v24
	v_sub_f32_e32 v13, v22, v28
	v_pk_add_f32 v[16:17], v[16:17], v[28:29] neg_lo:[0,1] neg_hi:[0,1]
	v_sub_f32_e32 v13, v34, v13
	s_mov_b32 s4, 0x7f800000
	v_add_f32_e32 v13, v16, v13
	s_mov_b32 s3, 0x33800000
	v_add_f32_e32 v13, v13, v17
	v_cmp_eq_f32_e32 vcc, s4, v15
	v_cmp_lt_f32_e64 s[4:5], |v15|, s3
	v_add_f32_e32 v13, v26, v13
	s_or_b64 vcc, vcc, s[4:5]
	v_cndmask_b32_e32 v13, v13, v15, vcc
	v_add_f32_e32 v13, v14, v13
.LBB117_296:
	s_or_b64 exec, exec, s[0:1]
	v_max_f32_e32 v14, v13, v13
	v_min_f32_e32 v15, v14, v19
	v_cmp_u_f32_e32 vcc, v13, v13
	v_max_f32_e32 v14, v14, v19
	v_cndmask_b32_e32 v15, v15, v13, vcc
	v_cndmask_b32_e32 v14, v14, v13, vcc
	v_cndmask_b32_e64 v16, v15, v30, s[24:25]
	v_cndmask_b32_e64 v15, v14, v30, s[24:25]
	v_cmp_neq_f32_e32 vcc, v16, v15
	v_cmp_class_f32_e64 s[0:1], v16, s2
	s_or_b64 s[2:3], vcc, s[0:1]
	v_mov_b32_e32 v14, v13
	s_and_saveexec_b64 s[0:1], s[2:3]
	s_cbranch_execz .LBB117_298
; %bb.297:
	v_sub_f32_e32 v14, v16, v15
	s_mov_b32 s2, 0x3fb8aa3b
	v_mul_f32_e32 v16, 0x3fb8aa3b, v14
	v_fma_f32 v17, v14, s2, -v16
	v_rndne_f32_e32 v18, v16
	v_fmac_f32_e32 v17, 0x32a5705f, v14
	v_sub_f32_e32 v16, v16, v18
	v_add_f32_e32 v16, v16, v17
	v_exp_f32_e32 v16, v16
	v_cvt_i32_f32_e32 v17, v18
	s_mov_b32 s2, 0xc2ce8ed0
	v_cmp_ngt_f32_e32 vcc, s2, v14
	s_mov_b32 s2, 0x42b17218
	v_ldexp_f32 v16, v16, v17
	v_cndmask_b32_e32 v16, 0, v16, vcc
	v_mov_b32_e32 v17, 0x7f800000
	v_cmp_nlt_f32_e32 vcc, s2, v14
	v_cndmask_b32_e32 v30, v17, v16, vcc
	v_add_f32_e32 v14, 1.0, v30
	v_add_f32_e32 v16, -1.0, v14
	v_sub_f32_e32 v17, v16, v14
	v_add_f32_e32 v17, 1.0, v17
	v_sub_f32_e32 v16, v30, v16
	v_add_f32_e32 v18, v16, v17
	v_frexp_mant_f32_e32 v19, v14
	s_mov_b32 s2, 0x3f2aaaab
	v_cvt_f64_f32_e32 v[16:17], v14
	v_frexp_exp_i32_f64_e32 v16, v[16:17]
	v_cmp_gt_f32_e32 vcc, s2, v19
	v_subbrev_co_u32_e32 v21, vcc, 0, v16, vcc
	v_sub_u32_e32 v16, 0, v21
	v_ldexp_f32 v14, v14, v16
	v_ldexp_f32 v16, v18, v16
	v_add_f32_e32 v18, -1.0, v14
	v_add_f32_e32 v17, 1.0, v18
	v_sub_f32_e32 v17, v14, v17
	v_add_f32_e32 v19, v16, v17
	v_add_f32_e32 v17, 1.0, v14
	v_add_f32_e32 v22, -1.0, v17
	v_sub_f32_e32 v14, v14, v22
	v_add_f32_e32 v14, v16, v14
	v_add_f32_e32 v26, v17, v14
	v_rcp_f32_e32 v27, v26
	v_sub_f32_e32 v16, v17, v26
	v_add_f32_e32 v17, v18, v19
	v_add_f32_e32 v14, v14, v16
	v_mul_f32_e32 v29, v17, v27
	v_sub_f32_e32 v16, v18, v17
	v_mul_f32_e32 v18, v26, v29
	v_fma_f32 v22, v29, v26, -v18
	v_fmac_f32_e32 v22, v29, v14
	v_add_f32_e32 v28, v19, v16
	v_add_f32_e32 v16, v18, v22
	v_sub_f32_e32 v19, v17, v16
	v_pk_add_f32 v[24:25], v[16:17], v[18:19] neg_lo:[0,1] neg_hi:[0,1]
	v_mov_b32_e32 v23, v16
	v_pk_add_f32 v[16:17], v[24:25], v[22:23] neg_lo:[0,1] neg_hi:[0,1]
	v_add_f32_e32 v17, v28, v17
	v_add_f32_e32 v16, v16, v17
	;; [unrolled: 1-line block ×3, first 2 shown]
	v_mul_f32_e32 v28, v27, v17
	v_mul_f32_e32 v18, v26, v28
	v_fma_f32 v22, v28, v26, -v18
	v_fmac_f32_e32 v22, v28, v14
	v_sub_f32_e32 v14, v19, v17
	v_add_f32_e32 v14, v16, v14
	v_add_f32_e32 v16, v18, v22
	v_sub_f32_e32 v19, v17, v16
	v_pk_add_f32 v[24:25], v[16:17], v[18:19] neg_lo:[0,1] neg_hi:[0,1]
	v_mov_b32_e32 v23, v16
	v_pk_add_f32 v[16:17], v[24:25], v[22:23] neg_lo:[0,1] neg_hi:[0,1]
	v_add_f32_e32 v14, v14, v17
	v_add_f32_e32 v14, v16, v14
	v_add_f32_e32 v16, v29, v28
	v_add_f32_e32 v14, v19, v14
	v_sub_f32_e32 v17, v16, v29
	v_mul_f32_e32 v14, v27, v14
	v_sub_f32_e32 v17, v28, v17
	v_add_f32_e32 v14, v17, v14
	v_add_f32_e32 v19, v16, v14
	v_mul_f32_e32 v22, v19, v19
	v_mov_b32_e32 v18, 0x3ecc95a3
	v_fmac_f32_e32 v18, 0x3e9b6dac, v22
	v_mov_b32_e32 v17, 0x3f2aaada
	v_fmac_f32_e32 v17, v22, v18
	v_cvt_f32_i32_e32 v18, v21
	v_sub_f32_e32 v16, v19, v16
	v_sub_f32_e32 v14, v14, v16
	v_ldexp_f32 v23, v19, 1
	v_mul_f32_e32 v19, v19, v22
	v_mov_b32_e32 v16, 0x3f317218
	s_mov_b32 s2, 0x3f317218
	v_pk_mul_f32 v[16:17], v[18:19], v[16:17]
	v_fma_f32 v22, v18, s2, -v16
	v_fmac_f32_e32 v22, 0xb102e308, v18
	v_pk_add_f32 v[18:19], v[16:17], v[22:23]
	v_sub_f32_e32 v21, v19, v23
	v_ldexp_f32 v14, v14, 1
	v_sub_f32_e32 v21, v17, v21
	v_add_f32_e32 v25, v14, v21
	v_mov_b32_e32 v24, v16
	v_pk_add_f32 v[16:17], v[18:19], v[16:17] neg_lo:[0,1] neg_hi:[0,1]
	v_pk_add_f32 v[26:27], v[18:19], v[24:25]
	v_mov_b32_e32 v17, v27
	v_mov_b32_e32 v23, v18
	v_pk_add_f32 v[28:29], v[22:23], v[16:17] neg_lo:[0,1] neg_hi:[0,1]
	v_pk_add_f32 v[16:17], v[22:23], v[16:17]
	v_mov_b32_e32 v14, v17
	v_pk_add_f32 v[22:23], v[14:15], v[18:19] neg_lo:[0,1] neg_hi:[0,1]
	v_mov_b32_e32 v21, v22
	v_pk_add_f32 v[34:35], v[26:27], v[20:21] neg_lo:[0,1] neg_hi:[0,1]
	v_mov_b32_e32 v16, v27
	v_mov_b32_e32 v26, v19
	;; [unrolled: 1-line block ×4, first 2 shown]
	v_pk_add_f32 v[16:17], v[16:17], v[26:27] neg_lo:[0,1] neg_hi:[0,1]
	v_mov_b32_e32 v22, v25
	v_mov_b32_e32 v23, v18
	v_pk_add_f32 v[16:17], v[22:23], v[16:17] neg_lo:[0,1] neg_hi:[0,1]
	v_mov_b32_e32 v34, v28
	v_pk_add_f32 v[18:19], v[34:35], v[16:17]
	v_mov_b32_e32 v22, v19
	v_pk_add_f32 v[22:23], v[18:19], v[22:23]
	v_pk_add_f32 v[24:25], v[14:15], v[22:23]
	v_mov_b32_e32 v19, v24
	v_pk_add_f32 v[26:27], v[18:19], v[28:29] neg_lo:[0,1] neg_hi:[0,1]
	v_mov_b32_e32 v17, v22
	v_sub_f32_e32 v14, v18, v26
	v_pk_add_f32 v[16:17], v[16:17], v[26:27] neg_lo:[0,1] neg_hi:[0,1]
	v_sub_f32_e32 v14, v28, v14
	s_mov_b32 s3, 0x7f800000
	v_add_f32_e32 v14, v16, v14
	s_mov_b32 s2, 0x33800000
	v_add_f32_e32 v14, v14, v17
	v_cmp_eq_f32_e32 vcc, s3, v30
	v_cmp_lt_f32_e64 s[2:3], |v30|, s2
	v_add_f32_e32 v14, v24, v14
	s_or_b64 vcc, vcc, s[2:3]
	v_cndmask_b32_e32 v14, v14, v30, vcc
	v_add_f32_e32 v14, v15, v14
.LBB117_298:
	s_or_b64 exec, exec, s[0:1]
	v_max_f32_e32 v15, v14, v14
	v_min_f32_e32 v16, v15, v20
	v_cmp_u_f32_e32 vcc, v14, v14
	v_max_f32_e32 v15, v15, v20
	v_cndmask_b32_e32 v16, v16, v14, vcc
	v_cndmask_b32_e32 v15, v15, v14, vcc
	v_cndmask_b32_e64 v17, v16, v31, s[26:27]
	v_cndmask_b32_e64 v16, v15, v31, s[26:27]
	s_movk_i32 s0, 0x1f8
	v_cmp_neq_f32_e32 vcc, v17, v16
	v_cmp_class_f32_e64 s[0:1], v17, s0
	s_or_b64 s[2:3], vcc, s[0:1]
	v_mov_b32_e32 v15, v14
	s_and_saveexec_b64 s[0:1], s[2:3]
	s_cbranch_execz .LBB117_300
; %bb.299:
	v_sub_f32_e32 v15, v17, v16
	s_mov_b32 s2, 0x3fb8aa3b
	v_mul_f32_e32 v17, 0x3fb8aa3b, v15
	v_fma_f32 v18, v15, s2, -v17
	v_rndne_f32_e32 v19, v17
	v_fmac_f32_e32 v18, 0x32a5705f, v15
	v_sub_f32_e32 v17, v17, v19
	v_add_f32_e32 v17, v17, v18
	v_exp_f32_e32 v17, v17
	v_cvt_i32_f32_e32 v18, v19
	s_mov_b32 s2, 0xc2ce8ed0
	v_cmp_ngt_f32_e32 vcc, s2, v15
	s_mov_b32 s2, 0x42b17218
	v_ldexp_f32 v17, v17, v18
	v_cndmask_b32_e32 v17, 0, v17, vcc
	v_mov_b32_e32 v18, 0x7f800000
	v_cmp_nlt_f32_e32 vcc, s2, v15
	v_cndmask_b32_e32 v17, v18, v17, vcc
	v_add_f32_e32 v15, 1.0, v17
	v_add_f32_e32 v18, -1.0, v15
	v_sub_f32_e32 v19, v18, v15
	v_add_f32_e32 v19, 1.0, v19
	v_sub_f32_e32 v18, v17, v18
	v_add_f32_e32 v20, v18, v19
	v_frexp_mant_f32_e32 v21, v15
	s_mov_b32 s2, 0x3f2aaaab
	v_cvt_f64_f32_e32 v[18:19], v15
	v_frexp_exp_i32_f64_e32 v18, v[18:19]
	v_cmp_gt_f32_e32 vcc, s2, v21
	v_subbrev_co_u32_e32 v26, vcc, 0, v18, vcc
	v_sub_u32_e32 v18, 0, v26
	v_ldexp_f32 v15, v15, v18
	v_ldexp_f32 v18, v20, v18
	v_add_f32_e32 v20, -1.0, v15
	v_add_f32_e32 v19, 1.0, v20
	v_sub_f32_e32 v19, v15, v19
	v_add_f32_e32 v21, v18, v19
	v_add_f32_e32 v19, 1.0, v15
	v_add_f32_e32 v22, -1.0, v19
	v_sub_f32_e32 v15, v15, v22
	v_add_f32_e32 v15, v18, v15
	v_add_f32_e32 v27, v19, v15
	v_rcp_f32_e32 v28, v27
	v_sub_f32_e32 v18, v19, v27
	v_add_f32_e32 v19, v20, v21
	v_add_f32_e32 v15, v15, v18
	v_mul_f32_e32 v30, v19, v28
	v_sub_f32_e32 v18, v20, v19
	v_mul_f32_e32 v20, v27, v30
	v_fma_f32 v22, v30, v27, -v20
	v_fmac_f32_e32 v22, v30, v15
	v_add_f32_e32 v29, v21, v18
	v_add_f32_e32 v18, v20, v22
	v_sub_f32_e32 v21, v19, v18
	v_pk_add_f32 v[24:25], v[18:19], v[20:21] neg_lo:[0,1] neg_hi:[0,1]
	v_mov_b32_e32 v23, v18
	v_pk_add_f32 v[18:19], v[24:25], v[22:23] neg_lo:[0,1] neg_hi:[0,1]
	v_add_f32_e32 v19, v29, v19
	v_add_f32_e32 v18, v18, v19
	;; [unrolled: 1-line block ×3, first 2 shown]
	v_mul_f32_e32 v29, v28, v19
	v_mul_f32_e32 v20, v27, v29
	v_fma_f32 v22, v29, v27, -v20
	v_fmac_f32_e32 v22, v29, v15
	v_sub_f32_e32 v15, v21, v19
	v_add_f32_e32 v15, v18, v15
	v_add_f32_e32 v18, v20, v22
	v_sub_f32_e32 v21, v19, v18
	v_pk_add_f32 v[24:25], v[18:19], v[20:21] neg_lo:[0,1] neg_hi:[0,1]
	v_mov_b32_e32 v23, v18
	v_pk_add_f32 v[18:19], v[24:25], v[22:23] neg_lo:[0,1] neg_hi:[0,1]
	v_add_f32_e32 v15, v15, v19
	v_add_f32_e32 v15, v18, v15
	;; [unrolled: 1-line block ×4, first 2 shown]
	v_sub_f32_e32 v19, v18, v30
	v_mul_f32_e32 v15, v28, v15
	v_sub_f32_e32 v19, v29, v19
	v_add_f32_e32 v15, v19, v15
	v_add_f32_e32 v21, v18, v15
	v_mul_f32_e32 v22, v21, v21
	v_mov_b32_e32 v20, 0x3ecc95a3
	v_fmac_f32_e32 v20, 0x3e9b6dac, v22
	v_mov_b32_e32 v19, 0x3f2aaada
	v_fmac_f32_e32 v19, v22, v20
	v_cvt_f32_i32_e32 v20, v26
	v_sub_f32_e32 v18, v21, v18
	v_sub_f32_e32 v15, v15, v18
	v_ldexp_f32 v23, v21, 1
	v_mul_f32_e32 v21, v21, v22
	v_mov_b32_e32 v18, 0x3f317218
	s_mov_b32 s2, 0x3f317218
	v_pk_mul_f32 v[18:19], v[20:21], v[18:19]
	v_fma_f32 v22, v20, s2, -v18
	v_fmac_f32_e32 v22, 0xb102e308, v20
	v_pk_add_f32 v[20:21], v[18:19], v[22:23]
	v_sub_f32_e32 v23, v21, v23
	v_ldexp_f32 v15, v15, 1
	v_sub_f32_e32 v23, v19, v23
	v_add_f32_e32 v25, v15, v23
	v_mov_b32_e32 v24, v18
	v_pk_add_f32 v[18:19], v[20:21], v[18:19] neg_lo:[0,1] neg_hi:[0,1]
	v_pk_add_f32 v[26:27], v[20:21], v[24:25]
	v_mov_b32_e32 v19, v27
	v_mov_b32_e32 v23, v20
	v_pk_add_f32 v[28:29], v[22:23], v[18:19] neg_lo:[0,1] neg_hi:[0,1]
	v_pk_add_f32 v[18:19], v[22:23], v[18:19]
	v_mov_b32_e32 v22, v19
	v_pk_add_f32 v[30:31], v[22:23], v[20:21] neg_lo:[0,1] neg_hi:[0,1]
	v_mov_b32_e32 v15, v30
	v_pk_add_f32 v[34:35], v[26:27], v[14:15] neg_lo:[0,1] neg_hi:[0,1]
	v_mov_b32_e32 v18, v27
	v_mov_b32_e32 v26, v21
	;; [unrolled: 1-line block ×4, first 2 shown]
	v_pk_add_f32 v[18:19], v[18:19], v[26:27] neg_lo:[0,1] neg_hi:[0,1]
	v_mov_b32_e32 v24, v25
	v_mov_b32_e32 v25, v20
	v_pk_add_f32 v[18:19], v[24:25], v[18:19] neg_lo:[0,1] neg_hi:[0,1]
	v_mov_b32_e32 v34, v28
	v_pk_add_f32 v[20:21], v[34:35], v[18:19]
	v_mov_b32_e32 v24, v21
	v_pk_add_f32 v[24:25], v[20:21], v[24:25]
	v_pk_add_f32 v[22:23], v[22:23], v[24:25]
	v_mov_b32_e32 v21, v22
	v_pk_add_f32 v[26:27], v[20:21], v[28:29] neg_lo:[0,1] neg_hi:[0,1]
	v_mov_b32_e32 v19, v24
	v_sub_f32_e32 v15, v20, v26
	v_pk_add_f32 v[18:19], v[18:19], v[26:27] neg_lo:[0,1] neg_hi:[0,1]
	v_sub_f32_e32 v15, v28, v15
	s_mov_b32 s3, 0x7f800000
	v_add_f32_e32 v15, v18, v15
	s_mov_b32 s2, 0x33800000
	v_add_f32_e32 v15, v15, v19
	v_cmp_eq_f32_e32 vcc, s3, v17
	v_cmp_lt_f32_e64 s[2:3], |v17|, s2
	v_add_f32_e32 v15, v22, v15
	s_or_b64 vcc, vcc, s[2:3]
	v_cndmask_b32_e32 v15, v15, v17, vcc
	v_add_f32_e32 v15, v16, v15
.LBB117_300:
	s_or_b64 exec, exec, s[0:1]
	s_movk_i32 s0, 0x7f
	v_cmp_eq_u32_e32 vcc, s0, v0
	s_and_saveexec_b64 s[0:1], vcc
	s_cbranch_execz .LBB117_302
; %bb.301:
	v_mov_b32_e32 v18, 0
	v_mov_b32_e32 v17, 2
	;; [unrolled: 1-line block ×3, first 2 shown]
	global_store_dwordx2 v18, v[16:17], s[56:57] offset:512
.LBB117_302:
	s_or_b64 exec, exec, s[0:1]
	v_pk_mov_b32 v[20:21], v[16:17], v[16:17] op_sel:[0,1]
	v_pk_mov_b32 v[18:19], v[14:15], v[14:15] op_sel:[0,1]
	;; [unrolled: 1-line block ×8, first 2 shown]
.LBB117_303:
	s_add_u32 s0, s52, s50
	s_addc_u32 s1, s53, s51
	s_add_u32 s0, s0, s54
	s_addc_u32 s1, s1, s55
	s_mov_b64 s[2:3], -1
	s_and_b64 vcc, exec, s[48:49]
	s_waitcnt lgkmcnt(0)
	s_barrier
	s_cbranch_vccz .LBB117_305
; %bb.304:
	ds_write2_b64 v1, v[6:7], v[8:9] offset1:1
	ds_write2_b64 v1, v[10:11], v[12:13] offset0:2 offset1:3
	ds_write2_b64 v1, v[14:15], v[16:17] offset0:4 offset1:5
	ds_write_b64 v1, v[18:19] offset:48
	s_waitcnt lgkmcnt(0)
	s_barrier
	ds_read2st64_b32 v[2:3], v32 offset1:2
	ds_read2st64_b32 v[4:5], v32 offset0:4 offset1:6
	ds_read2st64_b32 v[20:21], v32 offset0:8 offset1:10
	;; [unrolled: 1-line block ×6, first 2 shown]
	v_mov_b32_e32 v30, s1
	v_add_co_u32_e32 v31, vcc, s0, v32
	v_addc_co_u32_e32 v30, vcc, 0, v30, vcc
	s_waitcnt lgkmcnt(6)
	global_store_dword v32, v2, s[0:1]
	global_store_dword v32, v3, s[0:1] offset:512
	s_waitcnt lgkmcnt(5)
	global_store_dword v32, v4, s[0:1] offset:1024
	global_store_dword v32, v5, s[0:1] offset:1536
	s_waitcnt lgkmcnt(4)
	global_store_dword v32, v20, s[0:1] offset:2048
	;; [unrolled: 3-line block ×3, first 2 shown]
	global_store_dword v32, v23, s[0:1] offset:3584
	v_add_co_u32_e32 v2, vcc, 0x1000, v31
	v_addc_co_u32_e32 v3, vcc, 0, v30, vcc
	s_waitcnt lgkmcnt(2)
	global_store_dword v[2:3], v24, off
	global_store_dword v[2:3], v25, off offset:512
	s_waitcnt lgkmcnt(1)
	global_store_dword v[2:3], v26, off offset:1024
	global_store_dword v[2:3], v27, off offset:1536
	s_waitcnt lgkmcnt(0)
	global_store_dword v[2:3], v28, off offset:2048
	global_store_dword v[2:3], v29, off offset:2560
	s_mov_b64 s[2:3], 0
.LBB117_305:
	s_andn2_b64 vcc, exec, s[2:3]
	s_cbranch_vccnz .LBB117_385
; %bb.306:
	ds_write2_b64 v1, v[6:7], v[8:9] offset1:1
	ds_write2_b64 v1, v[10:11], v[12:13] offset0:2 offset1:3
	ds_write2_b64 v1, v[14:15], v[16:17] offset0:4 offset1:5
	ds_write_b64 v1, v[18:19] offset:48
	s_waitcnt lgkmcnt(0)
	s_barrier
	ds_read2st64_b32 v[4:5], v32 offset1:2
	ds_read2st64_b32 v[6:7], v32 offset0:4 offset1:6
	ds_read2st64_b32 v[8:9], v32 offset0:8 offset1:10
	;; [unrolled: 1-line block ×6, first 2 shown]
	v_mov_b32_e32 v17, s1
	v_add_co_u32_e32 v16, vcc, s0, v32
	v_addc_co_u32_e32 v17, vcc, 0, v17, vcc
	v_mov_b32_e32 v1, 0
	v_cmp_gt_u32_e32 vcc, s33, v0
	s_and_saveexec_b64 s[0:1], vcc
	s_cbranch_execz .LBB117_308
; %bb.307:
	s_waitcnt lgkmcnt(6)
	global_store_dword v[16:17], v4, off
.LBB117_308:
	s_or_b64 exec, exec, s[0:1]
	v_or_b32_e32 v18, 0x80, v0
	v_cmp_gt_u32_e32 vcc, s33, v18
	s_and_saveexec_b64 s[0:1], vcc
	s_cbranch_execz .LBB117_310
; %bb.309:
	s_waitcnt lgkmcnt(6)
	global_store_dword v[16:17], v5, off offset:512
.LBB117_310:
	s_or_b64 exec, exec, s[0:1]
	v_or_b32_e32 v18, 0x100, v0
	v_cmp_gt_u32_e32 vcc, s33, v18
	s_and_saveexec_b64 s[0:1], vcc
	s_cbranch_execz .LBB117_312
; %bb.311:
	s_waitcnt lgkmcnt(5)
	global_store_dword v[16:17], v6, off offset:1024
.LBB117_312:
	;; [unrolled: 9-line block ×7, first 2 shown]
	s_or_b64 exec, exec, s[0:1]
	v_or_b32_e32 v18, 0x400, v0
	v_cmp_gt_u32_e32 vcc, s33, v18
	s_and_saveexec_b64 s[0:1], vcc
	s_cbranch_execz .LBB117_324
; %bb.323:
	v_add_co_u32_e32 v18, vcc, 0x1000, v16
	v_addc_co_u32_e32 v19, vcc, 0, v17, vcc
	s_waitcnt lgkmcnt(2)
	global_store_dword v[18:19], v12, off
.LBB117_324:
	s_or_b64 exec, exec, s[0:1]
	v_or_b32_e32 v18, 0x480, v0
	v_cmp_gt_u32_e32 vcc, s33, v18
	s_and_saveexec_b64 s[0:1], vcc
	s_cbranch_execz .LBB117_326
; %bb.325:
	v_add_co_u32_e32 v18, vcc, 0x1000, v16
	v_addc_co_u32_e32 v19, vcc, 0, v17, vcc
	s_waitcnt lgkmcnt(2)
	global_store_dword v[18:19], v13, off offset:512
.LBB117_326:
	s_or_b64 exec, exec, s[0:1]
	v_or_b32_e32 v18, 0x500, v0
	v_cmp_gt_u32_e32 vcc, s33, v18
	s_and_saveexec_b64 s[0:1], vcc
	s_cbranch_execz .LBB117_328
; %bb.327:
	v_add_co_u32_e32 v18, vcc, 0x1000, v16
	v_addc_co_u32_e32 v19, vcc, 0, v17, vcc
	s_waitcnt lgkmcnt(1)
	global_store_dword v[18:19], v10, off offset:1024
.LBB117_328:
	;; [unrolled: 11-line block ×5, first 2 shown]
	s_or_b64 exec, exec, s[0:1]
	v_cmp_lt_u64_e64 s[0:1], s[46:47], 2
	s_and_b64 vcc, exec, s[0:1]
	s_cbranch_vccnz .LBB117_385
; %bb.335:
	s_add_u32 s0, s33, -1
	s_addc_u32 s1, s62, -1
	s_add_u32 s2, 0, 0x49240800
	s_addc_u32 s3, 0, 50
	s_add_i32 s3, s3, 0x12492460
	s_mul_hi_u32 s7, s2, -14
	s_sub_i32 s7, s7, s2
	s_mul_i32 s8, s3, -14
	s_mul_i32 s4, s2, -14
	s_add_i32 s7, s7, s8
	s_mul_hi_u32 s5, s3, s4
	s_mul_i32 s6, s3, s4
	s_mul_i32 s9, s2, s7
	s_mul_hi_u32 s4, s2, s4
	s_mul_hi_u32 s8, s2, s7
	s_add_u32 s4, s4, s9
	s_addc_u32 s8, 0, s8
	s_add_u32 s4, s4, s6
	s_mul_hi_u32 s9, s3, s7
	s_addc_u32 s4, s8, s5
	s_addc_u32 s5, s9, 0
	s_mul_i32 s6, s3, s7
	s_add_u32 s4, s4, s6
	v_mov_b32_e32 v16, s4
	s_addc_u32 s5, 0, s5
	v_add_co_u32_e32 v16, vcc, s2, v16
	s_cmp_lg_u64 vcc, 0
	s_addc_u32 s2, s3, s5
	v_readfirstlane_b32 s5, v16
	s_mul_i32 s4, s0, s2
	s_mul_hi_u32 s6, s0, s5
	s_mul_hi_u32 s3, s0, s2
	s_add_u32 s4, s6, s4
	s_addc_u32 s3, 0, s3
	s_mul_hi_u32 s7, s1, s5
	s_mul_i32 s5, s1, s5
	s_add_u32 s4, s4, s5
	s_mul_hi_u32 s6, s1, s2
	s_addc_u32 s3, s3, s7
	s_addc_u32 s4, s6, 0
	s_mul_i32 s2, s1, s2
	s_add_u32 s2, s3, s2
	s_addc_u32 s3, 0, s4
	s_add_u32 s4, s2, 1
	s_addc_u32 s5, s3, 0
	s_add_u32 s6, s2, 2
	s_mul_i32 s8, s3, 14
	s_mul_hi_u32 s9, s2, 14
	s_addc_u32 s7, s3, 0
	s_add_i32 s9, s9, s8
	s_mul_i32 s8, s2, 14
	v_mov_b32_e32 v16, s8
	v_sub_co_u32_e32 v16, vcc, s0, v16
	s_cmp_lg_u64 vcc, 0
	s_subb_u32 s8, s1, s9
	v_subrev_co_u32_e32 v17, vcc, 14, v16
	s_cmp_lg_u64 vcc, 0
	s_subb_u32 s9, s8, 0
	v_readfirstlane_b32 s10, v17
	s_cmp_gt_u32 s10, 13
	s_cselect_b32 s10, -1, 0
	s_cmp_eq_u32 s9, 0
	s_cselect_b32 s9, s10, -1
	s_cmp_lg_u32 s9, 0
	s_cselect_b32 s4, s6, s4
	v_readfirstlane_b32 s6, v16
	s_cselect_b32 s5, s7, s5
	s_cmp_gt_u32 s6, 13
	s_cselect_b32 s6, -1, 0
	s_cmp_eq_u32 s8, 0
	s_cselect_b32 s6, s6, -1
	s_cmp_lg_u32 s6, 0
	s_cselect_b32 s3, s5, s3
	s_cselect_b32 s2, s4, s2
	v_cmp_eq_u64_e32 vcc, s[2:3], v[0:1]
	s_and_saveexec_b64 s[2:3], vcc
	s_cbranch_execz .LBB117_385
; %bb.336:
	v_mul_hi_u32_u24_e32 v1, 14, v0
	v_mov_b32_e32 v16, s1
	v_sub_co_u32_e32 v0, vcc, s0, v33
	v_subb_co_u32_e32 v1, vcc, v16, v1, vcc
	v_cmp_lt_i64_e32 vcc, 6, v[0:1]
	s_and_saveexec_b64 s[0:1], vcc
	s_xor_b64 s[0:1], exec, s[0:1]
	s_cbranch_execz .LBB117_362
; %bb.337:
	v_cmp_lt_i64_e32 vcc, 9, v[0:1]
	s_and_saveexec_b64 s[2:3], vcc
	s_xor_b64 s[2:3], exec, s[2:3]
	s_cbranch_execz .LBB117_351
; %bb.338:
	;; [unrolled: 5-line block ×4, first 2 shown]
	v_mov_b32_e32 v0, 0
	s_waitcnt lgkmcnt(0)
	global_store_dword v0, v15, s[42:43]
                                        ; implicit-def: $vgpr14_vgpr15
.LBB117_341:
	s_andn2_saveexec_b64 s[6:7], s[6:7]
	s_cbranch_execz .LBB117_343
; %bb.342:
	v_mov_b32_e32 v0, 0
	s_waitcnt lgkmcnt(0)
	global_store_dword v0, v14, s[42:43]
.LBB117_343:
	s_or_b64 exec, exec, s[6:7]
                                        ; implicit-def: $vgpr10_vgpr11
                                        ; implicit-def: $vgpr0_vgpr1
.LBB117_344:
	s_andn2_saveexec_b64 s[4:5], s[4:5]
	s_cbranch_execz .LBB117_350
; %bb.345:
	v_cmp_lt_i64_e32 vcc, 10, v[0:1]
	s_and_saveexec_b64 s[6:7], vcc
	s_xor_b64 s[6:7], exec, s[6:7]
	s_cbranch_execz .LBB117_347
; %bb.346:
	v_mov_b32_e32 v0, 0
	s_waitcnt lgkmcnt(1)
	global_store_dword v0, v11, s[42:43]
                                        ; implicit-def: $vgpr10_vgpr11
.LBB117_347:
	s_andn2_saveexec_b64 s[6:7], s[6:7]
	s_cbranch_execz .LBB117_349
; %bb.348:
	v_mov_b32_e32 v0, 0
	s_waitcnt lgkmcnt(1)
	global_store_dword v0, v10, s[42:43]
.LBB117_349:
	s_or_b64 exec, exec, s[6:7]
.LBB117_350:
	s_or_b64 exec, exec, s[4:5]
                                        ; implicit-def: $vgpr2_vgpr3
                                        ; implicit-def: $vgpr0_vgpr1
                                        ; implicit-def: $vgpr12_vgpr13
.LBB117_351:
	s_andn2_saveexec_b64 s[2:3], s[2:3]
	s_cbranch_execz .LBB117_361
; %bb.352:
	v_cmp_lt_i64_e32 vcc, 7, v[0:1]
	s_and_saveexec_b64 s[4:5], vcc
	s_xor_b64 s[4:5], exec, s[4:5]
	s_cbranch_execz .LBB117_358
; %bb.353:
	v_cmp_lt_i64_e32 vcc, 8, v[0:1]
	s_and_saveexec_b64 s[6:7], vcc
	s_xor_b64 s[6:7], exec, s[6:7]
	s_cbranch_execz .LBB117_355
; %bb.354:
	v_mov_b32_e32 v0, 0
	s_waitcnt lgkmcnt(2)
	global_store_dword v0, v13, s[42:43]
                                        ; implicit-def: $vgpr12_vgpr13
.LBB117_355:
	s_andn2_saveexec_b64 s[6:7], s[6:7]
	s_cbranch_execz .LBB117_357
; %bb.356:
	v_mov_b32_e32 v0, 0
	s_waitcnt lgkmcnt(2)
	global_store_dword v0, v12, s[42:43]
.LBB117_357:
	s_or_b64 exec, exec, s[6:7]
                                        ; implicit-def: $vgpr2_vgpr3
.LBB117_358:
	s_andn2_saveexec_b64 s[4:5], s[4:5]
	s_cbranch_execz .LBB117_360
; %bb.359:
	v_mov_b32_e32 v0, 0
	s_waitcnt lgkmcnt(3)
	global_store_dword v0, v3, s[42:43]
.LBB117_360:
	s_or_b64 exec, exec, s[4:5]
.LBB117_361:
	s_or_b64 exec, exec, s[2:3]
                                        ; implicit-def: $vgpr0_vgpr1
                                        ; implicit-def: $vgpr8_vgpr9
                                        ; implicit-def: $vgpr4_vgpr5
                                        ; implicit-def: $vgpr6_vgpr7
                                        ; implicit-def: $vgpr2_vgpr3
.LBB117_362:
	s_andn2_saveexec_b64 s[0:1], s[0:1]
	s_cbranch_execz .LBB117_385
; %bb.363:
	v_cmp_lt_i64_e32 vcc, 3, v[0:1]
	s_and_saveexec_b64 s[0:1], vcc
	s_xor_b64 s[0:1], exec, s[0:1]
	s_cbranch_execz .LBB117_373
; %bb.364:
	v_cmp_lt_i64_e32 vcc, 4, v[0:1]
	s_and_saveexec_b64 s[2:3], vcc
	s_xor_b64 s[2:3], exec, s[2:3]
	s_cbranch_execz .LBB117_370
; %bb.365:
	v_cmp_lt_i64_e32 vcc, 5, v[0:1]
	s_and_saveexec_b64 s[4:5], vcc
	s_xor_b64 s[4:5], exec, s[4:5]
	s_cbranch_execz .LBB117_367
; %bb.366:
	v_mov_b32_e32 v0, 0
	s_waitcnt lgkmcnt(3)
	global_store_dword v0, v2, s[42:43]
                                        ; implicit-def: $vgpr8_vgpr9
.LBB117_367:
	s_andn2_saveexec_b64 s[4:5], s[4:5]
	s_cbranch_execz .LBB117_369
; %bb.368:
	v_mov_b32_e32 v0, 0
	s_waitcnt lgkmcnt(4)
	global_store_dword v0, v9, s[42:43]
.LBB117_369:
	s_or_b64 exec, exec, s[4:5]
                                        ; implicit-def: $vgpr8_vgpr9
.LBB117_370:
	s_andn2_saveexec_b64 s[2:3], s[2:3]
	s_cbranch_execz .LBB117_372
; %bb.371:
	v_mov_b32_e32 v0, 0
	s_waitcnt lgkmcnt(4)
	global_store_dword v0, v8, s[42:43]
.LBB117_372:
	s_or_b64 exec, exec, s[2:3]
                                        ; implicit-def: $vgpr0_vgpr1
                                        ; implicit-def: $vgpr4_vgpr5
                                        ; implicit-def: $vgpr6_vgpr7
.LBB117_373:
	s_andn2_saveexec_b64 s[0:1], s[0:1]
	s_cbranch_execz .LBB117_385
; %bb.374:
	v_cmp_lt_i64_e32 vcc, 1, v[0:1]
	s_and_saveexec_b64 s[0:1], vcc
	s_xor_b64 s[0:1], exec, s[0:1]
	s_cbranch_execz .LBB117_380
; %bb.375:
	v_cmp_lt_i64_e32 vcc, 2, v[0:1]
	s_and_saveexec_b64 s[2:3], vcc
	s_xor_b64 s[2:3], exec, s[2:3]
	s_cbranch_execz .LBB117_377
; %bb.376:
	v_mov_b32_e32 v0, 0
	s_waitcnt lgkmcnt(5)
	global_store_dword v0, v7, s[42:43]
                                        ; implicit-def: $vgpr6_vgpr7
.LBB117_377:
	s_andn2_saveexec_b64 s[2:3], s[2:3]
	s_cbranch_execz .LBB117_379
; %bb.378:
	v_mov_b32_e32 v0, 0
	s_waitcnt lgkmcnt(5)
	global_store_dword v0, v6, s[42:43]
.LBB117_379:
	s_or_b64 exec, exec, s[2:3]
                                        ; implicit-def: $vgpr4_vgpr5
                                        ; implicit-def: $vgpr0_vgpr1
.LBB117_380:
	s_andn2_saveexec_b64 s[0:1], s[0:1]
	s_cbranch_execz .LBB117_385
; %bb.381:
	v_cmp_ne_u64_e32 vcc, 1, v[0:1]
	s_and_saveexec_b64 s[0:1], vcc
	s_xor_b64 s[0:1], exec, s[0:1]
	s_cbranch_execz .LBB117_383
; %bb.382:
	v_mov_b32_e32 v0, 0
	s_waitcnt lgkmcnt(6)
	global_store_dword v0, v4, s[42:43]
                                        ; implicit-def: $vgpr4_vgpr5
.LBB117_383:
	s_andn2_saveexec_b64 s[0:1], s[0:1]
	s_cbranch_execz .LBB117_385
; %bb.384:
	v_mov_b32_e32 v0, 0
	s_waitcnt lgkmcnt(6)
	global_store_dword v0, v5, s[42:43]
.LBB117_385:
	s_endpgm
	.section	.rodata,"a",@progbits
	.p2align	6, 0x0
	.amdhsa_kernel _ZN7rocprim17ROCPRIM_400000_NS6detail17trampoline_kernelINS0_14default_configENS1_20scan_config_selectorIfEEZZNS1_9scan_implILNS1_25lookback_scan_determinismE0ELb0ELb0ES3_PKfPffZZZN2at6native31launch_logcumsumexp_cuda_kernelERKNSB_10TensorBaseESF_lENKUlvE_clEvENKUlvE0_clEvEUlffE_fEEDaPvRmT3_T4_T5_mT6_P12ihipStream_tbENKUlT_T0_E_clISt17integral_constantIbLb1EESW_EEDaSR_SS_EUlSR_E_NS1_11comp_targetILNS1_3genE4ELNS1_11target_archE910ELNS1_3gpuE8ELNS1_3repE0EEENS1_30default_config_static_selectorELNS0_4arch9wavefront6targetE1EEEvT1_
		.amdhsa_group_segment_fixed_size 7168
		.amdhsa_private_segment_fixed_size 0
		.amdhsa_kernarg_size 96
		.amdhsa_user_sgpr_count 6
		.amdhsa_user_sgpr_private_segment_buffer 1
		.amdhsa_user_sgpr_dispatch_ptr 0
		.amdhsa_user_sgpr_queue_ptr 0
		.amdhsa_user_sgpr_kernarg_segment_ptr 1
		.amdhsa_user_sgpr_dispatch_id 0
		.amdhsa_user_sgpr_flat_scratch_init 0
		.amdhsa_user_sgpr_kernarg_preload_length 0
		.amdhsa_user_sgpr_kernarg_preload_offset 0
		.amdhsa_user_sgpr_private_segment_size 0
		.amdhsa_uses_dynamic_stack 0
		.amdhsa_system_sgpr_private_segment_wavefront_offset 0
		.amdhsa_system_sgpr_workgroup_id_x 1
		.amdhsa_system_sgpr_workgroup_id_y 0
		.amdhsa_system_sgpr_workgroup_id_z 0
		.amdhsa_system_sgpr_workgroup_info 0
		.amdhsa_system_vgpr_workitem_id 0
		.amdhsa_next_free_vgpr 76
		.amdhsa_next_free_sgpr 74
		.amdhsa_accum_offset 76
		.amdhsa_reserve_vcc 1
		.amdhsa_reserve_flat_scratch 0
		.amdhsa_float_round_mode_32 0
		.amdhsa_float_round_mode_16_64 0
		.amdhsa_float_denorm_mode_32 3
		.amdhsa_float_denorm_mode_16_64 3
		.amdhsa_dx10_clamp 1
		.amdhsa_ieee_mode 1
		.amdhsa_fp16_overflow 0
		.amdhsa_tg_split 0
		.amdhsa_exception_fp_ieee_invalid_op 0
		.amdhsa_exception_fp_denorm_src 0
		.amdhsa_exception_fp_ieee_div_zero 0
		.amdhsa_exception_fp_ieee_overflow 0
		.amdhsa_exception_fp_ieee_underflow 0
		.amdhsa_exception_fp_ieee_inexact 0
		.amdhsa_exception_int_div_zero 0
	.end_amdhsa_kernel
	.section	.text._ZN7rocprim17ROCPRIM_400000_NS6detail17trampoline_kernelINS0_14default_configENS1_20scan_config_selectorIfEEZZNS1_9scan_implILNS1_25lookback_scan_determinismE0ELb0ELb0ES3_PKfPffZZZN2at6native31launch_logcumsumexp_cuda_kernelERKNSB_10TensorBaseESF_lENKUlvE_clEvENKUlvE0_clEvEUlffE_fEEDaPvRmT3_T4_T5_mT6_P12ihipStream_tbENKUlT_T0_E_clISt17integral_constantIbLb1EESW_EEDaSR_SS_EUlSR_E_NS1_11comp_targetILNS1_3genE4ELNS1_11target_archE910ELNS1_3gpuE8ELNS1_3repE0EEENS1_30default_config_static_selectorELNS0_4arch9wavefront6targetE1EEEvT1_,"axG",@progbits,_ZN7rocprim17ROCPRIM_400000_NS6detail17trampoline_kernelINS0_14default_configENS1_20scan_config_selectorIfEEZZNS1_9scan_implILNS1_25lookback_scan_determinismE0ELb0ELb0ES3_PKfPffZZZN2at6native31launch_logcumsumexp_cuda_kernelERKNSB_10TensorBaseESF_lENKUlvE_clEvENKUlvE0_clEvEUlffE_fEEDaPvRmT3_T4_T5_mT6_P12ihipStream_tbENKUlT_T0_E_clISt17integral_constantIbLb1EESW_EEDaSR_SS_EUlSR_E_NS1_11comp_targetILNS1_3genE4ELNS1_11target_archE910ELNS1_3gpuE8ELNS1_3repE0EEENS1_30default_config_static_selectorELNS0_4arch9wavefront6targetE1EEEvT1_,comdat
.Lfunc_end117:
	.size	_ZN7rocprim17ROCPRIM_400000_NS6detail17trampoline_kernelINS0_14default_configENS1_20scan_config_selectorIfEEZZNS1_9scan_implILNS1_25lookback_scan_determinismE0ELb0ELb0ES3_PKfPffZZZN2at6native31launch_logcumsumexp_cuda_kernelERKNSB_10TensorBaseESF_lENKUlvE_clEvENKUlvE0_clEvEUlffE_fEEDaPvRmT3_T4_T5_mT6_P12ihipStream_tbENKUlT_T0_E_clISt17integral_constantIbLb1EESW_EEDaSR_SS_EUlSR_E_NS1_11comp_targetILNS1_3genE4ELNS1_11target_archE910ELNS1_3gpuE8ELNS1_3repE0EEENS1_30default_config_static_selectorELNS0_4arch9wavefront6targetE1EEEvT1_, .Lfunc_end117-_ZN7rocprim17ROCPRIM_400000_NS6detail17trampoline_kernelINS0_14default_configENS1_20scan_config_selectorIfEEZZNS1_9scan_implILNS1_25lookback_scan_determinismE0ELb0ELb0ES3_PKfPffZZZN2at6native31launch_logcumsumexp_cuda_kernelERKNSB_10TensorBaseESF_lENKUlvE_clEvENKUlvE0_clEvEUlffE_fEEDaPvRmT3_T4_T5_mT6_P12ihipStream_tbENKUlT_T0_E_clISt17integral_constantIbLb1EESW_EEDaSR_SS_EUlSR_E_NS1_11comp_targetILNS1_3genE4ELNS1_11target_archE910ELNS1_3gpuE8ELNS1_3repE0EEENS1_30default_config_static_selectorELNS0_4arch9wavefront6targetE1EEEvT1_
                                        ; -- End function
	.section	.AMDGPU.csdata,"",@progbits
; Kernel info:
; codeLenInByte = 78464
; NumSgprs: 78
; NumVgprs: 76
; NumAgprs: 0
; TotalNumVgprs: 76
; ScratchSize: 0
; MemoryBound: 0
; FloatMode: 240
; IeeeMode: 1
; LDSByteSize: 7168 bytes/workgroup (compile time only)
; SGPRBlocks: 9
; VGPRBlocks: 9
; NumSGPRsForWavesPerEU: 78
; NumVGPRsForWavesPerEU: 76
; AccumOffset: 76
; Occupancy: 5
; WaveLimiterHint : 1
; COMPUTE_PGM_RSRC2:SCRATCH_EN: 0
; COMPUTE_PGM_RSRC2:USER_SGPR: 6
; COMPUTE_PGM_RSRC2:TRAP_HANDLER: 0
; COMPUTE_PGM_RSRC2:TGID_X_EN: 1
; COMPUTE_PGM_RSRC2:TGID_Y_EN: 0
; COMPUTE_PGM_RSRC2:TGID_Z_EN: 0
; COMPUTE_PGM_RSRC2:TIDIG_COMP_CNT: 0
; COMPUTE_PGM_RSRC3_GFX90A:ACCUM_OFFSET: 18
; COMPUTE_PGM_RSRC3_GFX90A:TG_SPLIT: 0
	.section	.text._ZN7rocprim17ROCPRIM_400000_NS6detail17trampoline_kernelINS0_14default_configENS1_20scan_config_selectorIfEEZZNS1_9scan_implILNS1_25lookback_scan_determinismE0ELb0ELb0ES3_PKfPffZZZN2at6native31launch_logcumsumexp_cuda_kernelERKNSB_10TensorBaseESF_lENKUlvE_clEvENKUlvE0_clEvEUlffE_fEEDaPvRmT3_T4_T5_mT6_P12ihipStream_tbENKUlT_T0_E_clISt17integral_constantIbLb1EESW_EEDaSR_SS_EUlSR_E_NS1_11comp_targetILNS1_3genE3ELNS1_11target_archE908ELNS1_3gpuE7ELNS1_3repE0EEENS1_30default_config_static_selectorELNS0_4arch9wavefront6targetE1EEEvT1_,"axG",@progbits,_ZN7rocprim17ROCPRIM_400000_NS6detail17trampoline_kernelINS0_14default_configENS1_20scan_config_selectorIfEEZZNS1_9scan_implILNS1_25lookback_scan_determinismE0ELb0ELb0ES3_PKfPffZZZN2at6native31launch_logcumsumexp_cuda_kernelERKNSB_10TensorBaseESF_lENKUlvE_clEvENKUlvE0_clEvEUlffE_fEEDaPvRmT3_T4_T5_mT6_P12ihipStream_tbENKUlT_T0_E_clISt17integral_constantIbLb1EESW_EEDaSR_SS_EUlSR_E_NS1_11comp_targetILNS1_3genE3ELNS1_11target_archE908ELNS1_3gpuE7ELNS1_3repE0EEENS1_30default_config_static_selectorELNS0_4arch9wavefront6targetE1EEEvT1_,comdat
	.globl	_ZN7rocprim17ROCPRIM_400000_NS6detail17trampoline_kernelINS0_14default_configENS1_20scan_config_selectorIfEEZZNS1_9scan_implILNS1_25lookback_scan_determinismE0ELb0ELb0ES3_PKfPffZZZN2at6native31launch_logcumsumexp_cuda_kernelERKNSB_10TensorBaseESF_lENKUlvE_clEvENKUlvE0_clEvEUlffE_fEEDaPvRmT3_T4_T5_mT6_P12ihipStream_tbENKUlT_T0_E_clISt17integral_constantIbLb1EESW_EEDaSR_SS_EUlSR_E_NS1_11comp_targetILNS1_3genE3ELNS1_11target_archE908ELNS1_3gpuE7ELNS1_3repE0EEENS1_30default_config_static_selectorELNS0_4arch9wavefront6targetE1EEEvT1_ ; -- Begin function _ZN7rocprim17ROCPRIM_400000_NS6detail17trampoline_kernelINS0_14default_configENS1_20scan_config_selectorIfEEZZNS1_9scan_implILNS1_25lookback_scan_determinismE0ELb0ELb0ES3_PKfPffZZZN2at6native31launch_logcumsumexp_cuda_kernelERKNSB_10TensorBaseESF_lENKUlvE_clEvENKUlvE0_clEvEUlffE_fEEDaPvRmT3_T4_T5_mT6_P12ihipStream_tbENKUlT_T0_E_clISt17integral_constantIbLb1EESW_EEDaSR_SS_EUlSR_E_NS1_11comp_targetILNS1_3genE3ELNS1_11target_archE908ELNS1_3gpuE7ELNS1_3repE0EEENS1_30default_config_static_selectorELNS0_4arch9wavefront6targetE1EEEvT1_
	.p2align	8
	.type	_ZN7rocprim17ROCPRIM_400000_NS6detail17trampoline_kernelINS0_14default_configENS1_20scan_config_selectorIfEEZZNS1_9scan_implILNS1_25lookback_scan_determinismE0ELb0ELb0ES3_PKfPffZZZN2at6native31launch_logcumsumexp_cuda_kernelERKNSB_10TensorBaseESF_lENKUlvE_clEvENKUlvE0_clEvEUlffE_fEEDaPvRmT3_T4_T5_mT6_P12ihipStream_tbENKUlT_T0_E_clISt17integral_constantIbLb1EESW_EEDaSR_SS_EUlSR_E_NS1_11comp_targetILNS1_3genE3ELNS1_11target_archE908ELNS1_3gpuE7ELNS1_3repE0EEENS1_30default_config_static_selectorELNS0_4arch9wavefront6targetE1EEEvT1_,@function
_ZN7rocprim17ROCPRIM_400000_NS6detail17trampoline_kernelINS0_14default_configENS1_20scan_config_selectorIfEEZZNS1_9scan_implILNS1_25lookback_scan_determinismE0ELb0ELb0ES3_PKfPffZZZN2at6native31launch_logcumsumexp_cuda_kernelERKNSB_10TensorBaseESF_lENKUlvE_clEvENKUlvE0_clEvEUlffE_fEEDaPvRmT3_T4_T5_mT6_P12ihipStream_tbENKUlT_T0_E_clISt17integral_constantIbLb1EESW_EEDaSR_SS_EUlSR_E_NS1_11comp_targetILNS1_3genE3ELNS1_11target_archE908ELNS1_3gpuE7ELNS1_3repE0EEENS1_30default_config_static_selectorELNS0_4arch9wavefront6targetE1EEEvT1_: ; @_ZN7rocprim17ROCPRIM_400000_NS6detail17trampoline_kernelINS0_14default_configENS1_20scan_config_selectorIfEEZZNS1_9scan_implILNS1_25lookback_scan_determinismE0ELb0ELb0ES3_PKfPffZZZN2at6native31launch_logcumsumexp_cuda_kernelERKNSB_10TensorBaseESF_lENKUlvE_clEvENKUlvE0_clEvEUlffE_fEEDaPvRmT3_T4_T5_mT6_P12ihipStream_tbENKUlT_T0_E_clISt17integral_constantIbLb1EESW_EEDaSR_SS_EUlSR_E_NS1_11comp_targetILNS1_3genE3ELNS1_11target_archE908ELNS1_3gpuE7ELNS1_3repE0EEENS1_30default_config_static_selectorELNS0_4arch9wavefront6targetE1EEEvT1_
; %bb.0:
	.section	.rodata,"a",@progbits
	.p2align	6, 0x0
	.amdhsa_kernel _ZN7rocprim17ROCPRIM_400000_NS6detail17trampoline_kernelINS0_14default_configENS1_20scan_config_selectorIfEEZZNS1_9scan_implILNS1_25lookback_scan_determinismE0ELb0ELb0ES3_PKfPffZZZN2at6native31launch_logcumsumexp_cuda_kernelERKNSB_10TensorBaseESF_lENKUlvE_clEvENKUlvE0_clEvEUlffE_fEEDaPvRmT3_T4_T5_mT6_P12ihipStream_tbENKUlT_T0_E_clISt17integral_constantIbLb1EESW_EEDaSR_SS_EUlSR_E_NS1_11comp_targetILNS1_3genE3ELNS1_11target_archE908ELNS1_3gpuE7ELNS1_3repE0EEENS1_30default_config_static_selectorELNS0_4arch9wavefront6targetE1EEEvT1_
		.amdhsa_group_segment_fixed_size 0
		.amdhsa_private_segment_fixed_size 0
		.amdhsa_kernarg_size 96
		.amdhsa_user_sgpr_count 6
		.amdhsa_user_sgpr_private_segment_buffer 1
		.amdhsa_user_sgpr_dispatch_ptr 0
		.amdhsa_user_sgpr_queue_ptr 0
		.amdhsa_user_sgpr_kernarg_segment_ptr 1
		.amdhsa_user_sgpr_dispatch_id 0
		.amdhsa_user_sgpr_flat_scratch_init 0
		.amdhsa_user_sgpr_kernarg_preload_length 0
		.amdhsa_user_sgpr_kernarg_preload_offset 0
		.amdhsa_user_sgpr_private_segment_size 0
		.amdhsa_uses_dynamic_stack 0
		.amdhsa_system_sgpr_private_segment_wavefront_offset 0
		.amdhsa_system_sgpr_workgroup_id_x 1
		.amdhsa_system_sgpr_workgroup_id_y 0
		.amdhsa_system_sgpr_workgroup_id_z 0
		.amdhsa_system_sgpr_workgroup_info 0
		.amdhsa_system_vgpr_workitem_id 0
		.amdhsa_next_free_vgpr 1
		.amdhsa_next_free_sgpr 0
		.amdhsa_accum_offset 4
		.amdhsa_reserve_vcc 0
		.amdhsa_reserve_flat_scratch 0
		.amdhsa_float_round_mode_32 0
		.amdhsa_float_round_mode_16_64 0
		.amdhsa_float_denorm_mode_32 3
		.amdhsa_float_denorm_mode_16_64 3
		.amdhsa_dx10_clamp 1
		.amdhsa_ieee_mode 1
		.amdhsa_fp16_overflow 0
		.amdhsa_tg_split 0
		.amdhsa_exception_fp_ieee_invalid_op 0
		.amdhsa_exception_fp_denorm_src 0
		.amdhsa_exception_fp_ieee_div_zero 0
		.amdhsa_exception_fp_ieee_overflow 0
		.amdhsa_exception_fp_ieee_underflow 0
		.amdhsa_exception_fp_ieee_inexact 0
		.amdhsa_exception_int_div_zero 0
	.end_amdhsa_kernel
	.section	.text._ZN7rocprim17ROCPRIM_400000_NS6detail17trampoline_kernelINS0_14default_configENS1_20scan_config_selectorIfEEZZNS1_9scan_implILNS1_25lookback_scan_determinismE0ELb0ELb0ES3_PKfPffZZZN2at6native31launch_logcumsumexp_cuda_kernelERKNSB_10TensorBaseESF_lENKUlvE_clEvENKUlvE0_clEvEUlffE_fEEDaPvRmT3_T4_T5_mT6_P12ihipStream_tbENKUlT_T0_E_clISt17integral_constantIbLb1EESW_EEDaSR_SS_EUlSR_E_NS1_11comp_targetILNS1_3genE3ELNS1_11target_archE908ELNS1_3gpuE7ELNS1_3repE0EEENS1_30default_config_static_selectorELNS0_4arch9wavefront6targetE1EEEvT1_,"axG",@progbits,_ZN7rocprim17ROCPRIM_400000_NS6detail17trampoline_kernelINS0_14default_configENS1_20scan_config_selectorIfEEZZNS1_9scan_implILNS1_25lookback_scan_determinismE0ELb0ELb0ES3_PKfPffZZZN2at6native31launch_logcumsumexp_cuda_kernelERKNSB_10TensorBaseESF_lENKUlvE_clEvENKUlvE0_clEvEUlffE_fEEDaPvRmT3_T4_T5_mT6_P12ihipStream_tbENKUlT_T0_E_clISt17integral_constantIbLb1EESW_EEDaSR_SS_EUlSR_E_NS1_11comp_targetILNS1_3genE3ELNS1_11target_archE908ELNS1_3gpuE7ELNS1_3repE0EEENS1_30default_config_static_selectorELNS0_4arch9wavefront6targetE1EEEvT1_,comdat
.Lfunc_end118:
	.size	_ZN7rocprim17ROCPRIM_400000_NS6detail17trampoline_kernelINS0_14default_configENS1_20scan_config_selectorIfEEZZNS1_9scan_implILNS1_25lookback_scan_determinismE0ELb0ELb0ES3_PKfPffZZZN2at6native31launch_logcumsumexp_cuda_kernelERKNSB_10TensorBaseESF_lENKUlvE_clEvENKUlvE0_clEvEUlffE_fEEDaPvRmT3_T4_T5_mT6_P12ihipStream_tbENKUlT_T0_E_clISt17integral_constantIbLb1EESW_EEDaSR_SS_EUlSR_E_NS1_11comp_targetILNS1_3genE3ELNS1_11target_archE908ELNS1_3gpuE7ELNS1_3repE0EEENS1_30default_config_static_selectorELNS0_4arch9wavefront6targetE1EEEvT1_, .Lfunc_end118-_ZN7rocprim17ROCPRIM_400000_NS6detail17trampoline_kernelINS0_14default_configENS1_20scan_config_selectorIfEEZZNS1_9scan_implILNS1_25lookback_scan_determinismE0ELb0ELb0ES3_PKfPffZZZN2at6native31launch_logcumsumexp_cuda_kernelERKNSB_10TensorBaseESF_lENKUlvE_clEvENKUlvE0_clEvEUlffE_fEEDaPvRmT3_T4_T5_mT6_P12ihipStream_tbENKUlT_T0_E_clISt17integral_constantIbLb1EESW_EEDaSR_SS_EUlSR_E_NS1_11comp_targetILNS1_3genE3ELNS1_11target_archE908ELNS1_3gpuE7ELNS1_3repE0EEENS1_30default_config_static_selectorELNS0_4arch9wavefront6targetE1EEEvT1_
                                        ; -- End function
	.section	.AMDGPU.csdata,"",@progbits
; Kernel info:
; codeLenInByte = 0
; NumSgprs: 4
; NumVgprs: 0
; NumAgprs: 0
; TotalNumVgprs: 0
; ScratchSize: 0
; MemoryBound: 0
; FloatMode: 240
; IeeeMode: 1
; LDSByteSize: 0 bytes/workgroup (compile time only)
; SGPRBlocks: 0
; VGPRBlocks: 0
; NumSGPRsForWavesPerEU: 4
; NumVGPRsForWavesPerEU: 1
; AccumOffset: 4
; Occupancy: 8
; WaveLimiterHint : 0
; COMPUTE_PGM_RSRC2:SCRATCH_EN: 0
; COMPUTE_PGM_RSRC2:USER_SGPR: 6
; COMPUTE_PGM_RSRC2:TRAP_HANDLER: 0
; COMPUTE_PGM_RSRC2:TGID_X_EN: 1
; COMPUTE_PGM_RSRC2:TGID_Y_EN: 0
; COMPUTE_PGM_RSRC2:TGID_Z_EN: 0
; COMPUTE_PGM_RSRC2:TIDIG_COMP_CNT: 0
; COMPUTE_PGM_RSRC3_GFX90A:ACCUM_OFFSET: 0
; COMPUTE_PGM_RSRC3_GFX90A:TG_SPLIT: 0
	.section	.text._ZN7rocprim17ROCPRIM_400000_NS6detail17trampoline_kernelINS0_14default_configENS1_20scan_config_selectorIfEEZZNS1_9scan_implILNS1_25lookback_scan_determinismE0ELb0ELb0ES3_PKfPffZZZN2at6native31launch_logcumsumexp_cuda_kernelERKNSB_10TensorBaseESF_lENKUlvE_clEvENKUlvE0_clEvEUlffE_fEEDaPvRmT3_T4_T5_mT6_P12ihipStream_tbENKUlT_T0_E_clISt17integral_constantIbLb1EESW_EEDaSR_SS_EUlSR_E_NS1_11comp_targetILNS1_3genE2ELNS1_11target_archE906ELNS1_3gpuE6ELNS1_3repE0EEENS1_30default_config_static_selectorELNS0_4arch9wavefront6targetE1EEEvT1_,"axG",@progbits,_ZN7rocprim17ROCPRIM_400000_NS6detail17trampoline_kernelINS0_14default_configENS1_20scan_config_selectorIfEEZZNS1_9scan_implILNS1_25lookback_scan_determinismE0ELb0ELb0ES3_PKfPffZZZN2at6native31launch_logcumsumexp_cuda_kernelERKNSB_10TensorBaseESF_lENKUlvE_clEvENKUlvE0_clEvEUlffE_fEEDaPvRmT3_T4_T5_mT6_P12ihipStream_tbENKUlT_T0_E_clISt17integral_constantIbLb1EESW_EEDaSR_SS_EUlSR_E_NS1_11comp_targetILNS1_3genE2ELNS1_11target_archE906ELNS1_3gpuE6ELNS1_3repE0EEENS1_30default_config_static_selectorELNS0_4arch9wavefront6targetE1EEEvT1_,comdat
	.globl	_ZN7rocprim17ROCPRIM_400000_NS6detail17trampoline_kernelINS0_14default_configENS1_20scan_config_selectorIfEEZZNS1_9scan_implILNS1_25lookback_scan_determinismE0ELb0ELb0ES3_PKfPffZZZN2at6native31launch_logcumsumexp_cuda_kernelERKNSB_10TensorBaseESF_lENKUlvE_clEvENKUlvE0_clEvEUlffE_fEEDaPvRmT3_T4_T5_mT6_P12ihipStream_tbENKUlT_T0_E_clISt17integral_constantIbLb1EESW_EEDaSR_SS_EUlSR_E_NS1_11comp_targetILNS1_3genE2ELNS1_11target_archE906ELNS1_3gpuE6ELNS1_3repE0EEENS1_30default_config_static_selectorELNS0_4arch9wavefront6targetE1EEEvT1_ ; -- Begin function _ZN7rocprim17ROCPRIM_400000_NS6detail17trampoline_kernelINS0_14default_configENS1_20scan_config_selectorIfEEZZNS1_9scan_implILNS1_25lookback_scan_determinismE0ELb0ELb0ES3_PKfPffZZZN2at6native31launch_logcumsumexp_cuda_kernelERKNSB_10TensorBaseESF_lENKUlvE_clEvENKUlvE0_clEvEUlffE_fEEDaPvRmT3_T4_T5_mT6_P12ihipStream_tbENKUlT_T0_E_clISt17integral_constantIbLb1EESW_EEDaSR_SS_EUlSR_E_NS1_11comp_targetILNS1_3genE2ELNS1_11target_archE906ELNS1_3gpuE6ELNS1_3repE0EEENS1_30default_config_static_selectorELNS0_4arch9wavefront6targetE1EEEvT1_
	.p2align	8
	.type	_ZN7rocprim17ROCPRIM_400000_NS6detail17trampoline_kernelINS0_14default_configENS1_20scan_config_selectorIfEEZZNS1_9scan_implILNS1_25lookback_scan_determinismE0ELb0ELb0ES3_PKfPffZZZN2at6native31launch_logcumsumexp_cuda_kernelERKNSB_10TensorBaseESF_lENKUlvE_clEvENKUlvE0_clEvEUlffE_fEEDaPvRmT3_T4_T5_mT6_P12ihipStream_tbENKUlT_T0_E_clISt17integral_constantIbLb1EESW_EEDaSR_SS_EUlSR_E_NS1_11comp_targetILNS1_3genE2ELNS1_11target_archE906ELNS1_3gpuE6ELNS1_3repE0EEENS1_30default_config_static_selectorELNS0_4arch9wavefront6targetE1EEEvT1_,@function
_ZN7rocprim17ROCPRIM_400000_NS6detail17trampoline_kernelINS0_14default_configENS1_20scan_config_selectorIfEEZZNS1_9scan_implILNS1_25lookback_scan_determinismE0ELb0ELb0ES3_PKfPffZZZN2at6native31launch_logcumsumexp_cuda_kernelERKNSB_10TensorBaseESF_lENKUlvE_clEvENKUlvE0_clEvEUlffE_fEEDaPvRmT3_T4_T5_mT6_P12ihipStream_tbENKUlT_T0_E_clISt17integral_constantIbLb1EESW_EEDaSR_SS_EUlSR_E_NS1_11comp_targetILNS1_3genE2ELNS1_11target_archE906ELNS1_3gpuE6ELNS1_3repE0EEENS1_30default_config_static_selectorELNS0_4arch9wavefront6targetE1EEEvT1_: ; @_ZN7rocprim17ROCPRIM_400000_NS6detail17trampoline_kernelINS0_14default_configENS1_20scan_config_selectorIfEEZZNS1_9scan_implILNS1_25lookback_scan_determinismE0ELb0ELb0ES3_PKfPffZZZN2at6native31launch_logcumsumexp_cuda_kernelERKNSB_10TensorBaseESF_lENKUlvE_clEvENKUlvE0_clEvEUlffE_fEEDaPvRmT3_T4_T5_mT6_P12ihipStream_tbENKUlT_T0_E_clISt17integral_constantIbLb1EESW_EEDaSR_SS_EUlSR_E_NS1_11comp_targetILNS1_3genE2ELNS1_11target_archE906ELNS1_3gpuE6ELNS1_3repE0EEENS1_30default_config_static_selectorELNS0_4arch9wavefront6targetE1EEEvT1_
; %bb.0:
	.section	.rodata,"a",@progbits
	.p2align	6, 0x0
	.amdhsa_kernel _ZN7rocprim17ROCPRIM_400000_NS6detail17trampoline_kernelINS0_14default_configENS1_20scan_config_selectorIfEEZZNS1_9scan_implILNS1_25lookback_scan_determinismE0ELb0ELb0ES3_PKfPffZZZN2at6native31launch_logcumsumexp_cuda_kernelERKNSB_10TensorBaseESF_lENKUlvE_clEvENKUlvE0_clEvEUlffE_fEEDaPvRmT3_T4_T5_mT6_P12ihipStream_tbENKUlT_T0_E_clISt17integral_constantIbLb1EESW_EEDaSR_SS_EUlSR_E_NS1_11comp_targetILNS1_3genE2ELNS1_11target_archE906ELNS1_3gpuE6ELNS1_3repE0EEENS1_30default_config_static_selectorELNS0_4arch9wavefront6targetE1EEEvT1_
		.amdhsa_group_segment_fixed_size 0
		.amdhsa_private_segment_fixed_size 0
		.amdhsa_kernarg_size 96
		.amdhsa_user_sgpr_count 6
		.amdhsa_user_sgpr_private_segment_buffer 1
		.amdhsa_user_sgpr_dispatch_ptr 0
		.amdhsa_user_sgpr_queue_ptr 0
		.amdhsa_user_sgpr_kernarg_segment_ptr 1
		.amdhsa_user_sgpr_dispatch_id 0
		.amdhsa_user_sgpr_flat_scratch_init 0
		.amdhsa_user_sgpr_kernarg_preload_length 0
		.amdhsa_user_sgpr_kernarg_preload_offset 0
		.amdhsa_user_sgpr_private_segment_size 0
		.amdhsa_uses_dynamic_stack 0
		.amdhsa_system_sgpr_private_segment_wavefront_offset 0
		.amdhsa_system_sgpr_workgroup_id_x 1
		.amdhsa_system_sgpr_workgroup_id_y 0
		.amdhsa_system_sgpr_workgroup_id_z 0
		.amdhsa_system_sgpr_workgroup_info 0
		.amdhsa_system_vgpr_workitem_id 0
		.amdhsa_next_free_vgpr 1
		.amdhsa_next_free_sgpr 0
		.amdhsa_accum_offset 4
		.amdhsa_reserve_vcc 0
		.amdhsa_reserve_flat_scratch 0
		.amdhsa_float_round_mode_32 0
		.amdhsa_float_round_mode_16_64 0
		.amdhsa_float_denorm_mode_32 3
		.amdhsa_float_denorm_mode_16_64 3
		.amdhsa_dx10_clamp 1
		.amdhsa_ieee_mode 1
		.amdhsa_fp16_overflow 0
		.amdhsa_tg_split 0
		.amdhsa_exception_fp_ieee_invalid_op 0
		.amdhsa_exception_fp_denorm_src 0
		.amdhsa_exception_fp_ieee_div_zero 0
		.amdhsa_exception_fp_ieee_overflow 0
		.amdhsa_exception_fp_ieee_underflow 0
		.amdhsa_exception_fp_ieee_inexact 0
		.amdhsa_exception_int_div_zero 0
	.end_amdhsa_kernel
	.section	.text._ZN7rocprim17ROCPRIM_400000_NS6detail17trampoline_kernelINS0_14default_configENS1_20scan_config_selectorIfEEZZNS1_9scan_implILNS1_25lookback_scan_determinismE0ELb0ELb0ES3_PKfPffZZZN2at6native31launch_logcumsumexp_cuda_kernelERKNSB_10TensorBaseESF_lENKUlvE_clEvENKUlvE0_clEvEUlffE_fEEDaPvRmT3_T4_T5_mT6_P12ihipStream_tbENKUlT_T0_E_clISt17integral_constantIbLb1EESW_EEDaSR_SS_EUlSR_E_NS1_11comp_targetILNS1_3genE2ELNS1_11target_archE906ELNS1_3gpuE6ELNS1_3repE0EEENS1_30default_config_static_selectorELNS0_4arch9wavefront6targetE1EEEvT1_,"axG",@progbits,_ZN7rocprim17ROCPRIM_400000_NS6detail17trampoline_kernelINS0_14default_configENS1_20scan_config_selectorIfEEZZNS1_9scan_implILNS1_25lookback_scan_determinismE0ELb0ELb0ES3_PKfPffZZZN2at6native31launch_logcumsumexp_cuda_kernelERKNSB_10TensorBaseESF_lENKUlvE_clEvENKUlvE0_clEvEUlffE_fEEDaPvRmT3_T4_T5_mT6_P12ihipStream_tbENKUlT_T0_E_clISt17integral_constantIbLb1EESW_EEDaSR_SS_EUlSR_E_NS1_11comp_targetILNS1_3genE2ELNS1_11target_archE906ELNS1_3gpuE6ELNS1_3repE0EEENS1_30default_config_static_selectorELNS0_4arch9wavefront6targetE1EEEvT1_,comdat
.Lfunc_end119:
	.size	_ZN7rocprim17ROCPRIM_400000_NS6detail17trampoline_kernelINS0_14default_configENS1_20scan_config_selectorIfEEZZNS1_9scan_implILNS1_25lookback_scan_determinismE0ELb0ELb0ES3_PKfPffZZZN2at6native31launch_logcumsumexp_cuda_kernelERKNSB_10TensorBaseESF_lENKUlvE_clEvENKUlvE0_clEvEUlffE_fEEDaPvRmT3_T4_T5_mT6_P12ihipStream_tbENKUlT_T0_E_clISt17integral_constantIbLb1EESW_EEDaSR_SS_EUlSR_E_NS1_11comp_targetILNS1_3genE2ELNS1_11target_archE906ELNS1_3gpuE6ELNS1_3repE0EEENS1_30default_config_static_selectorELNS0_4arch9wavefront6targetE1EEEvT1_, .Lfunc_end119-_ZN7rocprim17ROCPRIM_400000_NS6detail17trampoline_kernelINS0_14default_configENS1_20scan_config_selectorIfEEZZNS1_9scan_implILNS1_25lookback_scan_determinismE0ELb0ELb0ES3_PKfPffZZZN2at6native31launch_logcumsumexp_cuda_kernelERKNSB_10TensorBaseESF_lENKUlvE_clEvENKUlvE0_clEvEUlffE_fEEDaPvRmT3_T4_T5_mT6_P12ihipStream_tbENKUlT_T0_E_clISt17integral_constantIbLb1EESW_EEDaSR_SS_EUlSR_E_NS1_11comp_targetILNS1_3genE2ELNS1_11target_archE906ELNS1_3gpuE6ELNS1_3repE0EEENS1_30default_config_static_selectorELNS0_4arch9wavefront6targetE1EEEvT1_
                                        ; -- End function
	.section	.AMDGPU.csdata,"",@progbits
; Kernel info:
; codeLenInByte = 0
; NumSgprs: 4
; NumVgprs: 0
; NumAgprs: 0
; TotalNumVgprs: 0
; ScratchSize: 0
; MemoryBound: 0
; FloatMode: 240
; IeeeMode: 1
; LDSByteSize: 0 bytes/workgroup (compile time only)
; SGPRBlocks: 0
; VGPRBlocks: 0
; NumSGPRsForWavesPerEU: 4
; NumVGPRsForWavesPerEU: 1
; AccumOffset: 4
; Occupancy: 8
; WaveLimiterHint : 0
; COMPUTE_PGM_RSRC2:SCRATCH_EN: 0
; COMPUTE_PGM_RSRC2:USER_SGPR: 6
; COMPUTE_PGM_RSRC2:TRAP_HANDLER: 0
; COMPUTE_PGM_RSRC2:TGID_X_EN: 1
; COMPUTE_PGM_RSRC2:TGID_Y_EN: 0
; COMPUTE_PGM_RSRC2:TGID_Z_EN: 0
; COMPUTE_PGM_RSRC2:TIDIG_COMP_CNT: 0
; COMPUTE_PGM_RSRC3_GFX90A:ACCUM_OFFSET: 0
; COMPUTE_PGM_RSRC3_GFX90A:TG_SPLIT: 0
	.section	.text._ZN7rocprim17ROCPRIM_400000_NS6detail17trampoline_kernelINS0_14default_configENS1_20scan_config_selectorIfEEZZNS1_9scan_implILNS1_25lookback_scan_determinismE0ELb0ELb0ES3_PKfPffZZZN2at6native31launch_logcumsumexp_cuda_kernelERKNSB_10TensorBaseESF_lENKUlvE_clEvENKUlvE0_clEvEUlffE_fEEDaPvRmT3_T4_T5_mT6_P12ihipStream_tbENKUlT_T0_E_clISt17integral_constantIbLb1EESW_EEDaSR_SS_EUlSR_E_NS1_11comp_targetILNS1_3genE10ELNS1_11target_archE1201ELNS1_3gpuE5ELNS1_3repE0EEENS1_30default_config_static_selectorELNS0_4arch9wavefront6targetE1EEEvT1_,"axG",@progbits,_ZN7rocprim17ROCPRIM_400000_NS6detail17trampoline_kernelINS0_14default_configENS1_20scan_config_selectorIfEEZZNS1_9scan_implILNS1_25lookback_scan_determinismE0ELb0ELb0ES3_PKfPffZZZN2at6native31launch_logcumsumexp_cuda_kernelERKNSB_10TensorBaseESF_lENKUlvE_clEvENKUlvE0_clEvEUlffE_fEEDaPvRmT3_T4_T5_mT6_P12ihipStream_tbENKUlT_T0_E_clISt17integral_constantIbLb1EESW_EEDaSR_SS_EUlSR_E_NS1_11comp_targetILNS1_3genE10ELNS1_11target_archE1201ELNS1_3gpuE5ELNS1_3repE0EEENS1_30default_config_static_selectorELNS0_4arch9wavefront6targetE1EEEvT1_,comdat
	.globl	_ZN7rocprim17ROCPRIM_400000_NS6detail17trampoline_kernelINS0_14default_configENS1_20scan_config_selectorIfEEZZNS1_9scan_implILNS1_25lookback_scan_determinismE0ELb0ELb0ES3_PKfPffZZZN2at6native31launch_logcumsumexp_cuda_kernelERKNSB_10TensorBaseESF_lENKUlvE_clEvENKUlvE0_clEvEUlffE_fEEDaPvRmT3_T4_T5_mT6_P12ihipStream_tbENKUlT_T0_E_clISt17integral_constantIbLb1EESW_EEDaSR_SS_EUlSR_E_NS1_11comp_targetILNS1_3genE10ELNS1_11target_archE1201ELNS1_3gpuE5ELNS1_3repE0EEENS1_30default_config_static_selectorELNS0_4arch9wavefront6targetE1EEEvT1_ ; -- Begin function _ZN7rocprim17ROCPRIM_400000_NS6detail17trampoline_kernelINS0_14default_configENS1_20scan_config_selectorIfEEZZNS1_9scan_implILNS1_25lookback_scan_determinismE0ELb0ELb0ES3_PKfPffZZZN2at6native31launch_logcumsumexp_cuda_kernelERKNSB_10TensorBaseESF_lENKUlvE_clEvENKUlvE0_clEvEUlffE_fEEDaPvRmT3_T4_T5_mT6_P12ihipStream_tbENKUlT_T0_E_clISt17integral_constantIbLb1EESW_EEDaSR_SS_EUlSR_E_NS1_11comp_targetILNS1_3genE10ELNS1_11target_archE1201ELNS1_3gpuE5ELNS1_3repE0EEENS1_30default_config_static_selectorELNS0_4arch9wavefront6targetE1EEEvT1_
	.p2align	8
	.type	_ZN7rocprim17ROCPRIM_400000_NS6detail17trampoline_kernelINS0_14default_configENS1_20scan_config_selectorIfEEZZNS1_9scan_implILNS1_25lookback_scan_determinismE0ELb0ELb0ES3_PKfPffZZZN2at6native31launch_logcumsumexp_cuda_kernelERKNSB_10TensorBaseESF_lENKUlvE_clEvENKUlvE0_clEvEUlffE_fEEDaPvRmT3_T4_T5_mT6_P12ihipStream_tbENKUlT_T0_E_clISt17integral_constantIbLb1EESW_EEDaSR_SS_EUlSR_E_NS1_11comp_targetILNS1_3genE10ELNS1_11target_archE1201ELNS1_3gpuE5ELNS1_3repE0EEENS1_30default_config_static_selectorELNS0_4arch9wavefront6targetE1EEEvT1_,@function
_ZN7rocprim17ROCPRIM_400000_NS6detail17trampoline_kernelINS0_14default_configENS1_20scan_config_selectorIfEEZZNS1_9scan_implILNS1_25lookback_scan_determinismE0ELb0ELb0ES3_PKfPffZZZN2at6native31launch_logcumsumexp_cuda_kernelERKNSB_10TensorBaseESF_lENKUlvE_clEvENKUlvE0_clEvEUlffE_fEEDaPvRmT3_T4_T5_mT6_P12ihipStream_tbENKUlT_T0_E_clISt17integral_constantIbLb1EESW_EEDaSR_SS_EUlSR_E_NS1_11comp_targetILNS1_3genE10ELNS1_11target_archE1201ELNS1_3gpuE5ELNS1_3repE0EEENS1_30default_config_static_selectorELNS0_4arch9wavefront6targetE1EEEvT1_: ; @_ZN7rocprim17ROCPRIM_400000_NS6detail17trampoline_kernelINS0_14default_configENS1_20scan_config_selectorIfEEZZNS1_9scan_implILNS1_25lookback_scan_determinismE0ELb0ELb0ES3_PKfPffZZZN2at6native31launch_logcumsumexp_cuda_kernelERKNSB_10TensorBaseESF_lENKUlvE_clEvENKUlvE0_clEvEUlffE_fEEDaPvRmT3_T4_T5_mT6_P12ihipStream_tbENKUlT_T0_E_clISt17integral_constantIbLb1EESW_EEDaSR_SS_EUlSR_E_NS1_11comp_targetILNS1_3genE10ELNS1_11target_archE1201ELNS1_3gpuE5ELNS1_3repE0EEENS1_30default_config_static_selectorELNS0_4arch9wavefront6targetE1EEEvT1_
; %bb.0:
	.section	.rodata,"a",@progbits
	.p2align	6, 0x0
	.amdhsa_kernel _ZN7rocprim17ROCPRIM_400000_NS6detail17trampoline_kernelINS0_14default_configENS1_20scan_config_selectorIfEEZZNS1_9scan_implILNS1_25lookback_scan_determinismE0ELb0ELb0ES3_PKfPffZZZN2at6native31launch_logcumsumexp_cuda_kernelERKNSB_10TensorBaseESF_lENKUlvE_clEvENKUlvE0_clEvEUlffE_fEEDaPvRmT3_T4_T5_mT6_P12ihipStream_tbENKUlT_T0_E_clISt17integral_constantIbLb1EESW_EEDaSR_SS_EUlSR_E_NS1_11comp_targetILNS1_3genE10ELNS1_11target_archE1201ELNS1_3gpuE5ELNS1_3repE0EEENS1_30default_config_static_selectorELNS0_4arch9wavefront6targetE1EEEvT1_
		.amdhsa_group_segment_fixed_size 0
		.amdhsa_private_segment_fixed_size 0
		.amdhsa_kernarg_size 96
		.amdhsa_user_sgpr_count 6
		.amdhsa_user_sgpr_private_segment_buffer 1
		.amdhsa_user_sgpr_dispatch_ptr 0
		.amdhsa_user_sgpr_queue_ptr 0
		.amdhsa_user_sgpr_kernarg_segment_ptr 1
		.amdhsa_user_sgpr_dispatch_id 0
		.amdhsa_user_sgpr_flat_scratch_init 0
		.amdhsa_user_sgpr_kernarg_preload_length 0
		.amdhsa_user_sgpr_kernarg_preload_offset 0
		.amdhsa_user_sgpr_private_segment_size 0
		.amdhsa_uses_dynamic_stack 0
		.amdhsa_system_sgpr_private_segment_wavefront_offset 0
		.amdhsa_system_sgpr_workgroup_id_x 1
		.amdhsa_system_sgpr_workgroup_id_y 0
		.amdhsa_system_sgpr_workgroup_id_z 0
		.amdhsa_system_sgpr_workgroup_info 0
		.amdhsa_system_vgpr_workitem_id 0
		.amdhsa_next_free_vgpr 1
		.amdhsa_next_free_sgpr 0
		.amdhsa_accum_offset 4
		.amdhsa_reserve_vcc 0
		.amdhsa_reserve_flat_scratch 0
		.amdhsa_float_round_mode_32 0
		.amdhsa_float_round_mode_16_64 0
		.amdhsa_float_denorm_mode_32 3
		.amdhsa_float_denorm_mode_16_64 3
		.amdhsa_dx10_clamp 1
		.amdhsa_ieee_mode 1
		.amdhsa_fp16_overflow 0
		.amdhsa_tg_split 0
		.amdhsa_exception_fp_ieee_invalid_op 0
		.amdhsa_exception_fp_denorm_src 0
		.amdhsa_exception_fp_ieee_div_zero 0
		.amdhsa_exception_fp_ieee_overflow 0
		.amdhsa_exception_fp_ieee_underflow 0
		.amdhsa_exception_fp_ieee_inexact 0
		.amdhsa_exception_int_div_zero 0
	.end_amdhsa_kernel
	.section	.text._ZN7rocprim17ROCPRIM_400000_NS6detail17trampoline_kernelINS0_14default_configENS1_20scan_config_selectorIfEEZZNS1_9scan_implILNS1_25lookback_scan_determinismE0ELb0ELb0ES3_PKfPffZZZN2at6native31launch_logcumsumexp_cuda_kernelERKNSB_10TensorBaseESF_lENKUlvE_clEvENKUlvE0_clEvEUlffE_fEEDaPvRmT3_T4_T5_mT6_P12ihipStream_tbENKUlT_T0_E_clISt17integral_constantIbLb1EESW_EEDaSR_SS_EUlSR_E_NS1_11comp_targetILNS1_3genE10ELNS1_11target_archE1201ELNS1_3gpuE5ELNS1_3repE0EEENS1_30default_config_static_selectorELNS0_4arch9wavefront6targetE1EEEvT1_,"axG",@progbits,_ZN7rocprim17ROCPRIM_400000_NS6detail17trampoline_kernelINS0_14default_configENS1_20scan_config_selectorIfEEZZNS1_9scan_implILNS1_25lookback_scan_determinismE0ELb0ELb0ES3_PKfPffZZZN2at6native31launch_logcumsumexp_cuda_kernelERKNSB_10TensorBaseESF_lENKUlvE_clEvENKUlvE0_clEvEUlffE_fEEDaPvRmT3_T4_T5_mT6_P12ihipStream_tbENKUlT_T0_E_clISt17integral_constantIbLb1EESW_EEDaSR_SS_EUlSR_E_NS1_11comp_targetILNS1_3genE10ELNS1_11target_archE1201ELNS1_3gpuE5ELNS1_3repE0EEENS1_30default_config_static_selectorELNS0_4arch9wavefront6targetE1EEEvT1_,comdat
.Lfunc_end120:
	.size	_ZN7rocprim17ROCPRIM_400000_NS6detail17trampoline_kernelINS0_14default_configENS1_20scan_config_selectorIfEEZZNS1_9scan_implILNS1_25lookback_scan_determinismE0ELb0ELb0ES3_PKfPffZZZN2at6native31launch_logcumsumexp_cuda_kernelERKNSB_10TensorBaseESF_lENKUlvE_clEvENKUlvE0_clEvEUlffE_fEEDaPvRmT3_T4_T5_mT6_P12ihipStream_tbENKUlT_T0_E_clISt17integral_constantIbLb1EESW_EEDaSR_SS_EUlSR_E_NS1_11comp_targetILNS1_3genE10ELNS1_11target_archE1201ELNS1_3gpuE5ELNS1_3repE0EEENS1_30default_config_static_selectorELNS0_4arch9wavefront6targetE1EEEvT1_, .Lfunc_end120-_ZN7rocprim17ROCPRIM_400000_NS6detail17trampoline_kernelINS0_14default_configENS1_20scan_config_selectorIfEEZZNS1_9scan_implILNS1_25lookback_scan_determinismE0ELb0ELb0ES3_PKfPffZZZN2at6native31launch_logcumsumexp_cuda_kernelERKNSB_10TensorBaseESF_lENKUlvE_clEvENKUlvE0_clEvEUlffE_fEEDaPvRmT3_T4_T5_mT6_P12ihipStream_tbENKUlT_T0_E_clISt17integral_constantIbLb1EESW_EEDaSR_SS_EUlSR_E_NS1_11comp_targetILNS1_3genE10ELNS1_11target_archE1201ELNS1_3gpuE5ELNS1_3repE0EEENS1_30default_config_static_selectorELNS0_4arch9wavefront6targetE1EEEvT1_
                                        ; -- End function
	.section	.AMDGPU.csdata,"",@progbits
; Kernel info:
; codeLenInByte = 0
; NumSgprs: 4
; NumVgprs: 0
; NumAgprs: 0
; TotalNumVgprs: 0
; ScratchSize: 0
; MemoryBound: 0
; FloatMode: 240
; IeeeMode: 1
; LDSByteSize: 0 bytes/workgroup (compile time only)
; SGPRBlocks: 0
; VGPRBlocks: 0
; NumSGPRsForWavesPerEU: 4
; NumVGPRsForWavesPerEU: 1
; AccumOffset: 4
; Occupancy: 8
; WaveLimiterHint : 0
; COMPUTE_PGM_RSRC2:SCRATCH_EN: 0
; COMPUTE_PGM_RSRC2:USER_SGPR: 6
; COMPUTE_PGM_RSRC2:TRAP_HANDLER: 0
; COMPUTE_PGM_RSRC2:TGID_X_EN: 1
; COMPUTE_PGM_RSRC2:TGID_Y_EN: 0
; COMPUTE_PGM_RSRC2:TGID_Z_EN: 0
; COMPUTE_PGM_RSRC2:TIDIG_COMP_CNT: 0
; COMPUTE_PGM_RSRC3_GFX90A:ACCUM_OFFSET: 0
; COMPUTE_PGM_RSRC3_GFX90A:TG_SPLIT: 0
	.section	.text._ZN7rocprim17ROCPRIM_400000_NS6detail17trampoline_kernelINS0_14default_configENS1_20scan_config_selectorIfEEZZNS1_9scan_implILNS1_25lookback_scan_determinismE0ELb0ELb0ES3_PKfPffZZZN2at6native31launch_logcumsumexp_cuda_kernelERKNSB_10TensorBaseESF_lENKUlvE_clEvENKUlvE0_clEvEUlffE_fEEDaPvRmT3_T4_T5_mT6_P12ihipStream_tbENKUlT_T0_E_clISt17integral_constantIbLb1EESW_EEDaSR_SS_EUlSR_E_NS1_11comp_targetILNS1_3genE10ELNS1_11target_archE1200ELNS1_3gpuE4ELNS1_3repE0EEENS1_30default_config_static_selectorELNS0_4arch9wavefront6targetE1EEEvT1_,"axG",@progbits,_ZN7rocprim17ROCPRIM_400000_NS6detail17trampoline_kernelINS0_14default_configENS1_20scan_config_selectorIfEEZZNS1_9scan_implILNS1_25lookback_scan_determinismE0ELb0ELb0ES3_PKfPffZZZN2at6native31launch_logcumsumexp_cuda_kernelERKNSB_10TensorBaseESF_lENKUlvE_clEvENKUlvE0_clEvEUlffE_fEEDaPvRmT3_T4_T5_mT6_P12ihipStream_tbENKUlT_T0_E_clISt17integral_constantIbLb1EESW_EEDaSR_SS_EUlSR_E_NS1_11comp_targetILNS1_3genE10ELNS1_11target_archE1200ELNS1_3gpuE4ELNS1_3repE0EEENS1_30default_config_static_selectorELNS0_4arch9wavefront6targetE1EEEvT1_,comdat
	.globl	_ZN7rocprim17ROCPRIM_400000_NS6detail17trampoline_kernelINS0_14default_configENS1_20scan_config_selectorIfEEZZNS1_9scan_implILNS1_25lookback_scan_determinismE0ELb0ELb0ES3_PKfPffZZZN2at6native31launch_logcumsumexp_cuda_kernelERKNSB_10TensorBaseESF_lENKUlvE_clEvENKUlvE0_clEvEUlffE_fEEDaPvRmT3_T4_T5_mT6_P12ihipStream_tbENKUlT_T0_E_clISt17integral_constantIbLb1EESW_EEDaSR_SS_EUlSR_E_NS1_11comp_targetILNS1_3genE10ELNS1_11target_archE1200ELNS1_3gpuE4ELNS1_3repE0EEENS1_30default_config_static_selectorELNS0_4arch9wavefront6targetE1EEEvT1_ ; -- Begin function _ZN7rocprim17ROCPRIM_400000_NS6detail17trampoline_kernelINS0_14default_configENS1_20scan_config_selectorIfEEZZNS1_9scan_implILNS1_25lookback_scan_determinismE0ELb0ELb0ES3_PKfPffZZZN2at6native31launch_logcumsumexp_cuda_kernelERKNSB_10TensorBaseESF_lENKUlvE_clEvENKUlvE0_clEvEUlffE_fEEDaPvRmT3_T4_T5_mT6_P12ihipStream_tbENKUlT_T0_E_clISt17integral_constantIbLb1EESW_EEDaSR_SS_EUlSR_E_NS1_11comp_targetILNS1_3genE10ELNS1_11target_archE1200ELNS1_3gpuE4ELNS1_3repE0EEENS1_30default_config_static_selectorELNS0_4arch9wavefront6targetE1EEEvT1_
	.p2align	8
	.type	_ZN7rocprim17ROCPRIM_400000_NS6detail17trampoline_kernelINS0_14default_configENS1_20scan_config_selectorIfEEZZNS1_9scan_implILNS1_25lookback_scan_determinismE0ELb0ELb0ES3_PKfPffZZZN2at6native31launch_logcumsumexp_cuda_kernelERKNSB_10TensorBaseESF_lENKUlvE_clEvENKUlvE0_clEvEUlffE_fEEDaPvRmT3_T4_T5_mT6_P12ihipStream_tbENKUlT_T0_E_clISt17integral_constantIbLb1EESW_EEDaSR_SS_EUlSR_E_NS1_11comp_targetILNS1_3genE10ELNS1_11target_archE1200ELNS1_3gpuE4ELNS1_3repE0EEENS1_30default_config_static_selectorELNS0_4arch9wavefront6targetE1EEEvT1_,@function
_ZN7rocprim17ROCPRIM_400000_NS6detail17trampoline_kernelINS0_14default_configENS1_20scan_config_selectorIfEEZZNS1_9scan_implILNS1_25lookback_scan_determinismE0ELb0ELb0ES3_PKfPffZZZN2at6native31launch_logcumsumexp_cuda_kernelERKNSB_10TensorBaseESF_lENKUlvE_clEvENKUlvE0_clEvEUlffE_fEEDaPvRmT3_T4_T5_mT6_P12ihipStream_tbENKUlT_T0_E_clISt17integral_constantIbLb1EESW_EEDaSR_SS_EUlSR_E_NS1_11comp_targetILNS1_3genE10ELNS1_11target_archE1200ELNS1_3gpuE4ELNS1_3repE0EEENS1_30default_config_static_selectorELNS0_4arch9wavefront6targetE1EEEvT1_: ; @_ZN7rocprim17ROCPRIM_400000_NS6detail17trampoline_kernelINS0_14default_configENS1_20scan_config_selectorIfEEZZNS1_9scan_implILNS1_25lookback_scan_determinismE0ELb0ELb0ES3_PKfPffZZZN2at6native31launch_logcumsumexp_cuda_kernelERKNSB_10TensorBaseESF_lENKUlvE_clEvENKUlvE0_clEvEUlffE_fEEDaPvRmT3_T4_T5_mT6_P12ihipStream_tbENKUlT_T0_E_clISt17integral_constantIbLb1EESW_EEDaSR_SS_EUlSR_E_NS1_11comp_targetILNS1_3genE10ELNS1_11target_archE1200ELNS1_3gpuE4ELNS1_3repE0EEENS1_30default_config_static_selectorELNS0_4arch9wavefront6targetE1EEEvT1_
; %bb.0:
	.section	.rodata,"a",@progbits
	.p2align	6, 0x0
	.amdhsa_kernel _ZN7rocprim17ROCPRIM_400000_NS6detail17trampoline_kernelINS0_14default_configENS1_20scan_config_selectorIfEEZZNS1_9scan_implILNS1_25lookback_scan_determinismE0ELb0ELb0ES3_PKfPffZZZN2at6native31launch_logcumsumexp_cuda_kernelERKNSB_10TensorBaseESF_lENKUlvE_clEvENKUlvE0_clEvEUlffE_fEEDaPvRmT3_T4_T5_mT6_P12ihipStream_tbENKUlT_T0_E_clISt17integral_constantIbLb1EESW_EEDaSR_SS_EUlSR_E_NS1_11comp_targetILNS1_3genE10ELNS1_11target_archE1200ELNS1_3gpuE4ELNS1_3repE0EEENS1_30default_config_static_selectorELNS0_4arch9wavefront6targetE1EEEvT1_
		.amdhsa_group_segment_fixed_size 0
		.amdhsa_private_segment_fixed_size 0
		.amdhsa_kernarg_size 96
		.amdhsa_user_sgpr_count 6
		.amdhsa_user_sgpr_private_segment_buffer 1
		.amdhsa_user_sgpr_dispatch_ptr 0
		.amdhsa_user_sgpr_queue_ptr 0
		.amdhsa_user_sgpr_kernarg_segment_ptr 1
		.amdhsa_user_sgpr_dispatch_id 0
		.amdhsa_user_sgpr_flat_scratch_init 0
		.amdhsa_user_sgpr_kernarg_preload_length 0
		.amdhsa_user_sgpr_kernarg_preload_offset 0
		.amdhsa_user_sgpr_private_segment_size 0
		.amdhsa_uses_dynamic_stack 0
		.amdhsa_system_sgpr_private_segment_wavefront_offset 0
		.amdhsa_system_sgpr_workgroup_id_x 1
		.amdhsa_system_sgpr_workgroup_id_y 0
		.amdhsa_system_sgpr_workgroup_id_z 0
		.amdhsa_system_sgpr_workgroup_info 0
		.amdhsa_system_vgpr_workitem_id 0
		.amdhsa_next_free_vgpr 1
		.amdhsa_next_free_sgpr 0
		.amdhsa_accum_offset 4
		.amdhsa_reserve_vcc 0
		.amdhsa_reserve_flat_scratch 0
		.amdhsa_float_round_mode_32 0
		.amdhsa_float_round_mode_16_64 0
		.amdhsa_float_denorm_mode_32 3
		.amdhsa_float_denorm_mode_16_64 3
		.amdhsa_dx10_clamp 1
		.amdhsa_ieee_mode 1
		.amdhsa_fp16_overflow 0
		.amdhsa_tg_split 0
		.amdhsa_exception_fp_ieee_invalid_op 0
		.amdhsa_exception_fp_denorm_src 0
		.amdhsa_exception_fp_ieee_div_zero 0
		.amdhsa_exception_fp_ieee_overflow 0
		.amdhsa_exception_fp_ieee_underflow 0
		.amdhsa_exception_fp_ieee_inexact 0
		.amdhsa_exception_int_div_zero 0
	.end_amdhsa_kernel
	.section	.text._ZN7rocprim17ROCPRIM_400000_NS6detail17trampoline_kernelINS0_14default_configENS1_20scan_config_selectorIfEEZZNS1_9scan_implILNS1_25lookback_scan_determinismE0ELb0ELb0ES3_PKfPffZZZN2at6native31launch_logcumsumexp_cuda_kernelERKNSB_10TensorBaseESF_lENKUlvE_clEvENKUlvE0_clEvEUlffE_fEEDaPvRmT3_T4_T5_mT6_P12ihipStream_tbENKUlT_T0_E_clISt17integral_constantIbLb1EESW_EEDaSR_SS_EUlSR_E_NS1_11comp_targetILNS1_3genE10ELNS1_11target_archE1200ELNS1_3gpuE4ELNS1_3repE0EEENS1_30default_config_static_selectorELNS0_4arch9wavefront6targetE1EEEvT1_,"axG",@progbits,_ZN7rocprim17ROCPRIM_400000_NS6detail17trampoline_kernelINS0_14default_configENS1_20scan_config_selectorIfEEZZNS1_9scan_implILNS1_25lookback_scan_determinismE0ELb0ELb0ES3_PKfPffZZZN2at6native31launch_logcumsumexp_cuda_kernelERKNSB_10TensorBaseESF_lENKUlvE_clEvENKUlvE0_clEvEUlffE_fEEDaPvRmT3_T4_T5_mT6_P12ihipStream_tbENKUlT_T0_E_clISt17integral_constantIbLb1EESW_EEDaSR_SS_EUlSR_E_NS1_11comp_targetILNS1_3genE10ELNS1_11target_archE1200ELNS1_3gpuE4ELNS1_3repE0EEENS1_30default_config_static_selectorELNS0_4arch9wavefront6targetE1EEEvT1_,comdat
.Lfunc_end121:
	.size	_ZN7rocprim17ROCPRIM_400000_NS6detail17trampoline_kernelINS0_14default_configENS1_20scan_config_selectorIfEEZZNS1_9scan_implILNS1_25lookback_scan_determinismE0ELb0ELb0ES3_PKfPffZZZN2at6native31launch_logcumsumexp_cuda_kernelERKNSB_10TensorBaseESF_lENKUlvE_clEvENKUlvE0_clEvEUlffE_fEEDaPvRmT3_T4_T5_mT6_P12ihipStream_tbENKUlT_T0_E_clISt17integral_constantIbLb1EESW_EEDaSR_SS_EUlSR_E_NS1_11comp_targetILNS1_3genE10ELNS1_11target_archE1200ELNS1_3gpuE4ELNS1_3repE0EEENS1_30default_config_static_selectorELNS0_4arch9wavefront6targetE1EEEvT1_, .Lfunc_end121-_ZN7rocprim17ROCPRIM_400000_NS6detail17trampoline_kernelINS0_14default_configENS1_20scan_config_selectorIfEEZZNS1_9scan_implILNS1_25lookback_scan_determinismE0ELb0ELb0ES3_PKfPffZZZN2at6native31launch_logcumsumexp_cuda_kernelERKNSB_10TensorBaseESF_lENKUlvE_clEvENKUlvE0_clEvEUlffE_fEEDaPvRmT3_T4_T5_mT6_P12ihipStream_tbENKUlT_T0_E_clISt17integral_constantIbLb1EESW_EEDaSR_SS_EUlSR_E_NS1_11comp_targetILNS1_3genE10ELNS1_11target_archE1200ELNS1_3gpuE4ELNS1_3repE0EEENS1_30default_config_static_selectorELNS0_4arch9wavefront6targetE1EEEvT1_
                                        ; -- End function
	.section	.AMDGPU.csdata,"",@progbits
; Kernel info:
; codeLenInByte = 0
; NumSgprs: 4
; NumVgprs: 0
; NumAgprs: 0
; TotalNumVgprs: 0
; ScratchSize: 0
; MemoryBound: 0
; FloatMode: 240
; IeeeMode: 1
; LDSByteSize: 0 bytes/workgroup (compile time only)
; SGPRBlocks: 0
; VGPRBlocks: 0
; NumSGPRsForWavesPerEU: 4
; NumVGPRsForWavesPerEU: 1
; AccumOffset: 4
; Occupancy: 8
; WaveLimiterHint : 0
; COMPUTE_PGM_RSRC2:SCRATCH_EN: 0
; COMPUTE_PGM_RSRC2:USER_SGPR: 6
; COMPUTE_PGM_RSRC2:TRAP_HANDLER: 0
; COMPUTE_PGM_RSRC2:TGID_X_EN: 1
; COMPUTE_PGM_RSRC2:TGID_Y_EN: 0
; COMPUTE_PGM_RSRC2:TGID_Z_EN: 0
; COMPUTE_PGM_RSRC2:TIDIG_COMP_CNT: 0
; COMPUTE_PGM_RSRC3_GFX90A:ACCUM_OFFSET: 0
; COMPUTE_PGM_RSRC3_GFX90A:TG_SPLIT: 0
	.section	.text._ZN7rocprim17ROCPRIM_400000_NS6detail17trampoline_kernelINS0_14default_configENS1_20scan_config_selectorIfEEZZNS1_9scan_implILNS1_25lookback_scan_determinismE0ELb0ELb0ES3_PKfPffZZZN2at6native31launch_logcumsumexp_cuda_kernelERKNSB_10TensorBaseESF_lENKUlvE_clEvENKUlvE0_clEvEUlffE_fEEDaPvRmT3_T4_T5_mT6_P12ihipStream_tbENKUlT_T0_E_clISt17integral_constantIbLb1EESW_EEDaSR_SS_EUlSR_E_NS1_11comp_targetILNS1_3genE9ELNS1_11target_archE1100ELNS1_3gpuE3ELNS1_3repE0EEENS1_30default_config_static_selectorELNS0_4arch9wavefront6targetE1EEEvT1_,"axG",@progbits,_ZN7rocprim17ROCPRIM_400000_NS6detail17trampoline_kernelINS0_14default_configENS1_20scan_config_selectorIfEEZZNS1_9scan_implILNS1_25lookback_scan_determinismE0ELb0ELb0ES3_PKfPffZZZN2at6native31launch_logcumsumexp_cuda_kernelERKNSB_10TensorBaseESF_lENKUlvE_clEvENKUlvE0_clEvEUlffE_fEEDaPvRmT3_T4_T5_mT6_P12ihipStream_tbENKUlT_T0_E_clISt17integral_constantIbLb1EESW_EEDaSR_SS_EUlSR_E_NS1_11comp_targetILNS1_3genE9ELNS1_11target_archE1100ELNS1_3gpuE3ELNS1_3repE0EEENS1_30default_config_static_selectorELNS0_4arch9wavefront6targetE1EEEvT1_,comdat
	.globl	_ZN7rocprim17ROCPRIM_400000_NS6detail17trampoline_kernelINS0_14default_configENS1_20scan_config_selectorIfEEZZNS1_9scan_implILNS1_25lookback_scan_determinismE0ELb0ELb0ES3_PKfPffZZZN2at6native31launch_logcumsumexp_cuda_kernelERKNSB_10TensorBaseESF_lENKUlvE_clEvENKUlvE0_clEvEUlffE_fEEDaPvRmT3_T4_T5_mT6_P12ihipStream_tbENKUlT_T0_E_clISt17integral_constantIbLb1EESW_EEDaSR_SS_EUlSR_E_NS1_11comp_targetILNS1_3genE9ELNS1_11target_archE1100ELNS1_3gpuE3ELNS1_3repE0EEENS1_30default_config_static_selectorELNS0_4arch9wavefront6targetE1EEEvT1_ ; -- Begin function _ZN7rocprim17ROCPRIM_400000_NS6detail17trampoline_kernelINS0_14default_configENS1_20scan_config_selectorIfEEZZNS1_9scan_implILNS1_25lookback_scan_determinismE0ELb0ELb0ES3_PKfPffZZZN2at6native31launch_logcumsumexp_cuda_kernelERKNSB_10TensorBaseESF_lENKUlvE_clEvENKUlvE0_clEvEUlffE_fEEDaPvRmT3_T4_T5_mT6_P12ihipStream_tbENKUlT_T0_E_clISt17integral_constantIbLb1EESW_EEDaSR_SS_EUlSR_E_NS1_11comp_targetILNS1_3genE9ELNS1_11target_archE1100ELNS1_3gpuE3ELNS1_3repE0EEENS1_30default_config_static_selectorELNS0_4arch9wavefront6targetE1EEEvT1_
	.p2align	8
	.type	_ZN7rocprim17ROCPRIM_400000_NS6detail17trampoline_kernelINS0_14default_configENS1_20scan_config_selectorIfEEZZNS1_9scan_implILNS1_25lookback_scan_determinismE0ELb0ELb0ES3_PKfPffZZZN2at6native31launch_logcumsumexp_cuda_kernelERKNSB_10TensorBaseESF_lENKUlvE_clEvENKUlvE0_clEvEUlffE_fEEDaPvRmT3_T4_T5_mT6_P12ihipStream_tbENKUlT_T0_E_clISt17integral_constantIbLb1EESW_EEDaSR_SS_EUlSR_E_NS1_11comp_targetILNS1_3genE9ELNS1_11target_archE1100ELNS1_3gpuE3ELNS1_3repE0EEENS1_30default_config_static_selectorELNS0_4arch9wavefront6targetE1EEEvT1_,@function
_ZN7rocprim17ROCPRIM_400000_NS6detail17trampoline_kernelINS0_14default_configENS1_20scan_config_selectorIfEEZZNS1_9scan_implILNS1_25lookback_scan_determinismE0ELb0ELb0ES3_PKfPffZZZN2at6native31launch_logcumsumexp_cuda_kernelERKNSB_10TensorBaseESF_lENKUlvE_clEvENKUlvE0_clEvEUlffE_fEEDaPvRmT3_T4_T5_mT6_P12ihipStream_tbENKUlT_T0_E_clISt17integral_constantIbLb1EESW_EEDaSR_SS_EUlSR_E_NS1_11comp_targetILNS1_3genE9ELNS1_11target_archE1100ELNS1_3gpuE3ELNS1_3repE0EEENS1_30default_config_static_selectorELNS0_4arch9wavefront6targetE1EEEvT1_: ; @_ZN7rocprim17ROCPRIM_400000_NS6detail17trampoline_kernelINS0_14default_configENS1_20scan_config_selectorIfEEZZNS1_9scan_implILNS1_25lookback_scan_determinismE0ELb0ELb0ES3_PKfPffZZZN2at6native31launch_logcumsumexp_cuda_kernelERKNSB_10TensorBaseESF_lENKUlvE_clEvENKUlvE0_clEvEUlffE_fEEDaPvRmT3_T4_T5_mT6_P12ihipStream_tbENKUlT_T0_E_clISt17integral_constantIbLb1EESW_EEDaSR_SS_EUlSR_E_NS1_11comp_targetILNS1_3genE9ELNS1_11target_archE1100ELNS1_3gpuE3ELNS1_3repE0EEENS1_30default_config_static_selectorELNS0_4arch9wavefront6targetE1EEEvT1_
; %bb.0:
	.section	.rodata,"a",@progbits
	.p2align	6, 0x0
	.amdhsa_kernel _ZN7rocprim17ROCPRIM_400000_NS6detail17trampoline_kernelINS0_14default_configENS1_20scan_config_selectorIfEEZZNS1_9scan_implILNS1_25lookback_scan_determinismE0ELb0ELb0ES3_PKfPffZZZN2at6native31launch_logcumsumexp_cuda_kernelERKNSB_10TensorBaseESF_lENKUlvE_clEvENKUlvE0_clEvEUlffE_fEEDaPvRmT3_T4_T5_mT6_P12ihipStream_tbENKUlT_T0_E_clISt17integral_constantIbLb1EESW_EEDaSR_SS_EUlSR_E_NS1_11comp_targetILNS1_3genE9ELNS1_11target_archE1100ELNS1_3gpuE3ELNS1_3repE0EEENS1_30default_config_static_selectorELNS0_4arch9wavefront6targetE1EEEvT1_
		.amdhsa_group_segment_fixed_size 0
		.amdhsa_private_segment_fixed_size 0
		.amdhsa_kernarg_size 96
		.amdhsa_user_sgpr_count 6
		.amdhsa_user_sgpr_private_segment_buffer 1
		.amdhsa_user_sgpr_dispatch_ptr 0
		.amdhsa_user_sgpr_queue_ptr 0
		.amdhsa_user_sgpr_kernarg_segment_ptr 1
		.amdhsa_user_sgpr_dispatch_id 0
		.amdhsa_user_sgpr_flat_scratch_init 0
		.amdhsa_user_sgpr_kernarg_preload_length 0
		.amdhsa_user_sgpr_kernarg_preload_offset 0
		.amdhsa_user_sgpr_private_segment_size 0
		.amdhsa_uses_dynamic_stack 0
		.amdhsa_system_sgpr_private_segment_wavefront_offset 0
		.amdhsa_system_sgpr_workgroup_id_x 1
		.amdhsa_system_sgpr_workgroup_id_y 0
		.amdhsa_system_sgpr_workgroup_id_z 0
		.amdhsa_system_sgpr_workgroup_info 0
		.amdhsa_system_vgpr_workitem_id 0
		.amdhsa_next_free_vgpr 1
		.amdhsa_next_free_sgpr 0
		.amdhsa_accum_offset 4
		.amdhsa_reserve_vcc 0
		.amdhsa_reserve_flat_scratch 0
		.amdhsa_float_round_mode_32 0
		.amdhsa_float_round_mode_16_64 0
		.amdhsa_float_denorm_mode_32 3
		.amdhsa_float_denorm_mode_16_64 3
		.amdhsa_dx10_clamp 1
		.amdhsa_ieee_mode 1
		.amdhsa_fp16_overflow 0
		.amdhsa_tg_split 0
		.amdhsa_exception_fp_ieee_invalid_op 0
		.amdhsa_exception_fp_denorm_src 0
		.amdhsa_exception_fp_ieee_div_zero 0
		.amdhsa_exception_fp_ieee_overflow 0
		.amdhsa_exception_fp_ieee_underflow 0
		.amdhsa_exception_fp_ieee_inexact 0
		.amdhsa_exception_int_div_zero 0
	.end_amdhsa_kernel
	.section	.text._ZN7rocprim17ROCPRIM_400000_NS6detail17trampoline_kernelINS0_14default_configENS1_20scan_config_selectorIfEEZZNS1_9scan_implILNS1_25lookback_scan_determinismE0ELb0ELb0ES3_PKfPffZZZN2at6native31launch_logcumsumexp_cuda_kernelERKNSB_10TensorBaseESF_lENKUlvE_clEvENKUlvE0_clEvEUlffE_fEEDaPvRmT3_T4_T5_mT6_P12ihipStream_tbENKUlT_T0_E_clISt17integral_constantIbLb1EESW_EEDaSR_SS_EUlSR_E_NS1_11comp_targetILNS1_3genE9ELNS1_11target_archE1100ELNS1_3gpuE3ELNS1_3repE0EEENS1_30default_config_static_selectorELNS0_4arch9wavefront6targetE1EEEvT1_,"axG",@progbits,_ZN7rocprim17ROCPRIM_400000_NS6detail17trampoline_kernelINS0_14default_configENS1_20scan_config_selectorIfEEZZNS1_9scan_implILNS1_25lookback_scan_determinismE0ELb0ELb0ES3_PKfPffZZZN2at6native31launch_logcumsumexp_cuda_kernelERKNSB_10TensorBaseESF_lENKUlvE_clEvENKUlvE0_clEvEUlffE_fEEDaPvRmT3_T4_T5_mT6_P12ihipStream_tbENKUlT_T0_E_clISt17integral_constantIbLb1EESW_EEDaSR_SS_EUlSR_E_NS1_11comp_targetILNS1_3genE9ELNS1_11target_archE1100ELNS1_3gpuE3ELNS1_3repE0EEENS1_30default_config_static_selectorELNS0_4arch9wavefront6targetE1EEEvT1_,comdat
.Lfunc_end122:
	.size	_ZN7rocprim17ROCPRIM_400000_NS6detail17trampoline_kernelINS0_14default_configENS1_20scan_config_selectorIfEEZZNS1_9scan_implILNS1_25lookback_scan_determinismE0ELb0ELb0ES3_PKfPffZZZN2at6native31launch_logcumsumexp_cuda_kernelERKNSB_10TensorBaseESF_lENKUlvE_clEvENKUlvE0_clEvEUlffE_fEEDaPvRmT3_T4_T5_mT6_P12ihipStream_tbENKUlT_T0_E_clISt17integral_constantIbLb1EESW_EEDaSR_SS_EUlSR_E_NS1_11comp_targetILNS1_3genE9ELNS1_11target_archE1100ELNS1_3gpuE3ELNS1_3repE0EEENS1_30default_config_static_selectorELNS0_4arch9wavefront6targetE1EEEvT1_, .Lfunc_end122-_ZN7rocprim17ROCPRIM_400000_NS6detail17trampoline_kernelINS0_14default_configENS1_20scan_config_selectorIfEEZZNS1_9scan_implILNS1_25lookback_scan_determinismE0ELb0ELb0ES3_PKfPffZZZN2at6native31launch_logcumsumexp_cuda_kernelERKNSB_10TensorBaseESF_lENKUlvE_clEvENKUlvE0_clEvEUlffE_fEEDaPvRmT3_T4_T5_mT6_P12ihipStream_tbENKUlT_T0_E_clISt17integral_constantIbLb1EESW_EEDaSR_SS_EUlSR_E_NS1_11comp_targetILNS1_3genE9ELNS1_11target_archE1100ELNS1_3gpuE3ELNS1_3repE0EEENS1_30default_config_static_selectorELNS0_4arch9wavefront6targetE1EEEvT1_
                                        ; -- End function
	.section	.AMDGPU.csdata,"",@progbits
; Kernel info:
; codeLenInByte = 0
; NumSgprs: 4
; NumVgprs: 0
; NumAgprs: 0
; TotalNumVgprs: 0
; ScratchSize: 0
; MemoryBound: 0
; FloatMode: 240
; IeeeMode: 1
; LDSByteSize: 0 bytes/workgroup (compile time only)
; SGPRBlocks: 0
; VGPRBlocks: 0
; NumSGPRsForWavesPerEU: 4
; NumVGPRsForWavesPerEU: 1
; AccumOffset: 4
; Occupancy: 8
; WaveLimiterHint : 0
; COMPUTE_PGM_RSRC2:SCRATCH_EN: 0
; COMPUTE_PGM_RSRC2:USER_SGPR: 6
; COMPUTE_PGM_RSRC2:TRAP_HANDLER: 0
; COMPUTE_PGM_RSRC2:TGID_X_EN: 1
; COMPUTE_PGM_RSRC2:TGID_Y_EN: 0
; COMPUTE_PGM_RSRC2:TGID_Z_EN: 0
; COMPUTE_PGM_RSRC2:TIDIG_COMP_CNT: 0
; COMPUTE_PGM_RSRC3_GFX90A:ACCUM_OFFSET: 0
; COMPUTE_PGM_RSRC3_GFX90A:TG_SPLIT: 0
	.section	.text._ZN7rocprim17ROCPRIM_400000_NS6detail17trampoline_kernelINS0_14default_configENS1_20scan_config_selectorIfEEZZNS1_9scan_implILNS1_25lookback_scan_determinismE0ELb0ELb0ES3_PKfPffZZZN2at6native31launch_logcumsumexp_cuda_kernelERKNSB_10TensorBaseESF_lENKUlvE_clEvENKUlvE0_clEvEUlffE_fEEDaPvRmT3_T4_T5_mT6_P12ihipStream_tbENKUlT_T0_E_clISt17integral_constantIbLb1EESW_EEDaSR_SS_EUlSR_E_NS1_11comp_targetILNS1_3genE8ELNS1_11target_archE1030ELNS1_3gpuE2ELNS1_3repE0EEENS1_30default_config_static_selectorELNS0_4arch9wavefront6targetE1EEEvT1_,"axG",@progbits,_ZN7rocprim17ROCPRIM_400000_NS6detail17trampoline_kernelINS0_14default_configENS1_20scan_config_selectorIfEEZZNS1_9scan_implILNS1_25lookback_scan_determinismE0ELb0ELb0ES3_PKfPffZZZN2at6native31launch_logcumsumexp_cuda_kernelERKNSB_10TensorBaseESF_lENKUlvE_clEvENKUlvE0_clEvEUlffE_fEEDaPvRmT3_T4_T5_mT6_P12ihipStream_tbENKUlT_T0_E_clISt17integral_constantIbLb1EESW_EEDaSR_SS_EUlSR_E_NS1_11comp_targetILNS1_3genE8ELNS1_11target_archE1030ELNS1_3gpuE2ELNS1_3repE0EEENS1_30default_config_static_selectorELNS0_4arch9wavefront6targetE1EEEvT1_,comdat
	.globl	_ZN7rocprim17ROCPRIM_400000_NS6detail17trampoline_kernelINS0_14default_configENS1_20scan_config_selectorIfEEZZNS1_9scan_implILNS1_25lookback_scan_determinismE0ELb0ELb0ES3_PKfPffZZZN2at6native31launch_logcumsumexp_cuda_kernelERKNSB_10TensorBaseESF_lENKUlvE_clEvENKUlvE0_clEvEUlffE_fEEDaPvRmT3_T4_T5_mT6_P12ihipStream_tbENKUlT_T0_E_clISt17integral_constantIbLb1EESW_EEDaSR_SS_EUlSR_E_NS1_11comp_targetILNS1_3genE8ELNS1_11target_archE1030ELNS1_3gpuE2ELNS1_3repE0EEENS1_30default_config_static_selectorELNS0_4arch9wavefront6targetE1EEEvT1_ ; -- Begin function _ZN7rocprim17ROCPRIM_400000_NS6detail17trampoline_kernelINS0_14default_configENS1_20scan_config_selectorIfEEZZNS1_9scan_implILNS1_25lookback_scan_determinismE0ELb0ELb0ES3_PKfPffZZZN2at6native31launch_logcumsumexp_cuda_kernelERKNSB_10TensorBaseESF_lENKUlvE_clEvENKUlvE0_clEvEUlffE_fEEDaPvRmT3_T4_T5_mT6_P12ihipStream_tbENKUlT_T0_E_clISt17integral_constantIbLb1EESW_EEDaSR_SS_EUlSR_E_NS1_11comp_targetILNS1_3genE8ELNS1_11target_archE1030ELNS1_3gpuE2ELNS1_3repE0EEENS1_30default_config_static_selectorELNS0_4arch9wavefront6targetE1EEEvT1_
	.p2align	8
	.type	_ZN7rocprim17ROCPRIM_400000_NS6detail17trampoline_kernelINS0_14default_configENS1_20scan_config_selectorIfEEZZNS1_9scan_implILNS1_25lookback_scan_determinismE0ELb0ELb0ES3_PKfPffZZZN2at6native31launch_logcumsumexp_cuda_kernelERKNSB_10TensorBaseESF_lENKUlvE_clEvENKUlvE0_clEvEUlffE_fEEDaPvRmT3_T4_T5_mT6_P12ihipStream_tbENKUlT_T0_E_clISt17integral_constantIbLb1EESW_EEDaSR_SS_EUlSR_E_NS1_11comp_targetILNS1_3genE8ELNS1_11target_archE1030ELNS1_3gpuE2ELNS1_3repE0EEENS1_30default_config_static_selectorELNS0_4arch9wavefront6targetE1EEEvT1_,@function
_ZN7rocprim17ROCPRIM_400000_NS6detail17trampoline_kernelINS0_14default_configENS1_20scan_config_selectorIfEEZZNS1_9scan_implILNS1_25lookback_scan_determinismE0ELb0ELb0ES3_PKfPffZZZN2at6native31launch_logcumsumexp_cuda_kernelERKNSB_10TensorBaseESF_lENKUlvE_clEvENKUlvE0_clEvEUlffE_fEEDaPvRmT3_T4_T5_mT6_P12ihipStream_tbENKUlT_T0_E_clISt17integral_constantIbLb1EESW_EEDaSR_SS_EUlSR_E_NS1_11comp_targetILNS1_3genE8ELNS1_11target_archE1030ELNS1_3gpuE2ELNS1_3repE0EEENS1_30default_config_static_selectorELNS0_4arch9wavefront6targetE1EEEvT1_: ; @_ZN7rocprim17ROCPRIM_400000_NS6detail17trampoline_kernelINS0_14default_configENS1_20scan_config_selectorIfEEZZNS1_9scan_implILNS1_25lookback_scan_determinismE0ELb0ELb0ES3_PKfPffZZZN2at6native31launch_logcumsumexp_cuda_kernelERKNSB_10TensorBaseESF_lENKUlvE_clEvENKUlvE0_clEvEUlffE_fEEDaPvRmT3_T4_T5_mT6_P12ihipStream_tbENKUlT_T0_E_clISt17integral_constantIbLb1EESW_EEDaSR_SS_EUlSR_E_NS1_11comp_targetILNS1_3genE8ELNS1_11target_archE1030ELNS1_3gpuE2ELNS1_3repE0EEENS1_30default_config_static_selectorELNS0_4arch9wavefront6targetE1EEEvT1_
; %bb.0:
	.section	.rodata,"a",@progbits
	.p2align	6, 0x0
	.amdhsa_kernel _ZN7rocprim17ROCPRIM_400000_NS6detail17trampoline_kernelINS0_14default_configENS1_20scan_config_selectorIfEEZZNS1_9scan_implILNS1_25lookback_scan_determinismE0ELb0ELb0ES3_PKfPffZZZN2at6native31launch_logcumsumexp_cuda_kernelERKNSB_10TensorBaseESF_lENKUlvE_clEvENKUlvE0_clEvEUlffE_fEEDaPvRmT3_T4_T5_mT6_P12ihipStream_tbENKUlT_T0_E_clISt17integral_constantIbLb1EESW_EEDaSR_SS_EUlSR_E_NS1_11comp_targetILNS1_3genE8ELNS1_11target_archE1030ELNS1_3gpuE2ELNS1_3repE0EEENS1_30default_config_static_selectorELNS0_4arch9wavefront6targetE1EEEvT1_
		.amdhsa_group_segment_fixed_size 0
		.amdhsa_private_segment_fixed_size 0
		.amdhsa_kernarg_size 96
		.amdhsa_user_sgpr_count 6
		.amdhsa_user_sgpr_private_segment_buffer 1
		.amdhsa_user_sgpr_dispatch_ptr 0
		.amdhsa_user_sgpr_queue_ptr 0
		.amdhsa_user_sgpr_kernarg_segment_ptr 1
		.amdhsa_user_sgpr_dispatch_id 0
		.amdhsa_user_sgpr_flat_scratch_init 0
		.amdhsa_user_sgpr_kernarg_preload_length 0
		.amdhsa_user_sgpr_kernarg_preload_offset 0
		.amdhsa_user_sgpr_private_segment_size 0
		.amdhsa_uses_dynamic_stack 0
		.amdhsa_system_sgpr_private_segment_wavefront_offset 0
		.amdhsa_system_sgpr_workgroup_id_x 1
		.amdhsa_system_sgpr_workgroup_id_y 0
		.amdhsa_system_sgpr_workgroup_id_z 0
		.amdhsa_system_sgpr_workgroup_info 0
		.amdhsa_system_vgpr_workitem_id 0
		.amdhsa_next_free_vgpr 1
		.amdhsa_next_free_sgpr 0
		.amdhsa_accum_offset 4
		.amdhsa_reserve_vcc 0
		.amdhsa_reserve_flat_scratch 0
		.amdhsa_float_round_mode_32 0
		.amdhsa_float_round_mode_16_64 0
		.amdhsa_float_denorm_mode_32 3
		.amdhsa_float_denorm_mode_16_64 3
		.amdhsa_dx10_clamp 1
		.amdhsa_ieee_mode 1
		.amdhsa_fp16_overflow 0
		.amdhsa_tg_split 0
		.amdhsa_exception_fp_ieee_invalid_op 0
		.amdhsa_exception_fp_denorm_src 0
		.amdhsa_exception_fp_ieee_div_zero 0
		.amdhsa_exception_fp_ieee_overflow 0
		.amdhsa_exception_fp_ieee_underflow 0
		.amdhsa_exception_fp_ieee_inexact 0
		.amdhsa_exception_int_div_zero 0
	.end_amdhsa_kernel
	.section	.text._ZN7rocprim17ROCPRIM_400000_NS6detail17trampoline_kernelINS0_14default_configENS1_20scan_config_selectorIfEEZZNS1_9scan_implILNS1_25lookback_scan_determinismE0ELb0ELb0ES3_PKfPffZZZN2at6native31launch_logcumsumexp_cuda_kernelERKNSB_10TensorBaseESF_lENKUlvE_clEvENKUlvE0_clEvEUlffE_fEEDaPvRmT3_T4_T5_mT6_P12ihipStream_tbENKUlT_T0_E_clISt17integral_constantIbLb1EESW_EEDaSR_SS_EUlSR_E_NS1_11comp_targetILNS1_3genE8ELNS1_11target_archE1030ELNS1_3gpuE2ELNS1_3repE0EEENS1_30default_config_static_selectorELNS0_4arch9wavefront6targetE1EEEvT1_,"axG",@progbits,_ZN7rocprim17ROCPRIM_400000_NS6detail17trampoline_kernelINS0_14default_configENS1_20scan_config_selectorIfEEZZNS1_9scan_implILNS1_25lookback_scan_determinismE0ELb0ELb0ES3_PKfPffZZZN2at6native31launch_logcumsumexp_cuda_kernelERKNSB_10TensorBaseESF_lENKUlvE_clEvENKUlvE0_clEvEUlffE_fEEDaPvRmT3_T4_T5_mT6_P12ihipStream_tbENKUlT_T0_E_clISt17integral_constantIbLb1EESW_EEDaSR_SS_EUlSR_E_NS1_11comp_targetILNS1_3genE8ELNS1_11target_archE1030ELNS1_3gpuE2ELNS1_3repE0EEENS1_30default_config_static_selectorELNS0_4arch9wavefront6targetE1EEEvT1_,comdat
.Lfunc_end123:
	.size	_ZN7rocprim17ROCPRIM_400000_NS6detail17trampoline_kernelINS0_14default_configENS1_20scan_config_selectorIfEEZZNS1_9scan_implILNS1_25lookback_scan_determinismE0ELb0ELb0ES3_PKfPffZZZN2at6native31launch_logcumsumexp_cuda_kernelERKNSB_10TensorBaseESF_lENKUlvE_clEvENKUlvE0_clEvEUlffE_fEEDaPvRmT3_T4_T5_mT6_P12ihipStream_tbENKUlT_T0_E_clISt17integral_constantIbLb1EESW_EEDaSR_SS_EUlSR_E_NS1_11comp_targetILNS1_3genE8ELNS1_11target_archE1030ELNS1_3gpuE2ELNS1_3repE0EEENS1_30default_config_static_selectorELNS0_4arch9wavefront6targetE1EEEvT1_, .Lfunc_end123-_ZN7rocprim17ROCPRIM_400000_NS6detail17trampoline_kernelINS0_14default_configENS1_20scan_config_selectorIfEEZZNS1_9scan_implILNS1_25lookback_scan_determinismE0ELb0ELb0ES3_PKfPffZZZN2at6native31launch_logcumsumexp_cuda_kernelERKNSB_10TensorBaseESF_lENKUlvE_clEvENKUlvE0_clEvEUlffE_fEEDaPvRmT3_T4_T5_mT6_P12ihipStream_tbENKUlT_T0_E_clISt17integral_constantIbLb1EESW_EEDaSR_SS_EUlSR_E_NS1_11comp_targetILNS1_3genE8ELNS1_11target_archE1030ELNS1_3gpuE2ELNS1_3repE0EEENS1_30default_config_static_selectorELNS0_4arch9wavefront6targetE1EEEvT1_
                                        ; -- End function
	.section	.AMDGPU.csdata,"",@progbits
; Kernel info:
; codeLenInByte = 0
; NumSgprs: 4
; NumVgprs: 0
; NumAgprs: 0
; TotalNumVgprs: 0
; ScratchSize: 0
; MemoryBound: 0
; FloatMode: 240
; IeeeMode: 1
; LDSByteSize: 0 bytes/workgroup (compile time only)
; SGPRBlocks: 0
; VGPRBlocks: 0
; NumSGPRsForWavesPerEU: 4
; NumVGPRsForWavesPerEU: 1
; AccumOffset: 4
; Occupancy: 8
; WaveLimiterHint : 0
; COMPUTE_PGM_RSRC2:SCRATCH_EN: 0
; COMPUTE_PGM_RSRC2:USER_SGPR: 6
; COMPUTE_PGM_RSRC2:TRAP_HANDLER: 0
; COMPUTE_PGM_RSRC2:TGID_X_EN: 1
; COMPUTE_PGM_RSRC2:TGID_Y_EN: 0
; COMPUTE_PGM_RSRC2:TGID_Z_EN: 0
; COMPUTE_PGM_RSRC2:TIDIG_COMP_CNT: 0
; COMPUTE_PGM_RSRC3_GFX90A:ACCUM_OFFSET: 0
; COMPUTE_PGM_RSRC3_GFX90A:TG_SPLIT: 0
	.section	.text._ZN7rocprim17ROCPRIM_400000_NS6detail17trampoline_kernelINS0_14default_configENS1_20scan_config_selectorIfEEZZNS1_9scan_implILNS1_25lookback_scan_determinismE0ELb0ELb0ES3_PKfPffZZZN2at6native31launch_logcumsumexp_cuda_kernelERKNSB_10TensorBaseESF_lENKUlvE_clEvENKUlvE0_clEvEUlffE_fEEDaPvRmT3_T4_T5_mT6_P12ihipStream_tbENKUlT_T0_E_clISt17integral_constantIbLb1EESW_EEDaSR_SS_EUlSR_E0_NS1_11comp_targetILNS1_3genE0ELNS1_11target_archE4294967295ELNS1_3gpuE0ELNS1_3repE0EEENS1_30default_config_static_selectorELNS0_4arch9wavefront6targetE1EEEvT1_,"axG",@progbits,_ZN7rocprim17ROCPRIM_400000_NS6detail17trampoline_kernelINS0_14default_configENS1_20scan_config_selectorIfEEZZNS1_9scan_implILNS1_25lookback_scan_determinismE0ELb0ELb0ES3_PKfPffZZZN2at6native31launch_logcumsumexp_cuda_kernelERKNSB_10TensorBaseESF_lENKUlvE_clEvENKUlvE0_clEvEUlffE_fEEDaPvRmT3_T4_T5_mT6_P12ihipStream_tbENKUlT_T0_E_clISt17integral_constantIbLb1EESW_EEDaSR_SS_EUlSR_E0_NS1_11comp_targetILNS1_3genE0ELNS1_11target_archE4294967295ELNS1_3gpuE0ELNS1_3repE0EEENS1_30default_config_static_selectorELNS0_4arch9wavefront6targetE1EEEvT1_,comdat
	.globl	_ZN7rocprim17ROCPRIM_400000_NS6detail17trampoline_kernelINS0_14default_configENS1_20scan_config_selectorIfEEZZNS1_9scan_implILNS1_25lookback_scan_determinismE0ELb0ELb0ES3_PKfPffZZZN2at6native31launch_logcumsumexp_cuda_kernelERKNSB_10TensorBaseESF_lENKUlvE_clEvENKUlvE0_clEvEUlffE_fEEDaPvRmT3_T4_T5_mT6_P12ihipStream_tbENKUlT_T0_E_clISt17integral_constantIbLb1EESW_EEDaSR_SS_EUlSR_E0_NS1_11comp_targetILNS1_3genE0ELNS1_11target_archE4294967295ELNS1_3gpuE0ELNS1_3repE0EEENS1_30default_config_static_selectorELNS0_4arch9wavefront6targetE1EEEvT1_ ; -- Begin function _ZN7rocprim17ROCPRIM_400000_NS6detail17trampoline_kernelINS0_14default_configENS1_20scan_config_selectorIfEEZZNS1_9scan_implILNS1_25lookback_scan_determinismE0ELb0ELb0ES3_PKfPffZZZN2at6native31launch_logcumsumexp_cuda_kernelERKNSB_10TensorBaseESF_lENKUlvE_clEvENKUlvE0_clEvEUlffE_fEEDaPvRmT3_T4_T5_mT6_P12ihipStream_tbENKUlT_T0_E_clISt17integral_constantIbLb1EESW_EEDaSR_SS_EUlSR_E0_NS1_11comp_targetILNS1_3genE0ELNS1_11target_archE4294967295ELNS1_3gpuE0ELNS1_3repE0EEENS1_30default_config_static_selectorELNS0_4arch9wavefront6targetE1EEEvT1_
	.p2align	8
	.type	_ZN7rocprim17ROCPRIM_400000_NS6detail17trampoline_kernelINS0_14default_configENS1_20scan_config_selectorIfEEZZNS1_9scan_implILNS1_25lookback_scan_determinismE0ELb0ELb0ES3_PKfPffZZZN2at6native31launch_logcumsumexp_cuda_kernelERKNSB_10TensorBaseESF_lENKUlvE_clEvENKUlvE0_clEvEUlffE_fEEDaPvRmT3_T4_T5_mT6_P12ihipStream_tbENKUlT_T0_E_clISt17integral_constantIbLb1EESW_EEDaSR_SS_EUlSR_E0_NS1_11comp_targetILNS1_3genE0ELNS1_11target_archE4294967295ELNS1_3gpuE0ELNS1_3repE0EEENS1_30default_config_static_selectorELNS0_4arch9wavefront6targetE1EEEvT1_,@function
_ZN7rocprim17ROCPRIM_400000_NS6detail17trampoline_kernelINS0_14default_configENS1_20scan_config_selectorIfEEZZNS1_9scan_implILNS1_25lookback_scan_determinismE0ELb0ELb0ES3_PKfPffZZZN2at6native31launch_logcumsumexp_cuda_kernelERKNSB_10TensorBaseESF_lENKUlvE_clEvENKUlvE0_clEvEUlffE_fEEDaPvRmT3_T4_T5_mT6_P12ihipStream_tbENKUlT_T0_E_clISt17integral_constantIbLb1EESW_EEDaSR_SS_EUlSR_E0_NS1_11comp_targetILNS1_3genE0ELNS1_11target_archE4294967295ELNS1_3gpuE0ELNS1_3repE0EEENS1_30default_config_static_selectorELNS0_4arch9wavefront6targetE1EEEvT1_: ; @_ZN7rocprim17ROCPRIM_400000_NS6detail17trampoline_kernelINS0_14default_configENS1_20scan_config_selectorIfEEZZNS1_9scan_implILNS1_25lookback_scan_determinismE0ELb0ELb0ES3_PKfPffZZZN2at6native31launch_logcumsumexp_cuda_kernelERKNSB_10TensorBaseESF_lENKUlvE_clEvENKUlvE0_clEvEUlffE_fEEDaPvRmT3_T4_T5_mT6_P12ihipStream_tbENKUlT_T0_E_clISt17integral_constantIbLb1EESW_EEDaSR_SS_EUlSR_E0_NS1_11comp_targetILNS1_3genE0ELNS1_11target_archE4294967295ELNS1_3gpuE0ELNS1_3repE0EEENS1_30default_config_static_selectorELNS0_4arch9wavefront6targetE1EEEvT1_
; %bb.0:
	.section	.rodata,"a",@progbits
	.p2align	6, 0x0
	.amdhsa_kernel _ZN7rocprim17ROCPRIM_400000_NS6detail17trampoline_kernelINS0_14default_configENS1_20scan_config_selectorIfEEZZNS1_9scan_implILNS1_25lookback_scan_determinismE0ELb0ELb0ES3_PKfPffZZZN2at6native31launch_logcumsumexp_cuda_kernelERKNSB_10TensorBaseESF_lENKUlvE_clEvENKUlvE0_clEvEUlffE_fEEDaPvRmT3_T4_T5_mT6_P12ihipStream_tbENKUlT_T0_E_clISt17integral_constantIbLb1EESW_EEDaSR_SS_EUlSR_E0_NS1_11comp_targetILNS1_3genE0ELNS1_11target_archE4294967295ELNS1_3gpuE0ELNS1_3repE0EEENS1_30default_config_static_selectorELNS0_4arch9wavefront6targetE1EEEvT1_
		.amdhsa_group_segment_fixed_size 0
		.amdhsa_private_segment_fixed_size 0
		.amdhsa_kernarg_size 32
		.amdhsa_user_sgpr_count 6
		.amdhsa_user_sgpr_private_segment_buffer 1
		.amdhsa_user_sgpr_dispatch_ptr 0
		.amdhsa_user_sgpr_queue_ptr 0
		.amdhsa_user_sgpr_kernarg_segment_ptr 1
		.amdhsa_user_sgpr_dispatch_id 0
		.amdhsa_user_sgpr_flat_scratch_init 0
		.amdhsa_user_sgpr_kernarg_preload_length 0
		.amdhsa_user_sgpr_kernarg_preload_offset 0
		.amdhsa_user_sgpr_private_segment_size 0
		.amdhsa_uses_dynamic_stack 0
		.amdhsa_system_sgpr_private_segment_wavefront_offset 0
		.amdhsa_system_sgpr_workgroup_id_x 1
		.amdhsa_system_sgpr_workgroup_id_y 0
		.amdhsa_system_sgpr_workgroup_id_z 0
		.amdhsa_system_sgpr_workgroup_info 0
		.amdhsa_system_vgpr_workitem_id 0
		.amdhsa_next_free_vgpr 1
		.amdhsa_next_free_sgpr 0
		.amdhsa_accum_offset 4
		.amdhsa_reserve_vcc 0
		.amdhsa_reserve_flat_scratch 0
		.amdhsa_float_round_mode_32 0
		.amdhsa_float_round_mode_16_64 0
		.amdhsa_float_denorm_mode_32 3
		.amdhsa_float_denorm_mode_16_64 3
		.amdhsa_dx10_clamp 1
		.amdhsa_ieee_mode 1
		.amdhsa_fp16_overflow 0
		.amdhsa_tg_split 0
		.amdhsa_exception_fp_ieee_invalid_op 0
		.amdhsa_exception_fp_denorm_src 0
		.amdhsa_exception_fp_ieee_div_zero 0
		.amdhsa_exception_fp_ieee_overflow 0
		.amdhsa_exception_fp_ieee_underflow 0
		.amdhsa_exception_fp_ieee_inexact 0
		.amdhsa_exception_int_div_zero 0
	.end_amdhsa_kernel
	.section	.text._ZN7rocprim17ROCPRIM_400000_NS6detail17trampoline_kernelINS0_14default_configENS1_20scan_config_selectorIfEEZZNS1_9scan_implILNS1_25lookback_scan_determinismE0ELb0ELb0ES3_PKfPffZZZN2at6native31launch_logcumsumexp_cuda_kernelERKNSB_10TensorBaseESF_lENKUlvE_clEvENKUlvE0_clEvEUlffE_fEEDaPvRmT3_T4_T5_mT6_P12ihipStream_tbENKUlT_T0_E_clISt17integral_constantIbLb1EESW_EEDaSR_SS_EUlSR_E0_NS1_11comp_targetILNS1_3genE0ELNS1_11target_archE4294967295ELNS1_3gpuE0ELNS1_3repE0EEENS1_30default_config_static_selectorELNS0_4arch9wavefront6targetE1EEEvT1_,"axG",@progbits,_ZN7rocprim17ROCPRIM_400000_NS6detail17trampoline_kernelINS0_14default_configENS1_20scan_config_selectorIfEEZZNS1_9scan_implILNS1_25lookback_scan_determinismE0ELb0ELb0ES3_PKfPffZZZN2at6native31launch_logcumsumexp_cuda_kernelERKNSB_10TensorBaseESF_lENKUlvE_clEvENKUlvE0_clEvEUlffE_fEEDaPvRmT3_T4_T5_mT6_P12ihipStream_tbENKUlT_T0_E_clISt17integral_constantIbLb1EESW_EEDaSR_SS_EUlSR_E0_NS1_11comp_targetILNS1_3genE0ELNS1_11target_archE4294967295ELNS1_3gpuE0ELNS1_3repE0EEENS1_30default_config_static_selectorELNS0_4arch9wavefront6targetE1EEEvT1_,comdat
.Lfunc_end124:
	.size	_ZN7rocprim17ROCPRIM_400000_NS6detail17trampoline_kernelINS0_14default_configENS1_20scan_config_selectorIfEEZZNS1_9scan_implILNS1_25lookback_scan_determinismE0ELb0ELb0ES3_PKfPffZZZN2at6native31launch_logcumsumexp_cuda_kernelERKNSB_10TensorBaseESF_lENKUlvE_clEvENKUlvE0_clEvEUlffE_fEEDaPvRmT3_T4_T5_mT6_P12ihipStream_tbENKUlT_T0_E_clISt17integral_constantIbLb1EESW_EEDaSR_SS_EUlSR_E0_NS1_11comp_targetILNS1_3genE0ELNS1_11target_archE4294967295ELNS1_3gpuE0ELNS1_3repE0EEENS1_30default_config_static_selectorELNS0_4arch9wavefront6targetE1EEEvT1_, .Lfunc_end124-_ZN7rocprim17ROCPRIM_400000_NS6detail17trampoline_kernelINS0_14default_configENS1_20scan_config_selectorIfEEZZNS1_9scan_implILNS1_25lookback_scan_determinismE0ELb0ELb0ES3_PKfPffZZZN2at6native31launch_logcumsumexp_cuda_kernelERKNSB_10TensorBaseESF_lENKUlvE_clEvENKUlvE0_clEvEUlffE_fEEDaPvRmT3_T4_T5_mT6_P12ihipStream_tbENKUlT_T0_E_clISt17integral_constantIbLb1EESW_EEDaSR_SS_EUlSR_E0_NS1_11comp_targetILNS1_3genE0ELNS1_11target_archE4294967295ELNS1_3gpuE0ELNS1_3repE0EEENS1_30default_config_static_selectorELNS0_4arch9wavefront6targetE1EEEvT1_
                                        ; -- End function
	.section	.AMDGPU.csdata,"",@progbits
; Kernel info:
; codeLenInByte = 0
; NumSgprs: 4
; NumVgprs: 0
; NumAgprs: 0
; TotalNumVgprs: 0
; ScratchSize: 0
; MemoryBound: 0
; FloatMode: 240
; IeeeMode: 1
; LDSByteSize: 0 bytes/workgroup (compile time only)
; SGPRBlocks: 0
; VGPRBlocks: 0
; NumSGPRsForWavesPerEU: 4
; NumVGPRsForWavesPerEU: 1
; AccumOffset: 4
; Occupancy: 8
; WaveLimiterHint : 0
; COMPUTE_PGM_RSRC2:SCRATCH_EN: 0
; COMPUTE_PGM_RSRC2:USER_SGPR: 6
; COMPUTE_PGM_RSRC2:TRAP_HANDLER: 0
; COMPUTE_PGM_RSRC2:TGID_X_EN: 1
; COMPUTE_PGM_RSRC2:TGID_Y_EN: 0
; COMPUTE_PGM_RSRC2:TGID_Z_EN: 0
; COMPUTE_PGM_RSRC2:TIDIG_COMP_CNT: 0
; COMPUTE_PGM_RSRC3_GFX90A:ACCUM_OFFSET: 0
; COMPUTE_PGM_RSRC3_GFX90A:TG_SPLIT: 0
	.section	.text._ZN7rocprim17ROCPRIM_400000_NS6detail17trampoline_kernelINS0_14default_configENS1_20scan_config_selectorIfEEZZNS1_9scan_implILNS1_25lookback_scan_determinismE0ELb0ELb0ES3_PKfPffZZZN2at6native31launch_logcumsumexp_cuda_kernelERKNSB_10TensorBaseESF_lENKUlvE_clEvENKUlvE0_clEvEUlffE_fEEDaPvRmT3_T4_T5_mT6_P12ihipStream_tbENKUlT_T0_E_clISt17integral_constantIbLb1EESW_EEDaSR_SS_EUlSR_E0_NS1_11comp_targetILNS1_3genE5ELNS1_11target_archE942ELNS1_3gpuE9ELNS1_3repE0EEENS1_30default_config_static_selectorELNS0_4arch9wavefront6targetE1EEEvT1_,"axG",@progbits,_ZN7rocprim17ROCPRIM_400000_NS6detail17trampoline_kernelINS0_14default_configENS1_20scan_config_selectorIfEEZZNS1_9scan_implILNS1_25lookback_scan_determinismE0ELb0ELb0ES3_PKfPffZZZN2at6native31launch_logcumsumexp_cuda_kernelERKNSB_10TensorBaseESF_lENKUlvE_clEvENKUlvE0_clEvEUlffE_fEEDaPvRmT3_T4_T5_mT6_P12ihipStream_tbENKUlT_T0_E_clISt17integral_constantIbLb1EESW_EEDaSR_SS_EUlSR_E0_NS1_11comp_targetILNS1_3genE5ELNS1_11target_archE942ELNS1_3gpuE9ELNS1_3repE0EEENS1_30default_config_static_selectorELNS0_4arch9wavefront6targetE1EEEvT1_,comdat
	.globl	_ZN7rocprim17ROCPRIM_400000_NS6detail17trampoline_kernelINS0_14default_configENS1_20scan_config_selectorIfEEZZNS1_9scan_implILNS1_25lookback_scan_determinismE0ELb0ELb0ES3_PKfPffZZZN2at6native31launch_logcumsumexp_cuda_kernelERKNSB_10TensorBaseESF_lENKUlvE_clEvENKUlvE0_clEvEUlffE_fEEDaPvRmT3_T4_T5_mT6_P12ihipStream_tbENKUlT_T0_E_clISt17integral_constantIbLb1EESW_EEDaSR_SS_EUlSR_E0_NS1_11comp_targetILNS1_3genE5ELNS1_11target_archE942ELNS1_3gpuE9ELNS1_3repE0EEENS1_30default_config_static_selectorELNS0_4arch9wavefront6targetE1EEEvT1_ ; -- Begin function _ZN7rocprim17ROCPRIM_400000_NS6detail17trampoline_kernelINS0_14default_configENS1_20scan_config_selectorIfEEZZNS1_9scan_implILNS1_25lookback_scan_determinismE0ELb0ELb0ES3_PKfPffZZZN2at6native31launch_logcumsumexp_cuda_kernelERKNSB_10TensorBaseESF_lENKUlvE_clEvENKUlvE0_clEvEUlffE_fEEDaPvRmT3_T4_T5_mT6_P12ihipStream_tbENKUlT_T0_E_clISt17integral_constantIbLb1EESW_EEDaSR_SS_EUlSR_E0_NS1_11comp_targetILNS1_3genE5ELNS1_11target_archE942ELNS1_3gpuE9ELNS1_3repE0EEENS1_30default_config_static_selectorELNS0_4arch9wavefront6targetE1EEEvT1_
	.p2align	8
	.type	_ZN7rocprim17ROCPRIM_400000_NS6detail17trampoline_kernelINS0_14default_configENS1_20scan_config_selectorIfEEZZNS1_9scan_implILNS1_25lookback_scan_determinismE0ELb0ELb0ES3_PKfPffZZZN2at6native31launch_logcumsumexp_cuda_kernelERKNSB_10TensorBaseESF_lENKUlvE_clEvENKUlvE0_clEvEUlffE_fEEDaPvRmT3_T4_T5_mT6_P12ihipStream_tbENKUlT_T0_E_clISt17integral_constantIbLb1EESW_EEDaSR_SS_EUlSR_E0_NS1_11comp_targetILNS1_3genE5ELNS1_11target_archE942ELNS1_3gpuE9ELNS1_3repE0EEENS1_30default_config_static_selectorELNS0_4arch9wavefront6targetE1EEEvT1_,@function
_ZN7rocprim17ROCPRIM_400000_NS6detail17trampoline_kernelINS0_14default_configENS1_20scan_config_selectorIfEEZZNS1_9scan_implILNS1_25lookback_scan_determinismE0ELb0ELb0ES3_PKfPffZZZN2at6native31launch_logcumsumexp_cuda_kernelERKNSB_10TensorBaseESF_lENKUlvE_clEvENKUlvE0_clEvEUlffE_fEEDaPvRmT3_T4_T5_mT6_P12ihipStream_tbENKUlT_T0_E_clISt17integral_constantIbLb1EESW_EEDaSR_SS_EUlSR_E0_NS1_11comp_targetILNS1_3genE5ELNS1_11target_archE942ELNS1_3gpuE9ELNS1_3repE0EEENS1_30default_config_static_selectorELNS0_4arch9wavefront6targetE1EEEvT1_: ; @_ZN7rocprim17ROCPRIM_400000_NS6detail17trampoline_kernelINS0_14default_configENS1_20scan_config_selectorIfEEZZNS1_9scan_implILNS1_25lookback_scan_determinismE0ELb0ELb0ES3_PKfPffZZZN2at6native31launch_logcumsumexp_cuda_kernelERKNSB_10TensorBaseESF_lENKUlvE_clEvENKUlvE0_clEvEUlffE_fEEDaPvRmT3_T4_T5_mT6_P12ihipStream_tbENKUlT_T0_E_clISt17integral_constantIbLb1EESW_EEDaSR_SS_EUlSR_E0_NS1_11comp_targetILNS1_3genE5ELNS1_11target_archE942ELNS1_3gpuE9ELNS1_3repE0EEENS1_30default_config_static_selectorELNS0_4arch9wavefront6targetE1EEEvT1_
; %bb.0:
	.section	.rodata,"a",@progbits
	.p2align	6, 0x0
	.amdhsa_kernel _ZN7rocprim17ROCPRIM_400000_NS6detail17trampoline_kernelINS0_14default_configENS1_20scan_config_selectorIfEEZZNS1_9scan_implILNS1_25lookback_scan_determinismE0ELb0ELb0ES3_PKfPffZZZN2at6native31launch_logcumsumexp_cuda_kernelERKNSB_10TensorBaseESF_lENKUlvE_clEvENKUlvE0_clEvEUlffE_fEEDaPvRmT3_T4_T5_mT6_P12ihipStream_tbENKUlT_T0_E_clISt17integral_constantIbLb1EESW_EEDaSR_SS_EUlSR_E0_NS1_11comp_targetILNS1_3genE5ELNS1_11target_archE942ELNS1_3gpuE9ELNS1_3repE0EEENS1_30default_config_static_selectorELNS0_4arch9wavefront6targetE1EEEvT1_
		.amdhsa_group_segment_fixed_size 0
		.amdhsa_private_segment_fixed_size 0
		.amdhsa_kernarg_size 32
		.amdhsa_user_sgpr_count 6
		.amdhsa_user_sgpr_private_segment_buffer 1
		.amdhsa_user_sgpr_dispatch_ptr 0
		.amdhsa_user_sgpr_queue_ptr 0
		.amdhsa_user_sgpr_kernarg_segment_ptr 1
		.amdhsa_user_sgpr_dispatch_id 0
		.amdhsa_user_sgpr_flat_scratch_init 0
		.amdhsa_user_sgpr_kernarg_preload_length 0
		.amdhsa_user_sgpr_kernarg_preload_offset 0
		.amdhsa_user_sgpr_private_segment_size 0
		.amdhsa_uses_dynamic_stack 0
		.amdhsa_system_sgpr_private_segment_wavefront_offset 0
		.amdhsa_system_sgpr_workgroup_id_x 1
		.amdhsa_system_sgpr_workgroup_id_y 0
		.amdhsa_system_sgpr_workgroup_id_z 0
		.amdhsa_system_sgpr_workgroup_info 0
		.amdhsa_system_vgpr_workitem_id 0
		.amdhsa_next_free_vgpr 1
		.amdhsa_next_free_sgpr 0
		.amdhsa_accum_offset 4
		.amdhsa_reserve_vcc 0
		.amdhsa_reserve_flat_scratch 0
		.amdhsa_float_round_mode_32 0
		.amdhsa_float_round_mode_16_64 0
		.amdhsa_float_denorm_mode_32 3
		.amdhsa_float_denorm_mode_16_64 3
		.amdhsa_dx10_clamp 1
		.amdhsa_ieee_mode 1
		.amdhsa_fp16_overflow 0
		.amdhsa_tg_split 0
		.amdhsa_exception_fp_ieee_invalid_op 0
		.amdhsa_exception_fp_denorm_src 0
		.amdhsa_exception_fp_ieee_div_zero 0
		.amdhsa_exception_fp_ieee_overflow 0
		.amdhsa_exception_fp_ieee_underflow 0
		.amdhsa_exception_fp_ieee_inexact 0
		.amdhsa_exception_int_div_zero 0
	.end_amdhsa_kernel
	.section	.text._ZN7rocprim17ROCPRIM_400000_NS6detail17trampoline_kernelINS0_14default_configENS1_20scan_config_selectorIfEEZZNS1_9scan_implILNS1_25lookback_scan_determinismE0ELb0ELb0ES3_PKfPffZZZN2at6native31launch_logcumsumexp_cuda_kernelERKNSB_10TensorBaseESF_lENKUlvE_clEvENKUlvE0_clEvEUlffE_fEEDaPvRmT3_T4_T5_mT6_P12ihipStream_tbENKUlT_T0_E_clISt17integral_constantIbLb1EESW_EEDaSR_SS_EUlSR_E0_NS1_11comp_targetILNS1_3genE5ELNS1_11target_archE942ELNS1_3gpuE9ELNS1_3repE0EEENS1_30default_config_static_selectorELNS0_4arch9wavefront6targetE1EEEvT1_,"axG",@progbits,_ZN7rocprim17ROCPRIM_400000_NS6detail17trampoline_kernelINS0_14default_configENS1_20scan_config_selectorIfEEZZNS1_9scan_implILNS1_25lookback_scan_determinismE0ELb0ELb0ES3_PKfPffZZZN2at6native31launch_logcumsumexp_cuda_kernelERKNSB_10TensorBaseESF_lENKUlvE_clEvENKUlvE0_clEvEUlffE_fEEDaPvRmT3_T4_T5_mT6_P12ihipStream_tbENKUlT_T0_E_clISt17integral_constantIbLb1EESW_EEDaSR_SS_EUlSR_E0_NS1_11comp_targetILNS1_3genE5ELNS1_11target_archE942ELNS1_3gpuE9ELNS1_3repE0EEENS1_30default_config_static_selectorELNS0_4arch9wavefront6targetE1EEEvT1_,comdat
.Lfunc_end125:
	.size	_ZN7rocprim17ROCPRIM_400000_NS6detail17trampoline_kernelINS0_14default_configENS1_20scan_config_selectorIfEEZZNS1_9scan_implILNS1_25lookback_scan_determinismE0ELb0ELb0ES3_PKfPffZZZN2at6native31launch_logcumsumexp_cuda_kernelERKNSB_10TensorBaseESF_lENKUlvE_clEvENKUlvE0_clEvEUlffE_fEEDaPvRmT3_T4_T5_mT6_P12ihipStream_tbENKUlT_T0_E_clISt17integral_constantIbLb1EESW_EEDaSR_SS_EUlSR_E0_NS1_11comp_targetILNS1_3genE5ELNS1_11target_archE942ELNS1_3gpuE9ELNS1_3repE0EEENS1_30default_config_static_selectorELNS0_4arch9wavefront6targetE1EEEvT1_, .Lfunc_end125-_ZN7rocprim17ROCPRIM_400000_NS6detail17trampoline_kernelINS0_14default_configENS1_20scan_config_selectorIfEEZZNS1_9scan_implILNS1_25lookback_scan_determinismE0ELb0ELb0ES3_PKfPffZZZN2at6native31launch_logcumsumexp_cuda_kernelERKNSB_10TensorBaseESF_lENKUlvE_clEvENKUlvE0_clEvEUlffE_fEEDaPvRmT3_T4_T5_mT6_P12ihipStream_tbENKUlT_T0_E_clISt17integral_constantIbLb1EESW_EEDaSR_SS_EUlSR_E0_NS1_11comp_targetILNS1_3genE5ELNS1_11target_archE942ELNS1_3gpuE9ELNS1_3repE0EEENS1_30default_config_static_selectorELNS0_4arch9wavefront6targetE1EEEvT1_
                                        ; -- End function
	.section	.AMDGPU.csdata,"",@progbits
; Kernel info:
; codeLenInByte = 0
; NumSgprs: 4
; NumVgprs: 0
; NumAgprs: 0
; TotalNumVgprs: 0
; ScratchSize: 0
; MemoryBound: 0
; FloatMode: 240
; IeeeMode: 1
; LDSByteSize: 0 bytes/workgroup (compile time only)
; SGPRBlocks: 0
; VGPRBlocks: 0
; NumSGPRsForWavesPerEU: 4
; NumVGPRsForWavesPerEU: 1
; AccumOffset: 4
; Occupancy: 8
; WaveLimiterHint : 0
; COMPUTE_PGM_RSRC2:SCRATCH_EN: 0
; COMPUTE_PGM_RSRC2:USER_SGPR: 6
; COMPUTE_PGM_RSRC2:TRAP_HANDLER: 0
; COMPUTE_PGM_RSRC2:TGID_X_EN: 1
; COMPUTE_PGM_RSRC2:TGID_Y_EN: 0
; COMPUTE_PGM_RSRC2:TGID_Z_EN: 0
; COMPUTE_PGM_RSRC2:TIDIG_COMP_CNT: 0
; COMPUTE_PGM_RSRC3_GFX90A:ACCUM_OFFSET: 0
; COMPUTE_PGM_RSRC3_GFX90A:TG_SPLIT: 0
	.section	.text._ZN7rocprim17ROCPRIM_400000_NS6detail17trampoline_kernelINS0_14default_configENS1_20scan_config_selectorIfEEZZNS1_9scan_implILNS1_25lookback_scan_determinismE0ELb0ELb0ES3_PKfPffZZZN2at6native31launch_logcumsumexp_cuda_kernelERKNSB_10TensorBaseESF_lENKUlvE_clEvENKUlvE0_clEvEUlffE_fEEDaPvRmT3_T4_T5_mT6_P12ihipStream_tbENKUlT_T0_E_clISt17integral_constantIbLb1EESW_EEDaSR_SS_EUlSR_E0_NS1_11comp_targetILNS1_3genE4ELNS1_11target_archE910ELNS1_3gpuE8ELNS1_3repE0EEENS1_30default_config_static_selectorELNS0_4arch9wavefront6targetE1EEEvT1_,"axG",@progbits,_ZN7rocprim17ROCPRIM_400000_NS6detail17trampoline_kernelINS0_14default_configENS1_20scan_config_selectorIfEEZZNS1_9scan_implILNS1_25lookback_scan_determinismE0ELb0ELb0ES3_PKfPffZZZN2at6native31launch_logcumsumexp_cuda_kernelERKNSB_10TensorBaseESF_lENKUlvE_clEvENKUlvE0_clEvEUlffE_fEEDaPvRmT3_T4_T5_mT6_P12ihipStream_tbENKUlT_T0_E_clISt17integral_constantIbLb1EESW_EEDaSR_SS_EUlSR_E0_NS1_11comp_targetILNS1_3genE4ELNS1_11target_archE910ELNS1_3gpuE8ELNS1_3repE0EEENS1_30default_config_static_selectorELNS0_4arch9wavefront6targetE1EEEvT1_,comdat
	.globl	_ZN7rocprim17ROCPRIM_400000_NS6detail17trampoline_kernelINS0_14default_configENS1_20scan_config_selectorIfEEZZNS1_9scan_implILNS1_25lookback_scan_determinismE0ELb0ELb0ES3_PKfPffZZZN2at6native31launch_logcumsumexp_cuda_kernelERKNSB_10TensorBaseESF_lENKUlvE_clEvENKUlvE0_clEvEUlffE_fEEDaPvRmT3_T4_T5_mT6_P12ihipStream_tbENKUlT_T0_E_clISt17integral_constantIbLb1EESW_EEDaSR_SS_EUlSR_E0_NS1_11comp_targetILNS1_3genE4ELNS1_11target_archE910ELNS1_3gpuE8ELNS1_3repE0EEENS1_30default_config_static_selectorELNS0_4arch9wavefront6targetE1EEEvT1_ ; -- Begin function _ZN7rocprim17ROCPRIM_400000_NS6detail17trampoline_kernelINS0_14default_configENS1_20scan_config_selectorIfEEZZNS1_9scan_implILNS1_25lookback_scan_determinismE0ELb0ELb0ES3_PKfPffZZZN2at6native31launch_logcumsumexp_cuda_kernelERKNSB_10TensorBaseESF_lENKUlvE_clEvENKUlvE0_clEvEUlffE_fEEDaPvRmT3_T4_T5_mT6_P12ihipStream_tbENKUlT_T0_E_clISt17integral_constantIbLb1EESW_EEDaSR_SS_EUlSR_E0_NS1_11comp_targetILNS1_3genE4ELNS1_11target_archE910ELNS1_3gpuE8ELNS1_3repE0EEENS1_30default_config_static_selectorELNS0_4arch9wavefront6targetE1EEEvT1_
	.p2align	8
	.type	_ZN7rocprim17ROCPRIM_400000_NS6detail17trampoline_kernelINS0_14default_configENS1_20scan_config_selectorIfEEZZNS1_9scan_implILNS1_25lookback_scan_determinismE0ELb0ELb0ES3_PKfPffZZZN2at6native31launch_logcumsumexp_cuda_kernelERKNSB_10TensorBaseESF_lENKUlvE_clEvENKUlvE0_clEvEUlffE_fEEDaPvRmT3_T4_T5_mT6_P12ihipStream_tbENKUlT_T0_E_clISt17integral_constantIbLb1EESW_EEDaSR_SS_EUlSR_E0_NS1_11comp_targetILNS1_3genE4ELNS1_11target_archE910ELNS1_3gpuE8ELNS1_3repE0EEENS1_30default_config_static_selectorELNS0_4arch9wavefront6targetE1EEEvT1_,@function
_ZN7rocprim17ROCPRIM_400000_NS6detail17trampoline_kernelINS0_14default_configENS1_20scan_config_selectorIfEEZZNS1_9scan_implILNS1_25lookback_scan_determinismE0ELb0ELb0ES3_PKfPffZZZN2at6native31launch_logcumsumexp_cuda_kernelERKNSB_10TensorBaseESF_lENKUlvE_clEvENKUlvE0_clEvEUlffE_fEEDaPvRmT3_T4_T5_mT6_P12ihipStream_tbENKUlT_T0_E_clISt17integral_constantIbLb1EESW_EEDaSR_SS_EUlSR_E0_NS1_11comp_targetILNS1_3genE4ELNS1_11target_archE910ELNS1_3gpuE8ELNS1_3repE0EEENS1_30default_config_static_selectorELNS0_4arch9wavefront6targetE1EEEvT1_: ; @_ZN7rocprim17ROCPRIM_400000_NS6detail17trampoline_kernelINS0_14default_configENS1_20scan_config_selectorIfEEZZNS1_9scan_implILNS1_25lookback_scan_determinismE0ELb0ELb0ES3_PKfPffZZZN2at6native31launch_logcumsumexp_cuda_kernelERKNSB_10TensorBaseESF_lENKUlvE_clEvENKUlvE0_clEvEUlffE_fEEDaPvRmT3_T4_T5_mT6_P12ihipStream_tbENKUlT_T0_E_clISt17integral_constantIbLb1EESW_EEDaSR_SS_EUlSR_E0_NS1_11comp_targetILNS1_3genE4ELNS1_11target_archE910ELNS1_3gpuE8ELNS1_3repE0EEENS1_30default_config_static_selectorELNS0_4arch9wavefront6targetE1EEEvT1_
; %bb.0:
	s_load_dwordx4 s[28:31], s[4:5], 0x0
	v_lshlrev_b32_e32 v18, 2, v0
	s_waitcnt lgkmcnt(0)
	s_load_dword s26, s[28:29], 0x0
	v_cmp_gt_u32_e32 vcc, s30, v0
	s_waitcnt lgkmcnt(0)
	v_mov_b32_e32 v1, s26
	s_and_saveexec_b64 s[0:1], vcc
	s_cbranch_execz .LBB126_2
; %bb.1:
	global_load_dword v1, v18, s[28:29]
.LBB126_2:
	s_or_b64 exec, exec, s[0:1]
	v_or_b32_e32 v2, 0x80, v0
	v_cmp_gt_u32_e64 s[0:1], s30, v2
	v_mov_b32_e32 v2, s26
	s_and_saveexec_b64 s[2:3], s[0:1]
	s_cbranch_execz .LBB126_4
; %bb.3:
	global_load_dword v2, v18, s[28:29] offset:512
.LBB126_4:
	s_or_b64 exec, exec, s[2:3]
	v_or_b32_e32 v3, 0x100, v0
	v_cmp_gt_u32_e64 s[2:3], s30, v3
	v_mov_b32_e32 v3, s26
	s_and_saveexec_b64 s[6:7], s[2:3]
	s_cbranch_execz .LBB126_6
; %bb.5:
	global_load_dword v3, v18, s[28:29] offset:1024
.LBB126_6:
	;; [unrolled: 9-line block ×7, first 2 shown]
	s_or_b64 exec, exec, s[14:15]
	v_or_b32_e32 v10, 0x400, v0
	v_cmp_gt_u32_e64 s[14:15], s30, v10
	v_mov_b32_e32 v9, s26
	s_and_saveexec_b64 s[16:17], s[14:15]
	s_cbranch_execz .LBB126_18
; %bb.17:
	v_lshlrev_b32_e32 v9, 2, v10
	global_load_dword v9, v9, s[28:29]
.LBB126_18:
	s_or_b64 exec, exec, s[16:17]
	v_or_b32_e32 v11, 0x480, v0
	v_cmp_gt_u32_e64 s[16:17], s30, v11
	v_mov_b32_e32 v10, s26
	s_and_saveexec_b64 s[18:19], s[16:17]
	s_cbranch_execz .LBB126_20
; %bb.19:
	v_lshlrev_b32_e32 v10, 2, v11
	global_load_dword v10, v10, s[28:29]
.LBB126_20:
	;; [unrolled: 10-line block ×6, first 2 shown]
	s_or_b64 exec, exec, s[26:27]
	s_waitcnt vmcnt(0)
	ds_write2st64_b32 v18, v1, v2 offset1:2
	ds_write2st64_b32 v18, v3, v4 offset0:4 offset1:6
	ds_write2st64_b32 v18, v5, v6 offset0:8 offset1:10
	;; [unrolled: 1-line block ×6, first 2 shown]
	v_mad_u32_u24 v1, v0, 52, v18
	s_waitcnt lgkmcnt(0)
	s_barrier
	ds_read2_b64 v[2:5], v1 offset1:1
	ds_read2_b64 v[10:13], v1 offset0:2 offset1:3
	ds_read2_b64 v[6:9], v1 offset0:4 offset1:5
	ds_read_b64 v[14:15], v1 offset:48
	s_movk_i32 s33, 0x1f8
	s_waitcnt lgkmcnt(3)
	v_max_f32_e32 v24, v3, v3
	v_max_f32_e32 v33, v2, v2
	v_min_f32_e32 v31, v33, v24
	v_cmp_u_f32_e64 s[54:55], v2, v2
	v_cndmask_b32_e64 v1, v31, v2, s[54:55]
	v_cmp_u_f32_e64 s[26:27], v3, v3
	v_max_f32_e32 v32, v33, v24
	v_cndmask_b32_e64 v16, v1, v3, s[26:27]
	v_cndmask_b32_e64 v1, v32, v2, s[54:55]
	;; [unrolled: 1-line block ×3, first 2 shown]
	v_cmp_neq_f32_e64 s[28:29], v16, v1
	v_cmp_class_f32_e64 s[30:31], v16, s33
	s_or_b64 s[28:29], s[28:29], s[30:31]
	v_mov_b32_e32 v34, v2
	s_waitcnt lgkmcnt(0)
	s_barrier
	s_and_saveexec_b64 s[30:31], s[28:29]
	s_cbranch_execz .LBB126_30
; %bb.29:
	v_sub_f32_e32 v16, v16, v1
	s_mov_b32 s28, 0x3fb8aa3b
	v_mul_f32_e32 v17, 0x3fb8aa3b, v16
	v_fma_f32 v19, v16, s28, -v17
	v_rndne_f32_e32 v20, v17
	v_fmac_f32_e32 v19, 0x32a5705f, v16
	v_sub_f32_e32 v17, v17, v20
	v_add_f32_e32 v17, v17, v19
	v_exp_f32_e32 v17, v17
	v_cvt_i32_f32_e32 v19, v20
	s_mov_b32 s28, 0xc2ce8ed0
	v_cmp_ngt_f32_e64 s[28:29], s28, v16
	s_mov_b32 s34, 0x7f800000
	v_ldexp_f32 v17, v17, v19
	v_cndmask_b32_e64 v17, 0, v17, s[28:29]
	s_mov_b32 s28, 0x42b17218
	v_mov_b32_e32 v19, 0x7f800000
	v_cmp_nlt_f32_e64 s[28:29], s28, v16
	v_cndmask_b32_e64 v25, v19, v17, s[28:29]
	v_add_f32_e32 v19, 1.0, v25
	v_add_f32_e32 v16, -1.0, v19
	v_sub_f32_e32 v17, v16, v19
	v_add_f32_e32 v17, 1.0, v17
	v_sub_f32_e32 v16, v25, v16
	v_add_f32_e32 v20, v16, v17
	v_frexp_mant_f32_e32 v21, v19
	s_mov_b32 s28, 0x3f2aaaab
	v_cvt_f64_f32_e32 v[16:17], v19
	v_frexp_exp_i32_f64_e32 v16, v[16:17]
	v_cmp_gt_f32_e64 s[28:29], s28, v21
	v_subbrev_co_u32_e64 v28, s[28:29], 0, v16, s[28:29]
	v_sub_u32_e32 v16, 0, v28
	v_ldexp_f32 v17, v19, v16
	v_add_f32_e32 v19, -1.0, v17
	v_add_f32_e32 v21, 1.0, v17
	v_ldexp_f32 v16, v20, v16
	v_add_f32_e32 v20, 1.0, v19
	v_add_f32_e32 v22, -1.0, v21
	v_sub_f32_e32 v20, v17, v20
	v_sub_f32_e32 v17, v17, v22
	v_add_f32_e32 v20, v16, v20
	v_add_f32_e32 v16, v16, v17
	;; [unrolled: 1-line block ×3, first 2 shown]
	v_rcp_f32_e32 v34, v29
	v_sub_f32_e32 v17, v21, v29
	v_add_f32_e32 v30, v16, v17
	v_add_f32_e32 v17, v19, v20
	v_sub_f32_e32 v16, v19, v17
	v_mul_f32_e32 v35, v17, v34
	v_add_f32_e32 v19, v20, v16
	v_mul_f32_e32 v20, v29, v35
	v_fma_f32 v22, v35, v29, -v20
	v_fmac_f32_e32 v22, v35, v30
	v_add_f32_e32 v16, v20, v22
	v_sub_f32_e32 v21, v17, v16
	v_pk_add_f32 v[26:27], v[16:17], v[20:21] neg_lo:[0,1] neg_hi:[0,1]
	v_mov_b32_e32 v23, v16
	v_pk_add_f32 v[16:17], v[26:27], v[22:23] neg_lo:[0,1] neg_hi:[0,1]
	v_add_f32_e32 v17, v19, v17
	v_add_f32_e32 v16, v16, v17
	;; [unrolled: 1-line block ×3, first 2 shown]
	v_mul_f32_e32 v19, v34, v17
	v_mul_f32_e32 v20, v29, v19
	v_fma_f32 v22, v19, v29, -v20
	v_fmac_f32_e32 v22, v19, v30
	v_sub_f32_e32 v21, v21, v17
	v_add_f32_e32 v29, v16, v21
	v_add_f32_e32 v16, v20, v22
	v_sub_f32_e32 v21, v17, v16
	v_pk_add_f32 v[26:27], v[16:17], v[20:21] neg_lo:[0,1] neg_hi:[0,1]
	v_mov_b32_e32 v23, v16
	v_pk_add_f32 v[16:17], v[26:27], v[22:23] neg_lo:[0,1] neg_hi:[0,1]
	v_add_f32_e32 v17, v29, v17
	v_add_f32_e32 v16, v16, v17
	;; [unrolled: 1-line block ×4, first 2 shown]
	v_sub_f32_e32 v17, v21, v35
	v_mul_f32_e32 v16, v34, v16
	v_sub_f32_e32 v17, v19, v17
	v_add_f32_e32 v16, v17, v16
	v_add_f32_e32 v19, v21, v16
	v_mul_f32_e32 v22, v19, v19
	v_mov_b32_e32 v20, 0x3ecc95a3
	v_fmac_f32_e32 v20, 0x3e9b6dac, v22
	v_mov_b32_e32 v17, 0x3f2aaada
	v_fmac_f32_e32 v17, v22, v20
	v_cvt_f32_i32_e32 v20, v28
	v_sub_f32_e32 v21, v19, v21
	v_sub_f32_e32 v16, v16, v21
	v_ldexp_f32 v26, v16, 1
	v_mul_f32_e32 v21, v19, v22
	v_mov_b32_e32 v16, 0x3f317218
	s_mov_b32 s28, 0x3f317218
	v_pk_mul_f32 v[16:17], v[20:21], v[16:17]
	v_fma_f32 v22, v20, s28, -v16
	v_ldexp_f32 v23, v19, 1
	v_fmac_f32_e32 v22, 0xb102e308, v20
	v_pk_add_f32 v[20:21], v[16:17], v[22:23]
	v_sub_f32_e32 v19, v21, v23
	v_sub_f32_e32 v19, v17, v19
	v_add_f32_e32 v27, v26, v19
	v_mov_b32_e32 v26, v16
	v_pk_add_f32 v[16:17], v[20:21], v[16:17] neg_lo:[0,1] neg_hi:[0,1]
	v_pk_add_f32 v[28:29], v[20:21], v[26:27]
	v_mov_b32_e32 v17, v29
	v_mov_b32_e32 v23, v20
	v_pk_add_f32 v[34:35], v[22:23], v[16:17] neg_lo:[0,1] neg_hi:[0,1]
	v_pk_add_f32 v[16:17], v[22:23], v[16:17]
	v_mov_b32_e32 v22, v17
	v_pk_add_f32 v[36:37], v[22:23], v[20:21] neg_lo:[0,1] neg_hi:[0,1]
	v_mov_b32_e32 v19, v36
	v_pk_add_f32 v[38:39], v[28:29], v[18:19] neg_lo:[0,1] neg_hi:[0,1]
	v_mov_b32_e32 v16, v29
	v_mov_b32_e32 v28, v21
	;; [unrolled: 1-line block ×4, first 2 shown]
	v_pk_add_f32 v[16:17], v[16:17], v[28:29] neg_lo:[0,1] neg_hi:[0,1]
	v_mov_b32_e32 v26, v27
	v_mov_b32_e32 v27, v20
	v_pk_add_f32 v[16:17], v[26:27], v[16:17] neg_lo:[0,1] neg_hi:[0,1]
	v_mov_b32_e32 v38, v34
	v_pk_add_f32 v[20:21], v[38:39], v[16:17]
	v_mov_b32_e32 v26, v21
	v_pk_add_f32 v[26:27], v[20:21], v[26:27]
	v_pk_add_f32 v[22:23], v[22:23], v[26:27]
	v_mov_b32_e32 v21, v22
	v_pk_add_f32 v[28:29], v[20:21], v[34:35] neg_lo:[0,1] neg_hi:[0,1]
	v_mov_b32_e32 v17, v26
	v_sub_f32_e32 v19, v20, v28
	v_pk_add_f32 v[16:17], v[16:17], v[28:29] neg_lo:[0,1] neg_hi:[0,1]
	v_sub_f32_e32 v19, v34, v19
	v_add_f32_e32 v16, v16, v19
	v_cmp_eq_f32_e64 s[28:29], s34, v25
	s_mov_b32 s34, 0x33800000
	v_add_f32_e32 v16, v16, v17
	v_cmp_lt_f32_e64 s[34:35], |v25|, s34
	v_add_f32_e32 v16, v22, v16
	s_or_b64 s[28:29], s[28:29], s[34:35]
	v_cndmask_b32_e64 v16, v16, v25, s[28:29]
	v_add_f32_e32 v34, v1, v16
.LBB126_30:
	s_or_b64 exec, exec, s[30:31]
	v_max_f32_e32 v16, v34, v34
	v_max_f32_e32 v1, v4, v4
	v_min_f32_e32 v17, v16, v1
	v_cmp_u_f32_e64 s[30:31], v34, v34
	v_max_f32_e32 v16, v16, v1
	v_cndmask_b32_e64 v17, v17, v34, s[30:31]
	v_cmp_u_f32_e64 s[28:29], v4, v4
	v_cndmask_b32_e64 v16, v16, v34, s[30:31]
	v_cndmask_b32_e64 v17, v17, v4, s[28:29]
	;; [unrolled: 1-line block ×3, first 2 shown]
	v_cmp_neq_f32_e64 s[30:31], v17, v16
	v_cmp_class_f32_e64 s[34:35], v17, s33
	s_or_b64 s[30:31], s[30:31], s[34:35]
	s_and_saveexec_b64 s[34:35], s[30:31]
	s_cbranch_execz .LBB126_32
; %bb.31:
	v_sub_f32_e32 v17, v17, v16
	s_mov_b32 s30, 0x3fb8aa3b
	v_mul_f32_e32 v19, 0x3fb8aa3b, v17
	v_fma_f32 v20, v17, s30, -v19
	v_rndne_f32_e32 v21, v19
	v_fmac_f32_e32 v20, 0x32a5705f, v17
	v_sub_f32_e32 v19, v19, v21
	v_add_f32_e32 v19, v19, v20
	v_exp_f32_e32 v19, v19
	v_cvt_i32_f32_e32 v20, v21
	s_mov_b32 s30, 0xc2ce8ed0
	v_cmp_ngt_f32_e64 s[30:31], s30, v17
	s_mov_b32 s33, 0x7f800000
	v_ldexp_f32 v19, v19, v20
	v_cndmask_b32_e64 v19, 0, v19, s[30:31]
	s_mov_b32 s30, 0x42b17218
	v_mov_b32_e32 v20, 0x7f800000
	v_cmp_nlt_f32_e64 s[30:31], s30, v17
	v_cndmask_b32_e64 v19, v20, v19, s[30:31]
	v_add_f32_e32 v17, 1.0, v19
	v_add_f32_e32 v20, -1.0, v17
	v_sub_f32_e32 v21, v20, v17
	v_add_f32_e32 v21, 1.0, v21
	v_sub_f32_e32 v20, v19, v20
	v_add_f32_e32 v22, v20, v21
	v_frexp_mant_f32_e32 v23, v17
	s_mov_b32 s30, 0x3f2aaaab
	v_cvt_f64_f32_e32 v[20:21], v17
	v_frexp_exp_i32_f64_e32 v20, v[20:21]
	v_cmp_gt_f32_e64 s[30:31], s30, v23
	v_subbrev_co_u32_e64 v25, s[30:31], 0, v20, s[30:31]
	v_sub_u32_e32 v20, 0, v25
	v_ldexp_f32 v17, v17, v20
	v_ldexp_f32 v20, v22, v20
	v_add_f32_e32 v22, -1.0, v17
	v_add_f32_e32 v21, 1.0, v22
	v_sub_f32_e32 v21, v17, v21
	v_add_f32_e32 v23, v20, v21
	v_add_f32_e32 v21, 1.0, v17
	v_add_f32_e32 v26, -1.0, v21
	v_sub_f32_e32 v17, v17, v26
	v_add_f32_e32 v17, v20, v17
	v_add_f32_e32 v30, v21, v17
	v_rcp_f32_e32 v34, v30
	v_sub_f32_e32 v20, v21, v30
	v_add_f32_e32 v21, v22, v23
	v_add_f32_e32 v17, v17, v20
	v_mul_f32_e32 v36, v21, v34
	v_sub_f32_e32 v20, v22, v21
	v_mul_f32_e32 v22, v30, v36
	v_fma_f32 v26, v36, v30, -v22
	v_fmac_f32_e32 v26, v36, v17
	v_add_f32_e32 v35, v23, v20
	v_add_f32_e32 v20, v22, v26
	v_sub_f32_e32 v23, v21, v20
	v_pk_add_f32 v[28:29], v[20:21], v[22:23] neg_lo:[0,1] neg_hi:[0,1]
	v_mov_b32_e32 v27, v20
	v_pk_add_f32 v[20:21], v[28:29], v[26:27] neg_lo:[0,1] neg_hi:[0,1]
	v_add_f32_e32 v21, v35, v21
	v_add_f32_e32 v20, v20, v21
	;; [unrolled: 1-line block ×3, first 2 shown]
	v_mul_f32_e32 v35, v34, v21
	v_mul_f32_e32 v22, v30, v35
	v_fma_f32 v26, v35, v30, -v22
	v_fmac_f32_e32 v26, v35, v17
	v_sub_f32_e32 v17, v23, v21
	v_add_f32_e32 v17, v20, v17
	v_add_f32_e32 v20, v22, v26
	v_sub_f32_e32 v23, v21, v20
	v_pk_add_f32 v[28:29], v[20:21], v[22:23] neg_lo:[0,1] neg_hi:[0,1]
	v_mov_b32_e32 v27, v20
	v_pk_add_f32 v[20:21], v[28:29], v[26:27] neg_lo:[0,1] neg_hi:[0,1]
	v_add_f32_e32 v17, v17, v21
	v_add_f32_e32 v17, v20, v17
	;; [unrolled: 1-line block ×4, first 2 shown]
	v_sub_f32_e32 v21, v20, v36
	v_mul_f32_e32 v17, v34, v17
	v_sub_f32_e32 v21, v35, v21
	v_add_f32_e32 v17, v21, v17
	v_add_f32_e32 v23, v20, v17
	v_mul_f32_e32 v26, v23, v23
	v_mov_b32_e32 v22, 0x3ecc95a3
	v_fmac_f32_e32 v22, 0x3e9b6dac, v26
	v_mov_b32_e32 v21, 0x3f2aaada
	v_fmac_f32_e32 v21, v26, v22
	v_cvt_f32_i32_e32 v22, v25
	v_sub_f32_e32 v20, v23, v20
	v_sub_f32_e32 v17, v17, v20
	v_ldexp_f32 v27, v23, 1
	v_mul_f32_e32 v23, v23, v26
	v_mov_b32_e32 v20, 0x3f317218
	s_mov_b32 s30, 0x3f317218
	v_pk_mul_f32 v[20:21], v[22:23], v[20:21]
	v_fma_f32 v26, v22, s30, -v20
	v_fmac_f32_e32 v26, 0xb102e308, v22
	v_pk_add_f32 v[22:23], v[20:21], v[26:27]
	v_sub_f32_e32 v25, v23, v27
	v_ldexp_f32 v17, v17, 1
	v_sub_f32_e32 v25, v21, v25
	v_add_f32_e32 v29, v17, v25
	v_mov_b32_e32 v28, v20
	v_pk_add_f32 v[20:21], v[22:23], v[20:21] neg_lo:[0,1] neg_hi:[0,1]
	v_pk_add_f32 v[34:35], v[22:23], v[28:29]
	v_mov_b32_e32 v21, v35
	v_mov_b32_e32 v27, v22
	v_pk_add_f32 v[36:37], v[26:27], v[20:21] neg_lo:[0,1] neg_hi:[0,1]
	v_pk_add_f32 v[20:21], v[26:27], v[20:21]
	v_mov_b32_e32 v26, v21
	v_pk_add_f32 v[38:39], v[26:27], v[22:23] neg_lo:[0,1] neg_hi:[0,1]
	v_mov_b32_e32 v17, v38
	v_pk_add_f32 v[40:41], v[34:35], v[16:17] neg_lo:[0,1] neg_hi:[0,1]
	v_mov_b32_e32 v20, v35
	v_mov_b32_e32 v34, v23
	;; [unrolled: 1-line block ×4, first 2 shown]
	v_pk_add_f32 v[20:21], v[20:21], v[34:35] neg_lo:[0,1] neg_hi:[0,1]
	v_mov_b32_e32 v28, v29
	v_mov_b32_e32 v29, v22
	v_pk_add_f32 v[20:21], v[28:29], v[20:21] neg_lo:[0,1] neg_hi:[0,1]
	v_mov_b32_e32 v40, v36
	v_pk_add_f32 v[22:23], v[40:41], v[20:21]
	v_mov_b32_e32 v28, v23
	v_pk_add_f32 v[28:29], v[22:23], v[28:29]
	v_pk_add_f32 v[26:27], v[26:27], v[28:29]
	v_mov_b32_e32 v23, v26
	v_pk_add_f32 v[34:35], v[22:23], v[36:37] neg_lo:[0,1] neg_hi:[0,1]
	v_mov_b32_e32 v21, v28
	v_sub_f32_e32 v17, v22, v34
	v_pk_add_f32 v[20:21], v[20:21], v[34:35] neg_lo:[0,1] neg_hi:[0,1]
	v_sub_f32_e32 v17, v36, v17
	v_add_f32_e32 v17, v20, v17
	v_cmp_eq_f32_e64 s[30:31], s33, v19
	s_mov_b32 s33, 0x33800000
	v_add_f32_e32 v17, v17, v21
	v_cmp_lt_f32_e64 s[36:37], |v19|, s33
	v_add_f32_e32 v17, v26, v17
	s_or_b64 s[30:31], s[30:31], s[36:37]
	v_cndmask_b32_e64 v17, v17, v19, s[30:31]
	v_add_f32_e32 v34, v16, v17
.LBB126_32:
	s_or_b64 exec, exec, s[34:35]
	v_max_f32_e32 v16, v34, v34
	v_max_f32_e32 v19, v5, v5
	v_min_f32_e32 v17, v16, v19
	v_cmp_u_f32_e64 s[34:35], v34, v34
	v_max_f32_e32 v16, v16, v19
	v_cndmask_b32_e64 v17, v17, v34, s[34:35]
	v_cmp_u_f32_e64 s[30:31], v5, v5
	v_cndmask_b32_e64 v16, v16, v34, s[34:35]
	v_cndmask_b32_e64 v17, v17, v5, s[30:31]
	;; [unrolled: 1-line block ×3, first 2 shown]
	s_movk_i32 s33, 0x1f8
	v_cmp_neq_f32_e64 s[34:35], v17, v16
	v_cmp_class_f32_e64 s[36:37], v17, s33
	s_or_b64 s[34:35], s[34:35], s[36:37]
	s_and_saveexec_b64 s[36:37], s[34:35]
	s_cbranch_execz .LBB126_34
; %bb.33:
	v_sub_f32_e32 v17, v17, v16
	s_mov_b32 s34, 0x3fb8aa3b
	v_mul_f32_e32 v20, 0x3fb8aa3b, v17
	v_fma_f32 v21, v17, s34, -v20
	v_rndne_f32_e32 v22, v20
	v_fmac_f32_e32 v21, 0x32a5705f, v17
	v_sub_f32_e32 v20, v20, v22
	v_add_f32_e32 v20, v20, v21
	v_exp_f32_e32 v20, v20
	v_cvt_i32_f32_e32 v21, v22
	s_mov_b32 s34, 0xc2ce8ed0
	v_cmp_ngt_f32_e64 s[34:35], s34, v17
	s_mov_b32 s38, 0x7f800000
	v_ldexp_f32 v20, v20, v21
	v_cndmask_b32_e64 v20, 0, v20, s[34:35]
	s_mov_b32 s34, 0x42b17218
	v_mov_b32_e32 v21, 0x7f800000
	v_cmp_nlt_f32_e64 s[34:35], s34, v17
	v_cndmask_b32_e64 v25, v21, v20, s[34:35]
	v_add_f32_e32 v17, 1.0, v25
	v_add_f32_e32 v20, -1.0, v17
	v_sub_f32_e32 v21, v20, v17
	v_add_f32_e32 v21, 1.0, v21
	v_sub_f32_e32 v20, v25, v20
	v_add_f32_e32 v22, v20, v21
	v_frexp_mant_f32_e32 v23, v17
	s_mov_b32 s34, 0x3f2aaaab
	v_cvt_f64_f32_e32 v[20:21], v17
	v_frexp_exp_i32_f64_e32 v20, v[20:21]
	v_cmp_gt_f32_e64 s[34:35], s34, v23
	v_subbrev_co_u32_e64 v30, s[34:35], 0, v20, s[34:35]
	v_sub_u32_e32 v20, 0, v30
	v_ldexp_f32 v17, v17, v20
	v_ldexp_f32 v20, v22, v20
	v_add_f32_e32 v22, -1.0, v17
	v_add_f32_e32 v21, 1.0, v22
	v_sub_f32_e32 v21, v17, v21
	v_add_f32_e32 v23, v20, v21
	v_add_f32_e32 v21, 1.0, v17
	v_add_f32_e32 v26, -1.0, v21
	v_sub_f32_e32 v17, v17, v26
	v_add_f32_e32 v17, v20, v17
	v_add_f32_e32 v34, v21, v17
	v_rcp_f32_e32 v35, v34
	v_sub_f32_e32 v20, v21, v34
	v_add_f32_e32 v21, v22, v23
	v_add_f32_e32 v17, v17, v20
	v_mul_f32_e32 v37, v21, v35
	v_sub_f32_e32 v20, v22, v21
	v_mul_f32_e32 v22, v34, v37
	v_fma_f32 v26, v37, v34, -v22
	v_fmac_f32_e32 v26, v37, v17
	v_add_f32_e32 v36, v23, v20
	v_add_f32_e32 v20, v22, v26
	v_sub_f32_e32 v23, v21, v20
	v_pk_add_f32 v[28:29], v[20:21], v[22:23] neg_lo:[0,1] neg_hi:[0,1]
	v_mov_b32_e32 v27, v20
	v_pk_add_f32 v[20:21], v[28:29], v[26:27] neg_lo:[0,1] neg_hi:[0,1]
	v_add_f32_e32 v21, v36, v21
	v_add_f32_e32 v20, v20, v21
	;; [unrolled: 1-line block ×3, first 2 shown]
	v_mul_f32_e32 v36, v35, v21
	v_mul_f32_e32 v22, v34, v36
	v_fma_f32 v26, v36, v34, -v22
	v_fmac_f32_e32 v26, v36, v17
	v_sub_f32_e32 v17, v23, v21
	v_add_f32_e32 v17, v20, v17
	v_add_f32_e32 v20, v22, v26
	v_sub_f32_e32 v23, v21, v20
	v_pk_add_f32 v[28:29], v[20:21], v[22:23] neg_lo:[0,1] neg_hi:[0,1]
	v_mov_b32_e32 v27, v20
	v_pk_add_f32 v[20:21], v[28:29], v[26:27] neg_lo:[0,1] neg_hi:[0,1]
	v_add_f32_e32 v17, v17, v21
	v_add_f32_e32 v17, v20, v17
	;; [unrolled: 1-line block ×4, first 2 shown]
	v_sub_f32_e32 v21, v20, v37
	v_mul_f32_e32 v17, v35, v17
	v_sub_f32_e32 v21, v36, v21
	v_add_f32_e32 v17, v21, v17
	v_add_f32_e32 v23, v20, v17
	v_mul_f32_e32 v26, v23, v23
	v_mov_b32_e32 v22, 0x3ecc95a3
	v_fmac_f32_e32 v22, 0x3e9b6dac, v26
	v_mov_b32_e32 v21, 0x3f2aaada
	v_fmac_f32_e32 v21, v26, v22
	v_cvt_f32_i32_e32 v22, v30
	v_sub_f32_e32 v20, v23, v20
	v_sub_f32_e32 v17, v17, v20
	v_ldexp_f32 v27, v23, 1
	v_mul_f32_e32 v23, v23, v26
	v_mov_b32_e32 v20, 0x3f317218
	s_mov_b32 s34, 0x3f317218
	v_pk_mul_f32 v[20:21], v[22:23], v[20:21]
	v_fma_f32 v26, v22, s34, -v20
	v_fmac_f32_e32 v26, 0xb102e308, v22
	v_pk_add_f32 v[22:23], v[20:21], v[26:27]
	v_sub_f32_e32 v27, v23, v27
	v_ldexp_f32 v17, v17, 1
	v_sub_f32_e32 v27, v21, v27
	v_add_f32_e32 v29, v17, v27
	v_mov_b32_e32 v28, v20
	v_pk_add_f32 v[20:21], v[22:23], v[20:21] neg_lo:[0,1] neg_hi:[0,1]
	v_pk_add_f32 v[34:35], v[22:23], v[28:29]
	v_mov_b32_e32 v21, v35
	v_mov_b32_e32 v27, v22
	v_pk_add_f32 v[36:37], v[26:27], v[20:21] neg_lo:[0,1] neg_hi:[0,1]
	v_pk_add_f32 v[20:21], v[26:27], v[20:21]
	v_mov_b32_e32 v26, v21
	v_pk_add_f32 v[38:39], v[26:27], v[22:23] neg_lo:[0,1] neg_hi:[0,1]
	v_mov_b32_e32 v17, v38
	v_pk_add_f32 v[40:41], v[34:35], v[16:17] neg_lo:[0,1] neg_hi:[0,1]
	v_mov_b32_e32 v20, v35
	v_mov_b32_e32 v34, v23
	;; [unrolled: 1-line block ×4, first 2 shown]
	v_pk_add_f32 v[20:21], v[20:21], v[34:35] neg_lo:[0,1] neg_hi:[0,1]
	v_mov_b32_e32 v28, v29
	v_mov_b32_e32 v29, v22
	v_pk_add_f32 v[20:21], v[28:29], v[20:21] neg_lo:[0,1] neg_hi:[0,1]
	v_mov_b32_e32 v40, v36
	v_pk_add_f32 v[22:23], v[40:41], v[20:21]
	v_mov_b32_e32 v28, v23
	v_pk_add_f32 v[28:29], v[22:23], v[28:29]
	v_pk_add_f32 v[26:27], v[26:27], v[28:29]
	v_mov_b32_e32 v23, v26
	v_pk_add_f32 v[34:35], v[22:23], v[36:37] neg_lo:[0,1] neg_hi:[0,1]
	v_mov_b32_e32 v21, v28
	v_sub_f32_e32 v17, v22, v34
	v_pk_add_f32 v[20:21], v[20:21], v[34:35] neg_lo:[0,1] neg_hi:[0,1]
	v_sub_f32_e32 v17, v36, v17
	v_add_f32_e32 v17, v20, v17
	v_cmp_eq_f32_e64 s[34:35], s38, v25
	s_mov_b32 s38, 0x33800000
	v_add_f32_e32 v17, v17, v21
	v_cmp_lt_f32_e64 s[38:39], |v25|, s38
	v_add_f32_e32 v17, v26, v17
	s_or_b64 s[34:35], s[34:35], s[38:39]
	v_cndmask_b32_e64 v17, v17, v25, s[34:35]
	v_add_f32_e32 v34, v16, v17
.LBB126_34:
	s_or_b64 exec, exec, s[36:37]
	v_max_f32_e32 v16, v34, v34
	v_max_f32_e32 v20, v10, v10
	v_min_f32_e32 v17, v16, v20
	v_cmp_u_f32_e64 s[36:37], v34, v34
	v_max_f32_e32 v16, v16, v20
	v_cndmask_b32_e64 v17, v17, v34, s[36:37]
	v_cmp_u_f32_e64 s[34:35], v10, v10
	v_cndmask_b32_e64 v16, v16, v34, s[36:37]
	v_cndmask_b32_e64 v17, v17, v10, s[34:35]
	;; [unrolled: 1-line block ×3, first 2 shown]
	v_cmp_neq_f32_e64 s[36:37], v17, v16
	v_cmp_class_f32_e64 s[38:39], v17, s33
	s_or_b64 s[36:37], s[36:37], s[38:39]
	s_and_saveexec_b64 s[38:39], s[36:37]
	s_cbranch_execz .LBB126_36
; %bb.35:
	v_sub_f32_e32 v17, v17, v16
	s_mov_b32 s33, 0x3fb8aa3b
	v_mul_f32_e32 v21, 0x3fb8aa3b, v17
	v_fma_f32 v22, v17, s33, -v21
	v_rndne_f32_e32 v23, v21
	v_fmac_f32_e32 v22, 0x32a5705f, v17
	v_sub_f32_e32 v21, v21, v23
	v_add_f32_e32 v21, v21, v22
	v_exp_f32_e32 v21, v21
	v_cvt_i32_f32_e32 v22, v23
	s_mov_b32 s33, 0xc2ce8ed0
	v_cmp_ngt_f32_e64 s[36:37], s33, v17
	s_mov_b32 s33, 0x42b17218
	v_ldexp_f32 v21, v21, v22
	v_cndmask_b32_e64 v21, 0, v21, s[36:37]
	v_mov_b32_e32 v22, 0x7f800000
	v_cmp_nlt_f32_e64 s[36:37], s33, v17
	v_cndmask_b32_e64 v21, v22, v21, s[36:37]
	v_add_f32_e32 v17, 1.0, v21
	v_add_f32_e32 v22, -1.0, v17
	v_sub_f32_e32 v23, v22, v17
	v_add_f32_e32 v23, 1.0, v23
	v_sub_f32_e32 v22, v21, v22
	v_add_f32_e32 v25, v22, v23
	v_frexp_mant_f32_e32 v26, v17
	s_mov_b32 s33, 0x3f2aaaab
	v_cvt_f64_f32_e32 v[22:23], v17
	v_frexp_exp_i32_f64_e32 v22, v[22:23]
	v_cmp_gt_f32_e64 s[36:37], s33, v26
	v_subbrev_co_u32_e64 v30, s[36:37], 0, v22, s[36:37]
	v_sub_u32_e32 v22, 0, v30
	v_ldexp_f32 v17, v17, v22
	v_ldexp_f32 v22, v25, v22
	v_add_f32_e32 v25, -1.0, v17
	v_add_f32_e32 v23, 1.0, v25
	v_sub_f32_e32 v23, v17, v23
	v_add_f32_e32 v26, v22, v23
	v_add_f32_e32 v23, 1.0, v17
	v_add_f32_e32 v27, -1.0, v23
	v_sub_f32_e32 v17, v17, v27
	v_add_f32_e32 v17, v22, v17
	v_add_f32_e32 v36, v23, v17
	v_rcp_f32_e32 v37, v36
	v_sub_f32_e32 v22, v23, v36
	v_add_f32_e32 v23, v25, v26
	v_add_f32_e32 v17, v17, v22
	v_sub_f32_e32 v22, v25, v23
	v_mul_f32_e32 v38, v23, v37
	v_add_f32_e32 v25, v26, v22
	v_mul_f32_e32 v26, v36, v38
	v_fma_f32 v28, v38, v36, -v26
	v_fmac_f32_e32 v28, v38, v17
	v_add_f32_e32 v22, v26, v28
	v_sub_f32_e32 v27, v23, v22
	v_pk_add_f32 v[34:35], v[22:23], v[26:27] neg_lo:[0,1] neg_hi:[0,1]
	v_mov_b32_e32 v29, v22
	v_pk_add_f32 v[22:23], v[34:35], v[28:29] neg_lo:[0,1] neg_hi:[0,1]
	v_add_f32_e32 v23, v25, v23
	v_add_f32_e32 v22, v22, v23
	;; [unrolled: 1-line block ×3, first 2 shown]
	v_mul_f32_e32 v25, v37, v23
	v_mul_f32_e32 v26, v36, v25
	v_fma_f32 v28, v25, v36, -v26
	v_fmac_f32_e32 v28, v25, v17
	v_sub_f32_e32 v17, v27, v23
	v_add_f32_e32 v17, v22, v17
	v_add_f32_e32 v22, v26, v28
	v_sub_f32_e32 v27, v23, v22
	v_pk_add_f32 v[34:35], v[22:23], v[26:27] neg_lo:[0,1] neg_hi:[0,1]
	v_mov_b32_e32 v29, v22
	v_pk_add_f32 v[22:23], v[34:35], v[28:29] neg_lo:[0,1] neg_hi:[0,1]
	v_add_f32_e32 v17, v17, v23
	v_add_f32_e32 v17, v22, v17
	;; [unrolled: 1-line block ×4, first 2 shown]
	v_sub_f32_e32 v23, v22, v38
	v_mul_f32_e32 v17, v37, v17
	v_sub_f32_e32 v23, v25, v23
	v_add_f32_e32 v17, v23, v17
	v_add_f32_e32 v25, v22, v17
	v_mul_f32_e32 v27, v25, v25
	v_mov_b32_e32 v26, 0x3ecc95a3
	v_fmac_f32_e32 v26, 0x3e9b6dac, v27
	v_mov_b32_e32 v23, 0x3f2aaada
	v_fmac_f32_e32 v23, v27, v26
	v_cvt_f32_i32_e32 v26, v30
	v_sub_f32_e32 v22, v25, v22
	v_sub_f32_e32 v17, v17, v22
	v_mul_f32_e32 v27, v25, v27
	v_mov_b32_e32 v22, 0x3f317218
	s_mov_b32 s33, 0x3f317218
	v_pk_mul_f32 v[22:23], v[26:27], v[22:23]
	v_fma_f32 v28, v26, s33, -v22
	v_ldexp_f32 v29, v25, 1
	v_fmac_f32_e32 v28, 0xb102e308, v26
	v_pk_add_f32 v[26:27], v[22:23], v[28:29]
	v_sub_f32_e32 v25, v27, v29
	v_ldexp_f32 v17, v17, 1
	v_sub_f32_e32 v25, v23, v25
	v_add_f32_e32 v35, v17, v25
	v_mov_b32_e32 v34, v22
	v_pk_add_f32 v[22:23], v[26:27], v[22:23] neg_lo:[0,1] neg_hi:[0,1]
	v_pk_add_f32 v[36:37], v[26:27], v[34:35]
	v_mov_b32_e32 v23, v37
	v_mov_b32_e32 v29, v26
	v_pk_add_f32 v[38:39], v[28:29], v[22:23] neg_lo:[0,1] neg_hi:[0,1]
	v_pk_add_f32 v[22:23], v[28:29], v[22:23]
	v_mov_b32_e32 v28, v23
	v_pk_add_f32 v[40:41], v[28:29], v[26:27] neg_lo:[0,1] neg_hi:[0,1]
	v_mov_b32_e32 v17, v40
	v_pk_add_f32 v[42:43], v[36:37], v[16:17] neg_lo:[0,1] neg_hi:[0,1]
	v_mov_b32_e32 v22, v37
	v_mov_b32_e32 v36, v27
	;; [unrolled: 1-line block ×4, first 2 shown]
	v_pk_add_f32 v[22:23], v[22:23], v[36:37] neg_lo:[0,1] neg_hi:[0,1]
	v_mov_b32_e32 v34, v35
	v_mov_b32_e32 v35, v26
	v_pk_add_f32 v[22:23], v[34:35], v[22:23] neg_lo:[0,1] neg_hi:[0,1]
	v_mov_b32_e32 v42, v38
	v_pk_add_f32 v[26:27], v[42:43], v[22:23]
	v_mov_b32_e32 v30, v27
	v_pk_add_f32 v[34:35], v[26:27], v[30:31]
	v_pk_add_f32 v[28:29], v[28:29], v[34:35]
	v_mov_b32_e32 v27, v28
	v_pk_add_f32 v[36:37], v[26:27], v[38:39] neg_lo:[0,1] neg_hi:[0,1]
	v_mov_b32_e32 v23, v34
	v_sub_f32_e32 v17, v26, v36
	v_pk_add_f32 v[22:23], v[22:23], v[36:37] neg_lo:[0,1] neg_hi:[0,1]
	v_sub_f32_e32 v17, v38, v17
	s_mov_b32 s40, 0x7f800000
	v_add_f32_e32 v17, v22, v17
	s_mov_b32 s33, 0x33800000
	v_add_f32_e32 v17, v17, v23
	v_cmp_eq_f32_e64 s[36:37], s40, v21
	v_cmp_lt_f32_e64 s[40:41], |v21|, s33
	v_add_f32_e32 v17, v28, v17
	s_or_b64 s[36:37], s[36:37], s[40:41]
	v_cndmask_b32_e64 v17, v17, v21, s[36:37]
	v_add_f32_e32 v34, v16, v17
.LBB126_36:
	s_or_b64 exec, exec, s[38:39]
	v_max_f32_e32 v16, v34, v34
	v_max_f32_e32 v21, v11, v11
	v_min_f32_e32 v17, v16, v21
	v_cmp_u_f32_e64 s[38:39], v34, v34
	v_max_f32_e32 v16, v16, v21
	v_cndmask_b32_e64 v17, v17, v34, s[38:39]
	v_cmp_u_f32_e64 s[36:37], v11, v11
	v_cndmask_b32_e64 v16, v16, v34, s[38:39]
	v_cndmask_b32_e64 v17, v17, v11, s[36:37]
	;; [unrolled: 1-line block ×3, first 2 shown]
	s_movk_i32 s33, 0x1f8
	v_cmp_neq_f32_e64 s[38:39], v17, v16
	v_cmp_class_f32_e64 s[40:41], v17, s33
	s_or_b64 s[38:39], s[38:39], s[40:41]
	s_and_saveexec_b64 s[40:41], s[38:39]
	s_cbranch_execz .LBB126_38
; %bb.37:
	v_sub_f32_e32 v17, v17, v16
	s_mov_b32 s38, 0x3fb8aa3b
	v_mul_f32_e32 v22, 0x3fb8aa3b, v17
	v_fma_f32 v23, v17, s38, -v22
	v_rndne_f32_e32 v25, v22
	v_fmac_f32_e32 v23, 0x32a5705f, v17
	v_sub_f32_e32 v22, v22, v25
	v_add_f32_e32 v22, v22, v23
	v_exp_f32_e32 v22, v22
	v_cvt_i32_f32_e32 v23, v25
	s_mov_b32 s38, 0xc2ce8ed0
	v_cmp_ngt_f32_e64 s[38:39], s38, v17
	s_mov_b32 s42, 0x7f800000
	v_ldexp_f32 v22, v22, v23
	v_cndmask_b32_e64 v22, 0, v22, s[38:39]
	s_mov_b32 s38, 0x42b17218
	v_mov_b32_e32 v23, 0x7f800000
	v_cmp_nlt_f32_e64 s[38:39], s38, v17
	v_cndmask_b32_e64 v25, v23, v22, s[38:39]
	v_add_f32_e32 v17, 1.0, v25
	v_add_f32_e32 v22, -1.0, v17
	v_sub_f32_e32 v23, v22, v17
	v_add_f32_e32 v23, 1.0, v23
	v_sub_f32_e32 v22, v25, v22
	v_add_f32_e32 v26, v22, v23
	v_frexp_mant_f32_e32 v27, v17
	s_mov_b32 s38, 0x3f2aaaab
	v_cvt_f64_f32_e32 v[22:23], v17
	v_frexp_exp_i32_f64_e32 v22, v[22:23]
	v_cmp_gt_f32_e64 s[38:39], s38, v27
	v_subbrev_co_u32_e64 v30, s[38:39], 0, v22, s[38:39]
	v_sub_u32_e32 v22, 0, v30
	v_ldexp_f32 v17, v17, v22
	v_ldexp_f32 v22, v26, v22
	v_add_f32_e32 v26, -1.0, v17
	v_add_f32_e32 v23, 1.0, v26
	v_sub_f32_e32 v23, v17, v23
	v_add_f32_e32 v27, v22, v23
	v_add_f32_e32 v23, 1.0, v17
	v_add_f32_e32 v28, -1.0, v23
	v_sub_f32_e32 v17, v17, v28
	v_add_f32_e32 v17, v22, v17
	v_add_f32_e32 v36, v23, v17
	v_rcp_f32_e32 v37, v36
	v_sub_f32_e32 v22, v23, v36
	v_add_f32_e32 v23, v26, v27
	v_add_f32_e32 v17, v17, v22
	v_mul_f32_e32 v39, v23, v37
	v_sub_f32_e32 v22, v26, v23
	v_mul_f32_e32 v26, v36, v39
	v_fma_f32 v28, v39, v36, -v26
	v_fmac_f32_e32 v28, v39, v17
	v_add_f32_e32 v38, v27, v22
	v_add_f32_e32 v22, v26, v28
	v_sub_f32_e32 v27, v23, v22
	v_pk_add_f32 v[34:35], v[22:23], v[26:27] neg_lo:[0,1] neg_hi:[0,1]
	v_mov_b32_e32 v29, v22
	v_pk_add_f32 v[22:23], v[34:35], v[28:29] neg_lo:[0,1] neg_hi:[0,1]
	v_add_f32_e32 v23, v38, v23
	v_add_f32_e32 v22, v22, v23
	;; [unrolled: 1-line block ×3, first 2 shown]
	v_mul_f32_e32 v38, v37, v23
	v_mul_f32_e32 v26, v36, v38
	v_fma_f32 v28, v38, v36, -v26
	v_fmac_f32_e32 v28, v38, v17
	v_sub_f32_e32 v17, v27, v23
	v_add_f32_e32 v17, v22, v17
	v_add_f32_e32 v22, v26, v28
	v_sub_f32_e32 v27, v23, v22
	v_pk_add_f32 v[34:35], v[22:23], v[26:27] neg_lo:[0,1] neg_hi:[0,1]
	v_mov_b32_e32 v29, v22
	v_pk_add_f32 v[22:23], v[34:35], v[28:29] neg_lo:[0,1] neg_hi:[0,1]
	v_add_f32_e32 v17, v17, v23
	v_add_f32_e32 v17, v22, v17
	;; [unrolled: 1-line block ×4, first 2 shown]
	v_sub_f32_e32 v23, v22, v39
	v_mul_f32_e32 v17, v37, v17
	v_sub_f32_e32 v23, v38, v23
	v_add_f32_e32 v17, v23, v17
	v_add_f32_e32 v27, v22, v17
	v_mul_f32_e32 v28, v27, v27
	v_mov_b32_e32 v26, 0x3ecc95a3
	v_fmac_f32_e32 v26, 0x3e9b6dac, v28
	v_mov_b32_e32 v23, 0x3f2aaada
	v_fmac_f32_e32 v23, v28, v26
	v_cvt_f32_i32_e32 v26, v30
	v_sub_f32_e32 v22, v27, v22
	v_sub_f32_e32 v17, v17, v22
	v_ldexp_f32 v29, v27, 1
	v_mul_f32_e32 v27, v27, v28
	v_mov_b32_e32 v22, 0x3f317218
	s_mov_b32 s38, 0x3f317218
	v_pk_mul_f32 v[22:23], v[26:27], v[22:23]
	v_fma_f32 v28, v26, s38, -v22
	v_fmac_f32_e32 v28, 0xb102e308, v26
	v_pk_add_f32 v[26:27], v[22:23], v[28:29]
	v_sub_f32_e32 v29, v27, v29
	v_ldexp_f32 v17, v17, 1
	v_sub_f32_e32 v29, v23, v29
	v_add_f32_e32 v35, v17, v29
	v_mov_b32_e32 v34, v22
	v_pk_add_f32 v[22:23], v[26:27], v[22:23] neg_lo:[0,1] neg_hi:[0,1]
	v_pk_add_f32 v[36:37], v[26:27], v[34:35]
	v_mov_b32_e32 v23, v37
	v_mov_b32_e32 v29, v26
	v_pk_add_f32 v[38:39], v[28:29], v[22:23] neg_lo:[0,1] neg_hi:[0,1]
	v_pk_add_f32 v[22:23], v[28:29], v[22:23]
	v_mov_b32_e32 v28, v23
	v_pk_add_f32 v[40:41], v[28:29], v[26:27] neg_lo:[0,1] neg_hi:[0,1]
	v_mov_b32_e32 v17, v40
	v_pk_add_f32 v[42:43], v[36:37], v[16:17] neg_lo:[0,1] neg_hi:[0,1]
	v_mov_b32_e32 v22, v37
	v_mov_b32_e32 v36, v27
	;; [unrolled: 1-line block ×4, first 2 shown]
	v_pk_add_f32 v[22:23], v[22:23], v[36:37] neg_lo:[0,1] neg_hi:[0,1]
	v_mov_b32_e32 v34, v35
	v_mov_b32_e32 v35, v26
	v_pk_add_f32 v[22:23], v[34:35], v[22:23] neg_lo:[0,1] neg_hi:[0,1]
	v_mov_b32_e32 v42, v38
	v_pk_add_f32 v[26:27], v[42:43], v[22:23]
	v_mov_b32_e32 v30, v27
	v_pk_add_f32 v[34:35], v[26:27], v[30:31]
	v_pk_add_f32 v[28:29], v[28:29], v[34:35]
	v_mov_b32_e32 v27, v28
	v_pk_add_f32 v[36:37], v[26:27], v[38:39] neg_lo:[0,1] neg_hi:[0,1]
	v_mov_b32_e32 v23, v34
	v_sub_f32_e32 v17, v26, v36
	v_pk_add_f32 v[22:23], v[22:23], v[36:37] neg_lo:[0,1] neg_hi:[0,1]
	v_sub_f32_e32 v17, v38, v17
	v_add_f32_e32 v17, v22, v17
	v_cmp_eq_f32_e64 s[38:39], s42, v25
	s_mov_b32 s42, 0x33800000
	v_add_f32_e32 v17, v17, v23
	v_cmp_lt_f32_e64 s[42:43], |v25|, s42
	v_add_f32_e32 v17, v28, v17
	s_or_b64 s[38:39], s[38:39], s[42:43]
	v_cndmask_b32_e64 v17, v17, v25, s[38:39]
	v_add_f32_e32 v34, v16, v17
.LBB126_38:
	s_or_b64 exec, exec, s[40:41]
	v_max_f32_e32 v16, v34, v34
	v_max_f32_e32 v22, v12, v12
	v_min_f32_e32 v17, v16, v22
	v_cmp_u_f32_e64 s[40:41], v34, v34
	v_max_f32_e32 v16, v16, v22
	v_cndmask_b32_e64 v17, v17, v34, s[40:41]
	v_cmp_u_f32_e64 s[38:39], v12, v12
	v_cndmask_b32_e64 v16, v16, v34, s[40:41]
	v_cndmask_b32_e64 v17, v17, v12, s[38:39]
	;; [unrolled: 1-line block ×3, first 2 shown]
	v_cmp_neq_f32_e64 s[40:41], v17, v16
	v_cmp_class_f32_e64 s[42:43], v17, s33
	s_or_b64 s[40:41], s[40:41], s[42:43]
	s_and_saveexec_b64 s[42:43], s[40:41]
	s_cbranch_execz .LBB126_40
; %bb.39:
	v_sub_f32_e32 v17, v17, v16
	s_mov_b32 s33, 0x3fb8aa3b
	v_mul_f32_e32 v23, 0x3fb8aa3b, v17
	v_fma_f32 v25, v17, s33, -v23
	v_rndne_f32_e32 v26, v23
	v_fmac_f32_e32 v25, 0x32a5705f, v17
	v_sub_f32_e32 v23, v23, v26
	v_add_f32_e32 v23, v23, v25
	v_exp_f32_e32 v23, v23
	v_cvt_i32_f32_e32 v25, v26
	s_mov_b32 s33, 0xc2ce8ed0
	v_cmp_ngt_f32_e64 s[40:41], s33, v17
	s_mov_b32 s33, 0x42b17218
	v_ldexp_f32 v23, v23, v25
	v_cndmask_b32_e64 v23, 0, v23, s[40:41]
	v_mov_b32_e32 v25, 0x7f800000
	v_cmp_nlt_f32_e64 s[40:41], s33, v17
	v_cndmask_b32_e64 v23, v25, v23, s[40:41]
	v_add_f32_e32 v17, 1.0, v23
	v_add_f32_e32 v25, -1.0, v17
	v_sub_f32_e32 v26, v25, v17
	v_add_f32_e32 v26, 1.0, v26
	v_sub_f32_e32 v25, v23, v25
	v_add_f32_e32 v25, v25, v26
	v_frexp_mant_f32_e32 v28, v17
	s_mov_b32 s33, 0x3f2aaaab
	v_cvt_f64_f32_e32 v[26:27], v17
	v_frexp_exp_i32_f64_e32 v26, v[26:27]
	v_cmp_gt_f32_e64 s[40:41], s33, v28
	v_subbrev_co_u32_e64 v30, s[40:41], 0, v26, s[40:41]
	v_sub_u32_e32 v26, 0, v30
	v_ldexp_f32 v17, v17, v26
	v_ldexp_f32 v25, v25, v26
	v_add_f32_e32 v26, -1.0, v17
	v_add_f32_e32 v27, 1.0, v26
	v_sub_f32_e32 v27, v17, v27
	v_add_f32_e32 v28, v25, v27
	v_add_f32_e32 v27, 1.0, v17
	v_add_f32_e32 v29, -1.0, v27
	v_sub_f32_e32 v17, v17, v29
	v_add_f32_e32 v17, v25, v17
	v_add_f32_e32 v25, v27, v17
	v_rcp_f32_e32 v38, v25
	v_sub_f32_e32 v27, v27, v25
	v_add_f32_e32 v17, v17, v27
	v_add_f32_e32 v27, v26, v28
	v_sub_f32_e32 v26, v26, v27
	v_mul_f32_e32 v40, v27, v38
	v_add_f32_e32 v39, v28, v26
	v_mul_f32_e32 v28, v25, v40
	v_fma_f32 v34, v40, v25, -v28
	v_fmac_f32_e32 v34, v40, v17
	v_add_f32_e32 v26, v28, v34
	v_sub_f32_e32 v29, v27, v26
	v_pk_add_f32 v[36:37], v[26:27], v[28:29] neg_lo:[0,1] neg_hi:[0,1]
	v_mov_b32_e32 v35, v26
	v_pk_add_f32 v[26:27], v[36:37], v[34:35] neg_lo:[0,1] neg_hi:[0,1]
	v_add_f32_e32 v27, v39, v27
	v_add_f32_e32 v26, v26, v27
	;; [unrolled: 1-line block ×3, first 2 shown]
	v_mul_f32_e32 v39, v38, v27
	v_mul_f32_e32 v28, v25, v39
	v_fma_f32 v34, v39, v25, -v28
	v_fmac_f32_e32 v34, v39, v17
	v_sub_f32_e32 v17, v29, v27
	v_add_f32_e32 v17, v26, v17
	v_add_f32_e32 v26, v28, v34
	v_sub_f32_e32 v29, v27, v26
	v_pk_add_f32 v[36:37], v[26:27], v[28:29] neg_lo:[0,1] neg_hi:[0,1]
	v_mov_b32_e32 v35, v26
	v_pk_add_f32 v[26:27], v[36:37], v[34:35] neg_lo:[0,1] neg_hi:[0,1]
	v_add_f32_e32 v17, v17, v27
	v_add_f32_e32 v17, v26, v17
	;; [unrolled: 1-line block ×4, first 2 shown]
	v_sub_f32_e32 v26, v25, v40
	v_mul_f32_e32 v17, v38, v17
	v_sub_f32_e32 v26, v39, v26
	v_add_f32_e32 v17, v26, v17
	v_add_f32_e32 v26, v25, v17
	v_mul_f32_e32 v29, v26, v26
	v_mov_b32_e32 v28, 0x3ecc95a3
	v_fmac_f32_e32 v28, 0x3e9b6dac, v29
	v_mov_b32_e32 v27, 0x3f2aaada
	v_fmac_f32_e32 v27, v29, v28
	v_cvt_f32_i32_e32 v28, v30
	v_sub_f32_e32 v25, v26, v25
	v_ldexp_f32 v35, v26, 1
	v_mul_f32_e32 v29, v26, v29
	v_mov_b32_e32 v26, 0x3f317218
	s_mov_b32 s33, 0x3f317218
	v_pk_mul_f32 v[26:27], v[28:29], v[26:27]
	v_fma_f32 v34, v28, s33, -v26
	v_fmac_f32_e32 v34, 0xb102e308, v28
	v_pk_add_f32 v[28:29], v[26:27], v[34:35]
	v_sub_f32_e32 v17, v17, v25
	v_sub_f32_e32 v25, v29, v35
	v_ldexp_f32 v17, v17, 1
	v_sub_f32_e32 v25, v27, v25
	v_add_f32_e32 v37, v17, v25
	v_mov_b32_e32 v36, v26
	v_pk_add_f32 v[26:27], v[28:29], v[26:27] neg_lo:[0,1] neg_hi:[0,1]
	v_pk_add_f32 v[38:39], v[28:29], v[36:37]
	v_mov_b32_e32 v27, v39
	v_mov_b32_e32 v35, v28
	v_pk_add_f32 v[40:41], v[34:35], v[26:27] neg_lo:[0,1] neg_hi:[0,1]
	v_pk_add_f32 v[26:27], v[34:35], v[26:27]
	v_mov_b32_e32 v30, v27
	v_pk_add_f32 v[34:35], v[30:31], v[28:29] neg_lo:[0,1] neg_hi:[0,1]
	v_mov_b32_e32 v17, v34
	v_pk_add_f32 v[42:43], v[38:39], v[16:17] neg_lo:[0,1] neg_hi:[0,1]
	v_mov_b32_e32 v26, v39
	v_mov_b32_e32 v38, v29
	;; [unrolled: 1-line block ×4, first 2 shown]
	v_pk_add_f32 v[26:27], v[26:27], v[38:39] neg_lo:[0,1] neg_hi:[0,1]
	v_mov_b32_e32 v34, v37
	v_mov_b32_e32 v35, v28
	v_pk_add_f32 v[26:27], v[34:35], v[26:27] neg_lo:[0,1] neg_hi:[0,1]
	v_mov_b32_e32 v42, v40
	v_pk_add_f32 v[28:29], v[42:43], v[26:27]
	v_mov_b32_e32 v34, v29
	v_pk_add_f32 v[34:35], v[28:29], v[34:35]
	v_pk_add_f32 v[36:37], v[30:31], v[34:35]
	v_mov_b32_e32 v29, v36
	v_pk_add_f32 v[38:39], v[28:29], v[40:41] neg_lo:[0,1] neg_hi:[0,1]
	v_mov_b32_e32 v27, v34
	v_sub_f32_e32 v17, v28, v38
	v_pk_add_f32 v[26:27], v[26:27], v[38:39] neg_lo:[0,1] neg_hi:[0,1]
	v_sub_f32_e32 v17, v40, v17
	s_mov_b32 s44, 0x7f800000
	v_add_f32_e32 v17, v26, v17
	s_mov_b32 s33, 0x33800000
	v_add_f32_e32 v17, v17, v27
	v_cmp_eq_f32_e64 s[40:41], s44, v23
	v_cmp_lt_f32_e64 s[44:45], |v23|, s33
	v_add_f32_e32 v17, v36, v17
	s_or_b64 s[40:41], s[40:41], s[44:45]
	v_cndmask_b32_e64 v17, v17, v23, s[40:41]
	v_add_f32_e32 v34, v16, v17
.LBB126_40:
	s_or_b64 exec, exec, s[42:43]
	v_max_f32_e32 v16, v34, v34
	v_max_f32_e32 v23, v13, v13
	v_min_f32_e32 v17, v16, v23
	v_cmp_u_f32_e64 s[42:43], v34, v34
	v_max_f32_e32 v16, v16, v23
	v_cndmask_b32_e64 v17, v17, v34, s[42:43]
	v_cmp_u_f32_e64 s[40:41], v13, v13
	v_cndmask_b32_e64 v16, v16, v34, s[42:43]
	v_cndmask_b32_e64 v17, v17, v13, s[40:41]
	;; [unrolled: 1-line block ×3, first 2 shown]
	s_movk_i32 s33, 0x1f8
	v_cmp_neq_f32_e64 s[42:43], v17, v16
	v_cmp_class_f32_e64 s[44:45], v17, s33
	s_or_b64 s[42:43], s[42:43], s[44:45]
	s_and_saveexec_b64 s[44:45], s[42:43]
	s_cbranch_execz .LBB126_42
; %bb.41:
	v_sub_f32_e32 v17, v17, v16
	s_mov_b32 s42, 0x3fb8aa3b
	v_mul_f32_e32 v25, 0x3fb8aa3b, v17
	v_fma_f32 v26, v17, s42, -v25
	v_rndne_f32_e32 v27, v25
	v_fmac_f32_e32 v26, 0x32a5705f, v17
	v_sub_f32_e32 v25, v25, v27
	v_add_f32_e32 v25, v25, v26
	v_exp_f32_e32 v25, v25
	v_cvt_i32_f32_e32 v26, v27
	s_mov_b32 s42, 0xc2ce8ed0
	v_cmp_ngt_f32_e64 s[42:43], s42, v17
	s_mov_b32 s46, 0x7f800000
	v_ldexp_f32 v25, v25, v26
	v_cndmask_b32_e64 v25, 0, v25, s[42:43]
	s_mov_b32 s42, 0x42b17218
	v_mov_b32_e32 v26, 0x7f800000
	v_cmp_nlt_f32_e64 s[42:43], s42, v17
	v_cndmask_b32_e64 v25, v26, v25, s[42:43]
	v_add_f32_e32 v17, 1.0, v25
	v_add_f32_e32 v26, -1.0, v17
	v_sub_f32_e32 v27, v26, v17
	v_add_f32_e32 v27, 1.0, v27
	v_sub_f32_e32 v26, v25, v26
	v_add_f32_e32 v28, v26, v27
	v_frexp_mant_f32_e32 v29, v17
	s_mov_b32 s42, 0x3f2aaaab
	v_cvt_f64_f32_e32 v[26:27], v17
	v_frexp_exp_i32_f64_e32 v26, v[26:27]
	v_cmp_gt_f32_e64 s[42:43], s42, v29
	v_subbrev_co_u32_e64 v30, s[42:43], 0, v26, s[42:43]
	v_sub_u32_e32 v26, 0, v30
	v_ldexp_f32 v17, v17, v26
	v_ldexp_f32 v26, v28, v26
	v_add_f32_e32 v28, -1.0, v17
	v_add_f32_e32 v27, 1.0, v28
	v_sub_f32_e32 v27, v17, v27
	v_add_f32_e32 v29, v26, v27
	v_add_f32_e32 v27, 1.0, v17
	v_add_f32_e32 v34, -1.0, v27
	v_sub_f32_e32 v17, v17, v34
	v_add_f32_e32 v17, v26, v17
	v_add_f32_e32 v38, v27, v17
	v_rcp_f32_e32 v39, v38
	v_sub_f32_e32 v26, v27, v38
	v_add_f32_e32 v27, v28, v29
	v_add_f32_e32 v17, v17, v26
	v_mul_f32_e32 v41, v27, v39
	v_sub_f32_e32 v26, v28, v27
	v_mul_f32_e32 v28, v38, v41
	v_fma_f32 v34, v41, v38, -v28
	v_fmac_f32_e32 v34, v41, v17
	v_add_f32_e32 v40, v29, v26
	v_add_f32_e32 v26, v28, v34
	v_sub_f32_e32 v29, v27, v26
	v_pk_add_f32 v[36:37], v[26:27], v[28:29] neg_lo:[0,1] neg_hi:[0,1]
	v_mov_b32_e32 v35, v26
	v_pk_add_f32 v[26:27], v[36:37], v[34:35] neg_lo:[0,1] neg_hi:[0,1]
	v_add_f32_e32 v27, v40, v27
	v_add_f32_e32 v26, v26, v27
	;; [unrolled: 1-line block ×3, first 2 shown]
	v_mul_f32_e32 v40, v39, v27
	v_mul_f32_e32 v28, v38, v40
	v_fma_f32 v34, v40, v38, -v28
	v_fmac_f32_e32 v34, v40, v17
	v_sub_f32_e32 v17, v29, v27
	v_add_f32_e32 v17, v26, v17
	v_add_f32_e32 v26, v28, v34
	v_sub_f32_e32 v29, v27, v26
	v_pk_add_f32 v[36:37], v[26:27], v[28:29] neg_lo:[0,1] neg_hi:[0,1]
	v_mov_b32_e32 v35, v26
	v_pk_add_f32 v[26:27], v[36:37], v[34:35] neg_lo:[0,1] neg_hi:[0,1]
	v_add_f32_e32 v17, v17, v27
	v_add_f32_e32 v17, v26, v17
	;; [unrolled: 1-line block ×4, first 2 shown]
	v_sub_f32_e32 v27, v26, v41
	v_mul_f32_e32 v17, v39, v17
	v_sub_f32_e32 v27, v40, v27
	v_add_f32_e32 v17, v27, v17
	v_add_f32_e32 v29, v26, v17
	v_mul_f32_e32 v34, v29, v29
	v_mov_b32_e32 v28, 0x3ecc95a3
	v_fmac_f32_e32 v28, 0x3e9b6dac, v34
	v_mov_b32_e32 v27, 0x3f2aaada
	v_fmac_f32_e32 v27, v34, v28
	v_cvt_f32_i32_e32 v28, v30
	v_sub_f32_e32 v26, v29, v26
	v_sub_f32_e32 v17, v17, v26
	v_ldexp_f32 v35, v29, 1
	v_mul_f32_e32 v29, v29, v34
	v_mov_b32_e32 v26, 0x3f317218
	s_mov_b32 s42, 0x3f317218
	v_pk_mul_f32 v[26:27], v[28:29], v[26:27]
	v_fma_f32 v34, v28, s42, -v26
	v_fmac_f32_e32 v34, 0xb102e308, v28
	v_pk_add_f32 v[28:29], v[26:27], v[34:35]
	v_sub_f32_e32 v30, v29, v35
	v_ldexp_f32 v17, v17, 1
	v_sub_f32_e32 v30, v27, v30
	v_add_f32_e32 v37, v17, v30
	v_mov_b32_e32 v36, v26
	v_pk_add_f32 v[26:27], v[28:29], v[26:27] neg_lo:[0,1] neg_hi:[0,1]
	v_pk_add_f32 v[38:39], v[28:29], v[36:37]
	v_mov_b32_e32 v27, v39
	v_mov_b32_e32 v35, v28
	v_pk_add_f32 v[40:41], v[34:35], v[26:27] neg_lo:[0,1] neg_hi:[0,1]
	v_pk_add_f32 v[26:27], v[34:35], v[26:27]
	v_mov_b32_e32 v30, v27
	v_pk_add_f32 v[34:35], v[30:31], v[28:29] neg_lo:[0,1] neg_hi:[0,1]
	v_mov_b32_e32 v17, v34
	v_pk_add_f32 v[42:43], v[38:39], v[16:17] neg_lo:[0,1] neg_hi:[0,1]
	v_mov_b32_e32 v26, v39
	v_mov_b32_e32 v38, v29
	;; [unrolled: 1-line block ×4, first 2 shown]
	v_pk_add_f32 v[26:27], v[26:27], v[38:39] neg_lo:[0,1] neg_hi:[0,1]
	v_mov_b32_e32 v34, v37
	v_mov_b32_e32 v35, v28
	v_pk_add_f32 v[26:27], v[34:35], v[26:27] neg_lo:[0,1] neg_hi:[0,1]
	v_mov_b32_e32 v42, v40
	v_pk_add_f32 v[28:29], v[42:43], v[26:27]
	v_mov_b32_e32 v34, v29
	v_pk_add_f32 v[34:35], v[28:29], v[34:35]
	v_pk_add_f32 v[36:37], v[30:31], v[34:35]
	v_mov_b32_e32 v29, v36
	v_pk_add_f32 v[38:39], v[28:29], v[40:41] neg_lo:[0,1] neg_hi:[0,1]
	v_mov_b32_e32 v27, v34
	v_sub_f32_e32 v17, v28, v38
	v_pk_add_f32 v[26:27], v[26:27], v[38:39] neg_lo:[0,1] neg_hi:[0,1]
	v_sub_f32_e32 v17, v40, v17
	v_add_f32_e32 v17, v26, v17
	v_cmp_eq_f32_e64 s[42:43], s46, v25
	s_mov_b32 s46, 0x33800000
	v_add_f32_e32 v17, v17, v27
	v_cmp_lt_f32_e64 s[46:47], |v25|, s46
	v_add_f32_e32 v17, v36, v17
	s_or_b64 s[42:43], s[42:43], s[46:47]
	v_cndmask_b32_e64 v17, v17, v25, s[42:43]
	v_add_f32_e32 v34, v16, v17
.LBB126_42:
	s_or_b64 exec, exec, s[44:45]
	v_max_f32_e32 v16, v34, v34
	v_max_f32_e32 v25, v6, v6
	v_min_f32_e32 v17, v16, v25
	v_cmp_u_f32_e64 s[44:45], v34, v34
	v_max_f32_e32 v16, v16, v25
	v_cndmask_b32_e64 v17, v17, v34, s[44:45]
	v_cmp_u_f32_e64 s[42:43], v6, v6
	v_cndmask_b32_e64 v16, v16, v34, s[44:45]
	v_cndmask_b32_e64 v17, v17, v6, s[42:43]
	;; [unrolled: 1-line block ×3, first 2 shown]
	v_cmp_neq_f32_e64 s[44:45], v17, v16
	v_cmp_class_f32_e64 s[46:47], v17, s33
	s_or_b64 s[44:45], s[44:45], s[46:47]
	s_and_saveexec_b64 s[46:47], s[44:45]
	s_cbranch_execz .LBB126_44
; %bb.43:
	v_sub_f32_e32 v17, v17, v16
	s_mov_b32 s33, 0x3fb8aa3b
	v_mul_f32_e32 v26, 0x3fb8aa3b, v17
	v_fma_f32 v27, v17, s33, -v26
	v_rndne_f32_e32 v28, v26
	v_fmac_f32_e32 v27, 0x32a5705f, v17
	v_sub_f32_e32 v26, v26, v28
	v_add_f32_e32 v26, v26, v27
	v_exp_f32_e32 v26, v26
	v_cvt_i32_f32_e32 v27, v28
	s_mov_b32 s33, 0xc2ce8ed0
	v_cmp_ngt_f32_e64 s[44:45], s33, v17
	s_mov_b32 s33, 0x42b17218
	v_ldexp_f32 v26, v26, v27
	v_cndmask_b32_e64 v26, 0, v26, s[44:45]
	v_mov_b32_e32 v27, 0x7f800000
	v_cmp_nlt_f32_e64 s[44:45], s33, v17
	v_cndmask_b32_e64 v44, v27, v26, s[44:45]
	v_add_f32_e32 v17, 1.0, v44
	v_add_f32_e32 v26, -1.0, v17
	v_sub_f32_e32 v27, v26, v17
	v_add_f32_e32 v27, 1.0, v27
	v_sub_f32_e32 v26, v44, v26
	v_add_f32_e32 v28, v26, v27
	v_frexp_mant_f32_e32 v29, v17
	s_mov_b32 s33, 0x3f2aaaab
	v_cvt_f64_f32_e32 v[26:27], v17
	v_frexp_exp_i32_f64_e32 v26, v[26:27]
	v_cmp_gt_f32_e64 s[44:45], s33, v29
	v_subbrev_co_u32_e64 v30, s[44:45], 0, v26, s[44:45]
	v_sub_u32_e32 v26, 0, v30
	v_ldexp_f32 v17, v17, v26
	v_ldexp_f32 v26, v28, v26
	v_add_f32_e32 v28, -1.0, v17
	v_add_f32_e32 v27, 1.0, v28
	v_sub_f32_e32 v27, v17, v27
	v_add_f32_e32 v29, v26, v27
	v_add_f32_e32 v27, 1.0, v17
	v_add_f32_e32 v34, -1.0, v27
	v_sub_f32_e32 v17, v17, v34
	v_add_f32_e32 v17, v26, v17
	v_add_f32_e32 v38, v27, v17
	v_rcp_f32_e32 v39, v38
	v_sub_f32_e32 v26, v27, v38
	v_add_f32_e32 v27, v28, v29
	v_add_f32_e32 v17, v17, v26
	v_mul_f32_e32 v41, v27, v39
	v_sub_f32_e32 v26, v28, v27
	v_mul_f32_e32 v28, v38, v41
	v_fma_f32 v34, v41, v38, -v28
	v_fmac_f32_e32 v34, v41, v17
	v_add_f32_e32 v40, v29, v26
	v_add_f32_e32 v26, v28, v34
	v_sub_f32_e32 v29, v27, v26
	v_pk_add_f32 v[36:37], v[26:27], v[28:29] neg_lo:[0,1] neg_hi:[0,1]
	v_mov_b32_e32 v35, v26
	v_pk_add_f32 v[26:27], v[36:37], v[34:35] neg_lo:[0,1] neg_hi:[0,1]
	v_add_f32_e32 v27, v40, v27
	v_add_f32_e32 v26, v26, v27
	;; [unrolled: 1-line block ×3, first 2 shown]
	v_mul_f32_e32 v40, v39, v27
	v_mul_f32_e32 v28, v38, v40
	v_fma_f32 v34, v40, v38, -v28
	v_fmac_f32_e32 v34, v40, v17
	v_sub_f32_e32 v17, v29, v27
	v_add_f32_e32 v17, v26, v17
	v_add_f32_e32 v26, v28, v34
	v_sub_f32_e32 v29, v27, v26
	v_pk_add_f32 v[36:37], v[26:27], v[28:29] neg_lo:[0,1] neg_hi:[0,1]
	v_mov_b32_e32 v35, v26
	v_pk_add_f32 v[26:27], v[36:37], v[34:35] neg_lo:[0,1] neg_hi:[0,1]
	v_add_f32_e32 v17, v17, v27
	v_add_f32_e32 v17, v26, v17
	;; [unrolled: 1-line block ×4, first 2 shown]
	v_sub_f32_e32 v27, v26, v41
	v_mul_f32_e32 v17, v39, v17
	v_sub_f32_e32 v27, v40, v27
	v_add_f32_e32 v17, v27, v17
	v_add_f32_e32 v29, v26, v17
	v_mul_f32_e32 v34, v29, v29
	v_mov_b32_e32 v28, 0x3ecc95a3
	v_fmac_f32_e32 v28, 0x3e9b6dac, v34
	v_mov_b32_e32 v27, 0x3f2aaada
	v_fmac_f32_e32 v27, v34, v28
	v_cvt_f32_i32_e32 v28, v30
	v_sub_f32_e32 v26, v29, v26
	v_sub_f32_e32 v17, v17, v26
	v_ldexp_f32 v35, v29, 1
	v_mul_f32_e32 v29, v29, v34
	v_mov_b32_e32 v26, 0x3f317218
	s_mov_b32 s33, 0x3f317218
	v_pk_mul_f32 v[26:27], v[28:29], v[26:27]
	v_fma_f32 v34, v28, s33, -v26
	v_fmac_f32_e32 v34, 0xb102e308, v28
	v_pk_add_f32 v[28:29], v[26:27], v[34:35]
	v_sub_f32_e32 v30, v29, v35
	v_ldexp_f32 v17, v17, 1
	v_sub_f32_e32 v30, v27, v30
	v_add_f32_e32 v37, v17, v30
	v_mov_b32_e32 v36, v26
	v_pk_add_f32 v[26:27], v[28:29], v[26:27] neg_lo:[0,1] neg_hi:[0,1]
	v_pk_add_f32 v[38:39], v[28:29], v[36:37]
	v_mov_b32_e32 v27, v39
	v_mov_b32_e32 v35, v28
	v_pk_add_f32 v[40:41], v[34:35], v[26:27] neg_lo:[0,1] neg_hi:[0,1]
	v_pk_add_f32 v[26:27], v[34:35], v[26:27]
	v_mov_b32_e32 v30, v27
	v_pk_add_f32 v[34:35], v[30:31], v[28:29] neg_lo:[0,1] neg_hi:[0,1]
	v_mov_b32_e32 v17, v34
	v_pk_add_f32 v[42:43], v[38:39], v[16:17] neg_lo:[0,1] neg_hi:[0,1]
	v_mov_b32_e32 v26, v39
	v_mov_b32_e32 v38, v29
	v_mov_b32_e32 v39, v34
	v_mov_b32_e32 v41, v27
	v_pk_add_f32 v[26:27], v[26:27], v[38:39] neg_lo:[0,1] neg_hi:[0,1]
	v_mov_b32_e32 v34, v37
	v_mov_b32_e32 v35, v28
	v_pk_add_f32 v[26:27], v[34:35], v[26:27] neg_lo:[0,1] neg_hi:[0,1]
	v_mov_b32_e32 v42, v40
	v_pk_add_f32 v[28:29], v[42:43], v[26:27]
	v_mov_b32_e32 v34, v29
	v_pk_add_f32 v[34:35], v[28:29], v[34:35]
	v_pk_add_f32 v[36:37], v[30:31], v[34:35]
	v_mov_b32_e32 v29, v36
	v_pk_add_f32 v[38:39], v[28:29], v[40:41] neg_lo:[0,1] neg_hi:[0,1]
	v_mov_b32_e32 v27, v34
	v_sub_f32_e32 v17, v28, v38
	v_pk_add_f32 v[26:27], v[26:27], v[38:39] neg_lo:[0,1] neg_hi:[0,1]
	v_sub_f32_e32 v17, v40, v17
	s_mov_b32 s48, 0x7f800000
	v_add_f32_e32 v17, v26, v17
	s_mov_b32 s33, 0x33800000
	v_add_f32_e32 v17, v17, v27
	v_cmp_eq_f32_e64 s[44:45], s48, v44
	v_cmp_lt_f32_e64 s[48:49], |v44|, s33
	v_add_f32_e32 v17, v36, v17
	s_or_b64 s[44:45], s[44:45], s[48:49]
	v_cndmask_b32_e64 v17, v17, v44, s[44:45]
	v_add_f32_e32 v34, v16, v17
.LBB126_44:
	s_or_b64 exec, exec, s[46:47]
	v_max_f32_e32 v16, v34, v34
	v_max_f32_e32 v26, v7, v7
	v_min_f32_e32 v17, v16, v26
	v_cmp_u_f32_e64 s[46:47], v34, v34
	v_max_f32_e32 v16, v16, v26
	v_cndmask_b32_e64 v17, v17, v34, s[46:47]
	v_cmp_u_f32_e64 s[44:45], v7, v7
	v_cndmask_b32_e64 v16, v16, v34, s[46:47]
	v_cndmask_b32_e64 v17, v17, v7, s[44:45]
	;; [unrolled: 1-line block ×3, first 2 shown]
	s_movk_i32 s33, 0x1f8
	v_cmp_neq_f32_e64 s[46:47], v17, v16
	v_cmp_class_f32_e64 s[48:49], v17, s33
	s_or_b64 s[46:47], s[46:47], s[48:49]
	s_and_saveexec_b64 s[48:49], s[46:47]
	s_cbranch_execz .LBB126_46
; %bb.45:
	v_sub_f32_e32 v17, v17, v16
	s_mov_b32 s46, 0x3fb8aa3b
	v_mul_f32_e32 v27, 0x3fb8aa3b, v17
	v_fma_f32 v28, v17, s46, -v27
	v_rndne_f32_e32 v29, v27
	v_fmac_f32_e32 v28, 0x32a5705f, v17
	v_sub_f32_e32 v27, v27, v29
	v_add_f32_e32 v27, v27, v28
	v_exp_f32_e32 v27, v27
	v_cvt_i32_f32_e32 v28, v29
	s_mov_b32 s46, 0xc2ce8ed0
	v_cmp_ngt_f32_e64 s[46:47], s46, v17
	s_mov_b32 s50, 0x7f800000
	v_ldexp_f32 v27, v27, v28
	v_cndmask_b32_e64 v27, 0, v27, s[46:47]
	s_mov_b32 s46, 0x42b17218
	v_mov_b32_e32 v28, 0x7f800000
	v_cmp_nlt_f32_e64 s[46:47], s46, v17
	v_cndmask_b32_e64 v27, v28, v27, s[46:47]
	v_add_f32_e32 v17, 1.0, v27
	v_add_f32_e32 v28, -1.0, v17
	v_sub_f32_e32 v29, v28, v17
	v_add_f32_e32 v29, 1.0, v29
	v_sub_f32_e32 v28, v27, v28
	v_add_f32_e32 v30, v28, v29
	v_frexp_mant_f32_e32 v34, v17
	s_mov_b32 s46, 0x3f2aaaab
	v_cvt_f64_f32_e32 v[28:29], v17
	v_frexp_exp_i32_f64_e32 v28, v[28:29]
	v_cmp_gt_f32_e64 s[46:47], s46, v34
	v_subbrev_co_u32_e64 v40, s[46:47], 0, v28, s[46:47]
	v_sub_u32_e32 v28, 0, v40
	v_ldexp_f32 v17, v17, v28
	v_ldexp_f32 v28, v30, v28
	v_add_f32_e32 v30, -1.0, v17
	v_add_f32_e32 v29, 1.0, v30
	v_sub_f32_e32 v29, v17, v29
	v_add_f32_e32 v34, v28, v29
	v_add_f32_e32 v29, 1.0, v17
	v_add_f32_e32 v35, -1.0, v29
	v_sub_f32_e32 v17, v17, v35
	v_add_f32_e32 v17, v28, v17
	v_add_f32_e32 v41, v29, v17
	v_rcp_f32_e32 v42, v41
	v_sub_f32_e32 v28, v29, v41
	v_add_f32_e32 v29, v30, v34
	v_add_f32_e32 v17, v17, v28
	v_sub_f32_e32 v28, v30, v29
	v_mul_f32_e32 v43, v29, v42
	v_add_f32_e32 v30, v34, v28
	v_mul_f32_e32 v34, v41, v43
	v_fma_f32 v36, v43, v41, -v34
	v_fmac_f32_e32 v36, v43, v17
	v_add_f32_e32 v28, v34, v36
	v_sub_f32_e32 v35, v29, v28
	v_pk_add_f32 v[38:39], v[28:29], v[34:35] neg_lo:[0,1] neg_hi:[0,1]
	v_mov_b32_e32 v37, v28
	v_pk_add_f32 v[28:29], v[38:39], v[36:37] neg_lo:[0,1] neg_hi:[0,1]
	v_add_f32_e32 v29, v30, v29
	v_add_f32_e32 v28, v28, v29
	;; [unrolled: 1-line block ×3, first 2 shown]
	v_mul_f32_e32 v30, v42, v29
	v_mul_f32_e32 v34, v41, v30
	v_fma_f32 v36, v30, v41, -v34
	v_fmac_f32_e32 v36, v30, v17
	v_sub_f32_e32 v17, v35, v29
	v_add_f32_e32 v17, v28, v17
	v_add_f32_e32 v28, v34, v36
	v_sub_f32_e32 v35, v29, v28
	v_pk_add_f32 v[38:39], v[28:29], v[34:35] neg_lo:[0,1] neg_hi:[0,1]
	v_mov_b32_e32 v37, v28
	v_pk_add_f32 v[28:29], v[38:39], v[36:37] neg_lo:[0,1] neg_hi:[0,1]
	v_add_f32_e32 v17, v17, v29
	v_add_f32_e32 v17, v28, v17
	;; [unrolled: 1-line block ×4, first 2 shown]
	v_sub_f32_e32 v29, v28, v43
	v_mul_f32_e32 v17, v42, v17
	v_sub_f32_e32 v29, v30, v29
	v_add_f32_e32 v17, v29, v17
	v_add_f32_e32 v30, v28, v17
	v_mul_f32_e32 v35, v30, v30
	v_mov_b32_e32 v34, 0x3ecc95a3
	v_fmac_f32_e32 v34, 0x3e9b6dac, v35
	v_mov_b32_e32 v29, 0x3f2aaada
	v_fmac_f32_e32 v29, v35, v34
	v_cvt_f32_i32_e32 v34, v40
	v_sub_f32_e32 v28, v30, v28
	v_sub_f32_e32 v17, v17, v28
	v_mul_f32_e32 v35, v30, v35
	v_mov_b32_e32 v28, 0x3f317218
	s_mov_b32 s46, 0x3f317218
	v_pk_mul_f32 v[28:29], v[34:35], v[28:29]
	v_fma_f32 v36, v34, s46, -v28
	v_ldexp_f32 v37, v30, 1
	v_fmac_f32_e32 v36, 0xb102e308, v34
	v_pk_add_f32 v[34:35], v[28:29], v[36:37]
	v_sub_f32_e32 v30, v35, v37
	v_ldexp_f32 v17, v17, 1
	v_sub_f32_e32 v30, v29, v30
	v_add_f32_e32 v39, v17, v30
	v_mov_b32_e32 v38, v28
	v_pk_add_f32 v[28:29], v[34:35], v[28:29] neg_lo:[0,1] neg_hi:[0,1]
	v_pk_add_f32 v[40:41], v[34:35], v[38:39]
	v_mov_b32_e32 v29, v41
	v_mov_b32_e32 v37, v34
	v_pk_add_f32 v[42:43], v[36:37], v[28:29] neg_lo:[0,1] neg_hi:[0,1]
	v_pk_add_f32 v[28:29], v[36:37], v[28:29]
	v_mov_b32_e32 v30, v29
	v_pk_add_f32 v[36:37], v[30:31], v[34:35] neg_lo:[0,1] neg_hi:[0,1]
	v_mov_b32_e32 v17, v36
	v_pk_add_f32 v[44:45], v[40:41], v[16:17] neg_lo:[0,1] neg_hi:[0,1]
	v_mov_b32_e32 v28, v41
	v_mov_b32_e32 v40, v35
	;; [unrolled: 1-line block ×4, first 2 shown]
	v_pk_add_f32 v[28:29], v[28:29], v[40:41] neg_lo:[0,1] neg_hi:[0,1]
	v_mov_b32_e32 v36, v39
	v_mov_b32_e32 v37, v34
	v_pk_add_f32 v[28:29], v[36:37], v[28:29] neg_lo:[0,1] neg_hi:[0,1]
	v_mov_b32_e32 v44, v42
	v_pk_add_f32 v[34:35], v[44:45], v[28:29]
	v_mov_b32_e32 v36, v35
	v_pk_add_f32 v[36:37], v[34:35], v[36:37]
	v_pk_add_f32 v[38:39], v[30:31], v[36:37]
	v_mov_b32_e32 v35, v38
	v_pk_add_f32 v[40:41], v[34:35], v[42:43] neg_lo:[0,1] neg_hi:[0,1]
	v_mov_b32_e32 v29, v36
	v_sub_f32_e32 v17, v34, v40
	v_pk_add_f32 v[28:29], v[28:29], v[40:41] neg_lo:[0,1] neg_hi:[0,1]
	v_sub_f32_e32 v17, v42, v17
	v_add_f32_e32 v17, v28, v17
	v_cmp_eq_f32_e64 s[46:47], s50, v27
	s_mov_b32 s50, 0x33800000
	v_add_f32_e32 v17, v17, v29
	v_cmp_lt_f32_e64 s[50:51], |v27|, s50
	v_add_f32_e32 v17, v38, v17
	s_or_b64 s[46:47], s[46:47], s[50:51]
	v_cndmask_b32_e64 v17, v17, v27, s[46:47]
	v_add_f32_e32 v34, v16, v17
.LBB126_46:
	s_or_b64 exec, exec, s[48:49]
	v_max_f32_e32 v16, v34, v34
	v_max_f32_e32 v27, v8, v8
	v_min_f32_e32 v17, v16, v27
	v_cmp_u_f32_e64 s[48:49], v34, v34
	v_max_f32_e32 v16, v16, v27
	v_cndmask_b32_e64 v17, v17, v34, s[48:49]
	v_cmp_u_f32_e64 s[46:47], v8, v8
	v_cndmask_b32_e64 v16, v16, v34, s[48:49]
	v_cndmask_b32_e64 v17, v17, v8, s[46:47]
	;; [unrolled: 1-line block ×3, first 2 shown]
	v_cmp_neq_f32_e64 s[48:49], v17, v16
	v_cmp_class_f32_e64 s[50:51], v17, s33
	s_or_b64 s[48:49], s[48:49], s[50:51]
	s_and_saveexec_b64 s[50:51], s[48:49]
	s_cbranch_execz .LBB126_48
; %bb.47:
	v_sub_f32_e32 v17, v17, v16
	s_mov_b32 s33, 0x3fb8aa3b
	v_mul_f32_e32 v28, 0x3fb8aa3b, v17
	v_fma_f32 v29, v17, s33, -v28
	v_rndne_f32_e32 v30, v28
	v_fmac_f32_e32 v29, 0x32a5705f, v17
	v_sub_f32_e32 v28, v28, v30
	v_add_f32_e32 v28, v28, v29
	v_exp_f32_e32 v28, v28
	v_cvt_i32_f32_e32 v29, v30
	s_mov_b32 s33, 0xc2ce8ed0
	v_cmp_ngt_f32_e64 s[48:49], s33, v17
	s_mov_b32 s33, 0x42b17218
	v_ldexp_f32 v28, v28, v29
	v_cndmask_b32_e64 v28, 0, v28, s[48:49]
	v_mov_b32_e32 v29, 0x7f800000
	v_cmp_nlt_f32_e64 s[48:49], s33, v17
	v_cndmask_b32_e64 v46, v29, v28, s[48:49]
	v_add_f32_e32 v17, 1.0, v46
	v_add_f32_e32 v28, -1.0, v17
	v_sub_f32_e32 v29, v28, v17
	v_add_f32_e32 v29, 1.0, v29
	v_sub_f32_e32 v28, v46, v28
	v_add_f32_e32 v30, v28, v29
	v_frexp_mant_f32_e32 v34, v17
	s_mov_b32 s33, 0x3f2aaaab
	v_cvt_f64_f32_e32 v[28:29], v17
	v_frexp_exp_i32_f64_e32 v28, v[28:29]
	v_cmp_gt_f32_e64 s[48:49], s33, v34
	v_subbrev_co_u32_e64 v40, s[48:49], 0, v28, s[48:49]
	v_sub_u32_e32 v28, 0, v40
	v_ldexp_f32 v17, v17, v28
	v_ldexp_f32 v28, v30, v28
	v_add_f32_e32 v30, -1.0, v17
	v_add_f32_e32 v29, 1.0, v30
	v_sub_f32_e32 v29, v17, v29
	v_add_f32_e32 v34, v28, v29
	v_add_f32_e32 v29, 1.0, v17
	v_add_f32_e32 v35, -1.0, v29
	v_sub_f32_e32 v17, v17, v35
	v_add_f32_e32 v17, v28, v17
	v_add_f32_e32 v41, v29, v17
	v_rcp_f32_e32 v42, v41
	v_sub_f32_e32 v28, v29, v41
	v_add_f32_e32 v29, v30, v34
	v_add_f32_e32 v17, v17, v28
	v_sub_f32_e32 v28, v30, v29
	v_mul_f32_e32 v43, v29, v42
	v_add_f32_e32 v30, v34, v28
	v_mul_f32_e32 v34, v41, v43
	v_fma_f32 v36, v43, v41, -v34
	v_fmac_f32_e32 v36, v43, v17
	v_add_f32_e32 v28, v34, v36
	v_sub_f32_e32 v35, v29, v28
	v_pk_add_f32 v[38:39], v[28:29], v[34:35] neg_lo:[0,1] neg_hi:[0,1]
	v_mov_b32_e32 v37, v28
	v_pk_add_f32 v[28:29], v[38:39], v[36:37] neg_lo:[0,1] neg_hi:[0,1]
	v_add_f32_e32 v29, v30, v29
	v_add_f32_e32 v28, v28, v29
	;; [unrolled: 1-line block ×3, first 2 shown]
	v_mul_f32_e32 v30, v42, v29
	v_mul_f32_e32 v34, v41, v30
	v_fma_f32 v36, v30, v41, -v34
	v_fmac_f32_e32 v36, v30, v17
	v_sub_f32_e32 v17, v35, v29
	v_add_f32_e32 v17, v28, v17
	v_add_f32_e32 v28, v34, v36
	v_sub_f32_e32 v35, v29, v28
	v_pk_add_f32 v[38:39], v[28:29], v[34:35] neg_lo:[0,1] neg_hi:[0,1]
	v_mov_b32_e32 v37, v28
	v_pk_add_f32 v[28:29], v[38:39], v[36:37] neg_lo:[0,1] neg_hi:[0,1]
	v_add_f32_e32 v17, v17, v29
	v_add_f32_e32 v17, v28, v17
	;; [unrolled: 1-line block ×4, first 2 shown]
	v_sub_f32_e32 v29, v28, v43
	v_mul_f32_e32 v17, v42, v17
	v_sub_f32_e32 v29, v30, v29
	v_add_f32_e32 v17, v29, v17
	v_add_f32_e32 v30, v28, v17
	v_mul_f32_e32 v35, v30, v30
	v_mov_b32_e32 v34, 0x3ecc95a3
	v_fmac_f32_e32 v34, 0x3e9b6dac, v35
	v_mov_b32_e32 v29, 0x3f2aaada
	v_fmac_f32_e32 v29, v35, v34
	v_cvt_f32_i32_e32 v34, v40
	v_sub_f32_e32 v28, v30, v28
	v_sub_f32_e32 v17, v17, v28
	v_mul_f32_e32 v35, v30, v35
	v_mov_b32_e32 v28, 0x3f317218
	s_mov_b32 s33, 0x3f317218
	v_pk_mul_f32 v[28:29], v[34:35], v[28:29]
	v_fma_f32 v36, v34, s33, -v28
	v_ldexp_f32 v37, v30, 1
	v_fmac_f32_e32 v36, 0xb102e308, v34
	v_pk_add_f32 v[34:35], v[28:29], v[36:37]
	v_sub_f32_e32 v30, v35, v37
	v_ldexp_f32 v17, v17, 1
	v_sub_f32_e32 v30, v29, v30
	v_add_f32_e32 v39, v17, v30
	v_mov_b32_e32 v38, v28
	v_pk_add_f32 v[28:29], v[34:35], v[28:29] neg_lo:[0,1] neg_hi:[0,1]
	v_pk_add_f32 v[40:41], v[34:35], v[38:39]
	v_mov_b32_e32 v29, v41
	v_mov_b32_e32 v37, v34
	v_pk_add_f32 v[42:43], v[36:37], v[28:29] neg_lo:[0,1] neg_hi:[0,1]
	v_pk_add_f32 v[28:29], v[36:37], v[28:29]
	v_mov_b32_e32 v30, v29
	v_pk_add_f32 v[36:37], v[30:31], v[34:35] neg_lo:[0,1] neg_hi:[0,1]
	v_mov_b32_e32 v17, v36
	v_pk_add_f32 v[44:45], v[40:41], v[16:17] neg_lo:[0,1] neg_hi:[0,1]
	v_mov_b32_e32 v28, v41
	v_mov_b32_e32 v40, v35
	;; [unrolled: 1-line block ×4, first 2 shown]
	v_pk_add_f32 v[28:29], v[28:29], v[40:41] neg_lo:[0,1] neg_hi:[0,1]
	v_mov_b32_e32 v36, v39
	v_mov_b32_e32 v37, v34
	v_pk_add_f32 v[28:29], v[36:37], v[28:29] neg_lo:[0,1] neg_hi:[0,1]
	v_mov_b32_e32 v44, v42
	v_pk_add_f32 v[34:35], v[44:45], v[28:29]
	v_mov_b32_e32 v36, v35
	v_pk_add_f32 v[36:37], v[34:35], v[36:37]
	v_pk_add_f32 v[38:39], v[30:31], v[36:37]
	v_mov_b32_e32 v35, v38
	v_pk_add_f32 v[40:41], v[34:35], v[42:43] neg_lo:[0,1] neg_hi:[0,1]
	v_mov_b32_e32 v29, v36
	v_sub_f32_e32 v17, v34, v40
	v_pk_add_f32 v[28:29], v[28:29], v[40:41] neg_lo:[0,1] neg_hi:[0,1]
	v_sub_f32_e32 v17, v42, v17
	s_mov_b32 s52, 0x7f800000
	v_add_f32_e32 v17, v28, v17
	s_mov_b32 s33, 0x33800000
	v_add_f32_e32 v17, v17, v29
	v_cmp_eq_f32_e64 s[48:49], s52, v46
	v_cmp_lt_f32_e64 s[52:53], |v46|, s33
	v_add_f32_e32 v17, v38, v17
	s_or_b64 s[48:49], s[48:49], s[52:53]
	v_cndmask_b32_e64 v17, v17, v46, s[48:49]
	v_add_f32_e32 v34, v16, v17
.LBB126_48:
	s_or_b64 exec, exec, s[50:51]
	v_max_f32_e32 v16, v34, v34
	v_max_f32_e32 v28, v9, v9
	v_min_f32_e32 v17, v16, v28
	v_cmp_u_f32_e64 s[50:51], v34, v34
	v_max_f32_e32 v16, v16, v28
	v_cndmask_b32_e64 v17, v17, v34, s[50:51]
	v_cmp_u_f32_e64 s[48:49], v9, v9
	v_cndmask_b32_e64 v16, v16, v34, s[50:51]
	v_cndmask_b32_e64 v17, v17, v9, s[48:49]
	;; [unrolled: 1-line block ×3, first 2 shown]
	s_movk_i32 s33, 0x1f8
	v_cmp_neq_f32_e64 s[50:51], v17, v16
	v_cmp_class_f32_e64 s[52:53], v17, s33
	s_or_b64 s[50:51], s[50:51], s[52:53]
	s_and_saveexec_b64 s[52:53], s[50:51]
	s_cbranch_execz .LBB126_50
; %bb.49:
	v_sub_f32_e32 v17, v17, v16
	s_mov_b32 s50, 0x3fb8aa3b
	v_mul_f32_e32 v29, 0x3fb8aa3b, v17
	v_fma_f32 v30, v17, s50, -v29
	v_rndne_f32_e32 v34, v29
	v_fmac_f32_e32 v30, 0x32a5705f, v17
	v_sub_f32_e32 v29, v29, v34
	v_add_f32_e32 v29, v29, v30
	v_exp_f32_e32 v29, v29
	v_cvt_i32_f32_e32 v30, v34
	s_mov_b32 s50, 0xc2ce8ed0
	v_cmp_ngt_f32_e64 s[50:51], s50, v17
	s_mov_b32 s58, 0x7f800000
	v_ldexp_f32 v29, v29, v30
	v_cndmask_b32_e64 v29, 0, v29, s[50:51]
	s_mov_b32 s50, 0x42b17218
	v_mov_b32_e32 v30, 0x7f800000
	v_cmp_nlt_f32_e64 s[50:51], s50, v17
	v_cndmask_b32_e64 v29, v30, v29, s[50:51]
	v_add_f32_e32 v17, 1.0, v29
	v_add_f32_e32 v30, -1.0, v17
	v_sub_f32_e32 v34, v30, v17
	v_add_f32_e32 v34, 1.0, v34
	v_sub_f32_e32 v30, v29, v30
	v_add_f32_e32 v30, v30, v34
	v_frexp_mant_f32_e32 v36, v17
	s_mov_b32 s50, 0x3f2aaaab
	v_cvt_f64_f32_e32 v[34:35], v17
	v_frexp_exp_i32_f64_e32 v34, v[34:35]
	v_cmp_gt_f32_e64 s[50:51], s50, v36
	v_subbrev_co_u32_e64 v42, s[50:51], 0, v34, s[50:51]
	v_sub_u32_e32 v34, 0, v42
	v_ldexp_f32 v17, v17, v34
	v_ldexp_f32 v30, v30, v34
	v_add_f32_e32 v34, -1.0, v17
	v_add_f32_e32 v35, 1.0, v34
	v_sub_f32_e32 v35, v17, v35
	v_add_f32_e32 v36, v30, v35
	v_add_f32_e32 v35, 1.0, v17
	v_add_f32_e32 v37, -1.0, v35
	v_sub_f32_e32 v17, v17, v37
	v_add_f32_e32 v17, v30, v17
	v_add_f32_e32 v30, v35, v17
	v_rcp_f32_e32 v43, v30
	v_sub_f32_e32 v35, v35, v30
	v_add_f32_e32 v17, v17, v35
	v_add_f32_e32 v35, v34, v36
	v_sub_f32_e32 v34, v34, v35
	v_mul_f32_e32 v45, v35, v43
	v_add_f32_e32 v44, v36, v34
	v_mul_f32_e32 v36, v30, v45
	v_fma_f32 v38, v45, v30, -v36
	v_fmac_f32_e32 v38, v45, v17
	v_add_f32_e32 v34, v36, v38
	v_sub_f32_e32 v37, v35, v34
	v_pk_add_f32 v[40:41], v[34:35], v[36:37] neg_lo:[0,1] neg_hi:[0,1]
	v_mov_b32_e32 v39, v34
	v_pk_add_f32 v[34:35], v[40:41], v[38:39] neg_lo:[0,1] neg_hi:[0,1]
	v_add_f32_e32 v35, v44, v35
	v_add_f32_e32 v34, v34, v35
	;; [unrolled: 1-line block ×3, first 2 shown]
	v_mul_f32_e32 v44, v43, v35
	v_mul_f32_e32 v36, v30, v44
	v_fma_f32 v38, v44, v30, -v36
	v_fmac_f32_e32 v38, v44, v17
	v_sub_f32_e32 v17, v37, v35
	v_add_f32_e32 v17, v34, v17
	v_add_f32_e32 v34, v36, v38
	v_sub_f32_e32 v37, v35, v34
	v_pk_add_f32 v[40:41], v[34:35], v[36:37] neg_lo:[0,1] neg_hi:[0,1]
	v_mov_b32_e32 v39, v34
	v_pk_add_f32 v[34:35], v[40:41], v[38:39] neg_lo:[0,1] neg_hi:[0,1]
	v_add_f32_e32 v17, v17, v35
	v_add_f32_e32 v17, v34, v17
	;; [unrolled: 1-line block ×4, first 2 shown]
	v_sub_f32_e32 v34, v30, v45
	v_mul_f32_e32 v17, v43, v17
	v_sub_f32_e32 v34, v44, v34
	v_add_f32_e32 v17, v34, v17
	v_add_f32_e32 v34, v30, v17
	v_mul_f32_e32 v37, v34, v34
	v_mov_b32_e32 v36, 0x3ecc95a3
	v_fmac_f32_e32 v36, 0x3e9b6dac, v37
	v_mov_b32_e32 v35, 0x3f2aaada
	v_fmac_f32_e32 v35, v37, v36
	v_cvt_f32_i32_e32 v36, v42
	v_sub_f32_e32 v30, v34, v30
	v_ldexp_f32 v39, v34, 1
	v_mul_f32_e32 v37, v34, v37
	v_mov_b32_e32 v34, 0x3f317218
	s_mov_b32 s50, 0x3f317218
	v_pk_mul_f32 v[34:35], v[36:37], v[34:35]
	v_fma_f32 v38, v36, s50, -v34
	v_fmac_f32_e32 v38, 0xb102e308, v36
	v_pk_add_f32 v[36:37], v[34:35], v[38:39]
	v_sub_f32_e32 v17, v17, v30
	v_sub_f32_e32 v30, v37, v39
	v_ldexp_f32 v17, v17, 1
	v_sub_f32_e32 v30, v35, v30
	v_add_f32_e32 v41, v17, v30
	v_mov_b32_e32 v40, v34
	v_pk_add_f32 v[34:35], v[36:37], v[34:35] neg_lo:[0,1] neg_hi:[0,1]
	v_pk_add_f32 v[42:43], v[36:37], v[40:41]
	v_mov_b32_e32 v35, v43
	v_mov_b32_e32 v39, v36
	v_pk_add_f32 v[44:45], v[38:39], v[34:35] neg_lo:[0,1] neg_hi:[0,1]
	v_pk_add_f32 v[34:35], v[38:39], v[34:35]
	v_mov_b32_e32 v30, v35
	v_pk_add_f32 v[38:39], v[30:31], v[36:37] neg_lo:[0,1] neg_hi:[0,1]
	v_mov_b32_e32 v17, v38
	v_pk_add_f32 v[46:47], v[42:43], v[16:17] neg_lo:[0,1] neg_hi:[0,1]
	v_mov_b32_e32 v34, v43
	v_mov_b32_e32 v42, v37
	;; [unrolled: 1-line block ×4, first 2 shown]
	v_pk_add_f32 v[34:35], v[34:35], v[42:43] neg_lo:[0,1] neg_hi:[0,1]
	v_mov_b32_e32 v38, v41
	v_mov_b32_e32 v39, v36
	v_pk_add_f32 v[34:35], v[38:39], v[34:35] neg_lo:[0,1] neg_hi:[0,1]
	v_mov_b32_e32 v46, v44
	v_pk_add_f32 v[36:37], v[46:47], v[34:35]
	v_mov_b32_e32 v38, v37
	v_pk_add_f32 v[38:39], v[36:37], v[38:39]
	v_pk_add_f32 v[40:41], v[30:31], v[38:39]
	v_mov_b32_e32 v37, v40
	v_pk_add_f32 v[42:43], v[36:37], v[44:45] neg_lo:[0,1] neg_hi:[0,1]
	v_mov_b32_e32 v35, v38
	v_sub_f32_e32 v17, v36, v42
	v_pk_add_f32 v[34:35], v[34:35], v[42:43] neg_lo:[0,1] neg_hi:[0,1]
	v_sub_f32_e32 v17, v44, v17
	v_add_f32_e32 v17, v34, v17
	v_cmp_eq_f32_e64 s[50:51], s58, v29
	s_mov_b32 s58, 0x33800000
	v_add_f32_e32 v17, v17, v35
	v_cmp_lt_f32_e64 s[58:59], |v29|, s58
	v_add_f32_e32 v17, v40, v17
	s_or_b64 s[50:51], s[50:51], s[58:59]
	v_cndmask_b32_e64 v17, v17, v29, s[50:51]
	v_add_f32_e32 v34, v16, v17
.LBB126_50:
	s_or_b64 exec, exec, s[52:53]
	v_max_f32_e32 v16, v34, v34
	v_max_f32_e32 v29, v14, v14
	v_min_f32_e32 v17, v16, v29
	v_cmp_u_f32_e64 s[52:53], v34, v34
	v_max_f32_e32 v16, v16, v29
	v_cndmask_b32_e64 v17, v17, v34, s[52:53]
	v_cmp_u_f32_e64 s[50:51], v14, v14
	v_cndmask_b32_e64 v16, v16, v34, s[52:53]
	v_cndmask_b32_e64 v17, v17, v14, s[50:51]
	;; [unrolled: 1-line block ×3, first 2 shown]
	v_cmp_neq_f32_e64 s[52:53], v17, v16
	v_cmp_class_f32_e64 s[58:59], v17, s33
	s_or_b64 s[52:53], s[52:53], s[58:59]
	s_and_saveexec_b64 s[58:59], s[52:53]
	s_cbranch_execz .LBB126_52
; %bb.51:
	v_sub_f32_e32 v17, v17, v16
	s_mov_b32 s33, 0x3fb8aa3b
	v_mul_f32_e32 v30, 0x3fb8aa3b, v17
	v_fma_f32 v34, v17, s33, -v30
	v_rndne_f32_e32 v35, v30
	v_fmac_f32_e32 v34, 0x32a5705f, v17
	v_sub_f32_e32 v30, v30, v35
	v_add_f32_e32 v30, v30, v34
	v_exp_f32_e32 v30, v30
	v_cvt_i32_f32_e32 v34, v35
	s_mov_b32 s33, 0xc2ce8ed0
	v_cmp_ngt_f32_e64 s[52:53], s33, v17
	s_mov_b32 s33, 0x42b17218
	v_ldexp_f32 v30, v30, v34
	v_cndmask_b32_e64 v30, 0, v30, s[52:53]
	v_mov_b32_e32 v34, 0x7f800000
	v_cmp_nlt_f32_e64 s[52:53], s33, v17
	v_cndmask_b32_e64 v48, v34, v30, s[52:53]
	v_add_f32_e32 v17, 1.0, v48
	v_add_f32_e32 v30, -1.0, v17
	v_sub_f32_e32 v34, v30, v17
	v_add_f32_e32 v34, 1.0, v34
	v_sub_f32_e32 v30, v48, v30
	v_add_f32_e32 v30, v30, v34
	v_frexp_mant_f32_e32 v36, v17
	s_mov_b32 s33, 0x3f2aaaab
	v_cvt_f64_f32_e32 v[34:35], v17
	v_frexp_exp_i32_f64_e32 v34, v[34:35]
	v_cmp_gt_f32_e64 s[52:53], s33, v36
	v_subbrev_co_u32_e64 v42, s[52:53], 0, v34, s[52:53]
	v_sub_u32_e32 v34, 0, v42
	v_ldexp_f32 v17, v17, v34
	v_ldexp_f32 v30, v30, v34
	v_add_f32_e32 v34, -1.0, v17
	v_add_f32_e32 v35, 1.0, v34
	v_sub_f32_e32 v35, v17, v35
	v_add_f32_e32 v36, v30, v35
	v_add_f32_e32 v35, 1.0, v17
	v_add_f32_e32 v37, -1.0, v35
	v_sub_f32_e32 v17, v17, v37
	v_add_f32_e32 v17, v30, v17
	v_add_f32_e32 v30, v35, v17
	v_rcp_f32_e32 v43, v30
	v_sub_f32_e32 v35, v35, v30
	v_add_f32_e32 v17, v17, v35
	v_add_f32_e32 v35, v34, v36
	v_sub_f32_e32 v34, v34, v35
	v_mul_f32_e32 v45, v35, v43
	v_add_f32_e32 v44, v36, v34
	v_mul_f32_e32 v36, v30, v45
	v_fma_f32 v38, v45, v30, -v36
	v_fmac_f32_e32 v38, v45, v17
	v_add_f32_e32 v34, v36, v38
	v_sub_f32_e32 v37, v35, v34
	v_pk_add_f32 v[40:41], v[34:35], v[36:37] neg_lo:[0,1] neg_hi:[0,1]
	v_mov_b32_e32 v39, v34
	v_pk_add_f32 v[34:35], v[40:41], v[38:39] neg_lo:[0,1] neg_hi:[0,1]
	v_add_f32_e32 v35, v44, v35
	v_add_f32_e32 v34, v34, v35
	;; [unrolled: 1-line block ×3, first 2 shown]
	v_mul_f32_e32 v44, v43, v35
	v_mul_f32_e32 v36, v30, v44
	v_fma_f32 v38, v44, v30, -v36
	v_fmac_f32_e32 v38, v44, v17
	v_sub_f32_e32 v17, v37, v35
	v_add_f32_e32 v17, v34, v17
	v_add_f32_e32 v34, v36, v38
	v_sub_f32_e32 v37, v35, v34
	v_pk_add_f32 v[40:41], v[34:35], v[36:37] neg_lo:[0,1] neg_hi:[0,1]
	v_mov_b32_e32 v39, v34
	v_pk_add_f32 v[34:35], v[40:41], v[38:39] neg_lo:[0,1] neg_hi:[0,1]
	v_add_f32_e32 v17, v17, v35
	v_add_f32_e32 v17, v34, v17
	v_add_f32_e32 v30, v45, v44
	v_add_f32_e32 v17, v37, v17
	v_sub_f32_e32 v34, v30, v45
	v_mul_f32_e32 v17, v43, v17
	v_sub_f32_e32 v34, v44, v34
	v_add_f32_e32 v17, v34, v17
	v_add_f32_e32 v34, v30, v17
	v_mul_f32_e32 v37, v34, v34
	v_mov_b32_e32 v36, 0x3ecc95a3
	v_fmac_f32_e32 v36, 0x3e9b6dac, v37
	v_mov_b32_e32 v35, 0x3f2aaada
	v_fmac_f32_e32 v35, v37, v36
	v_cvt_f32_i32_e32 v36, v42
	v_sub_f32_e32 v30, v34, v30
	v_ldexp_f32 v39, v34, 1
	v_mul_f32_e32 v37, v34, v37
	v_mov_b32_e32 v34, 0x3f317218
	s_mov_b32 s33, 0x3f317218
	v_pk_mul_f32 v[34:35], v[36:37], v[34:35]
	v_fma_f32 v38, v36, s33, -v34
	v_fmac_f32_e32 v38, 0xb102e308, v36
	v_pk_add_f32 v[36:37], v[34:35], v[38:39]
	v_sub_f32_e32 v17, v17, v30
	v_sub_f32_e32 v30, v37, v39
	v_ldexp_f32 v17, v17, 1
	v_sub_f32_e32 v30, v35, v30
	v_add_f32_e32 v41, v17, v30
	v_mov_b32_e32 v40, v34
	v_pk_add_f32 v[34:35], v[36:37], v[34:35] neg_lo:[0,1] neg_hi:[0,1]
	v_pk_add_f32 v[42:43], v[36:37], v[40:41]
	v_mov_b32_e32 v35, v43
	v_mov_b32_e32 v39, v36
	v_pk_add_f32 v[44:45], v[38:39], v[34:35] neg_lo:[0,1] neg_hi:[0,1]
	v_pk_add_f32 v[34:35], v[38:39], v[34:35]
	v_mov_b32_e32 v30, v35
	v_pk_add_f32 v[38:39], v[30:31], v[36:37] neg_lo:[0,1] neg_hi:[0,1]
	v_mov_b32_e32 v17, v38
	v_pk_add_f32 v[46:47], v[42:43], v[16:17] neg_lo:[0,1] neg_hi:[0,1]
	v_mov_b32_e32 v34, v43
	v_mov_b32_e32 v42, v37
	;; [unrolled: 1-line block ×4, first 2 shown]
	v_pk_add_f32 v[34:35], v[34:35], v[42:43] neg_lo:[0,1] neg_hi:[0,1]
	v_mov_b32_e32 v38, v41
	v_mov_b32_e32 v39, v36
	v_pk_add_f32 v[34:35], v[38:39], v[34:35] neg_lo:[0,1] neg_hi:[0,1]
	v_mov_b32_e32 v46, v44
	v_pk_add_f32 v[36:37], v[46:47], v[34:35]
	v_mov_b32_e32 v38, v37
	v_pk_add_f32 v[38:39], v[36:37], v[38:39]
	v_pk_add_f32 v[40:41], v[30:31], v[38:39]
	v_mov_b32_e32 v37, v40
	v_pk_add_f32 v[42:43], v[36:37], v[44:45] neg_lo:[0,1] neg_hi:[0,1]
	v_mov_b32_e32 v35, v38
	v_sub_f32_e32 v17, v36, v42
	v_pk_add_f32 v[34:35], v[34:35], v[42:43] neg_lo:[0,1] neg_hi:[0,1]
	v_sub_f32_e32 v17, v44, v17
	s_mov_b32 s60, 0x7f800000
	v_add_f32_e32 v17, v34, v17
	s_mov_b32 s33, 0x33800000
	v_add_f32_e32 v17, v17, v35
	v_cmp_eq_f32_e64 s[52:53], s60, v48
	v_cmp_lt_f32_e64 s[60:61], |v48|, s33
	v_add_f32_e32 v17, v40, v17
	s_or_b64 s[52:53], s[52:53], s[60:61]
	v_cndmask_b32_e64 v17, v17, v48, s[52:53]
	v_add_f32_e32 v34, v16, v17
.LBB126_52:
	s_or_b64 exec, exec, s[58:59]
	v_max_f32_e32 v16, v34, v34
	v_max_f32_e32 v30, v15, v15
	v_min_f32_e32 v17, v16, v30
	v_cmp_u_f32_e64 s[58:59], v34, v34
	v_max_f32_e32 v16, v16, v30
	v_cndmask_b32_e64 v17, v17, v34, s[58:59]
	v_cmp_u_f32_e64 s[52:53], v15, v15
	v_cndmask_b32_e64 v16, v16, v34, s[58:59]
	v_cndmask_b32_e64 v17, v17, v15, s[52:53]
	;; [unrolled: 1-line block ×3, first 2 shown]
	s_movk_i32 s33, 0x1f8
	v_cmp_neq_f32_e64 s[58:59], v17, v16
	v_cmp_class_f32_e64 s[60:61], v17, s33
	s_or_b64 s[58:59], s[58:59], s[60:61]
	s_and_saveexec_b64 s[60:61], s[58:59]
	s_cbranch_execz .LBB126_54
; %bb.53:
	v_sub_f32_e32 v17, v17, v16
	s_mov_b32 s33, 0x3fb8aa3b
	v_mul_f32_e32 v34, 0x3fb8aa3b, v17
	v_fma_f32 v35, v17, s33, -v34
	v_rndne_f32_e32 v36, v34
	v_fmac_f32_e32 v35, 0x32a5705f, v17
	v_sub_f32_e32 v34, v34, v36
	v_add_f32_e32 v34, v34, v35
	v_exp_f32_e32 v34, v34
	v_cvt_i32_f32_e32 v35, v36
	s_mov_b32 s33, 0xc2ce8ed0
	v_cmp_ngt_f32_e64 s[58:59], s33, v17
	s_mov_b32 s33, 0x42b17218
	v_ldexp_f32 v34, v34, v35
	v_cndmask_b32_e64 v34, 0, v34, s[58:59]
	v_mov_b32_e32 v35, 0x7f800000
	v_cmp_nlt_f32_e64 s[58:59], s33, v17
	v_cndmask_b32_e64 v50, v35, v34, s[58:59]
	v_add_f32_e32 v17, 1.0, v50
	v_add_f32_e32 v34, -1.0, v17
	v_sub_f32_e32 v35, v34, v17
	v_add_f32_e32 v35, 1.0, v35
	v_sub_f32_e32 v34, v50, v34
	v_add_f32_e32 v36, v34, v35
	v_frexp_mant_f32_e32 v37, v17
	s_mov_b32 s33, 0x3f2aaaab
	v_cvt_f64_f32_e32 v[34:35], v17
	v_frexp_exp_i32_f64_e32 v34, v[34:35]
	v_cmp_gt_f32_e64 s[58:59], s33, v37
	v_subbrev_co_u32_e64 v42, s[58:59], 0, v34, s[58:59]
	v_sub_u32_e32 v34, 0, v42
	v_ldexp_f32 v17, v17, v34
	v_ldexp_f32 v34, v36, v34
	v_add_f32_e32 v36, -1.0, v17
	v_add_f32_e32 v35, 1.0, v36
	v_sub_f32_e32 v35, v17, v35
	v_add_f32_e32 v37, v34, v35
	v_add_f32_e32 v35, 1.0, v17
	v_add_f32_e32 v38, -1.0, v35
	v_sub_f32_e32 v17, v17, v38
	v_add_f32_e32 v17, v34, v17
	v_add_f32_e32 v43, v35, v17
	v_rcp_f32_e32 v44, v43
	v_sub_f32_e32 v34, v35, v43
	v_add_f32_e32 v35, v36, v37
	v_add_f32_e32 v17, v17, v34
	v_mul_f32_e32 v46, v35, v44
	v_sub_f32_e32 v34, v36, v35
	v_mul_f32_e32 v36, v43, v46
	v_fma_f32 v38, v46, v43, -v36
	v_fmac_f32_e32 v38, v46, v17
	v_add_f32_e32 v45, v37, v34
	v_add_f32_e32 v34, v36, v38
	v_sub_f32_e32 v37, v35, v34
	v_pk_add_f32 v[40:41], v[34:35], v[36:37] neg_lo:[0,1] neg_hi:[0,1]
	v_mov_b32_e32 v39, v34
	v_pk_add_f32 v[34:35], v[40:41], v[38:39] neg_lo:[0,1] neg_hi:[0,1]
	v_add_f32_e32 v35, v45, v35
	v_add_f32_e32 v34, v34, v35
	;; [unrolled: 1-line block ×3, first 2 shown]
	v_mul_f32_e32 v45, v44, v35
	v_mul_f32_e32 v36, v43, v45
	v_fma_f32 v38, v45, v43, -v36
	v_fmac_f32_e32 v38, v45, v17
	v_sub_f32_e32 v17, v37, v35
	v_add_f32_e32 v17, v34, v17
	v_add_f32_e32 v34, v36, v38
	v_sub_f32_e32 v37, v35, v34
	v_pk_add_f32 v[40:41], v[34:35], v[36:37] neg_lo:[0,1] neg_hi:[0,1]
	v_mov_b32_e32 v39, v34
	v_pk_add_f32 v[34:35], v[40:41], v[38:39] neg_lo:[0,1] neg_hi:[0,1]
	v_add_f32_e32 v17, v17, v35
	v_add_f32_e32 v17, v34, v17
	;; [unrolled: 1-line block ×4, first 2 shown]
	v_sub_f32_e32 v35, v34, v46
	v_mul_f32_e32 v17, v44, v17
	v_sub_f32_e32 v35, v45, v35
	v_add_f32_e32 v17, v35, v17
	v_add_f32_e32 v37, v34, v17
	v_mul_f32_e32 v38, v37, v37
	v_mov_b32_e32 v36, 0x3ecc95a3
	v_fmac_f32_e32 v36, 0x3e9b6dac, v38
	v_mov_b32_e32 v35, 0x3f2aaada
	v_fmac_f32_e32 v35, v38, v36
	v_cvt_f32_i32_e32 v36, v42
	v_sub_f32_e32 v34, v37, v34
	v_sub_f32_e32 v17, v17, v34
	v_ldexp_f32 v39, v37, 1
	v_mul_f32_e32 v37, v37, v38
	v_mov_b32_e32 v34, 0x3f317218
	s_mov_b32 s33, 0x3f317218
	v_pk_mul_f32 v[34:35], v[36:37], v[34:35]
	v_fma_f32 v38, v36, s33, -v34
	v_fmac_f32_e32 v38, 0xb102e308, v36
	v_pk_add_f32 v[36:37], v[34:35], v[38:39]
	v_sub_f32_e32 v39, v37, v39
	v_ldexp_f32 v17, v17, 1
	v_sub_f32_e32 v39, v35, v39
	v_add_f32_e32 v41, v17, v39
	v_mov_b32_e32 v40, v34
	v_pk_add_f32 v[34:35], v[36:37], v[34:35] neg_lo:[0,1] neg_hi:[0,1]
	v_pk_add_f32 v[42:43], v[36:37], v[40:41]
	v_mov_b32_e32 v35, v43
	v_mov_b32_e32 v39, v36
	v_pk_add_f32 v[44:45], v[38:39], v[34:35] neg_lo:[0,1] neg_hi:[0,1]
	v_pk_add_f32 v[34:35], v[38:39], v[34:35]
	v_mov_b32_e32 v38, v35
	v_pk_add_f32 v[46:47], v[38:39], v[36:37] neg_lo:[0,1] neg_hi:[0,1]
	v_mov_b32_e32 v17, v46
	v_pk_add_f32 v[48:49], v[42:43], v[16:17] neg_lo:[0,1] neg_hi:[0,1]
	v_mov_b32_e32 v34, v43
	v_mov_b32_e32 v42, v37
	;; [unrolled: 1-line block ×4, first 2 shown]
	v_pk_add_f32 v[34:35], v[34:35], v[42:43] neg_lo:[0,1] neg_hi:[0,1]
	v_mov_b32_e32 v40, v41
	v_mov_b32_e32 v41, v36
	v_pk_add_f32 v[34:35], v[40:41], v[34:35] neg_lo:[0,1] neg_hi:[0,1]
	v_mov_b32_e32 v48, v44
	v_pk_add_f32 v[36:37], v[48:49], v[34:35]
	v_mov_b32_e32 v40, v37
	v_pk_add_f32 v[40:41], v[36:37], v[40:41]
	v_pk_add_f32 v[38:39], v[38:39], v[40:41]
	v_mov_b32_e32 v37, v38
	v_pk_add_f32 v[42:43], v[36:37], v[44:45] neg_lo:[0,1] neg_hi:[0,1]
	v_mov_b32_e32 v35, v40
	v_sub_f32_e32 v17, v36, v42
	v_pk_add_f32 v[34:35], v[34:35], v[42:43] neg_lo:[0,1] neg_hi:[0,1]
	v_sub_f32_e32 v17, v44, v17
	s_mov_b32 s62, 0x7f800000
	v_add_f32_e32 v17, v34, v17
	s_mov_b32 s33, 0x33800000
	v_add_f32_e32 v17, v17, v35
	v_cmp_eq_f32_e64 s[58:59], s62, v50
	v_cmp_lt_f32_e64 s[62:63], |v50|, s33
	v_add_f32_e32 v17, v38, v17
	s_or_b64 s[58:59], s[58:59], s[62:63]
	v_cndmask_b32_e64 v17, v17, v50, s[58:59]
	v_add_f32_e32 v34, v16, v17
.LBB126_54:
	s_or_b64 exec, exec, s[60:61]
	s_load_dwordx2 s[62:63], s[4:5], 0x18
	v_lshrrev_b32_e32 v16, 3, v0
	v_and_b32_e32 v16, 12, v16
	v_add_u32_e32 v16, v18, v16
	v_cmp_gt_u32_e64 s[4:5], 64, v0
	ds_write_b32 v16, v34
	s_waitcnt lgkmcnt(0)
	s_barrier
	s_and_saveexec_b64 s[64:65], s[4:5]
	s_cbranch_execz .LBB126_86
; %bb.55:
	v_lshlrev_b32_e32 v16, 1, v0
	v_lshrrev_b32_e32 v17, 4, v0
	v_add_lshl_u32 v35, v17, v16, 2
	ds_read2_b32 v[16:17], v35 offset1:1
	s_movk_i32 s33, 0x1f8
	s_waitcnt lgkmcnt(0)
	v_max_f32_e32 v38, v17, v17
	v_max_f32_e32 v36, v16, v16
	v_min_f32_e32 v37, v36, v38
	v_cmp_u_f32_e64 s[4:5], v16, v16
	v_max_f32_e32 v38, v36, v38
	v_cndmask_b32_e64 v37, v37, v16, s[4:5]
	v_cmp_u_f32_e64 s[58:59], v17, v17
	v_cndmask_b32_e64 v38, v38, v16, s[4:5]
	v_cndmask_b32_e64 v37, v37, v17, s[58:59]
	;; [unrolled: 1-line block ×3, first 2 shown]
	v_cmp_neq_f32_e64 s[58:59], v37, v17
	v_cmp_class_f32_e64 s[60:61], v37, s33
	s_or_b64 s[58:59], s[58:59], s[60:61]
	v_mov_b32_e32 v38, v16
	s_and_saveexec_b64 s[60:61], s[58:59]
	s_cbranch_execz .LBB126_57
; %bb.56:
	v_sub_f32_e32 v37, v37, v17
	s_mov_b32 s33, 0x3fb8aa3b
	v_mul_f32_e32 v38, 0x3fb8aa3b, v37
	v_fma_f32 v39, v37, s33, -v38
	v_rndne_f32_e32 v40, v38
	v_fmac_f32_e32 v39, 0x32a5705f, v37
	v_sub_f32_e32 v38, v38, v40
	v_add_f32_e32 v38, v38, v39
	v_exp_f32_e32 v38, v38
	v_cvt_i32_f32_e32 v39, v40
	s_mov_b32 s33, 0xc2ce8ed0
	v_cmp_ngt_f32_e64 s[58:59], s33, v37
	s_mov_b32 s33, 0x42b17218
	v_ldexp_f32 v38, v38, v39
	v_cndmask_b32_e64 v38, 0, v38, s[58:59]
	v_mov_b32_e32 v39, 0x7f800000
	v_cmp_nlt_f32_e64 s[58:59], s33, v37
	v_cndmask_b32_e64 v54, v39, v38, s[58:59]
	v_add_f32_e32 v37, 1.0, v54
	v_add_f32_e32 v38, -1.0, v37
	v_sub_f32_e32 v39, v38, v37
	v_add_f32_e32 v39, 1.0, v39
	v_sub_f32_e32 v38, v54, v38
	v_add_f32_e32 v40, v38, v39
	v_frexp_mant_f32_e32 v41, v37
	s_mov_b32 s33, 0x3f2aaaab
	v_cvt_f64_f32_e32 v[38:39], v37
	v_frexp_exp_i32_f64_e32 v38, v[38:39]
	v_cmp_gt_f32_e64 s[58:59], s33, v41
	v_subbrev_co_u32_e64 v46, s[58:59], 0, v38, s[58:59]
	v_sub_u32_e32 v38, 0, v46
	v_ldexp_f32 v37, v37, v38
	v_ldexp_f32 v38, v40, v38
	v_add_f32_e32 v40, -1.0, v37
	v_add_f32_e32 v39, 1.0, v40
	v_sub_f32_e32 v39, v37, v39
	v_add_f32_e32 v41, v38, v39
	v_add_f32_e32 v39, 1.0, v37
	v_add_f32_e32 v42, -1.0, v39
	v_sub_f32_e32 v37, v37, v42
	v_add_f32_e32 v37, v38, v37
	v_add_f32_e32 v47, v39, v37
	v_rcp_f32_e32 v48, v47
	v_sub_f32_e32 v38, v39, v47
	v_add_f32_e32 v39, v40, v41
	v_add_f32_e32 v37, v37, v38
	v_mul_f32_e32 v50, v39, v48
	v_sub_f32_e32 v38, v40, v39
	v_mul_f32_e32 v40, v47, v50
	v_fma_f32 v42, v50, v47, -v40
	v_fmac_f32_e32 v42, v50, v37
	v_add_f32_e32 v49, v41, v38
	v_add_f32_e32 v38, v40, v42
	v_sub_f32_e32 v41, v39, v38
	v_pk_add_f32 v[44:45], v[38:39], v[40:41] neg_lo:[0,1] neg_hi:[0,1]
	v_mov_b32_e32 v43, v38
	v_pk_add_f32 v[38:39], v[44:45], v[42:43] neg_lo:[0,1] neg_hi:[0,1]
	v_add_f32_e32 v39, v49, v39
	v_add_f32_e32 v38, v38, v39
	;; [unrolled: 1-line block ×3, first 2 shown]
	v_mul_f32_e32 v49, v48, v39
	v_mul_f32_e32 v40, v47, v49
	v_fma_f32 v42, v49, v47, -v40
	v_fmac_f32_e32 v42, v49, v37
	v_sub_f32_e32 v37, v41, v39
	v_add_f32_e32 v37, v38, v37
	v_add_f32_e32 v38, v40, v42
	v_sub_f32_e32 v41, v39, v38
	v_pk_add_f32 v[44:45], v[38:39], v[40:41] neg_lo:[0,1] neg_hi:[0,1]
	v_mov_b32_e32 v43, v38
	v_pk_add_f32 v[38:39], v[44:45], v[42:43] neg_lo:[0,1] neg_hi:[0,1]
	v_add_f32_e32 v37, v37, v39
	v_add_f32_e32 v37, v38, v37
	;; [unrolled: 1-line block ×4, first 2 shown]
	v_sub_f32_e32 v39, v38, v50
	v_mul_f32_e32 v37, v48, v37
	v_sub_f32_e32 v39, v49, v39
	v_add_f32_e32 v37, v39, v37
	v_add_f32_e32 v41, v38, v37
	v_mul_f32_e32 v42, v41, v41
	v_mov_b32_e32 v40, 0x3ecc95a3
	v_fmac_f32_e32 v40, 0x3e9b6dac, v42
	v_mov_b32_e32 v39, 0x3f2aaada
	v_fmac_f32_e32 v39, v42, v40
	v_cvt_f32_i32_e32 v40, v46
	v_sub_f32_e32 v38, v41, v38
	v_sub_f32_e32 v37, v37, v38
	v_ldexp_f32 v43, v41, 1
	v_mul_f32_e32 v41, v41, v42
	v_mov_b32_e32 v38, 0x3f317218
	s_mov_b32 s33, 0x3f317218
	v_pk_mul_f32 v[38:39], v[40:41], v[38:39]
	v_fma_f32 v42, v40, s33, -v38
	v_fmac_f32_e32 v42, 0xb102e308, v40
	v_pk_add_f32 v[40:41], v[38:39], v[42:43]
	v_sub_f32_e32 v43, v41, v43
	v_ldexp_f32 v37, v37, 1
	v_sub_f32_e32 v43, v39, v43
	v_add_f32_e32 v45, v37, v43
	v_mov_b32_e32 v44, v38
	v_pk_add_f32 v[38:39], v[40:41], v[38:39] neg_lo:[0,1] neg_hi:[0,1]
	v_pk_add_f32 v[46:47], v[40:41], v[44:45]
	v_mov_b32_e32 v39, v47
	v_mov_b32_e32 v43, v40
	v_pk_add_f32 v[48:49], v[42:43], v[38:39] neg_lo:[0,1] neg_hi:[0,1]
	v_pk_add_f32 v[38:39], v[42:43], v[38:39]
	v_mov_b32_e32 v42, v39
	v_pk_add_f32 v[50:51], v[42:43], v[40:41] neg_lo:[0,1] neg_hi:[0,1]
	v_mov_b32_e32 v37, v50
	v_pk_add_f32 v[52:53], v[46:47], v[36:37] neg_lo:[0,1] neg_hi:[0,1]
	v_mov_b32_e32 v38, v47
	v_mov_b32_e32 v46, v41
	;; [unrolled: 1-line block ×4, first 2 shown]
	v_pk_add_f32 v[38:39], v[38:39], v[46:47] neg_lo:[0,1] neg_hi:[0,1]
	v_mov_b32_e32 v44, v45
	v_mov_b32_e32 v45, v40
	v_pk_add_f32 v[38:39], v[44:45], v[38:39] neg_lo:[0,1] neg_hi:[0,1]
	v_mov_b32_e32 v52, v48
	v_pk_add_f32 v[40:41], v[52:53], v[38:39]
	v_mov_b32_e32 v44, v41
	v_pk_add_f32 v[44:45], v[40:41], v[44:45]
	v_pk_add_f32 v[42:43], v[42:43], v[44:45]
	v_mov_b32_e32 v41, v42
	v_pk_add_f32 v[46:47], v[40:41], v[48:49] neg_lo:[0,1] neg_hi:[0,1]
	v_mov_b32_e32 v39, v44
	v_sub_f32_e32 v37, v40, v46
	v_pk_add_f32 v[38:39], v[38:39], v[46:47] neg_lo:[0,1] neg_hi:[0,1]
	v_sub_f32_e32 v37, v48, v37
	s_mov_b32 s66, 0x7f800000
	v_add_f32_e32 v37, v38, v37
	s_mov_b32 s33, 0x33800000
	v_add_f32_e32 v37, v37, v39
	v_cmp_eq_f32_e64 s[58:59], s66, v54
	v_cmp_lt_f32_e64 s[66:67], |v54|, s33
	v_add_f32_e32 v37, v42, v37
	s_or_b64 s[58:59], s[58:59], s[66:67]
	v_cndmask_b32_e64 v37, v37, v54, s[58:59]
	v_add_f32_e32 v38, v17, v37
.LBB126_57:
	s_or_b64 exec, exec, s[60:61]
	v_mbcnt_lo_u32_b32 v17, -1, 0
	v_mbcnt_hi_u32_b32 v17, -1, v17
	v_and_b32_e32 v37, 15, v17
	v_mov_b32_dpp v39, v38 row_shr:1 row_mask:0xf bank_mask:0xf
	v_cmp_ne_u32_e64 s[58:59], 0, v37
	s_and_saveexec_b64 s[66:67], s[58:59]
	s_cbranch_execz .LBB126_61
; %bb.58:
	v_max_f32_e32 v41, v38, v38
	v_max_f32_e32 v42, v39, v39
	v_min_f32_e32 v40, v42, v41
	v_cmp_u_f32_e64 s[58:59], v39, v39
	v_max_f32_e32 v41, v42, v41
	v_cndmask_b32_e64 v40, v40, v39, s[58:59]
	v_cmp_u_f32_e64 s[60:61], v38, v38
	v_cndmask_b32_e64 v41, v41, v39, s[58:59]
	v_cndmask_b32_e64 v40, v40, v38, s[60:61]
	v_cndmask_b32_e64 v38, v41, v38, s[60:61]
	s_movk_i32 s33, 0x1f8
	v_cmp_neq_f32_e64 s[58:59], v40, v38
	v_cmp_class_f32_e64 s[60:61], v40, s33
	s_or_b64 s[58:59], s[58:59], s[60:61]
	s_and_saveexec_b64 s[60:61], s[58:59]
	s_cbranch_execz .LBB126_60
; %bb.59:
	v_sub_f32_e32 v39, v40, v38
	s_mov_b32 s33, 0x3fb8aa3b
	v_mul_f32_e32 v40, 0x3fb8aa3b, v39
	v_fma_f32 v41, v39, s33, -v40
	v_rndne_f32_e32 v42, v40
	v_fmac_f32_e32 v41, 0x32a5705f, v39
	v_sub_f32_e32 v40, v40, v42
	v_add_f32_e32 v40, v40, v41
	v_exp_f32_e32 v40, v40
	v_cvt_i32_f32_e32 v41, v42
	s_mov_b32 s33, 0xc2ce8ed0
	v_cmp_ngt_f32_e64 s[58:59], s33, v39
	s_mov_b32 s33, 0x42b17218
	v_ldexp_f32 v40, v40, v41
	v_cndmask_b32_e64 v40, 0, v40, s[58:59]
	v_mov_b32_e32 v41, 0x7f800000
	v_cmp_nlt_f32_e64 s[58:59], s33, v39
	v_cndmask_b32_e64 v56, v41, v40, s[58:59]
	v_add_f32_e32 v39, 1.0, v56
	v_add_f32_e32 v40, -1.0, v39
	v_sub_f32_e32 v41, v40, v39
	v_add_f32_e32 v41, 1.0, v41
	v_sub_f32_e32 v40, v56, v40
	v_add_f32_e32 v42, v40, v41
	v_frexp_mant_f32_e32 v43, v39
	s_mov_b32 s33, 0x3f2aaaab
	v_cvt_f64_f32_e32 v[40:41], v39
	v_frexp_exp_i32_f64_e32 v40, v[40:41]
	v_cmp_gt_f32_e64 s[58:59], s33, v43
	v_subbrev_co_u32_e64 v48, s[58:59], 0, v40, s[58:59]
	v_sub_u32_e32 v40, 0, v48
	v_ldexp_f32 v39, v39, v40
	v_ldexp_f32 v40, v42, v40
	v_add_f32_e32 v42, -1.0, v39
	v_add_f32_e32 v41, 1.0, v42
	v_sub_f32_e32 v41, v39, v41
	v_add_f32_e32 v43, v40, v41
	v_add_f32_e32 v41, 1.0, v39
	v_add_f32_e32 v44, -1.0, v41
	v_sub_f32_e32 v39, v39, v44
	v_add_f32_e32 v39, v40, v39
	v_add_f32_e32 v49, v41, v39
	v_rcp_f32_e32 v50, v49
	v_sub_f32_e32 v40, v41, v49
	v_add_f32_e32 v41, v42, v43
	v_add_f32_e32 v39, v39, v40
	v_mul_f32_e32 v52, v41, v50
	v_sub_f32_e32 v40, v42, v41
	v_mul_f32_e32 v42, v49, v52
	v_fma_f32 v44, v52, v49, -v42
	v_fmac_f32_e32 v44, v52, v39
	v_add_f32_e32 v51, v43, v40
	v_add_f32_e32 v40, v42, v44
	v_sub_f32_e32 v43, v41, v40
	v_pk_add_f32 v[46:47], v[40:41], v[42:43] neg_lo:[0,1] neg_hi:[0,1]
	v_mov_b32_e32 v45, v40
	v_pk_add_f32 v[40:41], v[46:47], v[44:45] neg_lo:[0,1] neg_hi:[0,1]
	v_add_f32_e32 v41, v51, v41
	v_add_f32_e32 v40, v40, v41
	;; [unrolled: 1-line block ×3, first 2 shown]
	v_mul_f32_e32 v51, v50, v41
	v_mul_f32_e32 v42, v49, v51
	v_fma_f32 v44, v51, v49, -v42
	v_fmac_f32_e32 v44, v51, v39
	v_sub_f32_e32 v39, v43, v41
	v_add_f32_e32 v39, v40, v39
	v_add_f32_e32 v40, v42, v44
	v_sub_f32_e32 v43, v41, v40
	v_pk_add_f32 v[46:47], v[40:41], v[42:43] neg_lo:[0,1] neg_hi:[0,1]
	v_mov_b32_e32 v45, v40
	v_pk_add_f32 v[40:41], v[46:47], v[44:45] neg_lo:[0,1] neg_hi:[0,1]
	v_add_f32_e32 v39, v39, v41
	v_add_f32_e32 v39, v40, v39
	;; [unrolled: 1-line block ×4, first 2 shown]
	v_sub_f32_e32 v41, v40, v52
	v_mul_f32_e32 v39, v50, v39
	v_sub_f32_e32 v41, v51, v41
	v_add_f32_e32 v39, v41, v39
	v_add_f32_e32 v43, v40, v39
	v_mul_f32_e32 v44, v43, v43
	v_mov_b32_e32 v42, 0x3ecc95a3
	v_fmac_f32_e32 v42, 0x3e9b6dac, v44
	v_mov_b32_e32 v41, 0x3f2aaada
	v_fmac_f32_e32 v41, v44, v42
	v_cvt_f32_i32_e32 v42, v48
	v_sub_f32_e32 v40, v43, v40
	v_sub_f32_e32 v39, v39, v40
	v_ldexp_f32 v45, v43, 1
	v_mul_f32_e32 v43, v43, v44
	v_mov_b32_e32 v40, 0x3f317218
	s_mov_b32 s33, 0x3f317218
	v_pk_mul_f32 v[40:41], v[42:43], v[40:41]
	v_fma_f32 v44, v42, s33, -v40
	v_fmac_f32_e32 v44, 0xb102e308, v42
	v_pk_add_f32 v[42:43], v[40:41], v[44:45]
	v_sub_f32_e32 v45, v43, v45
	v_ldexp_f32 v39, v39, 1
	v_sub_f32_e32 v45, v41, v45
	v_add_f32_e32 v47, v39, v45
	v_mov_b32_e32 v46, v40
	v_pk_add_f32 v[40:41], v[42:43], v[40:41] neg_lo:[0,1] neg_hi:[0,1]
	v_pk_add_f32 v[48:49], v[42:43], v[46:47]
	v_mov_b32_e32 v41, v49
	v_mov_b32_e32 v45, v42
	v_pk_add_f32 v[50:51], v[44:45], v[40:41] neg_lo:[0,1] neg_hi:[0,1]
	v_pk_add_f32 v[40:41], v[44:45], v[40:41]
	v_mov_b32_e32 v44, v41
	v_pk_add_f32 v[52:53], v[44:45], v[42:43] neg_lo:[0,1] neg_hi:[0,1]
	v_mov_b32_e32 v39, v52
	v_pk_add_f32 v[54:55], v[48:49], v[38:39] neg_lo:[0,1] neg_hi:[0,1]
	v_mov_b32_e32 v40, v49
	v_mov_b32_e32 v48, v43
	;; [unrolled: 1-line block ×4, first 2 shown]
	v_pk_add_f32 v[40:41], v[40:41], v[48:49] neg_lo:[0,1] neg_hi:[0,1]
	v_mov_b32_e32 v46, v47
	v_mov_b32_e32 v47, v42
	v_pk_add_f32 v[40:41], v[46:47], v[40:41] neg_lo:[0,1] neg_hi:[0,1]
	v_mov_b32_e32 v54, v50
	v_pk_add_f32 v[42:43], v[54:55], v[40:41]
	v_mov_b32_e32 v46, v43
	v_pk_add_f32 v[46:47], v[42:43], v[46:47]
	v_pk_add_f32 v[44:45], v[44:45], v[46:47]
	v_mov_b32_e32 v43, v44
	v_pk_add_f32 v[48:49], v[42:43], v[50:51] neg_lo:[0,1] neg_hi:[0,1]
	v_mov_b32_e32 v41, v46
	v_sub_f32_e32 v39, v42, v48
	v_pk_add_f32 v[40:41], v[40:41], v[48:49] neg_lo:[0,1] neg_hi:[0,1]
	v_sub_f32_e32 v39, v50, v39
	s_mov_b32 s68, 0x7f800000
	v_add_f32_e32 v39, v40, v39
	s_mov_b32 s33, 0x33800000
	v_add_f32_e32 v39, v39, v41
	v_cmp_eq_f32_e64 s[58:59], s68, v56
	v_cmp_lt_f32_e64 s[68:69], |v56|, s33
	v_add_f32_e32 v39, v44, v39
	s_or_b64 s[58:59], s[58:59], s[68:69]
	v_cndmask_b32_e64 v39, v39, v56, s[58:59]
	v_add_f32_e32 v39, v38, v39
.LBB126_60:
	s_or_b64 exec, exec, s[60:61]
	v_mov_b32_e32 v38, v39
.LBB126_61:
	s_or_b64 exec, exec, s[66:67]
	s_nop 0
	v_mov_b32_dpp v39, v38 row_shr:2 row_mask:0xf bank_mask:0xf
	v_cmp_lt_u32_e64 s[58:59], 1, v37
	s_and_saveexec_b64 s[66:67], s[58:59]
	s_cbranch_execz .LBB126_65
; %bb.62:
	v_max_f32_e32 v41, v38, v38
	v_max_f32_e32 v42, v39, v39
	v_min_f32_e32 v40, v42, v41
	v_cmp_u_f32_e64 s[58:59], v39, v39
	v_max_f32_e32 v41, v42, v41
	v_cndmask_b32_e64 v40, v40, v39, s[58:59]
	v_cmp_u_f32_e64 s[60:61], v38, v38
	v_cndmask_b32_e64 v41, v41, v39, s[58:59]
	v_cndmask_b32_e64 v40, v40, v38, s[60:61]
	;; [unrolled: 1-line block ×3, first 2 shown]
	s_movk_i32 s33, 0x1f8
	v_cmp_neq_f32_e64 s[58:59], v40, v38
	v_cmp_class_f32_e64 s[60:61], v40, s33
	s_or_b64 s[58:59], s[58:59], s[60:61]
	s_and_saveexec_b64 s[60:61], s[58:59]
	s_cbranch_execz .LBB126_64
; %bb.63:
	v_sub_f32_e32 v39, v40, v38
	s_mov_b32 s33, 0x3fb8aa3b
	v_mul_f32_e32 v40, 0x3fb8aa3b, v39
	v_fma_f32 v41, v39, s33, -v40
	v_rndne_f32_e32 v42, v40
	v_fmac_f32_e32 v41, 0x32a5705f, v39
	v_sub_f32_e32 v40, v40, v42
	v_add_f32_e32 v40, v40, v41
	v_exp_f32_e32 v40, v40
	v_cvt_i32_f32_e32 v41, v42
	s_mov_b32 s33, 0xc2ce8ed0
	v_cmp_ngt_f32_e64 s[58:59], s33, v39
	s_mov_b32 s33, 0x42b17218
	v_ldexp_f32 v40, v40, v41
	v_cndmask_b32_e64 v40, 0, v40, s[58:59]
	v_mov_b32_e32 v41, 0x7f800000
	v_cmp_nlt_f32_e64 s[58:59], s33, v39
	v_cndmask_b32_e64 v56, v41, v40, s[58:59]
	v_add_f32_e32 v39, 1.0, v56
	v_add_f32_e32 v40, -1.0, v39
	v_sub_f32_e32 v41, v40, v39
	v_add_f32_e32 v41, 1.0, v41
	v_sub_f32_e32 v40, v56, v40
	v_add_f32_e32 v42, v40, v41
	v_frexp_mant_f32_e32 v43, v39
	s_mov_b32 s33, 0x3f2aaaab
	v_cvt_f64_f32_e32 v[40:41], v39
	v_frexp_exp_i32_f64_e32 v40, v[40:41]
	v_cmp_gt_f32_e64 s[58:59], s33, v43
	v_subbrev_co_u32_e64 v48, s[58:59], 0, v40, s[58:59]
	v_sub_u32_e32 v40, 0, v48
	v_ldexp_f32 v39, v39, v40
	v_ldexp_f32 v40, v42, v40
	v_add_f32_e32 v42, -1.0, v39
	v_add_f32_e32 v41, 1.0, v42
	v_sub_f32_e32 v41, v39, v41
	v_add_f32_e32 v43, v40, v41
	v_add_f32_e32 v41, 1.0, v39
	v_add_f32_e32 v44, -1.0, v41
	v_sub_f32_e32 v39, v39, v44
	v_add_f32_e32 v39, v40, v39
	v_add_f32_e32 v49, v41, v39
	v_rcp_f32_e32 v50, v49
	v_sub_f32_e32 v40, v41, v49
	v_add_f32_e32 v41, v42, v43
	v_add_f32_e32 v39, v39, v40
	v_mul_f32_e32 v52, v41, v50
	v_sub_f32_e32 v40, v42, v41
	v_mul_f32_e32 v42, v49, v52
	v_fma_f32 v44, v52, v49, -v42
	v_fmac_f32_e32 v44, v52, v39
	v_add_f32_e32 v51, v43, v40
	v_add_f32_e32 v40, v42, v44
	v_sub_f32_e32 v43, v41, v40
	v_pk_add_f32 v[46:47], v[40:41], v[42:43] neg_lo:[0,1] neg_hi:[0,1]
	v_mov_b32_e32 v45, v40
	v_pk_add_f32 v[40:41], v[46:47], v[44:45] neg_lo:[0,1] neg_hi:[0,1]
	v_add_f32_e32 v41, v51, v41
	v_add_f32_e32 v40, v40, v41
	;; [unrolled: 1-line block ×3, first 2 shown]
	v_mul_f32_e32 v51, v50, v41
	v_mul_f32_e32 v42, v49, v51
	v_fma_f32 v44, v51, v49, -v42
	v_fmac_f32_e32 v44, v51, v39
	v_sub_f32_e32 v39, v43, v41
	v_add_f32_e32 v39, v40, v39
	v_add_f32_e32 v40, v42, v44
	v_sub_f32_e32 v43, v41, v40
	v_pk_add_f32 v[46:47], v[40:41], v[42:43] neg_lo:[0,1] neg_hi:[0,1]
	v_mov_b32_e32 v45, v40
	v_pk_add_f32 v[40:41], v[46:47], v[44:45] neg_lo:[0,1] neg_hi:[0,1]
	v_add_f32_e32 v39, v39, v41
	v_add_f32_e32 v39, v40, v39
	v_add_f32_e32 v40, v52, v51
	v_add_f32_e32 v39, v43, v39
	v_sub_f32_e32 v41, v40, v52
	v_mul_f32_e32 v39, v50, v39
	v_sub_f32_e32 v41, v51, v41
	v_add_f32_e32 v39, v41, v39
	v_add_f32_e32 v43, v40, v39
	v_mul_f32_e32 v44, v43, v43
	v_mov_b32_e32 v42, 0x3ecc95a3
	v_fmac_f32_e32 v42, 0x3e9b6dac, v44
	v_mov_b32_e32 v41, 0x3f2aaada
	v_fmac_f32_e32 v41, v44, v42
	v_cvt_f32_i32_e32 v42, v48
	v_sub_f32_e32 v40, v43, v40
	v_sub_f32_e32 v39, v39, v40
	v_ldexp_f32 v45, v43, 1
	v_mul_f32_e32 v43, v43, v44
	v_mov_b32_e32 v40, 0x3f317218
	s_mov_b32 s33, 0x3f317218
	v_pk_mul_f32 v[40:41], v[42:43], v[40:41]
	v_fma_f32 v44, v42, s33, -v40
	v_fmac_f32_e32 v44, 0xb102e308, v42
	v_pk_add_f32 v[42:43], v[40:41], v[44:45]
	v_sub_f32_e32 v45, v43, v45
	v_ldexp_f32 v39, v39, 1
	v_sub_f32_e32 v45, v41, v45
	v_add_f32_e32 v47, v39, v45
	v_mov_b32_e32 v46, v40
	v_pk_add_f32 v[40:41], v[42:43], v[40:41] neg_lo:[0,1] neg_hi:[0,1]
	v_pk_add_f32 v[48:49], v[42:43], v[46:47]
	v_mov_b32_e32 v41, v49
	v_mov_b32_e32 v45, v42
	v_pk_add_f32 v[50:51], v[44:45], v[40:41] neg_lo:[0,1] neg_hi:[0,1]
	v_pk_add_f32 v[40:41], v[44:45], v[40:41]
	v_mov_b32_e32 v44, v41
	v_pk_add_f32 v[52:53], v[44:45], v[42:43] neg_lo:[0,1] neg_hi:[0,1]
	v_mov_b32_e32 v39, v52
	v_pk_add_f32 v[54:55], v[48:49], v[38:39] neg_lo:[0,1] neg_hi:[0,1]
	v_mov_b32_e32 v40, v49
	v_mov_b32_e32 v48, v43
	;; [unrolled: 1-line block ×4, first 2 shown]
	v_pk_add_f32 v[40:41], v[40:41], v[48:49] neg_lo:[0,1] neg_hi:[0,1]
	v_mov_b32_e32 v46, v47
	v_mov_b32_e32 v47, v42
	v_pk_add_f32 v[40:41], v[46:47], v[40:41] neg_lo:[0,1] neg_hi:[0,1]
	v_mov_b32_e32 v54, v50
	v_pk_add_f32 v[42:43], v[54:55], v[40:41]
	v_mov_b32_e32 v46, v43
	v_pk_add_f32 v[46:47], v[42:43], v[46:47]
	v_pk_add_f32 v[44:45], v[44:45], v[46:47]
	v_mov_b32_e32 v43, v44
	v_pk_add_f32 v[48:49], v[42:43], v[50:51] neg_lo:[0,1] neg_hi:[0,1]
	v_mov_b32_e32 v41, v46
	v_sub_f32_e32 v39, v42, v48
	v_pk_add_f32 v[40:41], v[40:41], v[48:49] neg_lo:[0,1] neg_hi:[0,1]
	v_sub_f32_e32 v39, v50, v39
	s_mov_b32 s68, 0x7f800000
	v_add_f32_e32 v39, v40, v39
	s_mov_b32 s33, 0x33800000
	v_add_f32_e32 v39, v39, v41
	v_cmp_eq_f32_e64 s[58:59], s68, v56
	v_cmp_lt_f32_e64 s[68:69], |v56|, s33
	v_add_f32_e32 v39, v44, v39
	s_or_b64 s[58:59], s[58:59], s[68:69]
	v_cndmask_b32_e64 v39, v39, v56, s[58:59]
	v_add_f32_e32 v39, v38, v39
.LBB126_64:
	s_or_b64 exec, exec, s[60:61]
	v_mov_b32_e32 v38, v39
.LBB126_65:
	s_or_b64 exec, exec, s[66:67]
	s_nop 0
	v_mov_b32_dpp v39, v38 row_shr:4 row_mask:0xf bank_mask:0xf
	v_cmp_lt_u32_e64 s[58:59], 3, v37
	s_and_saveexec_b64 s[66:67], s[58:59]
	s_cbranch_execz .LBB126_69
; %bb.66:
	v_max_f32_e32 v41, v38, v38
	v_max_f32_e32 v42, v39, v39
	v_min_f32_e32 v40, v42, v41
	v_cmp_u_f32_e64 s[58:59], v39, v39
	v_max_f32_e32 v41, v42, v41
	v_cndmask_b32_e64 v40, v40, v39, s[58:59]
	v_cmp_u_f32_e64 s[60:61], v38, v38
	v_cndmask_b32_e64 v41, v41, v39, s[58:59]
	v_cndmask_b32_e64 v40, v40, v38, s[60:61]
	v_cndmask_b32_e64 v38, v41, v38, s[60:61]
	s_movk_i32 s33, 0x1f8
	v_cmp_neq_f32_e64 s[58:59], v40, v38
	v_cmp_class_f32_e64 s[60:61], v40, s33
	s_or_b64 s[58:59], s[58:59], s[60:61]
	s_and_saveexec_b64 s[60:61], s[58:59]
	s_cbranch_execz .LBB126_68
; %bb.67:
	v_sub_f32_e32 v39, v40, v38
	s_mov_b32 s33, 0x3fb8aa3b
	v_mul_f32_e32 v40, 0x3fb8aa3b, v39
	v_fma_f32 v41, v39, s33, -v40
	v_rndne_f32_e32 v42, v40
	v_fmac_f32_e32 v41, 0x32a5705f, v39
	v_sub_f32_e32 v40, v40, v42
	v_add_f32_e32 v40, v40, v41
	v_exp_f32_e32 v40, v40
	v_cvt_i32_f32_e32 v41, v42
	s_mov_b32 s33, 0xc2ce8ed0
	v_cmp_ngt_f32_e64 s[58:59], s33, v39
	s_mov_b32 s33, 0x42b17218
	v_ldexp_f32 v40, v40, v41
	v_cndmask_b32_e64 v40, 0, v40, s[58:59]
	v_mov_b32_e32 v41, 0x7f800000
	v_cmp_nlt_f32_e64 s[58:59], s33, v39
	v_cndmask_b32_e64 v56, v41, v40, s[58:59]
	v_add_f32_e32 v39, 1.0, v56
	v_add_f32_e32 v40, -1.0, v39
	v_sub_f32_e32 v41, v40, v39
	v_add_f32_e32 v41, 1.0, v41
	v_sub_f32_e32 v40, v56, v40
	v_add_f32_e32 v42, v40, v41
	v_frexp_mant_f32_e32 v43, v39
	s_mov_b32 s33, 0x3f2aaaab
	v_cvt_f64_f32_e32 v[40:41], v39
	v_frexp_exp_i32_f64_e32 v40, v[40:41]
	v_cmp_gt_f32_e64 s[58:59], s33, v43
	v_subbrev_co_u32_e64 v48, s[58:59], 0, v40, s[58:59]
	v_sub_u32_e32 v40, 0, v48
	v_ldexp_f32 v39, v39, v40
	v_ldexp_f32 v40, v42, v40
	v_add_f32_e32 v42, -1.0, v39
	v_add_f32_e32 v41, 1.0, v42
	v_sub_f32_e32 v41, v39, v41
	v_add_f32_e32 v43, v40, v41
	v_add_f32_e32 v41, 1.0, v39
	v_add_f32_e32 v44, -1.0, v41
	v_sub_f32_e32 v39, v39, v44
	v_add_f32_e32 v39, v40, v39
	v_add_f32_e32 v49, v41, v39
	v_rcp_f32_e32 v50, v49
	v_sub_f32_e32 v40, v41, v49
	v_add_f32_e32 v41, v42, v43
	v_add_f32_e32 v39, v39, v40
	v_mul_f32_e32 v52, v41, v50
	v_sub_f32_e32 v40, v42, v41
	v_mul_f32_e32 v42, v49, v52
	v_fma_f32 v44, v52, v49, -v42
	v_fmac_f32_e32 v44, v52, v39
	v_add_f32_e32 v51, v43, v40
	v_add_f32_e32 v40, v42, v44
	v_sub_f32_e32 v43, v41, v40
	v_pk_add_f32 v[46:47], v[40:41], v[42:43] neg_lo:[0,1] neg_hi:[0,1]
	v_mov_b32_e32 v45, v40
	v_pk_add_f32 v[40:41], v[46:47], v[44:45] neg_lo:[0,1] neg_hi:[0,1]
	v_add_f32_e32 v41, v51, v41
	v_add_f32_e32 v40, v40, v41
	;; [unrolled: 1-line block ×3, first 2 shown]
	v_mul_f32_e32 v51, v50, v41
	v_mul_f32_e32 v42, v49, v51
	v_fma_f32 v44, v51, v49, -v42
	v_fmac_f32_e32 v44, v51, v39
	v_sub_f32_e32 v39, v43, v41
	v_add_f32_e32 v39, v40, v39
	v_add_f32_e32 v40, v42, v44
	v_sub_f32_e32 v43, v41, v40
	v_pk_add_f32 v[46:47], v[40:41], v[42:43] neg_lo:[0,1] neg_hi:[0,1]
	v_mov_b32_e32 v45, v40
	v_pk_add_f32 v[40:41], v[46:47], v[44:45] neg_lo:[0,1] neg_hi:[0,1]
	v_add_f32_e32 v39, v39, v41
	v_add_f32_e32 v39, v40, v39
	;; [unrolled: 1-line block ×4, first 2 shown]
	v_sub_f32_e32 v41, v40, v52
	v_mul_f32_e32 v39, v50, v39
	v_sub_f32_e32 v41, v51, v41
	v_add_f32_e32 v39, v41, v39
	v_add_f32_e32 v43, v40, v39
	v_mul_f32_e32 v44, v43, v43
	v_mov_b32_e32 v42, 0x3ecc95a3
	v_fmac_f32_e32 v42, 0x3e9b6dac, v44
	v_mov_b32_e32 v41, 0x3f2aaada
	v_fmac_f32_e32 v41, v44, v42
	v_cvt_f32_i32_e32 v42, v48
	v_sub_f32_e32 v40, v43, v40
	v_sub_f32_e32 v39, v39, v40
	v_ldexp_f32 v45, v43, 1
	v_mul_f32_e32 v43, v43, v44
	v_mov_b32_e32 v40, 0x3f317218
	s_mov_b32 s33, 0x3f317218
	v_pk_mul_f32 v[40:41], v[42:43], v[40:41]
	v_fma_f32 v44, v42, s33, -v40
	v_fmac_f32_e32 v44, 0xb102e308, v42
	v_pk_add_f32 v[42:43], v[40:41], v[44:45]
	v_sub_f32_e32 v45, v43, v45
	v_ldexp_f32 v39, v39, 1
	v_sub_f32_e32 v45, v41, v45
	v_add_f32_e32 v47, v39, v45
	v_mov_b32_e32 v46, v40
	v_pk_add_f32 v[40:41], v[42:43], v[40:41] neg_lo:[0,1] neg_hi:[0,1]
	v_pk_add_f32 v[48:49], v[42:43], v[46:47]
	v_mov_b32_e32 v41, v49
	v_mov_b32_e32 v45, v42
	v_pk_add_f32 v[50:51], v[44:45], v[40:41] neg_lo:[0,1] neg_hi:[0,1]
	v_pk_add_f32 v[40:41], v[44:45], v[40:41]
	v_mov_b32_e32 v44, v41
	v_pk_add_f32 v[52:53], v[44:45], v[42:43] neg_lo:[0,1] neg_hi:[0,1]
	v_mov_b32_e32 v39, v52
	v_pk_add_f32 v[54:55], v[48:49], v[38:39] neg_lo:[0,1] neg_hi:[0,1]
	v_mov_b32_e32 v40, v49
	v_mov_b32_e32 v48, v43
	;; [unrolled: 1-line block ×4, first 2 shown]
	v_pk_add_f32 v[40:41], v[40:41], v[48:49] neg_lo:[0,1] neg_hi:[0,1]
	v_mov_b32_e32 v46, v47
	v_mov_b32_e32 v47, v42
	v_pk_add_f32 v[40:41], v[46:47], v[40:41] neg_lo:[0,1] neg_hi:[0,1]
	v_mov_b32_e32 v54, v50
	v_pk_add_f32 v[42:43], v[54:55], v[40:41]
	v_mov_b32_e32 v46, v43
	v_pk_add_f32 v[46:47], v[42:43], v[46:47]
	v_pk_add_f32 v[44:45], v[44:45], v[46:47]
	v_mov_b32_e32 v43, v44
	v_pk_add_f32 v[48:49], v[42:43], v[50:51] neg_lo:[0,1] neg_hi:[0,1]
	v_mov_b32_e32 v41, v46
	v_sub_f32_e32 v39, v42, v48
	v_pk_add_f32 v[40:41], v[40:41], v[48:49] neg_lo:[0,1] neg_hi:[0,1]
	v_sub_f32_e32 v39, v50, v39
	s_mov_b32 s68, 0x7f800000
	v_add_f32_e32 v39, v40, v39
	s_mov_b32 s33, 0x33800000
	v_add_f32_e32 v39, v39, v41
	v_cmp_eq_f32_e64 s[58:59], s68, v56
	v_cmp_lt_f32_e64 s[68:69], |v56|, s33
	v_add_f32_e32 v39, v44, v39
	s_or_b64 s[58:59], s[58:59], s[68:69]
	v_cndmask_b32_e64 v39, v39, v56, s[58:59]
	v_add_f32_e32 v39, v38, v39
.LBB126_68:
	s_or_b64 exec, exec, s[60:61]
	v_mov_b32_e32 v38, v39
.LBB126_69:
	s_or_b64 exec, exec, s[66:67]
	s_nop 0
	v_mov_b32_dpp v39, v38 row_shr:8 row_mask:0xf bank_mask:0xf
	v_cmp_lt_u32_e64 s[58:59], 7, v37
	s_and_saveexec_b64 s[66:67], s[58:59]
	s_cbranch_execz .LBB126_73
; %bb.70:
	v_max_f32_e32 v37, v38, v38
	v_max_f32_e32 v41, v39, v39
	v_min_f32_e32 v40, v41, v37
	v_cmp_u_f32_e64 s[58:59], v39, v39
	v_max_f32_e32 v37, v41, v37
	v_cndmask_b32_e64 v40, v40, v39, s[58:59]
	v_cmp_u_f32_e64 s[60:61], v38, v38
	v_cndmask_b32_e64 v37, v37, v39, s[58:59]
	v_cndmask_b32_e64 v40, v40, v38, s[60:61]
	;; [unrolled: 1-line block ×3, first 2 shown]
	s_movk_i32 s33, 0x1f8
	v_cmp_neq_f32_e64 s[58:59], v40, v37
	v_cmp_class_f32_e64 s[60:61], v40, s33
	s_or_b64 s[58:59], s[58:59], s[60:61]
	s_and_saveexec_b64 s[60:61], s[58:59]
	s_cbranch_execz .LBB126_72
; %bb.71:
	v_sub_f32_e32 v38, v40, v37
	s_mov_b32 s33, 0x3fb8aa3b
	v_mul_f32_e32 v39, 0x3fb8aa3b, v38
	v_fma_f32 v40, v38, s33, -v39
	v_rndne_f32_e32 v41, v39
	v_fmac_f32_e32 v40, 0x32a5705f, v38
	v_sub_f32_e32 v39, v39, v41
	v_add_f32_e32 v39, v39, v40
	v_exp_f32_e32 v39, v39
	v_cvt_i32_f32_e32 v40, v41
	s_mov_b32 s33, 0xc2ce8ed0
	v_cmp_ngt_f32_e64 s[58:59], s33, v38
	s_mov_b32 s33, 0x42b17218
	v_ldexp_f32 v39, v39, v40
	v_cndmask_b32_e64 v39, 0, v39, s[58:59]
	v_mov_b32_e32 v40, 0x7f800000
	v_cmp_nlt_f32_e64 s[58:59], s33, v38
	v_cndmask_b32_e64 v54, v40, v39, s[58:59]
	v_add_f32_e32 v40, 1.0, v54
	v_add_f32_e32 v38, -1.0, v40
	v_sub_f32_e32 v39, v38, v40
	v_add_f32_e32 v39, 1.0, v39
	v_sub_f32_e32 v38, v54, v38
	v_add_f32_e32 v41, v38, v39
	v_frexp_mant_f32_e32 v42, v40
	s_mov_b32 s33, 0x3f2aaaab
	v_cvt_f64_f32_e32 v[38:39], v40
	v_frexp_exp_i32_f64_e32 v38, v[38:39]
	v_cmp_gt_f32_e64 s[58:59], s33, v42
	v_subbrev_co_u32_e64 v46, s[58:59], 0, v38, s[58:59]
	v_sub_u32_e32 v38, 0, v46
	v_ldexp_f32 v39, v40, v38
	v_add_f32_e32 v40, -1.0, v39
	v_add_f32_e32 v42, 1.0, v39
	v_ldexp_f32 v38, v41, v38
	v_add_f32_e32 v41, 1.0, v40
	v_add_f32_e32 v43, -1.0, v42
	v_sub_f32_e32 v41, v39, v41
	v_sub_f32_e32 v39, v39, v43
	v_add_f32_e32 v41, v38, v41
	v_add_f32_e32 v38, v38, v39
	;; [unrolled: 1-line block ×3, first 2 shown]
	v_rcp_f32_e32 v49, v47
	v_sub_f32_e32 v39, v42, v47
	v_add_f32_e32 v48, v38, v39
	v_add_f32_e32 v39, v40, v41
	v_mul_f32_e32 v51, v39, v49
	v_sub_f32_e32 v38, v40, v39
	v_mul_f32_e32 v40, v47, v51
	v_fma_f32 v42, v51, v47, -v40
	v_fmac_f32_e32 v42, v51, v48
	v_add_f32_e32 v50, v41, v38
	v_add_f32_e32 v38, v40, v42
	v_sub_f32_e32 v41, v39, v38
	v_pk_add_f32 v[44:45], v[38:39], v[40:41] neg_lo:[0,1] neg_hi:[0,1]
	v_mov_b32_e32 v43, v38
	v_pk_add_f32 v[38:39], v[44:45], v[42:43] neg_lo:[0,1] neg_hi:[0,1]
	v_add_f32_e32 v39, v50, v39
	v_add_f32_e32 v38, v38, v39
	v_add_f32_e32 v39, v41, v38
	v_mul_f32_e32 v50, v49, v39
	v_mul_f32_e32 v40, v47, v50
	v_fma_f32 v42, v50, v47, -v40
	v_fmac_f32_e32 v42, v50, v48
	v_sub_f32_e32 v41, v41, v39
	v_add_f32_e32 v47, v38, v41
	v_add_f32_e32 v38, v40, v42
	v_sub_f32_e32 v41, v39, v38
	v_pk_add_f32 v[44:45], v[38:39], v[40:41] neg_lo:[0,1] neg_hi:[0,1]
	v_mov_b32_e32 v43, v38
	v_pk_add_f32 v[38:39], v[44:45], v[42:43] neg_lo:[0,1] neg_hi:[0,1]
	v_add_f32_e32 v39, v47, v39
	v_add_f32_e32 v38, v38, v39
	;; [unrolled: 1-line block ×4, first 2 shown]
	v_sub_f32_e32 v39, v41, v51
	v_mul_f32_e32 v38, v49, v38
	v_sub_f32_e32 v39, v50, v39
	v_add_f32_e32 v38, v39, v38
	v_add_f32_e32 v42, v41, v38
	v_mul_f32_e32 v44, v42, v42
	v_mov_b32_e32 v40, 0x3ecc95a3
	v_fmac_f32_e32 v40, 0x3e9b6dac, v44
	v_mov_b32_e32 v39, 0x3f2aaada
	v_fmac_f32_e32 v39, v44, v40
	v_cvt_f32_i32_e32 v40, v46
	v_sub_f32_e32 v41, v42, v41
	v_sub_f32_e32 v38, v38, v41
	v_ldexp_f32 v45, v38, 1
	v_mul_f32_e32 v41, v42, v44
	v_mov_b32_e32 v38, 0x3f317218
	s_mov_b32 s33, 0x3f317218
	v_pk_mul_f32 v[38:39], v[40:41], v[38:39]
	v_ldexp_f32 v43, v42, 1
	v_fma_f32 v42, v40, s33, -v38
	v_fmac_f32_e32 v42, 0xb102e308, v40
	v_pk_add_f32 v[40:41], v[38:39], v[42:43]
	v_sub_f32_e32 v43, v41, v43
	v_sub_f32_e32 v43, v39, v43
	v_add_f32_e32 v45, v45, v43
	v_mov_b32_e32 v44, v38
	v_pk_add_f32 v[38:39], v[40:41], v[38:39] neg_lo:[0,1] neg_hi:[0,1]
	v_pk_add_f32 v[46:47], v[40:41], v[44:45]
	v_mov_b32_e32 v39, v47
	v_mov_b32_e32 v43, v40
	v_pk_add_f32 v[48:49], v[42:43], v[38:39] neg_lo:[0,1] neg_hi:[0,1]
	v_pk_add_f32 v[38:39], v[42:43], v[38:39]
	v_mov_b32_e32 v42, v39
	v_pk_add_f32 v[50:51], v[42:43], v[40:41] neg_lo:[0,1] neg_hi:[0,1]
	v_mov_b32_e32 v43, v50
	v_pk_add_f32 v[52:53], v[46:47], v[42:43] neg_lo:[0,1] neg_hi:[0,1]
	v_mov_b32_e32 v38, v47
	v_mov_b32_e32 v46, v41
	;; [unrolled: 1-line block ×4, first 2 shown]
	v_pk_add_f32 v[38:39], v[38:39], v[46:47] neg_lo:[0,1] neg_hi:[0,1]
	v_mov_b32_e32 v44, v45
	v_mov_b32_e32 v45, v40
	v_pk_add_f32 v[38:39], v[44:45], v[38:39] neg_lo:[0,1] neg_hi:[0,1]
	v_mov_b32_e32 v52, v48
	v_pk_add_f32 v[40:41], v[52:53], v[38:39]
	v_mov_b32_e32 v44, v41
	v_pk_add_f32 v[44:45], v[40:41], v[44:45]
	v_pk_add_f32 v[42:43], v[42:43], v[44:45]
	v_mov_b32_e32 v41, v42
	v_pk_add_f32 v[46:47], v[40:41], v[48:49] neg_lo:[0,1] neg_hi:[0,1]
	v_mov_b32_e32 v39, v44
	v_sub_f32_e32 v40, v40, v46
	v_pk_add_f32 v[38:39], v[38:39], v[46:47] neg_lo:[0,1] neg_hi:[0,1]
	v_sub_f32_e32 v40, v48, v40
	s_mov_b32 s68, 0x7f800000
	v_add_f32_e32 v38, v38, v40
	s_mov_b32 s33, 0x33800000
	v_add_f32_e32 v38, v38, v39
	v_cmp_eq_f32_e64 s[58:59], s68, v54
	v_cmp_lt_f32_e64 s[68:69], |v54|, s33
	v_add_f32_e32 v38, v42, v38
	s_or_b64 s[58:59], s[58:59], s[68:69]
	v_cndmask_b32_e64 v38, v38, v54, s[58:59]
	v_add_f32_e32 v39, v37, v38
.LBB126_72:
	s_or_b64 exec, exec, s[60:61]
	v_mov_b32_e32 v38, v39
.LBB126_73:
	s_or_b64 exec, exec, s[66:67]
	v_and_b32_e32 v37, 16, v17
	v_mov_b32_dpp v39, v38 row_bcast:15 row_mask:0xf bank_mask:0xf
	v_cmp_ne_u32_e64 s[58:59], 0, v37
	s_and_saveexec_b64 s[66:67], s[58:59]
	s_cbranch_execz .LBB126_77
; %bb.74:
	v_max_f32_e32 v37, v38, v38
	v_max_f32_e32 v41, v39, v39
	v_min_f32_e32 v40, v41, v37
	v_cmp_u_f32_e64 s[58:59], v39, v39
	v_max_f32_e32 v37, v41, v37
	v_cndmask_b32_e64 v40, v40, v39, s[58:59]
	v_cmp_u_f32_e64 s[60:61], v38, v38
	v_cndmask_b32_e64 v37, v37, v39, s[58:59]
	v_cndmask_b32_e64 v40, v40, v38, s[60:61]
	;; [unrolled: 1-line block ×3, first 2 shown]
	s_movk_i32 s33, 0x1f8
	v_cmp_neq_f32_e64 s[58:59], v40, v37
	v_cmp_class_f32_e64 s[60:61], v40, s33
	s_or_b64 s[58:59], s[58:59], s[60:61]
	s_and_saveexec_b64 s[60:61], s[58:59]
	s_cbranch_execz .LBB126_76
; %bb.75:
	v_sub_f32_e32 v38, v40, v37
	s_mov_b32 s33, 0x3fb8aa3b
	v_mul_f32_e32 v39, 0x3fb8aa3b, v38
	v_fma_f32 v40, v38, s33, -v39
	v_rndne_f32_e32 v41, v39
	v_fmac_f32_e32 v40, 0x32a5705f, v38
	v_sub_f32_e32 v39, v39, v41
	v_add_f32_e32 v39, v39, v40
	v_exp_f32_e32 v39, v39
	v_cvt_i32_f32_e32 v40, v41
	s_mov_b32 s33, 0xc2ce8ed0
	v_cmp_ngt_f32_e64 s[58:59], s33, v38
	s_mov_b32 s33, 0x42b17218
	v_ldexp_f32 v39, v39, v40
	v_cndmask_b32_e64 v39, 0, v39, s[58:59]
	v_mov_b32_e32 v40, 0x7f800000
	v_cmp_nlt_f32_e64 s[58:59], s33, v38
	v_cndmask_b32_e64 v54, v40, v39, s[58:59]
	v_add_f32_e32 v40, 1.0, v54
	v_add_f32_e32 v38, -1.0, v40
	v_sub_f32_e32 v39, v38, v40
	v_add_f32_e32 v39, 1.0, v39
	v_sub_f32_e32 v38, v54, v38
	v_add_f32_e32 v41, v38, v39
	v_frexp_mant_f32_e32 v42, v40
	s_mov_b32 s33, 0x3f2aaaab
	v_cvt_f64_f32_e32 v[38:39], v40
	v_frexp_exp_i32_f64_e32 v38, v[38:39]
	v_cmp_gt_f32_e64 s[58:59], s33, v42
	v_subbrev_co_u32_e64 v46, s[58:59], 0, v38, s[58:59]
	v_sub_u32_e32 v38, 0, v46
	v_ldexp_f32 v39, v40, v38
	v_add_f32_e32 v40, -1.0, v39
	v_add_f32_e32 v42, 1.0, v39
	v_ldexp_f32 v38, v41, v38
	v_add_f32_e32 v41, 1.0, v40
	v_add_f32_e32 v43, -1.0, v42
	v_sub_f32_e32 v41, v39, v41
	v_sub_f32_e32 v39, v39, v43
	v_add_f32_e32 v41, v38, v41
	v_add_f32_e32 v38, v38, v39
	;; [unrolled: 1-line block ×3, first 2 shown]
	v_rcp_f32_e32 v49, v47
	v_sub_f32_e32 v39, v42, v47
	v_add_f32_e32 v48, v38, v39
	v_add_f32_e32 v39, v40, v41
	v_mul_f32_e32 v51, v39, v49
	v_sub_f32_e32 v38, v40, v39
	v_mul_f32_e32 v40, v47, v51
	v_fma_f32 v42, v51, v47, -v40
	v_fmac_f32_e32 v42, v51, v48
	v_add_f32_e32 v50, v41, v38
	v_add_f32_e32 v38, v40, v42
	v_sub_f32_e32 v41, v39, v38
	v_pk_add_f32 v[44:45], v[38:39], v[40:41] neg_lo:[0,1] neg_hi:[0,1]
	v_mov_b32_e32 v43, v38
	v_pk_add_f32 v[38:39], v[44:45], v[42:43] neg_lo:[0,1] neg_hi:[0,1]
	v_add_f32_e32 v39, v50, v39
	v_add_f32_e32 v38, v38, v39
	;; [unrolled: 1-line block ×3, first 2 shown]
	v_mul_f32_e32 v50, v49, v39
	v_mul_f32_e32 v40, v47, v50
	v_fma_f32 v42, v50, v47, -v40
	v_fmac_f32_e32 v42, v50, v48
	v_sub_f32_e32 v41, v41, v39
	v_add_f32_e32 v47, v38, v41
	v_add_f32_e32 v38, v40, v42
	v_sub_f32_e32 v41, v39, v38
	v_pk_add_f32 v[44:45], v[38:39], v[40:41] neg_lo:[0,1] neg_hi:[0,1]
	v_mov_b32_e32 v43, v38
	v_pk_add_f32 v[38:39], v[44:45], v[42:43] neg_lo:[0,1] neg_hi:[0,1]
	v_add_f32_e32 v39, v47, v39
	v_add_f32_e32 v38, v38, v39
	;; [unrolled: 1-line block ×4, first 2 shown]
	v_sub_f32_e32 v39, v41, v51
	v_mul_f32_e32 v38, v49, v38
	v_sub_f32_e32 v39, v50, v39
	v_add_f32_e32 v38, v39, v38
	v_add_f32_e32 v42, v41, v38
	v_mul_f32_e32 v44, v42, v42
	v_mov_b32_e32 v40, 0x3ecc95a3
	v_fmac_f32_e32 v40, 0x3e9b6dac, v44
	v_mov_b32_e32 v39, 0x3f2aaada
	v_fmac_f32_e32 v39, v44, v40
	v_cvt_f32_i32_e32 v40, v46
	v_sub_f32_e32 v41, v42, v41
	v_sub_f32_e32 v38, v38, v41
	v_ldexp_f32 v45, v38, 1
	v_mul_f32_e32 v41, v42, v44
	v_mov_b32_e32 v38, 0x3f317218
	s_mov_b32 s33, 0x3f317218
	v_pk_mul_f32 v[38:39], v[40:41], v[38:39]
	v_ldexp_f32 v43, v42, 1
	v_fma_f32 v42, v40, s33, -v38
	v_fmac_f32_e32 v42, 0xb102e308, v40
	v_pk_add_f32 v[40:41], v[38:39], v[42:43]
	v_sub_f32_e32 v43, v41, v43
	v_sub_f32_e32 v43, v39, v43
	v_add_f32_e32 v45, v45, v43
	v_mov_b32_e32 v44, v38
	v_pk_add_f32 v[38:39], v[40:41], v[38:39] neg_lo:[0,1] neg_hi:[0,1]
	v_pk_add_f32 v[46:47], v[40:41], v[44:45]
	v_mov_b32_e32 v39, v47
	v_mov_b32_e32 v43, v40
	v_pk_add_f32 v[48:49], v[42:43], v[38:39] neg_lo:[0,1] neg_hi:[0,1]
	v_pk_add_f32 v[38:39], v[42:43], v[38:39]
	v_mov_b32_e32 v42, v39
	v_pk_add_f32 v[50:51], v[42:43], v[40:41] neg_lo:[0,1] neg_hi:[0,1]
	v_mov_b32_e32 v43, v50
	v_pk_add_f32 v[52:53], v[46:47], v[42:43] neg_lo:[0,1] neg_hi:[0,1]
	v_mov_b32_e32 v38, v47
	v_mov_b32_e32 v46, v41
	;; [unrolled: 1-line block ×4, first 2 shown]
	v_pk_add_f32 v[38:39], v[38:39], v[46:47] neg_lo:[0,1] neg_hi:[0,1]
	v_mov_b32_e32 v44, v45
	v_mov_b32_e32 v45, v40
	v_pk_add_f32 v[38:39], v[44:45], v[38:39] neg_lo:[0,1] neg_hi:[0,1]
	v_mov_b32_e32 v52, v48
	v_pk_add_f32 v[40:41], v[52:53], v[38:39]
	v_mov_b32_e32 v44, v41
	v_pk_add_f32 v[44:45], v[40:41], v[44:45]
	v_pk_add_f32 v[42:43], v[42:43], v[44:45]
	v_mov_b32_e32 v41, v42
	v_pk_add_f32 v[46:47], v[40:41], v[48:49] neg_lo:[0,1] neg_hi:[0,1]
	v_mov_b32_e32 v39, v44
	v_sub_f32_e32 v40, v40, v46
	v_pk_add_f32 v[38:39], v[38:39], v[46:47] neg_lo:[0,1] neg_hi:[0,1]
	v_sub_f32_e32 v40, v48, v40
	s_mov_b32 s68, 0x7f800000
	v_add_f32_e32 v38, v38, v40
	s_mov_b32 s33, 0x33800000
	v_add_f32_e32 v38, v38, v39
	v_cmp_eq_f32_e64 s[58:59], s68, v54
	v_cmp_lt_f32_e64 s[68:69], |v54|, s33
	v_add_f32_e32 v38, v42, v38
	s_or_b64 s[58:59], s[58:59], s[68:69]
	v_cndmask_b32_e64 v38, v38, v54, s[58:59]
	v_add_f32_e32 v39, v37, v38
.LBB126_76:
	s_or_b64 exec, exec, s[60:61]
	v_mov_b32_e32 v38, v39
.LBB126_77:
	s_or_b64 exec, exec, s[66:67]
	s_nop 0
	v_mov_b32_dpp v39, v38 row_bcast:31 row_mask:0xf bank_mask:0xf
	v_cmp_lt_u32_e64 s[58:59], 31, v17
	s_and_saveexec_b64 s[66:67], s[58:59]
	s_cbranch_execz .LBB126_81
; %bb.78:
	v_max_f32_e32 v37, v38, v38
	v_max_f32_e32 v41, v39, v39
	v_min_f32_e32 v40, v41, v37
	v_cmp_u_f32_e64 s[58:59], v39, v39
	v_max_f32_e32 v37, v41, v37
	v_cndmask_b32_e64 v40, v40, v39, s[58:59]
	v_cmp_u_f32_e64 s[60:61], v38, v38
	v_cndmask_b32_e64 v37, v37, v39, s[58:59]
	v_cndmask_b32_e64 v40, v40, v38, s[60:61]
	;; [unrolled: 1-line block ×3, first 2 shown]
	s_movk_i32 s33, 0x1f8
	v_cmp_neq_f32_e64 s[58:59], v40, v37
	v_cmp_class_f32_e64 s[60:61], v40, s33
	s_or_b64 s[58:59], s[58:59], s[60:61]
	s_and_saveexec_b64 s[60:61], s[58:59]
	s_cbranch_execz .LBB126_80
; %bb.79:
	v_sub_f32_e32 v38, v40, v37
	s_mov_b32 s33, 0x3fb8aa3b
	v_mul_f32_e32 v39, 0x3fb8aa3b, v38
	v_fma_f32 v40, v38, s33, -v39
	v_rndne_f32_e32 v41, v39
	v_fmac_f32_e32 v40, 0x32a5705f, v38
	v_sub_f32_e32 v39, v39, v41
	v_add_f32_e32 v39, v39, v40
	v_exp_f32_e32 v39, v39
	v_cvt_i32_f32_e32 v40, v41
	s_mov_b32 s33, 0xc2ce8ed0
	v_cmp_ngt_f32_e64 s[58:59], s33, v38
	s_mov_b32 s33, 0x42b17218
	v_ldexp_f32 v39, v39, v40
	v_cndmask_b32_e64 v39, 0, v39, s[58:59]
	v_mov_b32_e32 v40, 0x7f800000
	v_cmp_nlt_f32_e64 s[58:59], s33, v38
	v_cndmask_b32_e64 v54, v40, v39, s[58:59]
	v_add_f32_e32 v40, 1.0, v54
	v_add_f32_e32 v38, -1.0, v40
	v_sub_f32_e32 v39, v38, v40
	v_add_f32_e32 v39, 1.0, v39
	v_sub_f32_e32 v38, v54, v38
	v_add_f32_e32 v41, v38, v39
	v_frexp_mant_f32_e32 v42, v40
	s_mov_b32 s33, 0x3f2aaaab
	v_cvt_f64_f32_e32 v[38:39], v40
	v_frexp_exp_i32_f64_e32 v38, v[38:39]
	v_cmp_gt_f32_e64 s[58:59], s33, v42
	v_subbrev_co_u32_e64 v46, s[58:59], 0, v38, s[58:59]
	v_sub_u32_e32 v38, 0, v46
	v_ldexp_f32 v39, v40, v38
	v_add_f32_e32 v40, -1.0, v39
	v_add_f32_e32 v42, 1.0, v39
	v_ldexp_f32 v38, v41, v38
	v_add_f32_e32 v41, 1.0, v40
	v_add_f32_e32 v43, -1.0, v42
	v_sub_f32_e32 v41, v39, v41
	v_sub_f32_e32 v39, v39, v43
	v_add_f32_e32 v41, v38, v41
	v_add_f32_e32 v38, v38, v39
	;; [unrolled: 1-line block ×3, first 2 shown]
	v_rcp_f32_e32 v49, v47
	v_sub_f32_e32 v39, v42, v47
	v_add_f32_e32 v48, v38, v39
	v_add_f32_e32 v39, v40, v41
	v_mul_f32_e32 v51, v39, v49
	v_sub_f32_e32 v38, v40, v39
	v_mul_f32_e32 v40, v47, v51
	v_fma_f32 v42, v51, v47, -v40
	v_fmac_f32_e32 v42, v51, v48
	v_add_f32_e32 v50, v41, v38
	v_add_f32_e32 v38, v40, v42
	v_sub_f32_e32 v41, v39, v38
	v_pk_add_f32 v[44:45], v[38:39], v[40:41] neg_lo:[0,1] neg_hi:[0,1]
	v_mov_b32_e32 v43, v38
	v_pk_add_f32 v[38:39], v[44:45], v[42:43] neg_lo:[0,1] neg_hi:[0,1]
	v_add_f32_e32 v39, v50, v39
	v_add_f32_e32 v38, v38, v39
	;; [unrolled: 1-line block ×3, first 2 shown]
	v_mul_f32_e32 v50, v49, v39
	v_mul_f32_e32 v40, v47, v50
	v_fma_f32 v42, v50, v47, -v40
	v_fmac_f32_e32 v42, v50, v48
	v_sub_f32_e32 v41, v41, v39
	v_add_f32_e32 v47, v38, v41
	v_add_f32_e32 v38, v40, v42
	v_sub_f32_e32 v41, v39, v38
	v_pk_add_f32 v[44:45], v[38:39], v[40:41] neg_lo:[0,1] neg_hi:[0,1]
	v_mov_b32_e32 v43, v38
	v_pk_add_f32 v[38:39], v[44:45], v[42:43] neg_lo:[0,1] neg_hi:[0,1]
	v_add_f32_e32 v39, v47, v39
	v_add_f32_e32 v38, v38, v39
	;; [unrolled: 1-line block ×4, first 2 shown]
	v_sub_f32_e32 v39, v41, v51
	v_mul_f32_e32 v38, v49, v38
	v_sub_f32_e32 v39, v50, v39
	v_add_f32_e32 v38, v39, v38
	v_add_f32_e32 v42, v41, v38
	v_mul_f32_e32 v44, v42, v42
	v_mov_b32_e32 v40, 0x3ecc95a3
	v_fmac_f32_e32 v40, 0x3e9b6dac, v44
	v_mov_b32_e32 v39, 0x3f2aaada
	v_fmac_f32_e32 v39, v44, v40
	v_cvt_f32_i32_e32 v40, v46
	v_sub_f32_e32 v41, v42, v41
	v_sub_f32_e32 v38, v38, v41
	v_ldexp_f32 v45, v38, 1
	v_mul_f32_e32 v41, v42, v44
	v_mov_b32_e32 v38, 0x3f317218
	s_mov_b32 s33, 0x3f317218
	v_pk_mul_f32 v[38:39], v[40:41], v[38:39]
	v_ldexp_f32 v43, v42, 1
	v_fma_f32 v42, v40, s33, -v38
	v_fmac_f32_e32 v42, 0xb102e308, v40
	v_pk_add_f32 v[40:41], v[38:39], v[42:43]
	v_sub_f32_e32 v43, v41, v43
	v_sub_f32_e32 v43, v39, v43
	v_add_f32_e32 v45, v45, v43
	v_mov_b32_e32 v44, v38
	v_pk_add_f32 v[38:39], v[40:41], v[38:39] neg_lo:[0,1] neg_hi:[0,1]
	v_pk_add_f32 v[46:47], v[40:41], v[44:45]
	v_mov_b32_e32 v39, v47
	v_mov_b32_e32 v43, v40
	v_pk_add_f32 v[48:49], v[42:43], v[38:39] neg_lo:[0,1] neg_hi:[0,1]
	v_pk_add_f32 v[38:39], v[42:43], v[38:39]
	v_mov_b32_e32 v42, v39
	v_pk_add_f32 v[50:51], v[42:43], v[40:41] neg_lo:[0,1] neg_hi:[0,1]
	v_mov_b32_e32 v43, v50
	v_pk_add_f32 v[52:53], v[46:47], v[42:43] neg_lo:[0,1] neg_hi:[0,1]
	v_mov_b32_e32 v38, v47
	v_mov_b32_e32 v46, v41
	;; [unrolled: 1-line block ×4, first 2 shown]
	v_pk_add_f32 v[38:39], v[38:39], v[46:47] neg_lo:[0,1] neg_hi:[0,1]
	v_mov_b32_e32 v44, v45
	v_mov_b32_e32 v45, v40
	v_pk_add_f32 v[38:39], v[44:45], v[38:39] neg_lo:[0,1] neg_hi:[0,1]
	v_mov_b32_e32 v52, v48
	v_pk_add_f32 v[40:41], v[52:53], v[38:39]
	v_mov_b32_e32 v44, v41
	v_pk_add_f32 v[44:45], v[40:41], v[44:45]
	v_pk_add_f32 v[42:43], v[42:43], v[44:45]
	v_mov_b32_e32 v41, v42
	v_pk_add_f32 v[46:47], v[40:41], v[48:49] neg_lo:[0,1] neg_hi:[0,1]
	v_mov_b32_e32 v39, v44
	v_sub_f32_e32 v40, v40, v46
	v_pk_add_f32 v[38:39], v[38:39], v[46:47] neg_lo:[0,1] neg_hi:[0,1]
	v_sub_f32_e32 v40, v48, v40
	s_mov_b32 s68, 0x7f800000
	v_add_f32_e32 v38, v38, v40
	s_mov_b32 s33, 0x33800000
	v_add_f32_e32 v38, v38, v39
	v_cmp_eq_f32_e64 s[58:59], s68, v54
	v_cmp_lt_f32_e64 s[68:69], |v54|, s33
	v_add_f32_e32 v38, v42, v38
	s_or_b64 s[58:59], s[58:59], s[68:69]
	v_cndmask_b32_e64 v38, v38, v54, s[58:59]
	v_add_f32_e32 v39, v37, v38
.LBB126_80:
	s_or_b64 exec, exec, s[60:61]
	v_mov_b32_e32 v38, v39
.LBB126_81:
	s_or_b64 exec, exec, s[66:67]
	v_add_u32_e32 v37, -1, v17
	v_and_b32_e32 v39, 64, v17
	v_cmp_lt_i32_e64 s[58:59], v37, v39
	v_cndmask_b32_e64 v17, v37, v17, s[58:59]
	v_lshlrev_b32_e32 v17, 2, v17
	ds_bpermute_b32 v17, v17, v38
	s_movk_i32 s33, 0x1f8
	s_waitcnt lgkmcnt(0)
	v_max_f32_e32 v37, v17, v17
	v_min_f32_e32 v38, v37, v36
	v_max_f32_e32 v37, v37, v36
	v_cmp_u_f32_e64 s[58:59], v17, v17
	v_cndmask_b32_e64 v36, v38, v17, s[58:59]
	v_cndmask_b32_e64 v37, v37, v17, s[58:59]
	;; [unrolled: 1-line block ×4, first 2 shown]
	v_cmp_neq_f32_e64 s[4:5], v36, v16
	v_cmp_class_f32_e64 s[58:59], v36, s33
	s_or_b64 s[4:5], s[4:5], s[58:59]
	s_and_saveexec_b64 s[58:59], s[4:5]
	s_cbranch_execz .LBB126_83
; %bb.82:
	v_sub_f32_e32 v17, v36, v16
	s_mov_b32 s4, 0x3fb8aa3b
	v_mul_f32_e32 v36, 0x3fb8aa3b, v17
	v_fma_f32 v37, v17, s4, -v36
	v_rndne_f32_e32 v38, v36
	v_fmac_f32_e32 v37, 0x32a5705f, v17
	v_sub_f32_e32 v36, v36, v38
	v_add_f32_e32 v36, v36, v37
	v_exp_f32_e32 v36, v36
	v_cvt_i32_f32_e32 v37, v38
	s_mov_b32 s4, 0xc2ce8ed0
	v_cmp_ngt_f32_e64 s[4:5], s4, v17
	s_mov_b32 s60, 0x7f800000
	v_ldexp_f32 v36, v36, v37
	v_cndmask_b32_e64 v36, 0, v36, s[4:5]
	s_mov_b32 s4, 0x42b17218
	v_mov_b32_e32 v37, 0x7f800000
	v_cmp_nlt_f32_e64 s[4:5], s4, v17
	v_cndmask_b32_e64 v52, v37, v36, s[4:5]
	v_add_f32_e32 v17, 1.0, v52
	v_add_f32_e32 v36, -1.0, v17
	v_sub_f32_e32 v37, v36, v17
	v_add_f32_e32 v37, 1.0, v37
	v_sub_f32_e32 v36, v52, v36
	v_add_f32_e32 v38, v36, v37
	v_frexp_mant_f32_e32 v39, v17
	s_mov_b32 s4, 0x3f2aaaab
	v_cvt_f64_f32_e32 v[36:37], v17
	v_frexp_exp_i32_f64_e32 v36, v[36:37]
	v_cmp_gt_f32_e64 s[4:5], s4, v39
	v_subbrev_co_u32_e64 v44, s[4:5], 0, v36, s[4:5]
	v_sub_u32_e32 v36, 0, v44
	v_ldexp_f32 v17, v17, v36
	v_ldexp_f32 v36, v38, v36
	v_add_f32_e32 v38, -1.0, v17
	v_add_f32_e32 v37, 1.0, v38
	v_sub_f32_e32 v37, v17, v37
	v_add_f32_e32 v39, v36, v37
	v_add_f32_e32 v37, 1.0, v17
	v_add_f32_e32 v40, -1.0, v37
	v_sub_f32_e32 v17, v17, v40
	v_add_f32_e32 v17, v36, v17
	v_add_f32_e32 v45, v37, v17
	v_rcp_f32_e32 v46, v45
	v_sub_f32_e32 v36, v37, v45
	v_add_f32_e32 v37, v38, v39
	v_add_f32_e32 v17, v17, v36
	v_mul_f32_e32 v48, v37, v46
	v_sub_f32_e32 v36, v38, v37
	v_mul_f32_e32 v38, v45, v48
	v_fma_f32 v40, v48, v45, -v38
	v_fmac_f32_e32 v40, v48, v17
	v_add_f32_e32 v47, v39, v36
	v_add_f32_e32 v36, v38, v40
	v_sub_f32_e32 v39, v37, v36
	v_pk_add_f32 v[42:43], v[36:37], v[38:39] neg_lo:[0,1] neg_hi:[0,1]
	v_mov_b32_e32 v41, v36
	v_pk_add_f32 v[36:37], v[42:43], v[40:41] neg_lo:[0,1] neg_hi:[0,1]
	v_add_f32_e32 v37, v47, v37
	v_add_f32_e32 v36, v36, v37
	;; [unrolled: 1-line block ×3, first 2 shown]
	v_mul_f32_e32 v47, v46, v37
	v_mul_f32_e32 v38, v45, v47
	v_fma_f32 v40, v47, v45, -v38
	v_fmac_f32_e32 v40, v47, v17
	v_sub_f32_e32 v17, v39, v37
	v_add_f32_e32 v17, v36, v17
	v_add_f32_e32 v36, v38, v40
	v_sub_f32_e32 v39, v37, v36
	v_pk_add_f32 v[42:43], v[36:37], v[38:39] neg_lo:[0,1] neg_hi:[0,1]
	v_mov_b32_e32 v41, v36
	v_pk_add_f32 v[36:37], v[42:43], v[40:41] neg_lo:[0,1] neg_hi:[0,1]
	v_add_f32_e32 v17, v17, v37
	v_add_f32_e32 v17, v36, v17
	v_add_f32_e32 v36, v48, v47
	v_add_f32_e32 v17, v39, v17
	v_sub_f32_e32 v37, v36, v48
	v_mul_f32_e32 v17, v46, v17
	v_sub_f32_e32 v37, v47, v37
	v_add_f32_e32 v17, v37, v17
	v_add_f32_e32 v39, v36, v17
	v_mul_f32_e32 v40, v39, v39
	v_mov_b32_e32 v38, 0x3ecc95a3
	v_fmac_f32_e32 v38, 0x3e9b6dac, v40
	v_mov_b32_e32 v37, 0x3f2aaada
	v_fmac_f32_e32 v37, v40, v38
	v_cvt_f32_i32_e32 v38, v44
	v_sub_f32_e32 v36, v39, v36
	v_sub_f32_e32 v17, v17, v36
	v_ldexp_f32 v41, v39, 1
	v_mul_f32_e32 v39, v39, v40
	v_mov_b32_e32 v36, 0x3f317218
	s_mov_b32 s4, 0x3f317218
	v_pk_mul_f32 v[36:37], v[38:39], v[36:37]
	v_fma_f32 v40, v38, s4, -v36
	v_fmac_f32_e32 v40, 0xb102e308, v38
	v_pk_add_f32 v[38:39], v[36:37], v[40:41]
	v_sub_f32_e32 v41, v39, v41
	v_ldexp_f32 v17, v17, 1
	v_sub_f32_e32 v41, v37, v41
	v_add_f32_e32 v43, v17, v41
	v_mov_b32_e32 v42, v36
	v_pk_add_f32 v[36:37], v[38:39], v[36:37] neg_lo:[0,1] neg_hi:[0,1]
	v_pk_add_f32 v[44:45], v[38:39], v[42:43]
	v_mov_b32_e32 v37, v45
	v_mov_b32_e32 v41, v38
	v_pk_add_f32 v[46:47], v[40:41], v[36:37] neg_lo:[0,1] neg_hi:[0,1]
	v_pk_add_f32 v[36:37], v[40:41], v[36:37]
	v_mov_b32_e32 v40, v37
	v_pk_add_f32 v[48:49], v[40:41], v[38:39] neg_lo:[0,1] neg_hi:[0,1]
	v_mov_b32_e32 v17, v48
	v_pk_add_f32 v[50:51], v[44:45], v[16:17] neg_lo:[0,1] neg_hi:[0,1]
	v_mov_b32_e32 v36, v45
	v_mov_b32_e32 v44, v39
	;; [unrolled: 1-line block ×4, first 2 shown]
	v_pk_add_f32 v[36:37], v[36:37], v[44:45] neg_lo:[0,1] neg_hi:[0,1]
	v_mov_b32_e32 v42, v43
	v_mov_b32_e32 v43, v38
	v_pk_add_f32 v[36:37], v[42:43], v[36:37] neg_lo:[0,1] neg_hi:[0,1]
	v_mov_b32_e32 v50, v46
	v_pk_add_f32 v[38:39], v[50:51], v[36:37]
	v_mov_b32_e32 v42, v39
	v_pk_add_f32 v[42:43], v[38:39], v[42:43]
	v_pk_add_f32 v[40:41], v[40:41], v[42:43]
	v_mov_b32_e32 v39, v40
	v_pk_add_f32 v[44:45], v[38:39], v[46:47] neg_lo:[0,1] neg_hi:[0,1]
	v_mov_b32_e32 v37, v42
	v_sub_f32_e32 v17, v38, v44
	v_pk_add_f32 v[36:37], v[36:37], v[44:45] neg_lo:[0,1] neg_hi:[0,1]
	v_sub_f32_e32 v17, v46, v17
	v_add_f32_e32 v17, v36, v17
	v_cmp_eq_f32_e64 s[4:5], s60, v52
	s_mov_b32 s60, 0x33800000
	v_add_f32_e32 v17, v17, v37
	v_cmp_lt_f32_e64 s[60:61], |v52|, s60
	v_add_f32_e32 v17, v40, v17
	s_or_b64 s[4:5], s[4:5], s[60:61]
	v_cndmask_b32_e64 v17, v17, v52, s[4:5]
	v_add_f32_e32 v17, v16, v17
.LBB126_83:
	s_or_b64 exec, exec, s[58:59]
	v_cmp_eq_u32_e64 s[4:5], 0, v0
	v_cndmask_b32_e64 v17, v17, v34, s[4:5]
	; wave barrier
	ds_write_b32 v35, v17
	; wave barrier
	ds_read_b32 v16, v35 offset:4
	v_max_f32_e32 v37, v17, v17
	v_cmp_u_f32_e64 s[4:5], v17, v17
	s_waitcnt lgkmcnt(0)
	v_max_f32_e32 v38, v16, v16
	v_min_f32_e32 v36, v37, v38
	v_max_f32_e32 v37, v37, v38
	v_cndmask_b32_e64 v36, v36, v17, s[4:5]
	v_cmp_u_f32_e64 s[58:59], v16, v16
	v_cndmask_b32_e64 v37, v37, v17, s[4:5]
	v_cndmask_b32_e64 v36, v36, v16, s[58:59]
	;; [unrolled: 1-line block ×3, first 2 shown]
	v_cmp_neq_f32_e64 s[4:5], v36, v16
	v_cmp_class_f32_e64 s[58:59], v36, s33
	s_or_b64 s[4:5], s[4:5], s[58:59]
	s_and_saveexec_b64 s[58:59], s[4:5]
	s_cbranch_execz .LBB126_85
; %bb.84:
	v_sub_f32_e32 v17, v36, v16
	s_mov_b32 s4, 0x3fb8aa3b
	v_mul_f32_e32 v36, 0x3fb8aa3b, v17
	v_fma_f32 v37, v17, s4, -v36
	v_rndne_f32_e32 v38, v36
	v_fmac_f32_e32 v37, 0x32a5705f, v17
	v_sub_f32_e32 v36, v36, v38
	v_add_f32_e32 v36, v36, v37
	v_exp_f32_e32 v36, v36
	v_cvt_i32_f32_e32 v37, v38
	s_mov_b32 s4, 0xc2ce8ed0
	v_cmp_ngt_f32_e64 s[4:5], s4, v17
	s_mov_b32 s33, 0x7f800000
	v_ldexp_f32 v36, v36, v37
	v_cndmask_b32_e64 v36, 0, v36, s[4:5]
	s_mov_b32 s4, 0x42b17218
	v_mov_b32_e32 v37, 0x7f800000
	v_cmp_nlt_f32_e64 s[4:5], s4, v17
	v_cndmask_b32_e64 v52, v37, v36, s[4:5]
	v_add_f32_e32 v17, 1.0, v52
	v_add_f32_e32 v36, -1.0, v17
	v_sub_f32_e32 v37, v36, v17
	v_add_f32_e32 v37, 1.0, v37
	v_sub_f32_e32 v36, v52, v36
	v_add_f32_e32 v38, v36, v37
	v_frexp_mant_f32_e32 v39, v17
	s_mov_b32 s4, 0x3f2aaaab
	v_cvt_f64_f32_e32 v[36:37], v17
	v_frexp_exp_i32_f64_e32 v36, v[36:37]
	v_cmp_gt_f32_e64 s[4:5], s4, v39
	v_subbrev_co_u32_e64 v44, s[4:5], 0, v36, s[4:5]
	v_sub_u32_e32 v36, 0, v44
	v_ldexp_f32 v17, v17, v36
	v_ldexp_f32 v36, v38, v36
	v_add_f32_e32 v38, -1.0, v17
	v_add_f32_e32 v37, 1.0, v38
	v_sub_f32_e32 v37, v17, v37
	v_add_f32_e32 v39, v36, v37
	v_add_f32_e32 v37, 1.0, v17
	v_add_f32_e32 v40, -1.0, v37
	v_sub_f32_e32 v17, v17, v40
	v_add_f32_e32 v17, v36, v17
	v_add_f32_e32 v45, v37, v17
	v_rcp_f32_e32 v46, v45
	v_sub_f32_e32 v36, v37, v45
	v_add_f32_e32 v37, v38, v39
	v_add_f32_e32 v17, v17, v36
	v_mul_f32_e32 v48, v37, v46
	v_sub_f32_e32 v36, v38, v37
	v_mul_f32_e32 v38, v45, v48
	v_fma_f32 v40, v48, v45, -v38
	v_fmac_f32_e32 v40, v48, v17
	v_add_f32_e32 v47, v39, v36
	v_add_f32_e32 v36, v38, v40
	v_sub_f32_e32 v39, v37, v36
	v_pk_add_f32 v[42:43], v[36:37], v[38:39] neg_lo:[0,1] neg_hi:[0,1]
	v_mov_b32_e32 v41, v36
	v_pk_add_f32 v[36:37], v[42:43], v[40:41] neg_lo:[0,1] neg_hi:[0,1]
	v_add_f32_e32 v37, v47, v37
	v_add_f32_e32 v36, v36, v37
	;; [unrolled: 1-line block ×3, first 2 shown]
	v_mul_f32_e32 v47, v46, v37
	v_mul_f32_e32 v38, v45, v47
	v_fma_f32 v40, v47, v45, -v38
	v_fmac_f32_e32 v40, v47, v17
	v_sub_f32_e32 v17, v39, v37
	v_add_f32_e32 v17, v36, v17
	v_add_f32_e32 v36, v38, v40
	v_sub_f32_e32 v39, v37, v36
	v_pk_add_f32 v[42:43], v[36:37], v[38:39] neg_lo:[0,1] neg_hi:[0,1]
	v_mov_b32_e32 v41, v36
	v_pk_add_f32 v[36:37], v[42:43], v[40:41] neg_lo:[0,1] neg_hi:[0,1]
	v_add_f32_e32 v17, v17, v37
	v_add_f32_e32 v17, v36, v17
	;; [unrolled: 1-line block ×4, first 2 shown]
	v_sub_f32_e32 v37, v36, v48
	v_mul_f32_e32 v17, v46, v17
	v_sub_f32_e32 v37, v47, v37
	v_add_f32_e32 v17, v37, v17
	v_add_f32_e32 v39, v36, v17
	v_mul_f32_e32 v40, v39, v39
	v_mov_b32_e32 v38, 0x3ecc95a3
	v_fmac_f32_e32 v38, 0x3e9b6dac, v40
	v_mov_b32_e32 v37, 0x3f2aaada
	v_fmac_f32_e32 v37, v40, v38
	v_cvt_f32_i32_e32 v38, v44
	v_sub_f32_e32 v36, v39, v36
	v_sub_f32_e32 v17, v17, v36
	v_ldexp_f32 v41, v39, 1
	v_mul_f32_e32 v39, v39, v40
	v_mov_b32_e32 v36, 0x3f317218
	s_mov_b32 s4, 0x3f317218
	v_pk_mul_f32 v[36:37], v[38:39], v[36:37]
	v_fma_f32 v40, v38, s4, -v36
	v_fmac_f32_e32 v40, 0xb102e308, v38
	v_pk_add_f32 v[38:39], v[36:37], v[40:41]
	v_sub_f32_e32 v41, v39, v41
	v_ldexp_f32 v17, v17, 1
	v_sub_f32_e32 v41, v37, v41
	v_add_f32_e32 v43, v17, v41
	v_mov_b32_e32 v42, v36
	v_pk_add_f32 v[36:37], v[38:39], v[36:37] neg_lo:[0,1] neg_hi:[0,1]
	v_pk_add_f32 v[44:45], v[38:39], v[42:43]
	v_mov_b32_e32 v37, v45
	v_mov_b32_e32 v41, v38
	v_pk_add_f32 v[46:47], v[40:41], v[36:37] neg_lo:[0,1] neg_hi:[0,1]
	v_pk_add_f32 v[36:37], v[40:41], v[36:37]
	v_mov_b32_e32 v40, v37
	v_pk_add_f32 v[48:49], v[40:41], v[38:39] neg_lo:[0,1] neg_hi:[0,1]
	v_mov_b32_e32 v17, v48
	v_pk_add_f32 v[50:51], v[44:45], v[16:17] neg_lo:[0,1] neg_hi:[0,1]
	v_mov_b32_e32 v36, v45
	v_mov_b32_e32 v44, v39
	v_mov_b32_e32 v45, v48
	v_mov_b32_e32 v47, v37
	v_pk_add_f32 v[36:37], v[36:37], v[44:45] neg_lo:[0,1] neg_hi:[0,1]
	v_mov_b32_e32 v42, v43
	v_mov_b32_e32 v43, v38
	v_pk_add_f32 v[36:37], v[42:43], v[36:37] neg_lo:[0,1] neg_hi:[0,1]
	v_mov_b32_e32 v50, v46
	v_pk_add_f32 v[38:39], v[50:51], v[36:37]
	v_mov_b32_e32 v42, v39
	v_pk_add_f32 v[42:43], v[38:39], v[42:43]
	v_pk_add_f32 v[40:41], v[40:41], v[42:43]
	v_mov_b32_e32 v39, v40
	v_pk_add_f32 v[44:45], v[38:39], v[46:47] neg_lo:[0,1] neg_hi:[0,1]
	v_mov_b32_e32 v37, v42
	v_sub_f32_e32 v17, v38, v44
	v_pk_add_f32 v[36:37], v[36:37], v[44:45] neg_lo:[0,1] neg_hi:[0,1]
	v_sub_f32_e32 v17, v46, v17
	v_add_f32_e32 v17, v36, v17
	v_cmp_eq_f32_e64 s[4:5], s33, v52
	s_mov_b32 s33, 0x33800000
	v_add_f32_e32 v17, v17, v37
	v_cmp_lt_f32_e64 s[60:61], |v52|, s33
	v_add_f32_e32 v17, v40, v17
	s_or_b64 s[4:5], s[4:5], s[60:61]
	v_cndmask_b32_e64 v17, v17, v52, s[4:5]
	v_add_f32_e32 v17, v16, v17
.LBB126_85:
	s_or_b64 exec, exec, s[58:59]
	ds_write_b32 v35, v17 offset:4
.LBB126_86:
	s_or_b64 exec, exec, s[64:65]
	v_mul_u32_u24_e32 v16, 52, v0
	v_cmp_ne_u32_e64 s[4:5], 0, v0
	s_waitcnt lgkmcnt(0)
	s_barrier
	s_and_saveexec_b64 s[58:59], s[4:5]
	s_cbranch_execz .LBB126_88
; %bb.87:
	v_add_u32_e32 v0, -1, v0
	v_lshrrev_b32_e32 v17, 5, v0
	v_add_lshl_u32 v0, v17, v0, 2
	ds_read_b32 v34, v0
.LBB126_88:
	s_or_b64 exec, exec, s[58:59]
	s_and_saveexec_b64 s[58:59], s[4:5]
	s_cbranch_execz .LBB126_92
; %bb.89:
	s_waitcnt lgkmcnt(0)
	v_max_f32_e32 v0, v34, v34
	v_min_f32_e32 v17, v0, v33
	v_cmp_u_f32_e64 s[4:5], v34, v34
	v_max_f32_e32 v0, v0, v33
	v_cndmask_b32_e64 v17, v17, v34, s[4:5]
	v_cndmask_b32_e64 v0, v0, v34, s[4:5]
	v_cndmask_b32_e64 v17, v17, v2, s[54:55]
	v_cndmask_b32_e64 v0, v0, v2, s[54:55]
	s_movk_i32 s33, 0x1f8
	v_cmp_neq_f32_e64 s[4:5], v17, v0
	v_cmp_class_f32_e64 s[54:55], v17, s33
	s_or_b64 s[4:5], s[4:5], s[54:55]
	s_and_saveexec_b64 s[54:55], s[4:5]
	s_cbranch_execz .LBB126_91
; %bb.90:
	v_sub_f32_e32 v2, v17, v0
	s_mov_b32 s4, 0x3fb8aa3b
	v_mul_f32_e32 v17, 0x3fb8aa3b, v2
	v_fma_f32 v31, v2, s4, -v17
	v_rndne_f32_e32 v32, v17
	v_fmac_f32_e32 v31, 0x32a5705f, v2
	v_sub_f32_e32 v17, v17, v32
	v_add_f32_e32 v17, v17, v31
	v_exp_f32_e32 v17, v17
	v_cvt_i32_f32_e32 v31, v32
	s_mov_b32 s4, 0xc2ce8ed0
	v_cmp_ngt_f32_e64 s[4:5], s4, v2
	s_mov_b32 s33, 0x7f800000
	v_ldexp_f32 v17, v17, v31
	v_cndmask_b32_e64 v17, 0, v17, s[4:5]
	s_mov_b32 s4, 0x42b17218
	v_mov_b32_e32 v31, 0x7f800000
	v_cmp_nlt_f32_e64 s[4:5], s4, v2
	v_cndmask_b32_e64 v31, v31, v17, s[4:5]
	v_add_f32_e32 v2, 1.0, v31
	v_add_f32_e32 v17, -1.0, v2
	v_sub_f32_e32 v32, v17, v2
	v_add_f32_e32 v32, 1.0, v32
	v_sub_f32_e32 v17, v31, v17
	v_add_f32_e32 v17, v17, v32
	v_frexp_mant_f32_e32 v34, v2
	s_mov_b32 s4, 0x3f2aaaab
	v_cvt_f64_f32_e32 v[32:33], v2
	v_frexp_exp_i32_f64_e32 v32, v[32:33]
	v_cmp_gt_f32_e64 s[4:5], s4, v34
	v_subbrev_co_u32_e64 v40, s[4:5], 0, v32, s[4:5]
	v_sub_u32_e32 v32, 0, v40
	v_ldexp_f32 v2, v2, v32
	v_ldexp_f32 v17, v17, v32
	v_add_f32_e32 v32, -1.0, v2
	v_add_f32_e32 v33, 1.0, v32
	v_sub_f32_e32 v33, v2, v33
	v_add_f32_e32 v34, v17, v33
	v_add_f32_e32 v33, 1.0, v2
	v_add_f32_e32 v35, -1.0, v33
	v_sub_f32_e32 v2, v2, v35
	v_add_f32_e32 v2, v17, v2
	v_add_f32_e32 v17, v33, v2
	v_rcp_f32_e32 v41, v17
	v_sub_f32_e32 v33, v33, v17
	v_add_f32_e32 v2, v2, v33
	v_add_f32_e32 v33, v32, v34
	v_sub_f32_e32 v32, v32, v33
	v_mul_f32_e32 v43, v33, v41
	v_add_f32_e32 v42, v34, v32
	v_mul_f32_e32 v34, v17, v43
	v_fma_f32 v36, v43, v17, -v34
	v_fmac_f32_e32 v36, v43, v2
	v_add_f32_e32 v32, v34, v36
	v_sub_f32_e32 v35, v33, v32
	v_pk_add_f32 v[38:39], v[32:33], v[34:35] neg_lo:[0,1] neg_hi:[0,1]
	v_mov_b32_e32 v37, v32
	v_pk_add_f32 v[32:33], v[38:39], v[36:37] neg_lo:[0,1] neg_hi:[0,1]
	v_add_f32_e32 v33, v42, v33
	v_add_f32_e32 v32, v32, v33
	;; [unrolled: 1-line block ×3, first 2 shown]
	v_mul_f32_e32 v42, v41, v33
	v_mul_f32_e32 v34, v17, v42
	v_fma_f32 v36, v42, v17, -v34
	v_fmac_f32_e32 v36, v42, v2
	v_sub_f32_e32 v2, v35, v33
	v_add_f32_e32 v2, v32, v2
	v_add_f32_e32 v32, v34, v36
	v_sub_f32_e32 v35, v33, v32
	v_pk_add_f32 v[38:39], v[32:33], v[34:35] neg_lo:[0,1] neg_hi:[0,1]
	v_mov_b32_e32 v37, v32
	v_pk_add_f32 v[32:33], v[38:39], v[36:37] neg_lo:[0,1] neg_hi:[0,1]
	v_add_f32_e32 v2, v2, v33
	v_add_f32_e32 v2, v32, v2
	;; [unrolled: 1-line block ×4, first 2 shown]
	v_sub_f32_e32 v32, v17, v43
	v_mul_f32_e32 v2, v41, v2
	v_sub_f32_e32 v32, v42, v32
	v_add_f32_e32 v2, v32, v2
	v_add_f32_e32 v32, v17, v2
	v_mul_f32_e32 v35, v32, v32
	v_mov_b32_e32 v34, 0x3ecc95a3
	v_fmac_f32_e32 v34, 0x3e9b6dac, v35
	v_mov_b32_e32 v33, 0x3f2aaada
	v_fmac_f32_e32 v33, v35, v34
	v_cvt_f32_i32_e32 v34, v40
	v_sub_f32_e32 v17, v32, v17
	v_ldexp_f32 v37, v32, 1
	v_mul_f32_e32 v35, v32, v35
	v_mov_b32_e32 v32, 0x3f317218
	s_mov_b32 s4, 0x3f317218
	v_pk_mul_f32 v[32:33], v[34:35], v[32:33]
	v_fma_f32 v36, v34, s4, -v32
	v_fmac_f32_e32 v36, 0xb102e308, v34
	v_pk_add_f32 v[34:35], v[32:33], v[36:37]
	v_sub_f32_e32 v2, v2, v17
	v_sub_f32_e32 v17, v35, v37
	v_ldexp_f32 v2, v2, 1
	v_sub_f32_e32 v17, v33, v17
	v_add_f32_e32 v39, v2, v17
	v_mov_b32_e32 v38, v32
	v_pk_add_f32 v[32:33], v[34:35], v[32:33] neg_lo:[0,1] neg_hi:[0,1]
	v_pk_add_f32 v[40:41], v[34:35], v[38:39]
	v_mov_b32_e32 v33, v41
	v_mov_b32_e32 v37, v34
	v_pk_add_f32 v[42:43], v[36:37], v[32:33] neg_lo:[0,1] neg_hi:[0,1]
	v_pk_add_f32 v[32:33], v[36:37], v[32:33]
	v_mov_b32_e32 v2, v33
	v_pk_add_f32 v[36:37], v[2:3], v[34:35] neg_lo:[0,1] neg_hi:[0,1]
	v_mov_b32_e32 v17, v36
	v_pk_add_f32 v[44:45], v[40:41], v[16:17] neg_lo:[0,1] neg_hi:[0,1]
	v_mov_b32_e32 v32, v41
	v_mov_b32_e32 v40, v35
	;; [unrolled: 1-line block ×4, first 2 shown]
	v_pk_add_f32 v[32:33], v[32:33], v[40:41] neg_lo:[0,1] neg_hi:[0,1]
	v_mov_b32_e32 v36, v39
	v_mov_b32_e32 v37, v34
	v_pk_add_f32 v[32:33], v[36:37], v[32:33] neg_lo:[0,1] neg_hi:[0,1]
	v_mov_b32_e32 v44, v42
	v_pk_add_f32 v[34:35], v[44:45], v[32:33]
	v_mov_b32_e32 v36, v35
	v_pk_add_f32 v[36:37], v[34:35], v[36:37]
	v_pk_add_f32 v[38:39], v[2:3], v[36:37]
	v_mov_b32_e32 v35, v38
	v_pk_add_f32 v[40:41], v[34:35], v[42:43] neg_lo:[0,1] neg_hi:[0,1]
	v_mov_b32_e32 v33, v36
	v_sub_f32_e32 v2, v34, v40
	v_pk_add_f32 v[32:33], v[32:33], v[40:41] neg_lo:[0,1] neg_hi:[0,1]
	v_sub_f32_e32 v2, v42, v2
	v_add_f32_e32 v2, v32, v2
	v_cmp_eq_f32_e64 s[4:5], s33, v31
	s_mov_b32 s33, 0x33800000
	v_add_f32_e32 v2, v2, v33
	v_cmp_lt_f32_e64 s[60:61], |v31|, s33
	v_add_f32_e32 v2, v38, v2
	s_or_b64 s[4:5], s[4:5], s[60:61]
	v_cndmask_b32_e64 v2, v2, v31, s[4:5]
	v_add_f32_e32 v34, v0, v2
.LBB126_91:
	s_or_b64 exec, exec, s[54:55]
	v_max_f32_e32 v0, v34, v34
	v_min_f32_e32 v31, v0, v24
	v_max_f32_e32 v32, v0, v24
	v_mov_b32_e32 v2, v34
	;;#ASMSTART
	;;#ASMEND
.LBB126_92:
	s_or_b64 exec, exec, s[58:59]
	v_cmp_u_f32_e64 s[4:5], v2, v2
	v_cndmask_b32_e64 v0, v31, v2, s[4:5]
	v_cndmask_b32_e64 v17, v0, v3, s[26:27]
	;; [unrolled: 1-line block ×4, first 2 shown]
	s_movk_i32 s33, 0x1f8
	v_cmp_neq_f32_e64 s[4:5], v17, v0
	v_cmp_class_f32_e64 s[26:27], v17, s33
	s_or_b64 s[4:5], s[4:5], s[26:27]
	v_mov_b32_e32 v3, v2
	s_and_saveexec_b64 s[26:27], s[4:5]
	s_cbranch_execz .LBB126_94
; %bb.93:
	v_sub_f32_e32 v3, v17, v0
	s_mov_b32 s4, 0x3fb8aa3b
	v_mul_f32_e32 v17, 0x3fb8aa3b, v3
	v_fma_f32 v24, v3, s4, -v17
	v_rndne_f32_e32 v31, v17
	v_fmac_f32_e32 v24, 0x32a5705f, v3
	v_sub_f32_e32 v17, v17, v31
	v_add_f32_e32 v17, v17, v24
	v_exp_f32_e32 v17, v17
	v_cvt_i32_f32_e32 v24, v31
	s_mov_b32 s4, 0xc2ce8ed0
	v_cmp_ngt_f32_e64 s[4:5], s4, v3
	s_mov_b32 s54, 0x7f800000
	v_ldexp_f32 v17, v17, v24
	v_cndmask_b32_e64 v17, 0, v17, s[4:5]
	s_mov_b32 s4, 0x42b17218
	v_mov_b32_e32 v24, 0x7f800000
	v_cmp_nlt_f32_e64 s[4:5], s4, v3
	v_cndmask_b32_e64 v17, v24, v17, s[4:5]
	v_add_f32_e32 v3, 1.0, v17
	v_add_f32_e32 v24, -1.0, v3
	v_sub_f32_e32 v31, v24, v3
	v_add_f32_e32 v31, 1.0, v31
	v_sub_f32_e32 v24, v17, v24
	v_add_f32_e32 v24, v24, v31
	v_frexp_mant_f32_e32 v31, v3
	s_mov_b32 s4, 0x3f2aaaab
	v_cvt_f64_f32_e32 v[32:33], v3
	v_frexp_exp_i32_f64_e32 v32, v[32:33]
	v_cmp_gt_f32_e64 s[4:5], s4, v31
	v_subbrev_co_u32_e64 v31, s[4:5], 0, v32, s[4:5]
	v_sub_u32_e32 v32, 0, v31
	v_ldexp_f32 v3, v3, v32
	v_ldexp_f32 v24, v24, v32
	v_add_f32_e32 v32, -1.0, v3
	v_add_f32_e32 v33, 1.0, v32
	v_sub_f32_e32 v33, v3, v33
	s_waitcnt lgkmcnt(0)
	v_add_f32_e32 v34, v24, v33
	v_add_f32_e32 v33, 1.0, v3
	v_add_f32_e32 v35, -1.0, v33
	v_sub_f32_e32 v3, v3, v35
	v_add_f32_e32 v3, v24, v3
	v_add_f32_e32 v24, v33, v3
	v_rcp_f32_e32 v40, v24
	v_sub_f32_e32 v33, v33, v24
	v_add_f32_e32 v3, v3, v33
	v_add_f32_e32 v33, v32, v34
	v_sub_f32_e32 v32, v32, v33
	v_mul_f32_e32 v42, v33, v40
	v_add_f32_e32 v41, v34, v32
	v_mul_f32_e32 v34, v24, v42
	v_fma_f32 v36, v42, v24, -v34
	v_fmac_f32_e32 v36, v42, v3
	v_add_f32_e32 v32, v34, v36
	v_sub_f32_e32 v35, v33, v32
	v_pk_add_f32 v[38:39], v[32:33], v[34:35] neg_lo:[0,1] neg_hi:[0,1]
	v_mov_b32_e32 v37, v32
	v_pk_add_f32 v[32:33], v[38:39], v[36:37] neg_lo:[0,1] neg_hi:[0,1]
	v_add_f32_e32 v33, v41, v33
	v_add_f32_e32 v32, v32, v33
	;; [unrolled: 1-line block ×3, first 2 shown]
	v_mul_f32_e32 v41, v40, v33
	v_mul_f32_e32 v34, v24, v41
	v_fma_f32 v36, v41, v24, -v34
	v_fmac_f32_e32 v36, v41, v3
	v_sub_f32_e32 v3, v35, v33
	v_add_f32_e32 v3, v32, v3
	v_add_f32_e32 v32, v34, v36
	v_sub_f32_e32 v35, v33, v32
	v_pk_add_f32 v[38:39], v[32:33], v[34:35] neg_lo:[0,1] neg_hi:[0,1]
	v_mov_b32_e32 v37, v32
	v_pk_add_f32 v[32:33], v[38:39], v[36:37] neg_lo:[0,1] neg_hi:[0,1]
	v_add_f32_e32 v3, v3, v33
	v_add_f32_e32 v3, v32, v3
	;; [unrolled: 1-line block ×4, first 2 shown]
	v_sub_f32_e32 v32, v24, v42
	v_mul_f32_e32 v3, v40, v3
	v_sub_f32_e32 v32, v41, v32
	v_add_f32_e32 v3, v32, v3
	v_add_f32_e32 v32, v24, v3
	v_mul_f32_e32 v35, v32, v32
	v_mov_b32_e32 v34, 0x3ecc95a3
	v_fmac_f32_e32 v34, 0x3e9b6dac, v35
	v_mov_b32_e32 v33, 0x3f2aaada
	v_fmac_f32_e32 v33, v35, v34
	v_cvt_f32_i32_e32 v34, v31
	v_sub_f32_e32 v24, v32, v24
	v_ldexp_f32 v37, v32, 1
	v_mul_f32_e32 v35, v32, v35
	v_mov_b32_e32 v32, 0x3f317218
	s_mov_b32 s4, 0x3f317218
	v_pk_mul_f32 v[32:33], v[34:35], v[32:33]
	v_fma_f32 v36, v34, s4, -v32
	v_fmac_f32_e32 v36, 0xb102e308, v34
	v_pk_add_f32 v[34:35], v[32:33], v[36:37]
	v_sub_f32_e32 v3, v3, v24
	v_sub_f32_e32 v24, v35, v37
	v_ldexp_f32 v3, v3, 1
	v_sub_f32_e32 v24, v33, v24
	v_add_f32_e32 v39, v3, v24
	v_mov_b32_e32 v38, v32
	v_pk_add_f32 v[32:33], v[34:35], v[32:33] neg_lo:[0,1] neg_hi:[0,1]
	v_pk_add_f32 v[40:41], v[34:35], v[38:39]
	v_mov_b32_e32 v33, v41
	v_mov_b32_e32 v37, v34
	v_pk_add_f32 v[42:43], v[36:37], v[32:33] neg_lo:[0,1] neg_hi:[0,1]
	v_pk_add_f32 v[32:33], v[36:37], v[32:33]
	v_mov_b32_e32 v24, v33
	v_pk_add_f32 v[36:37], v[24:25], v[34:35] neg_lo:[0,1] neg_hi:[0,1]
	v_mov_b32_e32 v3, v36
	v_pk_add_f32 v[44:45], v[40:41], v[2:3] neg_lo:[0,1] neg_hi:[0,1]
	v_mov_b32_e32 v32, v41
	v_mov_b32_e32 v40, v35
	;; [unrolled: 1-line block ×4, first 2 shown]
	v_pk_add_f32 v[32:33], v[32:33], v[40:41] neg_lo:[0,1] neg_hi:[0,1]
	v_mov_b32_e32 v36, v39
	v_mov_b32_e32 v37, v34
	v_pk_add_f32 v[32:33], v[36:37], v[32:33] neg_lo:[0,1] neg_hi:[0,1]
	v_mov_b32_e32 v44, v42
	v_pk_add_f32 v[34:35], v[44:45], v[32:33]
	v_mov_b32_e32 v36, v35
	v_pk_add_f32 v[36:37], v[34:35], v[36:37]
	v_pk_add_f32 v[38:39], v[24:25], v[36:37]
	v_mov_b32_e32 v35, v38
	v_pk_add_f32 v[40:41], v[34:35], v[42:43] neg_lo:[0,1] neg_hi:[0,1]
	v_mov_b32_e32 v33, v36
	v_sub_f32_e32 v3, v34, v40
	v_pk_add_f32 v[32:33], v[32:33], v[40:41] neg_lo:[0,1] neg_hi:[0,1]
	v_sub_f32_e32 v3, v42, v3
	v_add_f32_e32 v3, v32, v3
	v_cmp_eq_f32_e64 s[4:5], s54, v17
	s_mov_b32 s54, 0x33800000
	v_add_f32_e32 v3, v3, v33
	v_cmp_lt_f32_e64 s[54:55], |v17|, s54
	v_add_f32_e32 v3, v38, v3
	s_or_b64 s[4:5], s[4:5], s[54:55]
	v_cndmask_b32_e64 v3, v3, v17, s[4:5]
	v_add_f32_e32 v3, v0, v3
.LBB126_94:
	s_or_b64 exec, exec, s[26:27]
	v_max_f32_e32 v0, v3, v3
	v_min_f32_e32 v17, v0, v1
	v_cmp_u_f32_e64 s[4:5], v3, v3
	v_max_f32_e32 v0, v0, v1
	v_cndmask_b32_e64 v17, v17, v3, s[4:5]
	v_cndmask_b32_e64 v0, v0, v3, s[4:5]
	v_cndmask_b32_e64 v17, v17, v4, s[28:29]
	v_cndmask_b32_e64 v1, v0, v4, s[28:29]
	v_cmp_neq_f32_e64 s[4:5], v17, v1
	v_cmp_class_f32_e64 s[26:27], v17, s33
	s_or_b64 s[4:5], s[4:5], s[26:27]
	v_mov_b32_e32 v0, v3
	s_and_saveexec_b64 s[26:27], s[4:5]
	s_cbranch_execz .LBB126_96
; %bb.95:
	v_sub_f32_e32 v0, v17, v1
	s_mov_b32 s4, 0x3fb8aa3b
	v_mul_f32_e32 v4, 0x3fb8aa3b, v0
	v_fma_f32 v17, v0, s4, -v4
	v_rndne_f32_e32 v24, v4
	v_fmac_f32_e32 v17, 0x32a5705f, v0
	v_sub_f32_e32 v4, v4, v24
	v_add_f32_e32 v4, v4, v17
	v_exp_f32_e32 v4, v4
	v_cvt_i32_f32_e32 v17, v24
	s_mov_b32 s4, 0xc2ce8ed0
	v_cmp_ngt_f32_e64 s[4:5], s4, v0
	s_mov_b32 s28, 0x7f800000
	v_ldexp_f32 v4, v4, v17
	v_cndmask_b32_e64 v4, 0, v4, s[4:5]
	s_mov_b32 s4, 0x42b17218
	v_mov_b32_e32 v17, 0x7f800000
	v_cmp_nlt_f32_e64 s[4:5], s4, v0
	v_cndmask_b32_e64 v24, v17, v4, s[4:5]
	v_add_f32_e32 v0, 1.0, v24
	v_add_f32_e32 v4, -1.0, v0
	v_sub_f32_e32 v17, v4, v0
	v_add_f32_e32 v17, 1.0, v17
	v_sub_f32_e32 v4, v24, v4
	v_add_f32_e32 v4, v4, v17
	v_frexp_mant_f32_e32 v17, v0
	s_mov_b32 s4, 0x3f2aaaab
	v_cvt_f64_f32_e32 v[32:33], v0
	v_frexp_exp_i32_f64_e32 v31, v[32:33]
	v_cmp_gt_f32_e64 s[4:5], s4, v17
	v_subbrev_co_u32_e64 v17, s[4:5], 0, v31, s[4:5]
	v_sub_u32_e32 v31, 0, v17
	v_ldexp_f32 v0, v0, v31
	v_ldexp_f32 v4, v4, v31
	v_add_f32_e32 v31, -1.0, v0
	v_add_f32_e32 v33, 1.0, v0
	v_add_f32_e32 v32, 1.0, v31
	s_waitcnt lgkmcnt(0)
	v_add_f32_e32 v34, -1.0, v33
	v_sub_f32_e32 v32, v0, v32
	v_sub_f32_e32 v0, v0, v34
	v_add_f32_e32 v0, v4, v0
	v_add_f32_e32 v32, v4, v32
	;; [unrolled: 1-line block ×3, first 2 shown]
	v_rcp_f32_e32 v40, v4
	v_sub_f32_e32 v33, v33, v4
	v_add_f32_e32 v0, v0, v33
	v_add_f32_e32 v33, v31, v32
	v_mul_f32_e32 v41, v33, v40
	v_mul_f32_e32 v34, v4, v41
	v_fma_f32 v36, v41, v4, -v34
	v_sub_f32_e32 v31, v31, v33
	v_fmac_f32_e32 v36, v41, v0
	v_add_f32_e32 v31, v32, v31
	v_add_f32_e32 v32, v34, v36
	v_sub_f32_e32 v35, v33, v32
	v_pk_add_f32 v[38:39], v[32:33], v[34:35] neg_lo:[0,1] neg_hi:[0,1]
	v_mov_b32_e32 v37, v32
	v_pk_add_f32 v[32:33], v[38:39], v[36:37] neg_lo:[0,1] neg_hi:[0,1]
	v_add_f32_e32 v31, v31, v33
	v_add_f32_e32 v31, v32, v31
	v_add_f32_e32 v33, v35, v31
	v_mul_f32_e32 v42, v40, v33
	v_mul_f32_e32 v34, v4, v42
	v_fma_f32 v36, v42, v4, -v34
	v_fmac_f32_e32 v36, v42, v0
	v_add_f32_e32 v32, v34, v36
	v_sub_f32_e32 v0, v35, v33
	v_sub_f32_e32 v35, v33, v32
	v_pk_add_f32 v[38:39], v[32:33], v[34:35] neg_lo:[0,1] neg_hi:[0,1]
	v_mov_b32_e32 v37, v32
	v_add_f32_e32 v0, v31, v0
	v_pk_add_f32 v[32:33], v[38:39], v[36:37] neg_lo:[0,1] neg_hi:[0,1]
	v_add_f32_e32 v0, v0, v33
	v_add_f32_e32 v0, v32, v0
	v_add_f32_e32 v4, v41, v42
	v_add_f32_e32 v0, v35, v0
	v_sub_f32_e32 v31, v4, v41
	v_mul_f32_e32 v0, v40, v0
	v_sub_f32_e32 v31, v42, v31
	v_add_f32_e32 v0, v31, v0
	v_add_f32_e32 v31, v4, v0
	v_mul_f32_e32 v32, v31, v31
	v_mov_b32_e32 v34, 0x3ecc95a3
	v_fmac_f32_e32 v34, 0x3e9b6dac, v32
	v_mov_b32_e32 v33, 0x3f2aaada
	v_fmac_f32_e32 v33, v32, v34
	v_cvt_f32_i32_e32 v34, v17
	v_mul_f32_e32 v35, v31, v32
	v_mov_b32_e32 v32, 0x3f317218
	s_mov_b32 s4, 0x3f317218
	v_pk_mul_f32 v[32:33], v[34:35], v[32:33]
	v_fma_f32 v36, v34, s4, -v32
	v_ldexp_f32 v37, v31, 1
	v_fmac_f32_e32 v36, 0xb102e308, v34
	v_sub_f32_e32 v4, v31, v4
	v_pk_add_f32 v[34:35], v[32:33], v[36:37]
	v_sub_f32_e32 v0, v0, v4
	v_sub_f32_e32 v4, v35, v37
	v_ldexp_f32 v0, v0, 1
	v_sub_f32_e32 v4, v33, v4
	v_add_f32_e32 v39, v0, v4
	v_mov_b32_e32 v38, v32
	v_pk_add_f32 v[32:33], v[34:35], v[32:33] neg_lo:[0,1] neg_hi:[0,1]
	v_pk_add_f32 v[40:41], v[34:35], v[38:39]
	v_mov_b32_e32 v33, v41
	v_mov_b32_e32 v37, v34
	v_pk_add_f32 v[42:43], v[36:37], v[32:33] neg_lo:[0,1] neg_hi:[0,1]
	v_pk_add_f32 v[32:33], v[36:37], v[32:33]
	v_mov_b32_e32 v0, v33
	v_pk_add_f32 v[36:37], v[0:1], v[34:35] neg_lo:[0,1] neg_hi:[0,1]
	v_mov_b32_e32 v17, v36
	v_pk_add_f32 v[44:45], v[40:41], v[16:17] neg_lo:[0,1] neg_hi:[0,1]
	v_mov_b32_e32 v32, v41
	v_mov_b32_e32 v40, v35
	;; [unrolled: 1-line block ×4, first 2 shown]
	v_pk_add_f32 v[32:33], v[32:33], v[40:41] neg_lo:[0,1] neg_hi:[0,1]
	v_mov_b32_e32 v36, v39
	v_mov_b32_e32 v37, v34
	v_pk_add_f32 v[32:33], v[36:37], v[32:33] neg_lo:[0,1] neg_hi:[0,1]
	v_mov_b32_e32 v44, v42
	v_pk_add_f32 v[34:35], v[44:45], v[32:33]
	v_mov_b32_e32 v4, v35
	v_pk_add_f32 v[36:37], v[34:35], v[4:5]
	v_pk_add_f32 v[38:39], v[0:1], v[36:37]
	v_mov_b32_e32 v35, v38
	v_pk_add_f32 v[40:41], v[34:35], v[42:43] neg_lo:[0,1] neg_hi:[0,1]
	v_mov_b32_e32 v33, v36
	v_sub_f32_e32 v0, v34, v40
	v_pk_add_f32 v[32:33], v[32:33], v[40:41] neg_lo:[0,1] neg_hi:[0,1]
	v_sub_f32_e32 v0, v42, v0
	v_add_f32_e32 v0, v32, v0
	v_cmp_eq_f32_e64 s[4:5], s28, v24
	s_mov_b32 s28, 0x33800000
	v_add_f32_e32 v0, v0, v33
	v_cmp_lt_f32_e64 s[28:29], |v24|, s28
	v_add_f32_e32 v0, v38, v0
	s_or_b64 s[4:5], s[4:5], s[28:29]
	v_cndmask_b32_e64 v0, v0, v24, s[4:5]
	v_add_f32_e32 v0, v1, v0
.LBB126_96:
	s_or_b64 exec, exec, s[26:27]
	v_max_f32_e32 v1, v0, v0
	v_min_f32_e32 v4, v1, v19
	v_cmp_u_f32_e64 s[4:5], v0, v0
	v_max_f32_e32 v1, v1, v19
	v_cndmask_b32_e64 v4, v4, v0, s[4:5]
	v_cndmask_b32_e64 v1, v1, v0, s[4:5]
	;; [unrolled: 1-line block ×4, first 2 shown]
	s_movk_i32 s28, 0x1f8
	v_cmp_neq_f32_e64 s[4:5], v17, v4
	v_cmp_class_f32_e64 s[26:27], v17, s28
	s_or_b64 s[4:5], s[4:5], s[26:27]
	v_mov_b32_e32 v1, v0
	s_and_saveexec_b64 s[26:27], s[4:5]
	s_cbranch_execz .LBB126_98
; %bb.97:
	v_sub_f32_e32 v1, v17, v4
	s_mov_b32 s4, 0x3fb8aa3b
	v_mul_f32_e32 v5, 0x3fb8aa3b, v1
	v_fma_f32 v17, v1, s4, -v5
	v_rndne_f32_e32 v19, v5
	v_fmac_f32_e32 v17, 0x32a5705f, v1
	v_sub_f32_e32 v5, v5, v19
	v_add_f32_e32 v5, v5, v17
	v_exp_f32_e32 v5, v5
	v_cvt_i32_f32_e32 v17, v19
	s_mov_b32 s4, 0xc2ce8ed0
	v_cmp_ngt_f32_e64 s[4:5], s4, v1
	s_mov_b32 s29, 0x7f800000
	v_ldexp_f32 v5, v5, v17
	v_cndmask_b32_e64 v5, 0, v5, s[4:5]
	s_mov_b32 s4, 0x42b17218
	v_mov_b32_e32 v17, 0x7f800000
	v_cmp_nlt_f32_e64 s[4:5], s4, v1
	v_cndmask_b32_e64 v5, v17, v5, s[4:5]
	v_add_f32_e32 v1, 1.0, v5
	v_add_f32_e32 v17, -1.0, v1
	v_sub_f32_e32 v19, v17, v1
	v_add_f32_e32 v19, 1.0, v19
	v_sub_f32_e32 v17, v5, v17
	v_add_f32_e32 v17, v17, v19
	v_frexp_mant_f32_e32 v19, v1
	s_mov_b32 s4, 0x3f2aaaab
	v_cvt_f64_f32_e32 v[32:33], v1
	v_frexp_exp_i32_f64_e32 v24, v[32:33]
	v_cmp_gt_f32_e64 s[4:5], s4, v19
	v_subbrev_co_u32_e64 v19, s[4:5], 0, v24, s[4:5]
	v_sub_u32_e32 v24, 0, v19
	v_ldexp_f32 v1, v1, v24
	v_ldexp_f32 v17, v17, v24
	v_add_f32_e32 v24, -1.0, v1
	v_add_f32_e32 v32, 1.0, v1
	v_add_f32_e32 v31, 1.0, v24
	v_add_f32_e32 v33, -1.0, v32
	v_sub_f32_e32 v31, v1, v31
	v_sub_f32_e32 v1, v1, v33
	v_add_f32_e32 v1, v17, v1
	v_add_f32_e32 v31, v17, v31
	;; [unrolled: 1-line block ×3, first 2 shown]
	v_rcp_f32_e32 v40, v17
	v_add_f32_e32 v33, v24, v31
	v_sub_f32_e32 v24, v24, v33
	v_add_f32_e32 v24, v31, v24
	v_mul_f32_e32 v31, v33, v40
	v_sub_f32_e32 v32, v32, v17
	s_waitcnt lgkmcnt(0)
	v_mul_f32_e32 v34, v17, v31
	v_add_f32_e32 v1, v1, v32
	v_fma_f32 v36, v31, v17, -v34
	v_fmac_f32_e32 v36, v31, v1
	v_add_f32_e32 v32, v34, v36
	v_sub_f32_e32 v35, v33, v32
	v_pk_add_f32 v[38:39], v[32:33], v[34:35] neg_lo:[0,1] neg_hi:[0,1]
	v_mov_b32_e32 v37, v32
	v_pk_add_f32 v[32:33], v[38:39], v[36:37] neg_lo:[0,1] neg_hi:[0,1]
	v_add_f32_e32 v24, v24, v33
	v_add_f32_e32 v24, v32, v24
	;; [unrolled: 1-line block ×3, first 2 shown]
	v_mul_f32_e32 v41, v40, v33
	v_mul_f32_e32 v34, v17, v41
	v_fma_f32 v36, v41, v17, -v34
	v_fmac_f32_e32 v36, v41, v1
	v_add_f32_e32 v32, v34, v36
	v_sub_f32_e32 v1, v35, v33
	v_sub_f32_e32 v35, v33, v32
	v_pk_add_f32 v[38:39], v[32:33], v[34:35] neg_lo:[0,1] neg_hi:[0,1]
	v_mov_b32_e32 v37, v32
	v_add_f32_e32 v1, v24, v1
	v_pk_add_f32 v[32:33], v[38:39], v[36:37] neg_lo:[0,1] neg_hi:[0,1]
	v_add_f32_e32 v1, v1, v33
	v_add_f32_e32 v1, v32, v1
	;; [unrolled: 1-line block ×4, first 2 shown]
	v_sub_f32_e32 v24, v17, v31
	v_mul_f32_e32 v1, v40, v1
	v_sub_f32_e32 v24, v41, v24
	v_add_f32_e32 v1, v24, v1
	v_add_f32_e32 v24, v17, v1
	v_cvt_f32_i32_e32 v34, v19
	v_mul_f32_e32 v31, v24, v24
	v_mov_b32_e32 v32, 0x3ecc95a3
	v_fmac_f32_e32 v32, 0x3e9b6dac, v31
	v_mov_b32_e32 v33, 0x3f2aaada
	v_fmac_f32_e32 v33, v31, v32
	v_mul_f32_e32 v35, v24, v31
	v_mov_b32_e32 v32, 0x3f317218
	s_mov_b32 s4, 0x3f317218
	v_pk_mul_f32 v[32:33], v[34:35], v[32:33]
	v_fma_f32 v36, v34, s4, -v32
	v_ldexp_f32 v37, v24, 1
	v_fmac_f32_e32 v36, 0xb102e308, v34
	v_sub_f32_e32 v17, v24, v17
	v_pk_add_f32 v[34:35], v[32:33], v[36:37]
	v_sub_f32_e32 v1, v1, v17
	v_sub_f32_e32 v17, v35, v37
	v_ldexp_f32 v1, v1, 1
	v_sub_f32_e32 v17, v33, v17
	v_add_f32_e32 v39, v1, v17
	v_mov_b32_e32 v38, v32
	v_pk_add_f32 v[32:33], v[34:35], v[32:33] neg_lo:[0,1] neg_hi:[0,1]
	v_pk_add_f32 v[40:41], v[34:35], v[38:39]
	v_mov_b32_e32 v33, v41
	v_mov_b32_e32 v37, v34
	v_pk_add_f32 v[42:43], v[36:37], v[32:33] neg_lo:[0,1] neg_hi:[0,1]
	v_pk_add_f32 v[32:33], v[36:37], v[32:33]
	v_mov_b32_e32 v24, v33
	v_pk_add_f32 v[36:37], v[24:25], v[34:35] neg_lo:[0,1] neg_hi:[0,1]
	v_mov_b32_e32 v1, v36
	v_pk_add_f32 v[44:45], v[40:41], v[0:1] neg_lo:[0,1] neg_hi:[0,1]
	v_mov_b32_e32 v32, v41
	v_mov_b32_e32 v40, v35
	;; [unrolled: 1-line block ×4, first 2 shown]
	v_pk_add_f32 v[32:33], v[32:33], v[40:41] neg_lo:[0,1] neg_hi:[0,1]
	v_mov_b32_e32 v36, v39
	v_mov_b32_e32 v37, v34
	v_pk_add_f32 v[32:33], v[36:37], v[32:33] neg_lo:[0,1] neg_hi:[0,1]
	v_mov_b32_e32 v44, v42
	v_pk_add_f32 v[34:35], v[44:45], v[32:33]
	v_mov_b32_e32 v36, v35
	v_pk_add_f32 v[36:37], v[34:35], v[36:37]
	v_pk_add_f32 v[38:39], v[24:25], v[36:37]
	v_mov_b32_e32 v35, v38
	v_pk_add_f32 v[40:41], v[34:35], v[42:43] neg_lo:[0,1] neg_hi:[0,1]
	v_mov_b32_e32 v33, v36
	v_sub_f32_e32 v1, v34, v40
	v_pk_add_f32 v[32:33], v[32:33], v[40:41] neg_lo:[0,1] neg_hi:[0,1]
	v_sub_f32_e32 v1, v42, v1
	v_add_f32_e32 v1, v32, v1
	v_cmp_eq_f32_e64 s[4:5], s29, v5
	s_mov_b32 s29, 0x33800000
	v_add_f32_e32 v1, v1, v33
	v_cmp_lt_f32_e64 s[30:31], |v5|, s29
	v_add_f32_e32 v1, v38, v1
	s_or_b64 s[4:5], s[4:5], s[30:31]
	v_cndmask_b32_e64 v1, v1, v5, s[4:5]
	v_add_f32_e32 v1, v4, v1
.LBB126_98:
	s_or_b64 exec, exec, s[26:27]
	v_max_f32_e32 v4, v1, v1
	v_min_f32_e32 v5, v4, v20
	v_cmp_u_f32_e64 s[4:5], v1, v1
	v_max_f32_e32 v4, v4, v20
	v_cndmask_b32_e64 v5, v5, v1, s[4:5]
	v_cndmask_b32_e64 v4, v4, v1, s[4:5]
	;; [unrolled: 1-line block ×4, first 2 shown]
	v_cmp_neq_f32_e64 s[4:5], v17, v5
	v_cmp_class_f32_e64 s[26:27], v17, s28
	s_or_b64 s[4:5], s[4:5], s[26:27]
	v_mov_b32_e32 v4, v1
	s_and_saveexec_b64 s[26:27], s[4:5]
	s_cbranch_execz .LBB126_100
; %bb.99:
	v_sub_f32_e32 v4, v17, v5
	s_mov_b32 s4, 0x3fb8aa3b
	v_mul_f32_e32 v10, 0x3fb8aa3b, v4
	v_fma_f32 v17, v4, s4, -v10
	v_rndne_f32_e32 v19, v10
	v_fmac_f32_e32 v17, 0x32a5705f, v4
	v_sub_f32_e32 v10, v10, v19
	v_add_f32_e32 v10, v10, v17
	v_exp_f32_e32 v10, v10
	v_cvt_i32_f32_e32 v17, v19
	s_mov_b32 s4, 0xc2ce8ed0
	v_cmp_ngt_f32_e64 s[4:5], s4, v4
	s_mov_b32 s28, 0x7f800000
	v_ldexp_f32 v10, v10, v17
	v_cndmask_b32_e64 v10, 0, v10, s[4:5]
	s_mov_b32 s4, 0x42b17218
	v_mov_b32_e32 v17, 0x7f800000
	v_cmp_nlt_f32_e64 s[4:5], s4, v4
	v_cndmask_b32_e64 v19, v17, v10, s[4:5]
	v_add_f32_e32 v4, 1.0, v19
	v_add_f32_e32 v10, -1.0, v4
	v_sub_f32_e32 v17, v10, v4
	v_add_f32_e32 v17, 1.0, v17
	v_sub_f32_e32 v10, v19, v10
	v_add_f32_e32 v10, v10, v17
	v_frexp_mant_f32_e32 v17, v4
	s_mov_b32 s4, 0x3f2aaaab
	v_cvt_f64_f32_e32 v[32:33], v4
	v_frexp_exp_i32_f64_e32 v20, v[32:33]
	v_cmp_gt_f32_e64 s[4:5], s4, v17
	v_subbrev_co_u32_e64 v17, s[4:5], 0, v20, s[4:5]
	v_sub_u32_e32 v20, 0, v17
	v_ldexp_f32 v4, v4, v20
	v_ldexp_f32 v10, v10, v20
	v_add_f32_e32 v20, -1.0, v4
	v_add_f32_e32 v31, 1.0, v4
	v_add_f32_e32 v24, 1.0, v20
	v_add_f32_e32 v32, -1.0, v31
	v_sub_f32_e32 v24, v4, v24
	v_sub_f32_e32 v4, v4, v32
	v_add_f32_e32 v4, v10, v4
	v_add_f32_e32 v24, v10, v24
	;; [unrolled: 1-line block ×3, first 2 shown]
	v_sub_f32_e32 v31, v31, v10
	v_add_f32_e32 v4, v4, v31
	v_rcp_f32_e32 v31, v10
	v_add_f32_e32 v33, v20, v24
	v_sub_f32_e32 v20, v20, v33
	v_add_f32_e32 v20, v24, v20
	v_mul_f32_e32 v24, v33, v31
	s_waitcnt lgkmcnt(0)
	v_mul_f32_e32 v34, v10, v24
	v_fma_f32 v36, v24, v10, -v34
	v_fmac_f32_e32 v36, v24, v4
	v_add_f32_e32 v32, v34, v36
	v_sub_f32_e32 v35, v33, v32
	v_pk_add_f32 v[38:39], v[32:33], v[34:35] neg_lo:[0,1] neg_hi:[0,1]
	v_mov_b32_e32 v37, v32
	v_pk_add_f32 v[32:33], v[38:39], v[36:37] neg_lo:[0,1] neg_hi:[0,1]
	v_add_f32_e32 v20, v20, v33
	v_add_f32_e32 v20, v32, v20
	;; [unrolled: 1-line block ×3, first 2 shown]
	v_mul_f32_e32 v40, v31, v33
	v_mul_f32_e32 v34, v10, v40
	v_fma_f32 v36, v40, v10, -v34
	v_fmac_f32_e32 v36, v40, v4
	v_add_f32_e32 v32, v34, v36
	v_sub_f32_e32 v4, v35, v33
	v_sub_f32_e32 v35, v33, v32
	v_pk_add_f32 v[38:39], v[32:33], v[34:35] neg_lo:[0,1] neg_hi:[0,1]
	v_mov_b32_e32 v37, v32
	v_add_f32_e32 v4, v20, v4
	v_pk_add_f32 v[32:33], v[38:39], v[36:37] neg_lo:[0,1] neg_hi:[0,1]
	v_add_f32_e32 v4, v4, v33
	v_add_f32_e32 v4, v32, v4
	;; [unrolled: 1-line block ×4, first 2 shown]
	v_sub_f32_e32 v20, v10, v24
	v_mul_f32_e32 v4, v31, v4
	v_sub_f32_e32 v20, v40, v20
	v_add_f32_e32 v4, v20, v4
	v_add_f32_e32 v20, v10, v4
	v_cvt_f32_i32_e32 v34, v17
	v_mul_f32_e32 v24, v20, v20
	v_mov_b32_e32 v31, 0x3ecc95a3
	v_fmac_f32_e32 v31, 0x3e9b6dac, v24
	v_mov_b32_e32 v33, 0x3f2aaada
	v_fmac_f32_e32 v33, v24, v31
	v_mul_f32_e32 v35, v20, v24
	v_mov_b32_e32 v32, 0x3f317218
	s_mov_b32 s4, 0x3f317218
	v_pk_mul_f32 v[32:33], v[34:35], v[32:33]
	v_fma_f32 v36, v34, s4, -v32
	v_ldexp_f32 v37, v20, 1
	v_fmac_f32_e32 v36, 0xb102e308, v34
	v_sub_f32_e32 v10, v20, v10
	v_pk_add_f32 v[34:35], v[32:33], v[36:37]
	v_sub_f32_e32 v4, v4, v10
	v_sub_f32_e32 v10, v35, v37
	v_ldexp_f32 v4, v4, 1
	v_sub_f32_e32 v10, v33, v10
	v_add_f32_e32 v39, v4, v10
	v_mov_b32_e32 v38, v32
	v_pk_add_f32 v[32:33], v[34:35], v[32:33] neg_lo:[0,1] neg_hi:[0,1]
	v_pk_add_f32 v[40:41], v[34:35], v[38:39]
	v_mov_b32_e32 v33, v41
	v_mov_b32_e32 v37, v34
	v_pk_add_f32 v[42:43], v[36:37], v[32:33] neg_lo:[0,1] neg_hi:[0,1]
	v_pk_add_f32 v[32:33], v[36:37], v[32:33]
	v_mov_b32_e32 v4, v33
	v_pk_add_f32 v[36:37], v[4:5], v[34:35] neg_lo:[0,1] neg_hi:[0,1]
	v_mov_b32_e32 v17, v36
	v_pk_add_f32 v[44:45], v[40:41], v[16:17] neg_lo:[0,1] neg_hi:[0,1]
	v_mov_b32_e32 v32, v41
	v_mov_b32_e32 v40, v35
	;; [unrolled: 1-line block ×4, first 2 shown]
	v_pk_add_f32 v[32:33], v[32:33], v[40:41] neg_lo:[0,1] neg_hi:[0,1]
	v_mov_b32_e32 v36, v39
	v_mov_b32_e32 v37, v34
	v_pk_add_f32 v[32:33], v[36:37], v[32:33] neg_lo:[0,1] neg_hi:[0,1]
	v_mov_b32_e32 v44, v42
	v_pk_add_f32 v[34:35], v[44:45], v[32:33]
	v_mov_b32_e32 v10, v35
	v_pk_add_f32 v[36:37], v[34:35], v[10:11]
	v_pk_add_f32 v[38:39], v[4:5], v[36:37]
	v_mov_b32_e32 v35, v38
	v_pk_add_f32 v[40:41], v[34:35], v[42:43] neg_lo:[0,1] neg_hi:[0,1]
	v_mov_b32_e32 v33, v36
	v_sub_f32_e32 v4, v34, v40
	v_pk_add_f32 v[32:33], v[32:33], v[40:41] neg_lo:[0,1] neg_hi:[0,1]
	v_sub_f32_e32 v4, v42, v4
	v_add_f32_e32 v4, v32, v4
	v_cmp_eq_f32_e64 s[4:5], s28, v19
	s_mov_b32 s28, 0x33800000
	v_add_f32_e32 v4, v4, v33
	v_cmp_lt_f32_e64 s[28:29], |v19|, s28
	v_add_f32_e32 v4, v38, v4
	s_or_b64 s[4:5], s[4:5], s[28:29]
	v_cndmask_b32_e64 v4, v4, v19, s[4:5]
	v_add_f32_e32 v4, v5, v4
.LBB126_100:
	s_or_b64 exec, exec, s[26:27]
	v_max_f32_e32 v5, v4, v4
	v_min_f32_e32 v10, v5, v21
	v_cmp_u_f32_e64 s[4:5], v4, v4
	v_max_f32_e32 v5, v5, v21
	v_cndmask_b32_e64 v10, v10, v4, s[4:5]
	v_cndmask_b32_e64 v5, v5, v4, s[4:5]
	;; [unrolled: 1-line block ×4, first 2 shown]
	s_movk_i32 s28, 0x1f8
	v_cmp_neq_f32_e64 s[4:5], v17, v10
	v_cmp_class_f32_e64 s[26:27], v17, s28
	s_or_b64 s[4:5], s[4:5], s[26:27]
	v_mov_b32_e32 v5, v4
	s_and_saveexec_b64 s[26:27], s[4:5]
	s_cbranch_execz .LBB126_102
; %bb.101:
	v_sub_f32_e32 v5, v17, v10
	s_mov_b32 s4, 0x3fb8aa3b
	v_mul_f32_e32 v11, 0x3fb8aa3b, v5
	v_fma_f32 v17, v5, s4, -v11
	v_rndne_f32_e32 v19, v11
	v_fmac_f32_e32 v17, 0x32a5705f, v5
	v_sub_f32_e32 v11, v11, v19
	v_add_f32_e32 v11, v11, v17
	v_exp_f32_e32 v11, v11
	v_cvt_i32_f32_e32 v17, v19
	s_mov_b32 s4, 0xc2ce8ed0
	v_cmp_ngt_f32_e64 s[4:5], s4, v5
	s_mov_b32 s29, 0x7f800000
	v_ldexp_f32 v11, v11, v17
	v_cndmask_b32_e64 v11, 0, v11, s[4:5]
	s_mov_b32 s4, 0x42b17218
	v_mov_b32_e32 v17, 0x7f800000
	v_cmp_nlt_f32_e64 s[4:5], s4, v5
	v_cndmask_b32_e64 v11, v17, v11, s[4:5]
	v_add_f32_e32 v5, 1.0, v11
	v_add_f32_e32 v17, -1.0, v5
	v_sub_f32_e32 v19, v17, v5
	v_add_f32_e32 v19, 1.0, v19
	v_sub_f32_e32 v17, v11, v17
	v_add_f32_e32 v17, v17, v19
	v_frexp_mant_f32_e32 v19, v5
	s_mov_b32 s4, 0x3f2aaaab
	v_cvt_f64_f32_e32 v[20:21], v5
	v_frexp_exp_i32_f64_e32 v20, v[20:21]
	v_cmp_gt_f32_e64 s[4:5], s4, v19
	v_subbrev_co_u32_e64 v19, s[4:5], 0, v20, s[4:5]
	v_sub_u32_e32 v20, 0, v19
	v_ldexp_f32 v5, v5, v20
	v_ldexp_f32 v17, v17, v20
	v_add_f32_e32 v20, -1.0, v5
	v_add_f32_e32 v21, 1.0, v20
	v_sub_f32_e32 v21, v5, v21
	v_add_f32_e32 v24, v17, v21
	v_add_f32_e32 v21, 1.0, v5
	v_add_f32_e32 v31, -1.0, v21
	v_sub_f32_e32 v5, v5, v31
	v_add_f32_e32 v5, v17, v5
	v_add_f32_e32 v17, v21, v5
	v_rcp_f32_e32 v31, v17
	v_sub_f32_e32 v21, v21, v17
	v_add_f32_e32 v5, v5, v21
	v_add_f32_e32 v21, v20, v24
	v_mul_f32_e32 v38, v21, v31
	v_mul_f32_e32 v32, v17, v38
	s_waitcnt lgkmcnt(0)
	v_fma_f32 v34, v38, v17, -v32
	v_sub_f32_e32 v20, v20, v21
	v_fmac_f32_e32 v34, v38, v5
	v_add_f32_e32 v24, v24, v20
	v_add_f32_e32 v20, v32, v34
	v_sub_f32_e32 v33, v21, v20
	v_pk_add_f32 v[36:37], v[20:21], v[32:33] neg_lo:[0,1] neg_hi:[0,1]
	v_mov_b32_e32 v35, v20
	v_pk_add_f32 v[20:21], v[36:37], v[34:35] neg_lo:[0,1] neg_hi:[0,1]
	v_add_f32_e32 v21, v24, v21
	v_add_f32_e32 v20, v20, v21
	;; [unrolled: 1-line block ×3, first 2 shown]
	v_mul_f32_e32 v24, v31, v21
	v_mul_f32_e32 v32, v17, v24
	v_fma_f32 v34, v24, v17, -v32
	v_fmac_f32_e32 v34, v24, v5
	v_sub_f32_e32 v5, v33, v21
	v_add_f32_e32 v5, v20, v5
	v_add_f32_e32 v20, v32, v34
	v_sub_f32_e32 v33, v21, v20
	v_pk_add_f32 v[36:37], v[20:21], v[32:33] neg_lo:[0,1] neg_hi:[0,1]
	v_mov_b32_e32 v35, v20
	v_pk_add_f32 v[20:21], v[36:37], v[34:35] neg_lo:[0,1] neg_hi:[0,1]
	v_add_f32_e32 v5, v5, v21
	v_add_f32_e32 v5, v20, v5
	;; [unrolled: 1-line block ×4, first 2 shown]
	v_sub_f32_e32 v20, v17, v38
	v_mul_f32_e32 v5, v31, v5
	v_sub_f32_e32 v20, v24, v20
	v_add_f32_e32 v5, v20, v5
	v_add_f32_e32 v20, v17, v5
	v_cvt_f32_i32_e32 v32, v19
	v_mul_f32_e32 v24, v20, v20
	v_mov_b32_e32 v31, 0x3ecc95a3
	v_fmac_f32_e32 v31, 0x3e9b6dac, v24
	v_mov_b32_e32 v21, 0x3f2aaada
	v_fmac_f32_e32 v21, v24, v31
	v_sub_f32_e32 v17, v20, v17
	v_ldexp_f32 v35, v20, 1
	v_mul_f32_e32 v33, v20, v24
	v_mov_b32_e32 v20, 0x3f317218
	s_mov_b32 s4, 0x3f317218
	v_pk_mul_f32 v[20:21], v[32:33], v[20:21]
	v_fma_f32 v34, v32, s4, -v20
	v_fmac_f32_e32 v34, 0xb102e308, v32
	v_pk_add_f32 v[32:33], v[20:21], v[34:35]
	v_sub_f32_e32 v5, v5, v17
	v_sub_f32_e32 v17, v33, v35
	v_ldexp_f32 v5, v5, 1
	v_sub_f32_e32 v17, v21, v17
	v_add_f32_e32 v37, v5, v17
	v_mov_b32_e32 v36, v20
	v_pk_add_f32 v[20:21], v[32:33], v[20:21] neg_lo:[0,1] neg_hi:[0,1]
	v_pk_add_f32 v[38:39], v[32:33], v[36:37]
	v_mov_b32_e32 v21, v39
	v_mov_b32_e32 v35, v32
	v_pk_add_f32 v[40:41], v[34:35], v[20:21] neg_lo:[0,1] neg_hi:[0,1]
	v_pk_add_f32 v[20:21], v[34:35], v[20:21]
	v_mov_b32_e32 v24, v21
	v_pk_add_f32 v[34:35], v[24:25], v[32:33] neg_lo:[0,1] neg_hi:[0,1]
	v_mov_b32_e32 v5, v34
	v_pk_add_f32 v[42:43], v[38:39], v[4:5] neg_lo:[0,1] neg_hi:[0,1]
	v_mov_b32_e32 v20, v39
	v_mov_b32_e32 v38, v33
	;; [unrolled: 1-line block ×4, first 2 shown]
	v_pk_add_f32 v[20:21], v[20:21], v[38:39] neg_lo:[0,1] neg_hi:[0,1]
	v_mov_b32_e32 v34, v37
	v_mov_b32_e32 v35, v32
	v_pk_add_f32 v[20:21], v[34:35], v[20:21] neg_lo:[0,1] neg_hi:[0,1]
	v_mov_b32_e32 v42, v40
	v_pk_add_f32 v[32:33], v[42:43], v[20:21]
	v_mov_b32_e32 v34, v33
	v_pk_add_f32 v[34:35], v[32:33], v[34:35]
	v_pk_add_f32 v[36:37], v[24:25], v[34:35]
	v_mov_b32_e32 v33, v36
	v_pk_add_f32 v[38:39], v[32:33], v[40:41] neg_lo:[0,1] neg_hi:[0,1]
	v_mov_b32_e32 v21, v34
	v_sub_f32_e32 v5, v32, v38
	v_pk_add_f32 v[20:21], v[20:21], v[38:39] neg_lo:[0,1] neg_hi:[0,1]
	v_sub_f32_e32 v5, v40, v5
	v_add_f32_e32 v5, v20, v5
	v_cmp_eq_f32_e64 s[4:5], s29, v11
	s_mov_b32 s29, 0x33800000
	v_add_f32_e32 v5, v5, v21
	v_cmp_lt_f32_e64 s[30:31], |v11|, s29
	v_add_f32_e32 v5, v36, v5
	s_or_b64 s[4:5], s[4:5], s[30:31]
	v_cndmask_b32_e64 v5, v5, v11, s[4:5]
	v_add_f32_e32 v5, v10, v5
.LBB126_102:
	s_or_b64 exec, exec, s[26:27]
	v_max_f32_e32 v10, v5, v5
	v_min_f32_e32 v11, v10, v22
	v_cmp_u_f32_e64 s[4:5], v5, v5
	v_max_f32_e32 v10, v10, v22
	v_cndmask_b32_e64 v11, v11, v5, s[4:5]
	v_cndmask_b32_e64 v10, v10, v5, s[4:5]
	;; [unrolled: 1-line block ×4, first 2 shown]
	v_cmp_neq_f32_e64 s[4:5], v17, v11
	v_cmp_class_f32_e64 s[26:27], v17, s28
	s_or_b64 s[4:5], s[4:5], s[26:27]
	v_mov_b32_e32 v10, v5
	s_and_saveexec_b64 s[26:27], s[4:5]
	s_cbranch_execz .LBB126_104
; %bb.103:
	v_sub_f32_e32 v10, v17, v11
	s_mov_b32 s4, 0x3fb8aa3b
	v_mul_f32_e32 v12, 0x3fb8aa3b, v10
	v_fma_f32 v17, v10, s4, -v12
	v_rndne_f32_e32 v19, v12
	v_fmac_f32_e32 v17, 0x32a5705f, v10
	v_sub_f32_e32 v12, v12, v19
	v_add_f32_e32 v12, v12, v17
	v_exp_f32_e32 v12, v12
	v_cvt_i32_f32_e32 v17, v19
	s_mov_b32 s4, 0xc2ce8ed0
	v_cmp_ngt_f32_e64 s[4:5], s4, v10
	s_mov_b32 s28, 0x7f800000
	v_ldexp_f32 v12, v12, v17
	v_cndmask_b32_e64 v12, 0, v12, s[4:5]
	s_mov_b32 s4, 0x42b17218
	v_mov_b32_e32 v17, 0x7f800000
	v_cmp_nlt_f32_e64 s[4:5], s4, v10
	v_cndmask_b32_e64 v19, v17, v12, s[4:5]
	v_add_f32_e32 v10, 1.0, v19
	v_add_f32_e32 v12, -1.0, v10
	v_sub_f32_e32 v17, v12, v10
	v_add_f32_e32 v17, 1.0, v17
	v_sub_f32_e32 v12, v19, v12
	v_add_f32_e32 v12, v12, v17
	v_frexp_mant_f32_e32 v17, v10
	s_mov_b32 s4, 0x3f2aaaab
	v_cvt_f64_f32_e32 v[20:21], v10
	v_frexp_exp_i32_f64_e32 v20, v[20:21]
	v_cmp_gt_f32_e64 s[4:5], s4, v17
	v_subbrev_co_u32_e64 v17, s[4:5], 0, v20, s[4:5]
	v_sub_u32_e32 v20, 0, v17
	v_ldexp_f32 v10, v10, v20
	v_ldexp_f32 v12, v12, v20
	v_add_f32_e32 v20, -1.0, v10
	v_add_f32_e32 v21, 1.0, v20
	v_sub_f32_e32 v21, v10, v21
	v_add_f32_e32 v22, v12, v21
	v_add_f32_e32 v21, 1.0, v10
	v_add_f32_e32 v24, -1.0, v21
	v_sub_f32_e32 v10, v10, v24
	v_add_f32_e32 v10, v12, v10
	v_add_f32_e32 v12, v21, v10
	v_rcp_f32_e32 v24, v12
	v_sub_f32_e32 v21, v21, v12
	v_add_f32_e32 v10, v10, v21
	v_add_f32_e32 v21, v20, v22
	v_mul_f32_e32 v31, v21, v24
	v_mul_f32_e32 v32, v12, v31
	s_waitcnt lgkmcnt(0)
	v_fma_f32 v34, v31, v12, -v32
	v_sub_f32_e32 v20, v20, v21
	v_fmac_f32_e32 v34, v31, v10
	v_add_f32_e32 v22, v22, v20
	v_add_f32_e32 v20, v32, v34
	v_sub_f32_e32 v33, v21, v20
	v_pk_add_f32 v[36:37], v[20:21], v[32:33] neg_lo:[0,1] neg_hi:[0,1]
	v_mov_b32_e32 v35, v20
	v_pk_add_f32 v[20:21], v[36:37], v[34:35] neg_lo:[0,1] neg_hi:[0,1]
	v_add_f32_e32 v21, v22, v21
	v_add_f32_e32 v20, v20, v21
	;; [unrolled: 1-line block ×3, first 2 shown]
	v_mul_f32_e32 v22, v24, v21
	v_mul_f32_e32 v32, v12, v22
	v_fma_f32 v34, v22, v12, -v32
	v_fmac_f32_e32 v34, v22, v10
	v_sub_f32_e32 v10, v33, v21
	v_add_f32_e32 v10, v20, v10
	v_add_f32_e32 v20, v32, v34
	v_sub_f32_e32 v33, v21, v20
	v_pk_add_f32 v[36:37], v[20:21], v[32:33] neg_lo:[0,1] neg_hi:[0,1]
	v_mov_b32_e32 v35, v20
	v_pk_add_f32 v[20:21], v[36:37], v[34:35] neg_lo:[0,1] neg_hi:[0,1]
	v_add_f32_e32 v10, v10, v21
	v_add_f32_e32 v10, v20, v10
	;; [unrolled: 1-line block ×4, first 2 shown]
	v_sub_f32_e32 v20, v12, v31
	v_mul_f32_e32 v10, v24, v10
	v_sub_f32_e32 v20, v22, v20
	v_add_f32_e32 v10, v20, v10
	v_add_f32_e32 v20, v12, v10
	v_cvt_f32_i32_e32 v32, v17
	v_mul_f32_e32 v22, v20, v20
	v_mov_b32_e32 v24, 0x3ecc95a3
	v_fmac_f32_e32 v24, 0x3e9b6dac, v22
	v_mov_b32_e32 v21, 0x3f2aaada
	v_fmac_f32_e32 v21, v22, v24
	v_sub_f32_e32 v12, v20, v12
	v_ldexp_f32 v35, v20, 1
	v_mul_f32_e32 v33, v20, v22
	v_mov_b32_e32 v20, 0x3f317218
	s_mov_b32 s4, 0x3f317218
	v_pk_mul_f32 v[20:21], v[32:33], v[20:21]
	v_fma_f32 v34, v32, s4, -v20
	v_fmac_f32_e32 v34, 0xb102e308, v32
	v_pk_add_f32 v[32:33], v[20:21], v[34:35]
	v_sub_f32_e32 v10, v10, v12
	v_sub_f32_e32 v12, v33, v35
	v_ldexp_f32 v10, v10, 1
	v_sub_f32_e32 v12, v21, v12
	v_add_f32_e32 v37, v10, v12
	v_mov_b32_e32 v36, v20
	v_pk_add_f32 v[20:21], v[32:33], v[20:21] neg_lo:[0,1] neg_hi:[0,1]
	v_pk_add_f32 v[38:39], v[32:33], v[36:37]
	v_mov_b32_e32 v21, v39
	v_mov_b32_e32 v35, v32
	v_pk_add_f32 v[40:41], v[34:35], v[20:21] neg_lo:[0,1] neg_hi:[0,1]
	v_pk_add_f32 v[20:21], v[34:35], v[20:21]
	v_mov_b32_e32 v10, v21
	v_pk_add_f32 v[34:35], v[10:11], v[32:33] neg_lo:[0,1] neg_hi:[0,1]
	v_mov_b32_e32 v17, v34
	v_pk_add_f32 v[42:43], v[38:39], v[16:17] neg_lo:[0,1] neg_hi:[0,1]
	v_mov_b32_e32 v20, v39
	v_mov_b32_e32 v38, v33
	;; [unrolled: 1-line block ×4, first 2 shown]
	v_pk_add_f32 v[20:21], v[20:21], v[38:39] neg_lo:[0,1] neg_hi:[0,1]
	v_mov_b32_e32 v34, v37
	v_mov_b32_e32 v35, v32
	v_pk_add_f32 v[20:21], v[34:35], v[20:21] neg_lo:[0,1] neg_hi:[0,1]
	v_mov_b32_e32 v42, v40
	v_pk_add_f32 v[32:33], v[42:43], v[20:21]
	v_mov_b32_e32 v12, v33
	v_pk_add_f32 v[34:35], v[32:33], v[12:13]
	v_pk_add_f32 v[36:37], v[10:11], v[34:35]
	v_mov_b32_e32 v33, v36
	v_pk_add_f32 v[38:39], v[32:33], v[40:41] neg_lo:[0,1] neg_hi:[0,1]
	v_mov_b32_e32 v21, v34
	v_sub_f32_e32 v10, v32, v38
	v_pk_add_f32 v[20:21], v[20:21], v[38:39] neg_lo:[0,1] neg_hi:[0,1]
	v_sub_f32_e32 v10, v40, v10
	v_add_f32_e32 v10, v20, v10
	v_cmp_eq_f32_e64 s[4:5], s28, v19
	s_mov_b32 s28, 0x33800000
	v_add_f32_e32 v10, v10, v21
	v_cmp_lt_f32_e64 s[28:29], |v19|, s28
	v_add_f32_e32 v10, v36, v10
	s_or_b64 s[4:5], s[4:5], s[28:29]
	v_cndmask_b32_e64 v10, v10, v19, s[4:5]
	v_add_f32_e32 v10, v11, v10
.LBB126_104:
	s_or_b64 exec, exec, s[26:27]
	v_max_f32_e32 v11, v10, v10
	v_min_f32_e32 v12, v11, v23
	v_cmp_u_f32_e64 s[4:5], v10, v10
	v_max_f32_e32 v11, v11, v23
	v_cndmask_b32_e64 v12, v12, v10, s[4:5]
	v_cndmask_b32_e64 v11, v11, v10, s[4:5]
	;; [unrolled: 1-line block ×4, first 2 shown]
	s_movk_i32 s28, 0x1f8
	v_cmp_neq_f32_e64 s[4:5], v17, v12
	v_cmp_class_f32_e64 s[26:27], v17, s28
	s_or_b64 s[4:5], s[4:5], s[26:27]
	v_mov_b32_e32 v11, v10
	s_and_saveexec_b64 s[26:27], s[4:5]
	s_cbranch_execz .LBB126_106
; %bb.105:
	v_sub_f32_e32 v11, v17, v12
	s_mov_b32 s4, 0x3fb8aa3b
	v_mul_f32_e32 v13, 0x3fb8aa3b, v11
	v_fma_f32 v17, v11, s4, -v13
	v_rndne_f32_e32 v19, v13
	v_fmac_f32_e32 v17, 0x32a5705f, v11
	v_sub_f32_e32 v13, v13, v19
	v_add_f32_e32 v13, v13, v17
	v_exp_f32_e32 v13, v13
	v_cvt_i32_f32_e32 v17, v19
	s_mov_b32 s4, 0xc2ce8ed0
	v_cmp_ngt_f32_e64 s[4:5], s4, v11
	s_mov_b32 s29, 0x7f800000
	v_ldexp_f32 v13, v13, v17
	v_cndmask_b32_e64 v13, 0, v13, s[4:5]
	s_mov_b32 s4, 0x42b17218
	v_mov_b32_e32 v17, 0x7f800000
	v_cmp_nlt_f32_e64 s[4:5], s4, v11
	v_cndmask_b32_e64 v13, v17, v13, s[4:5]
	v_add_f32_e32 v11, 1.0, v13
	v_add_f32_e32 v17, -1.0, v11
	v_sub_f32_e32 v19, v17, v11
	v_add_f32_e32 v19, 1.0, v19
	v_sub_f32_e32 v17, v13, v17
	v_add_f32_e32 v17, v17, v19
	v_frexp_mant_f32_e32 v19, v11
	s_mov_b32 s4, 0x3f2aaaab
	v_cvt_f64_f32_e32 v[20:21], v11
	v_frexp_exp_i32_f64_e32 v20, v[20:21]
	v_cmp_gt_f32_e64 s[4:5], s4, v19
	v_subbrev_co_u32_e64 v19, s[4:5], 0, v20, s[4:5]
	v_sub_u32_e32 v20, 0, v19
	v_ldexp_f32 v11, v11, v20
	v_ldexp_f32 v17, v17, v20
	v_add_f32_e32 v20, -1.0, v11
	v_add_f32_e32 v21, 1.0, v20
	v_sub_f32_e32 v21, v11, v21
	v_add_f32_e32 v22, v17, v21
	v_add_f32_e32 v21, 1.0, v11
	v_add_f32_e32 v23, -1.0, v21
	v_sub_f32_e32 v11, v11, v23
	v_add_f32_e32 v11, v17, v11
	v_add_f32_e32 v17, v21, v11
	v_rcp_f32_e32 v24, v17
	v_sub_f32_e32 v21, v21, v17
	v_add_f32_e32 v11, v11, v21
	v_add_f32_e32 v21, v20, v22
	v_sub_f32_e32 v20, v20, v21
	v_mul_f32_e32 v36, v21, v24
	v_add_f32_e32 v31, v22, v20
	v_mul_f32_e32 v22, v17, v36
	v_fma_f32 v32, v36, v17, -v22
	v_fmac_f32_e32 v32, v36, v11
	v_add_f32_e32 v20, v22, v32
	v_sub_f32_e32 v23, v21, v20
	s_waitcnt lgkmcnt(0)
	v_pk_add_f32 v[34:35], v[20:21], v[22:23] neg_lo:[0,1] neg_hi:[0,1]
	v_mov_b32_e32 v33, v20
	v_pk_add_f32 v[20:21], v[34:35], v[32:33] neg_lo:[0,1] neg_hi:[0,1]
	v_add_f32_e32 v21, v31, v21
	v_add_f32_e32 v20, v20, v21
	;; [unrolled: 1-line block ×3, first 2 shown]
	v_mul_f32_e32 v31, v24, v21
	v_mul_f32_e32 v22, v17, v31
	v_fma_f32 v32, v31, v17, -v22
	v_fmac_f32_e32 v32, v31, v11
	v_sub_f32_e32 v11, v23, v21
	v_add_f32_e32 v11, v20, v11
	v_add_f32_e32 v20, v22, v32
	v_sub_f32_e32 v23, v21, v20
	v_pk_add_f32 v[34:35], v[20:21], v[22:23] neg_lo:[0,1] neg_hi:[0,1]
	v_mov_b32_e32 v33, v20
	v_pk_add_f32 v[20:21], v[34:35], v[32:33] neg_lo:[0,1] neg_hi:[0,1]
	v_add_f32_e32 v11, v11, v21
	v_add_f32_e32 v11, v20, v11
	;; [unrolled: 1-line block ×4, first 2 shown]
	v_sub_f32_e32 v20, v17, v36
	v_mul_f32_e32 v11, v24, v11
	v_sub_f32_e32 v20, v31, v20
	v_add_f32_e32 v11, v20, v11
	v_add_f32_e32 v20, v17, v11
	v_mul_f32_e32 v23, v20, v20
	v_mov_b32_e32 v22, 0x3ecc95a3
	v_fmac_f32_e32 v22, 0x3e9b6dac, v23
	v_mov_b32_e32 v21, 0x3f2aaada
	v_fmac_f32_e32 v21, v23, v22
	v_cvt_f32_i32_e32 v22, v19
	v_sub_f32_e32 v17, v20, v17
	v_ldexp_f32 v33, v20, 1
	v_mul_f32_e32 v23, v20, v23
	v_mov_b32_e32 v20, 0x3f317218
	s_mov_b32 s4, 0x3f317218
	v_pk_mul_f32 v[20:21], v[22:23], v[20:21]
	v_fma_f32 v32, v22, s4, -v20
	v_fmac_f32_e32 v32, 0xb102e308, v22
	v_pk_add_f32 v[22:23], v[20:21], v[32:33]
	v_sub_f32_e32 v11, v11, v17
	v_sub_f32_e32 v17, v23, v33
	v_ldexp_f32 v11, v11, 1
	v_sub_f32_e32 v17, v21, v17
	v_add_f32_e32 v35, v11, v17
	v_mov_b32_e32 v34, v20
	v_pk_add_f32 v[20:21], v[22:23], v[20:21] neg_lo:[0,1] neg_hi:[0,1]
	v_pk_add_f32 v[36:37], v[22:23], v[34:35]
	v_mov_b32_e32 v21, v37
	v_mov_b32_e32 v33, v22
	v_pk_add_f32 v[38:39], v[32:33], v[20:21] neg_lo:[0,1] neg_hi:[0,1]
	v_pk_add_f32 v[20:21], v[32:33], v[20:21]
	v_mov_b32_e32 v24, v21
	v_pk_add_f32 v[32:33], v[24:25], v[22:23] neg_lo:[0,1] neg_hi:[0,1]
	v_mov_b32_e32 v11, v32
	v_pk_add_f32 v[40:41], v[36:37], v[10:11] neg_lo:[0,1] neg_hi:[0,1]
	v_mov_b32_e32 v20, v37
	v_mov_b32_e32 v36, v23
	;; [unrolled: 1-line block ×4, first 2 shown]
	v_pk_add_f32 v[20:21], v[20:21], v[36:37] neg_lo:[0,1] neg_hi:[0,1]
	v_mov_b32_e32 v32, v35
	v_mov_b32_e32 v33, v22
	v_pk_add_f32 v[20:21], v[32:33], v[20:21] neg_lo:[0,1] neg_hi:[0,1]
	v_mov_b32_e32 v40, v38
	v_pk_add_f32 v[22:23], v[40:41], v[20:21]
	v_mov_b32_e32 v32, v23
	v_pk_add_f32 v[32:33], v[22:23], v[32:33]
	v_pk_add_f32 v[34:35], v[24:25], v[32:33]
	v_mov_b32_e32 v23, v34
	v_pk_add_f32 v[36:37], v[22:23], v[38:39] neg_lo:[0,1] neg_hi:[0,1]
	v_mov_b32_e32 v21, v32
	v_sub_f32_e32 v11, v22, v36
	v_pk_add_f32 v[20:21], v[20:21], v[36:37] neg_lo:[0,1] neg_hi:[0,1]
	v_sub_f32_e32 v11, v38, v11
	v_add_f32_e32 v11, v20, v11
	v_cmp_eq_f32_e64 s[4:5], s29, v13
	s_mov_b32 s29, 0x33800000
	v_add_f32_e32 v11, v11, v21
	v_cmp_lt_f32_e64 s[30:31], |v13|, s29
	v_add_f32_e32 v11, v34, v11
	s_or_b64 s[4:5], s[4:5], s[30:31]
	v_cndmask_b32_e64 v11, v11, v13, s[4:5]
	v_add_f32_e32 v11, v12, v11
.LBB126_106:
	s_or_b64 exec, exec, s[26:27]
	v_max_f32_e32 v12, v11, v11
	v_min_f32_e32 v13, v12, v25
	v_cmp_u_f32_e64 s[4:5], v11, v11
	v_max_f32_e32 v12, v12, v25
	v_cndmask_b32_e64 v13, v13, v11, s[4:5]
	v_cndmask_b32_e64 v12, v12, v11, s[4:5]
	;; [unrolled: 1-line block ×4, first 2 shown]
	v_cmp_neq_f32_e64 s[4:5], v13, v12
	v_cmp_class_f32_e64 s[26:27], v13, s28
	s_or_b64 s[4:5], s[4:5], s[26:27]
	v_mov_b32_e32 v6, v11
	s_and_saveexec_b64 s[26:27], s[4:5]
	s_cbranch_execz .LBB126_108
; %bb.107:
	v_sub_f32_e32 v6, v13, v12
	s_mov_b32 s4, 0x3fb8aa3b
	v_mul_f32_e32 v13, 0x3fb8aa3b, v6
	v_fma_f32 v17, v6, s4, -v13
	v_rndne_f32_e32 v19, v13
	v_fmac_f32_e32 v17, 0x32a5705f, v6
	v_sub_f32_e32 v13, v13, v19
	v_add_f32_e32 v13, v13, v17
	v_exp_f32_e32 v13, v13
	v_cvt_i32_f32_e32 v17, v19
	s_mov_b32 s4, 0xc2ce8ed0
	v_cmp_ngt_f32_e64 s[4:5], s4, v6
	s_mov_b32 s28, 0x7f800000
	v_ldexp_f32 v13, v13, v17
	v_cndmask_b32_e64 v13, 0, v13, s[4:5]
	s_mov_b32 s4, 0x42b17218
	v_mov_b32_e32 v17, 0x7f800000
	v_cmp_nlt_f32_e64 s[4:5], s4, v6
	v_cndmask_b32_e64 v17, v17, v13, s[4:5]
	v_add_f32_e32 v6, 1.0, v17
	v_add_f32_e32 v13, -1.0, v6
	v_sub_f32_e32 v19, v13, v6
	v_add_f32_e32 v19, 1.0, v19
	v_sub_f32_e32 v13, v17, v13
	v_add_f32_e32 v13, v13, v19
	v_frexp_mant_f32_e32 v19, v6
	s_mov_b32 s4, 0x3f2aaaab
	v_cvt_f64_f32_e32 v[20:21], v6
	v_frexp_exp_i32_f64_e32 v20, v[20:21]
	v_cmp_gt_f32_e64 s[4:5], s4, v19
	v_subbrev_co_u32_e64 v19, s[4:5], 0, v20, s[4:5]
	v_sub_u32_e32 v20, 0, v19
	v_ldexp_f32 v6, v6, v20
	v_ldexp_f32 v13, v13, v20
	v_add_f32_e32 v20, -1.0, v6
	v_add_f32_e32 v21, 1.0, v20
	v_sub_f32_e32 v21, v6, v21
	v_add_f32_e32 v22, v13, v21
	v_add_f32_e32 v21, 1.0, v6
	v_add_f32_e32 v23, -1.0, v21
	v_sub_f32_e32 v6, v6, v23
	v_add_f32_e32 v6, v13, v6
	v_add_f32_e32 v13, v21, v6
	v_rcp_f32_e32 v31, v13
	v_sub_f32_e32 v21, v21, v13
	v_add_f32_e32 v6, v6, v21
	v_add_f32_e32 v21, v20, v22
	v_sub_f32_e32 v20, v20, v21
	v_mul_f32_e32 v35, v21, v31
	s_waitcnt lgkmcnt(0)
	v_add_f32_e32 v34, v22, v20
	v_mul_f32_e32 v22, v13, v35
	v_fma_f32 v24, v35, v13, -v22
	v_fmac_f32_e32 v24, v35, v6
	v_add_f32_e32 v20, v22, v24
	v_sub_f32_e32 v23, v21, v20
	v_pk_add_f32 v[32:33], v[20:21], v[22:23] neg_lo:[0,1] neg_hi:[0,1]
	v_mov_b32_e32 v25, v20
	v_pk_add_f32 v[20:21], v[32:33], v[24:25] neg_lo:[0,1] neg_hi:[0,1]
	v_add_f32_e32 v21, v34, v21
	v_add_f32_e32 v20, v20, v21
	;; [unrolled: 1-line block ×3, first 2 shown]
	v_mul_f32_e32 v34, v31, v21
	v_mul_f32_e32 v22, v13, v34
	v_fma_f32 v24, v34, v13, -v22
	v_fmac_f32_e32 v24, v34, v6
	v_sub_f32_e32 v6, v23, v21
	v_add_f32_e32 v6, v20, v6
	v_add_f32_e32 v20, v22, v24
	v_sub_f32_e32 v23, v21, v20
	v_pk_add_f32 v[32:33], v[20:21], v[22:23] neg_lo:[0,1] neg_hi:[0,1]
	v_mov_b32_e32 v25, v20
	v_pk_add_f32 v[20:21], v[32:33], v[24:25] neg_lo:[0,1] neg_hi:[0,1]
	v_add_f32_e32 v6, v6, v21
	v_add_f32_e32 v6, v20, v6
	;; [unrolled: 1-line block ×4, first 2 shown]
	v_sub_f32_e32 v20, v13, v35
	v_mul_f32_e32 v6, v31, v6
	v_sub_f32_e32 v20, v34, v20
	v_add_f32_e32 v6, v20, v6
	v_add_f32_e32 v20, v13, v6
	v_mul_f32_e32 v23, v20, v20
	v_mov_b32_e32 v22, 0x3ecc95a3
	v_fmac_f32_e32 v22, 0x3e9b6dac, v23
	v_mov_b32_e32 v21, 0x3f2aaada
	v_fmac_f32_e32 v21, v23, v22
	v_cvt_f32_i32_e32 v22, v19
	v_sub_f32_e32 v13, v20, v13
	v_ldexp_f32 v25, v20, 1
	v_mul_f32_e32 v23, v20, v23
	v_mov_b32_e32 v20, 0x3f317218
	s_mov_b32 s4, 0x3f317218
	v_pk_mul_f32 v[20:21], v[22:23], v[20:21]
	v_fma_f32 v24, v22, s4, -v20
	v_fmac_f32_e32 v24, 0xb102e308, v22
	v_pk_add_f32 v[22:23], v[20:21], v[24:25]
	v_sub_f32_e32 v6, v6, v13
	v_sub_f32_e32 v13, v23, v25
	v_ldexp_f32 v6, v6, 1
	v_sub_f32_e32 v13, v21, v13
	v_add_f32_e32 v33, v6, v13
	v_mov_b32_e32 v32, v20
	v_pk_add_f32 v[20:21], v[22:23], v[20:21] neg_lo:[0,1] neg_hi:[0,1]
	v_pk_add_f32 v[34:35], v[22:23], v[32:33]
	v_mov_b32_e32 v21, v35
	v_mov_b32_e32 v25, v22
	v_pk_add_f32 v[36:37], v[24:25], v[20:21] neg_lo:[0,1] neg_hi:[0,1]
	v_pk_add_f32 v[20:21], v[24:25], v[20:21]
	v_mov_b32_e32 v6, v21
	v_pk_add_f32 v[24:25], v[6:7], v[22:23] neg_lo:[0,1] neg_hi:[0,1]
	v_mov_b32_e32 v13, v24
	v_pk_add_f32 v[38:39], v[34:35], v[12:13] neg_lo:[0,1] neg_hi:[0,1]
	v_mov_b32_e32 v20, v35
	v_mov_b32_e32 v34, v23
	;; [unrolled: 1-line block ×4, first 2 shown]
	v_pk_add_f32 v[20:21], v[20:21], v[34:35] neg_lo:[0,1] neg_hi:[0,1]
	v_mov_b32_e32 v24, v33
	v_mov_b32_e32 v25, v22
	v_pk_add_f32 v[20:21], v[24:25], v[20:21] neg_lo:[0,1] neg_hi:[0,1]
	v_mov_b32_e32 v38, v36
	v_pk_add_f32 v[22:23], v[38:39], v[20:21]
	v_mov_b32_e32 v24, v23
	v_pk_add_f32 v[24:25], v[22:23], v[24:25]
	v_pk_add_f32 v[32:33], v[6:7], v[24:25]
	v_mov_b32_e32 v23, v32
	v_pk_add_f32 v[34:35], v[22:23], v[36:37] neg_lo:[0,1] neg_hi:[0,1]
	v_mov_b32_e32 v21, v24
	v_sub_f32_e32 v6, v22, v34
	v_pk_add_f32 v[20:21], v[20:21], v[34:35] neg_lo:[0,1] neg_hi:[0,1]
	v_sub_f32_e32 v6, v36, v6
	v_add_f32_e32 v6, v20, v6
	v_cmp_eq_f32_e64 s[4:5], s28, v17
	s_mov_b32 s28, 0x33800000
	v_add_f32_e32 v6, v6, v21
	v_cmp_lt_f32_e64 s[28:29], |v17|, s28
	v_add_f32_e32 v6, v32, v6
	s_or_b64 s[4:5], s[4:5], s[28:29]
	v_cndmask_b32_e64 v6, v6, v17, s[4:5]
	v_add_f32_e32 v6, v12, v6
.LBB126_108:
	s_or_b64 exec, exec, s[26:27]
	v_max_f32_e32 v12, v6, v6
	v_min_f32_e32 v13, v12, v26
	v_cmp_u_f32_e64 s[4:5], v6, v6
	v_max_f32_e32 v12, v12, v26
	v_cndmask_b32_e64 v13, v13, v6, s[4:5]
	v_cndmask_b32_e64 v12, v12, v6, s[4:5]
	;; [unrolled: 1-line block ×4, first 2 shown]
	s_movk_i32 s28, 0x1f8
	v_cmp_neq_f32_e64 s[4:5], v13, v12
	v_cmp_class_f32_e64 s[26:27], v13, s28
	s_or_b64 s[4:5], s[4:5], s[26:27]
	v_mov_b32_e32 v7, v6
	s_and_saveexec_b64 s[26:27], s[4:5]
	s_cbranch_execz .LBB126_110
; %bb.109:
	v_sub_f32_e32 v7, v13, v12
	s_mov_b32 s4, 0x3fb8aa3b
	v_mul_f32_e32 v13, 0x3fb8aa3b, v7
	v_fma_f32 v17, v7, s4, -v13
	v_rndne_f32_e32 v19, v13
	v_fmac_f32_e32 v17, 0x32a5705f, v7
	v_sub_f32_e32 v13, v13, v19
	v_add_f32_e32 v13, v13, v17
	v_exp_f32_e32 v13, v13
	v_cvt_i32_f32_e32 v17, v19
	s_mov_b32 s4, 0xc2ce8ed0
	v_cmp_ngt_f32_e64 s[4:5], s4, v7
	s_mov_b32 s29, 0x7f800000
	v_ldexp_f32 v13, v13, v17
	v_cndmask_b32_e64 v13, 0, v13, s[4:5]
	s_mov_b32 s4, 0x42b17218
	v_mov_b32_e32 v17, 0x7f800000
	v_cmp_nlt_f32_e64 s[4:5], s4, v7
	v_cndmask_b32_e64 v13, v17, v13, s[4:5]
	v_add_f32_e32 v7, 1.0, v13
	v_add_f32_e32 v17, -1.0, v7
	v_sub_f32_e32 v19, v17, v7
	v_add_f32_e32 v19, 1.0, v19
	v_sub_f32_e32 v17, v13, v17
	v_add_f32_e32 v17, v17, v19
	v_frexp_mant_f32_e32 v19, v7
	s_mov_b32 s4, 0x3f2aaaab
	v_cvt_f64_f32_e32 v[20:21], v7
	v_frexp_exp_i32_f64_e32 v20, v[20:21]
	v_cmp_gt_f32_e64 s[4:5], s4, v19
	v_subbrev_co_u32_e64 v19, s[4:5], 0, v20, s[4:5]
	v_sub_u32_e32 v20, 0, v19
	v_ldexp_f32 v7, v7, v20
	v_ldexp_f32 v17, v17, v20
	v_add_f32_e32 v20, -1.0, v7
	v_add_f32_e32 v21, 1.0, v20
	v_sub_f32_e32 v21, v7, v21
	v_add_f32_e32 v22, v17, v21
	v_add_f32_e32 v21, 1.0, v7
	v_add_f32_e32 v23, -1.0, v21
	v_sub_f32_e32 v7, v7, v23
	v_add_f32_e32 v7, v17, v7
	v_add_f32_e32 v17, v21, v7
	v_rcp_f32_e32 v26, v17
	v_sub_f32_e32 v21, v21, v17
	v_add_f32_e32 v7, v7, v21
	v_add_f32_e32 v21, v20, v22
	v_sub_f32_e32 v20, v20, v21
	s_waitcnt lgkmcnt(0)
	v_mul_f32_e32 v34, v21, v26
	v_add_f32_e32 v31, v22, v20
	v_mul_f32_e32 v22, v17, v34
	v_fma_f32 v24, v34, v17, -v22
	v_fmac_f32_e32 v24, v34, v7
	v_add_f32_e32 v20, v22, v24
	v_sub_f32_e32 v23, v21, v20
	v_pk_add_f32 v[32:33], v[20:21], v[22:23] neg_lo:[0,1] neg_hi:[0,1]
	v_mov_b32_e32 v25, v20
	v_pk_add_f32 v[20:21], v[32:33], v[24:25] neg_lo:[0,1] neg_hi:[0,1]
	v_add_f32_e32 v21, v31, v21
	v_add_f32_e32 v20, v20, v21
	;; [unrolled: 1-line block ×3, first 2 shown]
	v_mul_f32_e32 v31, v26, v21
	v_mul_f32_e32 v22, v17, v31
	v_fma_f32 v24, v31, v17, -v22
	v_fmac_f32_e32 v24, v31, v7
	v_sub_f32_e32 v7, v23, v21
	v_add_f32_e32 v7, v20, v7
	v_add_f32_e32 v20, v22, v24
	v_sub_f32_e32 v23, v21, v20
	v_pk_add_f32 v[32:33], v[20:21], v[22:23] neg_lo:[0,1] neg_hi:[0,1]
	v_mov_b32_e32 v25, v20
	v_pk_add_f32 v[20:21], v[32:33], v[24:25] neg_lo:[0,1] neg_hi:[0,1]
	v_add_f32_e32 v7, v7, v21
	v_add_f32_e32 v7, v20, v7
	;; [unrolled: 1-line block ×4, first 2 shown]
	v_sub_f32_e32 v20, v17, v34
	v_mul_f32_e32 v7, v26, v7
	v_sub_f32_e32 v20, v31, v20
	v_add_f32_e32 v7, v20, v7
	v_add_f32_e32 v20, v17, v7
	v_mul_f32_e32 v23, v20, v20
	v_mov_b32_e32 v22, 0x3ecc95a3
	v_fmac_f32_e32 v22, 0x3e9b6dac, v23
	v_mov_b32_e32 v21, 0x3f2aaada
	v_fmac_f32_e32 v21, v23, v22
	v_cvt_f32_i32_e32 v22, v19
	v_sub_f32_e32 v17, v20, v17
	v_ldexp_f32 v25, v20, 1
	v_mul_f32_e32 v23, v20, v23
	v_mov_b32_e32 v20, 0x3f317218
	s_mov_b32 s4, 0x3f317218
	v_pk_mul_f32 v[20:21], v[22:23], v[20:21]
	v_fma_f32 v24, v22, s4, -v20
	v_fmac_f32_e32 v24, 0xb102e308, v22
	v_pk_add_f32 v[22:23], v[20:21], v[24:25]
	v_sub_f32_e32 v7, v7, v17
	v_sub_f32_e32 v17, v23, v25
	v_ldexp_f32 v7, v7, 1
	v_sub_f32_e32 v17, v21, v17
	v_add_f32_e32 v33, v7, v17
	v_mov_b32_e32 v32, v20
	v_pk_add_f32 v[20:21], v[22:23], v[20:21] neg_lo:[0,1] neg_hi:[0,1]
	v_pk_add_f32 v[34:35], v[22:23], v[32:33]
	v_mov_b32_e32 v21, v35
	v_mov_b32_e32 v25, v22
	v_pk_add_f32 v[36:37], v[24:25], v[20:21] neg_lo:[0,1] neg_hi:[0,1]
	v_pk_add_f32 v[20:21], v[24:25], v[20:21]
	v_mov_b32_e32 v24, v21
	v_pk_add_f32 v[38:39], v[24:25], v[22:23] neg_lo:[0,1] neg_hi:[0,1]
	v_mov_b32_e32 v7, v38
	v_pk_add_f32 v[40:41], v[34:35], v[6:7] neg_lo:[0,1] neg_hi:[0,1]
	v_mov_b32_e32 v20, v35
	v_mov_b32_e32 v34, v23
	;; [unrolled: 1-line block ×4, first 2 shown]
	v_pk_add_f32 v[20:21], v[20:21], v[34:35] neg_lo:[0,1] neg_hi:[0,1]
	v_mov_b32_e32 v32, v33
	v_mov_b32_e32 v33, v22
	v_pk_add_f32 v[20:21], v[32:33], v[20:21] neg_lo:[0,1] neg_hi:[0,1]
	v_mov_b32_e32 v40, v36
	v_pk_add_f32 v[22:23], v[40:41], v[20:21]
	v_mov_b32_e32 v26, v23
	v_pk_add_f32 v[32:33], v[22:23], v[26:27]
	v_pk_add_f32 v[24:25], v[24:25], v[32:33]
	v_mov_b32_e32 v23, v24
	v_pk_add_f32 v[34:35], v[22:23], v[36:37] neg_lo:[0,1] neg_hi:[0,1]
	v_mov_b32_e32 v21, v32
	v_sub_f32_e32 v7, v22, v34
	v_pk_add_f32 v[20:21], v[20:21], v[34:35] neg_lo:[0,1] neg_hi:[0,1]
	v_sub_f32_e32 v7, v36, v7
	v_add_f32_e32 v7, v20, v7
	v_cmp_eq_f32_e64 s[4:5], s29, v13
	s_mov_b32 s29, 0x33800000
	v_add_f32_e32 v7, v7, v21
	v_cmp_lt_f32_e64 s[30:31], |v13|, s29
	v_add_f32_e32 v7, v24, v7
	s_or_b64 s[4:5], s[4:5], s[30:31]
	v_cndmask_b32_e64 v7, v7, v13, s[4:5]
	v_add_f32_e32 v7, v12, v7
.LBB126_110:
	s_or_b64 exec, exec, s[26:27]
	v_max_f32_e32 v12, v7, v7
	v_min_f32_e32 v13, v12, v27
	v_cmp_u_f32_e64 s[4:5], v7, v7
	v_max_f32_e32 v12, v12, v27
	v_cndmask_b32_e64 v13, v13, v7, s[4:5]
	v_cndmask_b32_e64 v12, v12, v7, s[4:5]
	;; [unrolled: 1-line block ×4, first 2 shown]
	v_cmp_neq_f32_e64 s[4:5], v13, v12
	v_cmp_class_f32_e64 s[26:27], v13, s28
	s_or_b64 s[4:5], s[4:5], s[26:27]
	v_mov_b32_e32 v8, v7
	s_and_saveexec_b64 s[26:27], s[4:5]
	s_cbranch_execz .LBB126_112
; %bb.111:
	v_sub_f32_e32 v8, v13, v12
	s_mov_b32 s4, 0x3fb8aa3b
	v_mul_f32_e32 v13, 0x3fb8aa3b, v8
	v_fma_f32 v17, v8, s4, -v13
	v_rndne_f32_e32 v19, v13
	v_fmac_f32_e32 v17, 0x32a5705f, v8
	v_sub_f32_e32 v13, v13, v19
	v_add_f32_e32 v13, v13, v17
	v_exp_f32_e32 v13, v13
	v_cvt_i32_f32_e32 v17, v19
	s_mov_b32 s4, 0xc2ce8ed0
	v_cmp_ngt_f32_e64 s[4:5], s4, v8
	s_mov_b32 s28, 0x7f800000
	v_ldexp_f32 v13, v13, v17
	v_cndmask_b32_e64 v13, 0, v13, s[4:5]
	s_mov_b32 s4, 0x42b17218
	v_mov_b32_e32 v17, 0x7f800000
	v_cmp_nlt_f32_e64 s[4:5], s4, v8
	v_cndmask_b32_e64 v17, v17, v13, s[4:5]
	v_add_f32_e32 v8, 1.0, v17
	v_add_f32_e32 v13, -1.0, v8
	v_sub_f32_e32 v19, v13, v8
	v_add_f32_e32 v19, 1.0, v19
	v_sub_f32_e32 v13, v17, v13
	v_add_f32_e32 v13, v13, v19
	v_frexp_mant_f32_e32 v19, v8
	s_mov_b32 s4, 0x3f2aaaab
	v_cvt_f64_f32_e32 v[20:21], v8
	v_frexp_exp_i32_f64_e32 v20, v[20:21]
	v_cmp_gt_f32_e64 s[4:5], s4, v19
	v_subbrev_co_u32_e64 v19, s[4:5], 0, v20, s[4:5]
	v_sub_u32_e32 v20, 0, v19
	v_ldexp_f32 v8, v8, v20
	v_ldexp_f32 v13, v13, v20
	v_add_f32_e32 v20, -1.0, v8
	v_add_f32_e32 v21, 1.0, v20
	v_sub_f32_e32 v21, v8, v21
	v_add_f32_e32 v22, v13, v21
	v_add_f32_e32 v21, 1.0, v8
	v_add_f32_e32 v23, -1.0, v21
	v_sub_f32_e32 v8, v8, v23
	v_add_f32_e32 v8, v13, v8
	v_add_f32_e32 v13, v21, v8
	v_rcp_f32_e32 v31, v13
	v_sub_f32_e32 v21, v21, v13
	v_add_f32_e32 v8, v8, v21
	v_add_f32_e32 v21, v20, v22
	v_sub_f32_e32 v20, v20, v21
	v_mul_f32_e32 v33, v21, v31
	v_add_f32_e32 v32, v22, v20
	v_mul_f32_e32 v22, v13, v33
	v_fma_f32 v24, v33, v13, -v22
	v_fmac_f32_e32 v24, v33, v8
	v_add_f32_e32 v20, v22, v24
	v_sub_f32_e32 v23, v21, v20
	v_pk_add_f32 v[26:27], v[20:21], v[22:23] neg_lo:[0,1] neg_hi:[0,1]
	v_mov_b32_e32 v25, v20
	v_pk_add_f32 v[20:21], v[26:27], v[24:25] neg_lo:[0,1] neg_hi:[0,1]
	v_add_f32_e32 v21, v32, v21
	v_add_f32_e32 v20, v20, v21
	v_add_f32_e32 v21, v23, v20
	v_mul_f32_e32 v32, v31, v21
	v_mul_f32_e32 v22, v13, v32
	v_fma_f32 v24, v32, v13, -v22
	v_fmac_f32_e32 v24, v32, v8
	v_sub_f32_e32 v8, v23, v21
	v_add_f32_e32 v8, v20, v8
	v_add_f32_e32 v20, v22, v24
	v_sub_f32_e32 v23, v21, v20
	v_pk_add_f32 v[26:27], v[20:21], v[22:23] neg_lo:[0,1] neg_hi:[0,1]
	v_mov_b32_e32 v25, v20
	v_pk_add_f32 v[20:21], v[26:27], v[24:25] neg_lo:[0,1] neg_hi:[0,1]
	v_add_f32_e32 v8, v8, v21
	v_add_f32_e32 v8, v20, v8
	v_add_f32_e32 v13, v33, v32
	v_add_f32_e32 v8, v23, v8
	v_sub_f32_e32 v20, v13, v33
	v_mul_f32_e32 v8, v31, v8
	v_sub_f32_e32 v20, v32, v20
	v_add_f32_e32 v8, v20, v8
	v_add_f32_e32 v20, v13, v8
	v_mul_f32_e32 v23, v20, v20
	v_mov_b32_e32 v22, 0x3ecc95a3
	v_fmac_f32_e32 v22, 0x3e9b6dac, v23
	v_mov_b32_e32 v21, 0x3f2aaada
	v_fmac_f32_e32 v21, v23, v22
	v_cvt_f32_i32_e32 v22, v19
	v_sub_f32_e32 v13, v20, v13
	v_ldexp_f32 v25, v20, 1
	v_mul_f32_e32 v23, v20, v23
	v_mov_b32_e32 v20, 0x3f317218
	s_mov_b32 s4, 0x3f317218
	v_pk_mul_f32 v[20:21], v[22:23], v[20:21]
	v_fma_f32 v24, v22, s4, -v20
	v_fmac_f32_e32 v24, 0xb102e308, v22
	v_pk_add_f32 v[22:23], v[20:21], v[24:25]
	v_sub_f32_e32 v8, v8, v13
	v_sub_f32_e32 v13, v23, v25
	v_ldexp_f32 v8, v8, 1
	v_sub_f32_e32 v13, v21, v13
	v_add_f32_e32 v27, v8, v13
	v_mov_b32_e32 v26, v20
	v_pk_add_f32 v[20:21], v[22:23], v[20:21] neg_lo:[0,1] neg_hi:[0,1]
	v_pk_add_f32 v[32:33], v[22:23], v[26:27]
	v_mov_b32_e32 v21, v33
	v_mov_b32_e32 v25, v22
	s_waitcnt lgkmcnt(0)
	v_pk_add_f32 v[34:35], v[24:25], v[20:21] neg_lo:[0,1] neg_hi:[0,1]
	v_pk_add_f32 v[20:21], v[24:25], v[20:21]
	v_mov_b32_e32 v8, v21
	v_pk_add_f32 v[24:25], v[8:9], v[22:23] neg_lo:[0,1] neg_hi:[0,1]
	v_mov_b32_e32 v13, v24
	v_pk_add_f32 v[36:37], v[32:33], v[12:13] neg_lo:[0,1] neg_hi:[0,1]
	v_mov_b32_e32 v20, v33
	v_mov_b32_e32 v32, v23
	;; [unrolled: 1-line block ×4, first 2 shown]
	v_pk_add_f32 v[20:21], v[20:21], v[32:33] neg_lo:[0,1] neg_hi:[0,1]
	v_mov_b32_e32 v24, v27
	v_mov_b32_e32 v25, v22
	v_pk_add_f32 v[20:21], v[24:25], v[20:21] neg_lo:[0,1] neg_hi:[0,1]
	v_mov_b32_e32 v36, v34
	v_pk_add_f32 v[22:23], v[36:37], v[20:21]
	v_mov_b32_e32 v24, v23
	v_pk_add_f32 v[24:25], v[22:23], v[24:25]
	v_pk_add_f32 v[26:27], v[8:9], v[24:25]
	v_mov_b32_e32 v23, v26
	v_pk_add_f32 v[32:33], v[22:23], v[34:35] neg_lo:[0,1] neg_hi:[0,1]
	v_mov_b32_e32 v21, v24
	v_sub_f32_e32 v8, v22, v32
	v_pk_add_f32 v[20:21], v[20:21], v[32:33] neg_lo:[0,1] neg_hi:[0,1]
	v_sub_f32_e32 v8, v34, v8
	v_add_f32_e32 v8, v20, v8
	v_cmp_eq_f32_e64 s[4:5], s28, v17
	s_mov_b32 s28, 0x33800000
	v_add_f32_e32 v8, v8, v21
	v_cmp_lt_f32_e64 s[28:29], |v17|, s28
	v_add_f32_e32 v8, v26, v8
	s_or_b64 s[4:5], s[4:5], s[28:29]
	v_cndmask_b32_e64 v8, v8, v17, s[4:5]
	v_add_f32_e32 v8, v12, v8
.LBB126_112:
	s_or_b64 exec, exec, s[26:27]
	v_max_f32_e32 v12, v8, v8
	v_min_f32_e32 v13, v12, v28
	v_cmp_u_f32_e64 s[4:5], v8, v8
	v_max_f32_e32 v12, v12, v28
	v_cndmask_b32_e64 v13, v13, v8, s[4:5]
	v_cndmask_b32_e64 v12, v12, v8, s[4:5]
	;; [unrolled: 1-line block ×4, first 2 shown]
	s_movk_i32 s28, 0x1f8
	v_cmp_neq_f32_e64 s[4:5], v13, v12
	v_cmp_class_f32_e64 s[26:27], v13, s28
	s_or_b64 s[4:5], s[4:5], s[26:27]
	v_mov_b32_e32 v9, v8
	s_and_saveexec_b64 s[26:27], s[4:5]
	s_cbranch_execz .LBB126_114
; %bb.113:
	v_sub_f32_e32 v9, v13, v12
	s_mov_b32 s4, 0x3fb8aa3b
	v_mul_f32_e32 v13, 0x3fb8aa3b, v9
	v_fma_f32 v17, v9, s4, -v13
	v_rndne_f32_e32 v19, v13
	v_fmac_f32_e32 v17, 0x32a5705f, v9
	v_sub_f32_e32 v13, v13, v19
	v_add_f32_e32 v13, v13, v17
	v_exp_f32_e32 v13, v13
	v_cvt_i32_f32_e32 v17, v19
	s_mov_b32 s4, 0xc2ce8ed0
	v_cmp_ngt_f32_e64 s[4:5], s4, v9
	s_mov_b32 s29, 0x7f800000
	v_ldexp_f32 v13, v13, v17
	v_cndmask_b32_e64 v13, 0, v13, s[4:5]
	s_mov_b32 s4, 0x42b17218
	v_mov_b32_e32 v17, 0x7f800000
	v_cmp_nlt_f32_e64 s[4:5], s4, v9
	v_cndmask_b32_e64 v13, v17, v13, s[4:5]
	v_add_f32_e32 v9, 1.0, v13
	v_add_f32_e32 v17, -1.0, v9
	v_sub_f32_e32 v19, v17, v9
	v_add_f32_e32 v19, 1.0, v19
	v_sub_f32_e32 v17, v13, v17
	v_add_f32_e32 v17, v17, v19
	v_frexp_mant_f32_e32 v19, v9
	s_mov_b32 s4, 0x3f2aaaab
	v_cvt_f64_f32_e32 v[20:21], v9
	v_frexp_exp_i32_f64_e32 v20, v[20:21]
	v_cmp_gt_f32_e64 s[4:5], s4, v19
	v_subbrev_co_u32_e64 v19, s[4:5], 0, v20, s[4:5]
	v_sub_u32_e32 v20, 0, v19
	v_ldexp_f32 v9, v9, v20
	v_ldexp_f32 v17, v17, v20
	v_add_f32_e32 v20, -1.0, v9
	v_add_f32_e32 v21, 1.0, v20
	v_sub_f32_e32 v21, v9, v21
	v_add_f32_e32 v22, v17, v21
	v_add_f32_e32 v21, 1.0, v9
	v_add_f32_e32 v23, -1.0, v21
	v_sub_f32_e32 v9, v9, v23
	v_add_f32_e32 v9, v17, v9
	v_add_f32_e32 v17, v21, v9
	v_rcp_f32_e32 v28, v17
	v_sub_f32_e32 v21, v21, v17
	v_add_f32_e32 v9, v9, v21
	v_add_f32_e32 v21, v20, v22
	v_sub_f32_e32 v20, v20, v21
	v_mul_f32_e32 v32, v21, v28
	v_add_f32_e32 v31, v22, v20
	v_mul_f32_e32 v22, v17, v32
	v_fma_f32 v24, v32, v17, -v22
	v_fmac_f32_e32 v24, v32, v9
	v_add_f32_e32 v20, v22, v24
	v_sub_f32_e32 v23, v21, v20
	v_pk_add_f32 v[26:27], v[20:21], v[22:23] neg_lo:[0,1] neg_hi:[0,1]
	v_mov_b32_e32 v25, v20
	v_pk_add_f32 v[20:21], v[26:27], v[24:25] neg_lo:[0,1] neg_hi:[0,1]
	v_add_f32_e32 v21, v31, v21
	v_add_f32_e32 v20, v20, v21
	;; [unrolled: 1-line block ×3, first 2 shown]
	v_mul_f32_e32 v31, v28, v21
	v_mul_f32_e32 v22, v17, v31
	v_fma_f32 v24, v31, v17, -v22
	v_fmac_f32_e32 v24, v31, v9
	v_sub_f32_e32 v9, v23, v21
	v_add_f32_e32 v9, v20, v9
	v_add_f32_e32 v20, v22, v24
	v_sub_f32_e32 v23, v21, v20
	v_pk_add_f32 v[26:27], v[20:21], v[22:23] neg_lo:[0,1] neg_hi:[0,1]
	v_mov_b32_e32 v25, v20
	v_pk_add_f32 v[20:21], v[26:27], v[24:25] neg_lo:[0,1] neg_hi:[0,1]
	v_add_f32_e32 v9, v9, v21
	v_add_f32_e32 v9, v20, v9
	;; [unrolled: 1-line block ×4, first 2 shown]
	v_sub_f32_e32 v20, v17, v32
	v_mul_f32_e32 v9, v28, v9
	v_sub_f32_e32 v20, v31, v20
	v_add_f32_e32 v9, v20, v9
	v_add_f32_e32 v20, v17, v9
	v_mul_f32_e32 v23, v20, v20
	v_mov_b32_e32 v22, 0x3ecc95a3
	v_fmac_f32_e32 v22, 0x3e9b6dac, v23
	v_mov_b32_e32 v21, 0x3f2aaada
	v_fmac_f32_e32 v21, v23, v22
	v_cvt_f32_i32_e32 v22, v19
	v_sub_f32_e32 v17, v20, v17
	v_ldexp_f32 v25, v20, 1
	v_mul_f32_e32 v23, v20, v23
	v_mov_b32_e32 v20, 0x3f317218
	s_mov_b32 s4, 0x3f317218
	v_pk_mul_f32 v[20:21], v[22:23], v[20:21]
	v_fma_f32 v24, v22, s4, -v20
	v_fmac_f32_e32 v24, 0xb102e308, v22
	v_pk_add_f32 v[22:23], v[20:21], v[24:25]
	v_sub_f32_e32 v9, v9, v17
	v_sub_f32_e32 v17, v23, v25
	v_ldexp_f32 v9, v9, 1
	v_sub_f32_e32 v17, v21, v17
	v_add_f32_e32 v27, v9, v17
	v_mov_b32_e32 v26, v20
	v_pk_add_f32 v[20:21], v[22:23], v[20:21] neg_lo:[0,1] neg_hi:[0,1]
	v_pk_add_f32 v[32:33], v[22:23], v[26:27]
	v_mov_b32_e32 v21, v33
	v_mov_b32_e32 v25, v22
	s_waitcnt lgkmcnt(0)
	v_pk_add_f32 v[34:35], v[24:25], v[20:21] neg_lo:[0,1] neg_hi:[0,1]
	v_pk_add_f32 v[20:21], v[24:25], v[20:21]
	v_mov_b32_e32 v24, v21
	v_pk_add_f32 v[36:37], v[24:25], v[22:23] neg_lo:[0,1] neg_hi:[0,1]
	v_mov_b32_e32 v9, v36
	v_pk_add_f32 v[38:39], v[32:33], v[8:9] neg_lo:[0,1] neg_hi:[0,1]
	v_mov_b32_e32 v20, v33
	v_mov_b32_e32 v32, v23
	;; [unrolled: 1-line block ×4, first 2 shown]
	v_pk_add_f32 v[20:21], v[20:21], v[32:33] neg_lo:[0,1] neg_hi:[0,1]
	v_mov_b32_e32 v26, v27
	v_mov_b32_e32 v27, v22
	v_pk_add_f32 v[20:21], v[26:27], v[20:21] neg_lo:[0,1] neg_hi:[0,1]
	v_mov_b32_e32 v38, v34
	v_pk_add_f32 v[22:23], v[38:39], v[20:21]
	v_mov_b32_e32 v26, v23
	v_pk_add_f32 v[26:27], v[22:23], v[26:27]
	v_pk_add_f32 v[24:25], v[24:25], v[26:27]
	v_mov_b32_e32 v23, v24
	v_pk_add_f32 v[32:33], v[22:23], v[34:35] neg_lo:[0,1] neg_hi:[0,1]
	v_mov_b32_e32 v21, v26
	v_sub_f32_e32 v9, v22, v32
	v_pk_add_f32 v[20:21], v[20:21], v[32:33] neg_lo:[0,1] neg_hi:[0,1]
	v_sub_f32_e32 v9, v34, v9
	v_add_f32_e32 v9, v20, v9
	v_cmp_eq_f32_e64 s[4:5], s29, v13
	s_mov_b32 s29, 0x33800000
	v_add_f32_e32 v9, v9, v21
	v_cmp_lt_f32_e64 s[30:31], |v13|, s29
	v_add_f32_e32 v9, v24, v9
	s_or_b64 s[4:5], s[4:5], s[30:31]
	v_cndmask_b32_e64 v9, v9, v13, s[4:5]
	v_add_f32_e32 v9, v12, v9
.LBB126_114:
	s_or_b64 exec, exec, s[26:27]
	v_max_f32_e32 v12, v9, v9
	v_min_f32_e32 v13, v12, v29
	v_cmp_u_f32_e64 s[4:5], v9, v9
	v_max_f32_e32 v12, v12, v29
	v_cndmask_b32_e64 v13, v13, v9, s[4:5]
	v_cndmask_b32_e64 v12, v12, v9, s[4:5]
	;; [unrolled: 1-line block ×4, first 2 shown]
	v_cmp_neq_f32_e64 s[4:5], v17, v13
	v_cmp_class_f32_e64 s[26:27], v17, s28
	s_or_b64 s[4:5], s[4:5], s[26:27]
	v_mov_b32_e32 v12, v9
	s_and_saveexec_b64 s[26:27], s[4:5]
	s_cbranch_execz .LBB126_116
; %bb.115:
	v_sub_f32_e32 v12, v17, v13
	s_mov_b32 s4, 0x3fb8aa3b
	v_mul_f32_e32 v14, 0x3fb8aa3b, v12
	v_fma_f32 v17, v12, s4, -v14
	v_rndne_f32_e32 v19, v14
	v_fmac_f32_e32 v17, 0x32a5705f, v12
	v_sub_f32_e32 v14, v14, v19
	v_add_f32_e32 v14, v14, v17
	v_exp_f32_e32 v14, v14
	v_cvt_i32_f32_e32 v17, v19
	s_mov_b32 s4, 0xc2ce8ed0
	v_cmp_ngt_f32_e64 s[4:5], s4, v12
	s_mov_b32 s28, 0x7f800000
	v_ldexp_f32 v14, v14, v17
	v_cndmask_b32_e64 v14, 0, v14, s[4:5]
	s_mov_b32 s4, 0x42b17218
	v_mov_b32_e32 v17, 0x7f800000
	v_cmp_nlt_f32_e64 s[4:5], s4, v12
	v_cndmask_b32_e64 v19, v17, v14, s[4:5]
	v_add_f32_e32 v12, 1.0, v19
	v_add_f32_e32 v14, -1.0, v12
	v_sub_f32_e32 v17, v14, v12
	v_add_f32_e32 v17, 1.0, v17
	v_sub_f32_e32 v14, v19, v14
	v_add_f32_e32 v14, v14, v17
	v_frexp_mant_f32_e32 v17, v12
	s_mov_b32 s4, 0x3f2aaaab
	v_cvt_f64_f32_e32 v[20:21], v12
	v_frexp_exp_i32_f64_e32 v20, v[20:21]
	v_cmp_gt_f32_e64 s[4:5], s4, v17
	v_subbrev_co_u32_e64 v17, s[4:5], 0, v20, s[4:5]
	v_sub_u32_e32 v20, 0, v17
	v_ldexp_f32 v12, v12, v20
	v_ldexp_f32 v14, v14, v20
	v_add_f32_e32 v20, -1.0, v12
	v_add_f32_e32 v21, 1.0, v20
	v_sub_f32_e32 v21, v12, v21
	v_add_f32_e32 v22, v14, v21
	v_add_f32_e32 v21, 1.0, v12
	v_add_f32_e32 v23, -1.0, v21
	v_sub_f32_e32 v12, v12, v23
	v_add_f32_e32 v12, v14, v12
	v_add_f32_e32 v14, v21, v12
	v_rcp_f32_e32 v28, v14
	v_sub_f32_e32 v21, v21, v14
	v_add_f32_e32 v12, v12, v21
	v_add_f32_e32 v21, v20, v22
	v_sub_f32_e32 v20, v20, v21
	v_mul_f32_e32 v31, v21, v28
	v_add_f32_e32 v29, v22, v20
	v_mul_f32_e32 v22, v14, v31
	v_fma_f32 v24, v31, v14, -v22
	v_fmac_f32_e32 v24, v31, v12
	v_add_f32_e32 v20, v22, v24
	v_sub_f32_e32 v23, v21, v20
	v_pk_add_f32 v[26:27], v[20:21], v[22:23] neg_lo:[0,1] neg_hi:[0,1]
	v_mov_b32_e32 v25, v20
	v_pk_add_f32 v[20:21], v[26:27], v[24:25] neg_lo:[0,1] neg_hi:[0,1]
	v_add_f32_e32 v21, v29, v21
	v_add_f32_e32 v20, v20, v21
	;; [unrolled: 1-line block ×3, first 2 shown]
	v_mul_f32_e32 v29, v28, v21
	v_mul_f32_e32 v22, v14, v29
	v_fma_f32 v24, v29, v14, -v22
	v_fmac_f32_e32 v24, v29, v12
	v_sub_f32_e32 v12, v23, v21
	v_add_f32_e32 v12, v20, v12
	v_add_f32_e32 v20, v22, v24
	v_sub_f32_e32 v23, v21, v20
	v_pk_add_f32 v[26:27], v[20:21], v[22:23] neg_lo:[0,1] neg_hi:[0,1]
	v_mov_b32_e32 v25, v20
	v_pk_add_f32 v[20:21], v[26:27], v[24:25] neg_lo:[0,1] neg_hi:[0,1]
	v_add_f32_e32 v12, v12, v21
	v_add_f32_e32 v12, v20, v12
	;; [unrolled: 1-line block ×4, first 2 shown]
	v_sub_f32_e32 v20, v14, v31
	v_mul_f32_e32 v12, v28, v12
	v_sub_f32_e32 v20, v29, v20
	v_add_f32_e32 v12, v20, v12
	v_add_f32_e32 v20, v14, v12
	v_mul_f32_e32 v23, v20, v20
	v_mov_b32_e32 v22, 0x3ecc95a3
	v_fmac_f32_e32 v22, 0x3e9b6dac, v23
	v_mov_b32_e32 v21, 0x3f2aaada
	v_fmac_f32_e32 v21, v23, v22
	v_cvt_f32_i32_e32 v22, v17
	v_sub_f32_e32 v14, v20, v14
	v_ldexp_f32 v25, v20, 1
	v_mul_f32_e32 v23, v20, v23
	v_mov_b32_e32 v20, 0x3f317218
	s_mov_b32 s4, 0x3f317218
	v_pk_mul_f32 v[20:21], v[22:23], v[20:21]
	v_fma_f32 v24, v22, s4, -v20
	v_fmac_f32_e32 v24, 0xb102e308, v22
	v_pk_add_f32 v[22:23], v[20:21], v[24:25]
	v_sub_f32_e32 v12, v12, v14
	v_sub_f32_e32 v14, v23, v25
	v_ldexp_f32 v12, v12, 1
	v_sub_f32_e32 v14, v21, v14
	v_add_f32_e32 v27, v12, v14
	v_mov_b32_e32 v26, v20
	v_pk_add_f32 v[20:21], v[22:23], v[20:21] neg_lo:[0,1] neg_hi:[0,1]
	v_pk_add_f32 v[28:29], v[22:23], v[26:27]
	v_mov_b32_e32 v21, v29
	v_mov_b32_e32 v25, v22
	v_pk_add_f32 v[32:33], v[24:25], v[20:21] neg_lo:[0,1] neg_hi:[0,1]
	v_pk_add_f32 v[20:21], v[24:25], v[20:21]
	v_mov_b32_e32 v12, v21
	v_pk_add_f32 v[24:25], v[12:13], v[22:23] neg_lo:[0,1] neg_hi:[0,1]
	v_mov_b32_e32 v17, v24
	s_waitcnt lgkmcnt(0)
	v_pk_add_f32 v[34:35], v[28:29], v[16:17] neg_lo:[0,1] neg_hi:[0,1]
	v_mov_b32_e32 v20, v29
	v_mov_b32_e32 v28, v23
	;; [unrolled: 1-line block ×4, first 2 shown]
	v_pk_add_f32 v[20:21], v[20:21], v[28:29] neg_lo:[0,1] neg_hi:[0,1]
	v_mov_b32_e32 v24, v27
	v_mov_b32_e32 v25, v22
	v_pk_add_f32 v[20:21], v[24:25], v[20:21] neg_lo:[0,1] neg_hi:[0,1]
	v_mov_b32_e32 v34, v32
	v_pk_add_f32 v[22:23], v[34:35], v[20:21]
	v_mov_b32_e32 v14, v23
	v_pk_add_f32 v[24:25], v[22:23], v[14:15]
	v_pk_add_f32 v[26:27], v[12:13], v[24:25]
	v_mov_b32_e32 v23, v26
	v_pk_add_f32 v[28:29], v[22:23], v[32:33] neg_lo:[0,1] neg_hi:[0,1]
	v_mov_b32_e32 v21, v24
	v_sub_f32_e32 v12, v22, v28
	v_pk_add_f32 v[20:21], v[20:21], v[28:29] neg_lo:[0,1] neg_hi:[0,1]
	v_sub_f32_e32 v12, v32, v12
	v_add_f32_e32 v12, v20, v12
	v_cmp_eq_f32_e64 s[4:5], s28, v19
	s_mov_b32 s28, 0x33800000
	v_add_f32_e32 v12, v12, v21
	v_cmp_lt_f32_e64 s[28:29], |v19|, s28
	v_add_f32_e32 v12, v26, v12
	s_or_b64 s[4:5], s[4:5], s[28:29]
	v_cndmask_b32_e64 v12, v12, v19, s[4:5]
	v_add_f32_e32 v12, v13, v12
.LBB126_116:
	s_or_b64 exec, exec, s[26:27]
	v_max_f32_e32 v13, v12, v12
	v_min_f32_e32 v14, v13, v30
	v_cmp_u_f32_e64 s[4:5], v12, v12
	v_max_f32_e32 v13, v13, v30
	v_cndmask_b32_e64 v14, v14, v12, s[4:5]
	v_cndmask_b32_e64 v13, v13, v12, s[4:5]
	;; [unrolled: 1-line block ×4, first 2 shown]
	s_movk_i32 s26, 0x1f8
	v_cmp_neq_f32_e64 s[4:5], v17, v14
	v_cmp_class_f32_e64 s[26:27], v17, s26
	s_or_b64 s[4:5], s[4:5], s[26:27]
	v_mov_b32_e32 v13, v12
	s_and_saveexec_b64 s[26:27], s[4:5]
	s_cbranch_execz .LBB126_118
; %bb.117:
	v_sub_f32_e32 v13, v17, v14
	s_mov_b32 s4, 0x3fb8aa3b
	v_mul_f32_e32 v15, 0x3fb8aa3b, v13
	v_fma_f32 v17, v13, s4, -v15
	v_rndne_f32_e32 v19, v15
	v_fmac_f32_e32 v17, 0x32a5705f, v13
	v_sub_f32_e32 v15, v15, v19
	v_add_f32_e32 v15, v15, v17
	v_exp_f32_e32 v15, v15
	v_cvt_i32_f32_e32 v17, v19
	s_mov_b32 s4, 0xc2ce8ed0
	v_cmp_ngt_f32_e64 s[4:5], s4, v13
	s_mov_b32 s28, 0x7f800000
	v_ldexp_f32 v15, v15, v17
	v_cndmask_b32_e64 v15, 0, v15, s[4:5]
	s_mov_b32 s4, 0x42b17218
	v_mov_b32_e32 v17, 0x7f800000
	v_cmp_nlt_f32_e64 s[4:5], s4, v13
	v_cndmask_b32_e64 v15, v17, v15, s[4:5]
	v_add_f32_e32 v13, 1.0, v15
	v_add_f32_e32 v17, -1.0, v13
	v_sub_f32_e32 v19, v17, v13
	v_add_f32_e32 v19, 1.0, v19
	v_sub_f32_e32 v17, v15, v17
	v_add_f32_e32 v17, v17, v19
	v_frexp_mant_f32_e32 v19, v13
	s_mov_b32 s4, 0x3f2aaaab
	v_cvt_f64_f32_e32 v[20:21], v13
	v_frexp_exp_i32_f64_e32 v20, v[20:21]
	v_cmp_gt_f32_e64 s[4:5], s4, v19
	v_subbrev_co_u32_e64 v19, s[4:5], 0, v20, s[4:5]
	v_sub_u32_e32 v20, 0, v19
	v_ldexp_f32 v13, v13, v20
	v_ldexp_f32 v17, v17, v20
	v_add_f32_e32 v20, -1.0, v13
	v_add_f32_e32 v21, 1.0, v20
	v_sub_f32_e32 v21, v13, v21
	v_add_f32_e32 v22, v17, v21
	v_add_f32_e32 v21, 1.0, v13
	v_add_f32_e32 v23, -1.0, v21
	v_sub_f32_e32 v13, v13, v23
	v_add_f32_e32 v13, v17, v13
	v_add_f32_e32 v17, v21, v13
	v_rcp_f32_e32 v28, v17
	v_sub_f32_e32 v21, v21, v17
	v_add_f32_e32 v13, v13, v21
	v_add_f32_e32 v21, v20, v22
	v_sub_f32_e32 v20, v20, v21
	v_mul_f32_e32 v30, v21, v28
	v_add_f32_e32 v29, v22, v20
	v_mul_f32_e32 v22, v17, v30
	v_fma_f32 v24, v30, v17, -v22
	v_fmac_f32_e32 v24, v30, v13
	v_add_f32_e32 v20, v22, v24
	v_sub_f32_e32 v23, v21, v20
	v_pk_add_f32 v[26:27], v[20:21], v[22:23] neg_lo:[0,1] neg_hi:[0,1]
	v_mov_b32_e32 v25, v20
	v_pk_add_f32 v[20:21], v[26:27], v[24:25] neg_lo:[0,1] neg_hi:[0,1]
	v_add_f32_e32 v21, v29, v21
	v_add_f32_e32 v20, v20, v21
	;; [unrolled: 1-line block ×3, first 2 shown]
	v_mul_f32_e32 v29, v28, v21
	v_mul_f32_e32 v22, v17, v29
	v_fma_f32 v24, v29, v17, -v22
	v_fmac_f32_e32 v24, v29, v13
	v_sub_f32_e32 v13, v23, v21
	v_add_f32_e32 v13, v20, v13
	v_add_f32_e32 v20, v22, v24
	v_sub_f32_e32 v23, v21, v20
	v_pk_add_f32 v[26:27], v[20:21], v[22:23] neg_lo:[0,1] neg_hi:[0,1]
	v_mov_b32_e32 v25, v20
	v_pk_add_f32 v[20:21], v[26:27], v[24:25] neg_lo:[0,1] neg_hi:[0,1]
	v_add_f32_e32 v13, v13, v21
	v_add_f32_e32 v13, v20, v13
	;; [unrolled: 1-line block ×4, first 2 shown]
	v_sub_f32_e32 v20, v17, v30
	v_mul_f32_e32 v13, v28, v13
	v_sub_f32_e32 v20, v29, v20
	v_add_f32_e32 v13, v20, v13
	v_add_f32_e32 v20, v17, v13
	v_mul_f32_e32 v23, v20, v20
	v_mov_b32_e32 v22, 0x3ecc95a3
	v_fmac_f32_e32 v22, 0x3e9b6dac, v23
	v_mov_b32_e32 v21, 0x3f2aaada
	v_fmac_f32_e32 v21, v23, v22
	v_cvt_f32_i32_e32 v22, v19
	v_sub_f32_e32 v17, v20, v17
	v_ldexp_f32 v25, v20, 1
	v_mul_f32_e32 v23, v20, v23
	v_mov_b32_e32 v20, 0x3f317218
	s_mov_b32 s4, 0x3f317218
	v_pk_mul_f32 v[20:21], v[22:23], v[20:21]
	v_fma_f32 v24, v22, s4, -v20
	v_fmac_f32_e32 v24, 0xb102e308, v22
	v_pk_add_f32 v[22:23], v[20:21], v[24:25]
	v_sub_f32_e32 v13, v13, v17
	v_sub_f32_e32 v17, v23, v25
	v_ldexp_f32 v13, v13, 1
	v_sub_f32_e32 v17, v21, v17
	v_add_f32_e32 v27, v13, v17
	v_mov_b32_e32 v26, v20
	v_pk_add_f32 v[20:21], v[22:23], v[20:21] neg_lo:[0,1] neg_hi:[0,1]
	v_pk_add_f32 v[28:29], v[22:23], v[26:27]
	v_mov_b32_e32 v21, v29
	v_mov_b32_e32 v25, v22
	v_pk_add_f32 v[30:31], v[24:25], v[20:21] neg_lo:[0,1] neg_hi:[0,1]
	v_pk_add_f32 v[20:21], v[24:25], v[20:21]
	v_mov_b32_e32 v24, v21
	v_pk_add_f32 v[32:33], v[24:25], v[22:23] neg_lo:[0,1] neg_hi:[0,1]
	v_mov_b32_e32 v13, v32
	s_waitcnt lgkmcnt(0)
	v_pk_add_f32 v[34:35], v[28:29], v[12:13] neg_lo:[0,1] neg_hi:[0,1]
	v_mov_b32_e32 v20, v29
	v_mov_b32_e32 v28, v23
	;; [unrolled: 1-line block ×4, first 2 shown]
	v_pk_add_f32 v[20:21], v[20:21], v[28:29] neg_lo:[0,1] neg_hi:[0,1]
	v_mov_b32_e32 v26, v27
	v_mov_b32_e32 v27, v22
	v_pk_add_f32 v[20:21], v[26:27], v[20:21] neg_lo:[0,1] neg_hi:[0,1]
	v_mov_b32_e32 v34, v30
	v_pk_add_f32 v[22:23], v[34:35], v[20:21]
	v_mov_b32_e32 v26, v23
	v_pk_add_f32 v[26:27], v[22:23], v[26:27]
	v_pk_add_f32 v[24:25], v[24:25], v[26:27]
	v_mov_b32_e32 v23, v24
	v_pk_add_f32 v[28:29], v[22:23], v[30:31] neg_lo:[0,1] neg_hi:[0,1]
	v_mov_b32_e32 v21, v26
	v_sub_f32_e32 v13, v22, v28
	v_pk_add_f32 v[20:21], v[20:21], v[28:29] neg_lo:[0,1] neg_hi:[0,1]
	v_sub_f32_e32 v13, v30, v13
	v_add_f32_e32 v13, v20, v13
	v_cmp_eq_f32_e64 s[4:5], s28, v15
	s_mov_b32 s28, 0x33800000
	v_add_f32_e32 v13, v13, v21
	v_cmp_lt_f32_e64 s[28:29], |v15|, s28
	v_add_f32_e32 v13, v24, v13
	s_or_b64 s[4:5], s[4:5], s[28:29]
	v_cndmask_b32_e64 v13, v13, v15, s[4:5]
	v_add_f32_e32 v13, v14, v13
.LBB126_118:
	s_or_b64 exec, exec, s[26:27]
	v_add_u32_e32 v14, v18, v16
	s_waitcnt lgkmcnt(0)
	s_barrier
	ds_write2_b64 v14, v[2:3], v[0:1] offset1:1
	ds_write2_b64 v14, v[4:5], v[10:11] offset0:2 offset1:3
	ds_write2_b64 v14, v[6:7], v[8:9] offset0:4 offset1:5
	ds_write_b64 v14, v[12:13] offset:48
	s_waitcnt lgkmcnt(0)
	s_barrier
	ds_read2st64_b32 v[12:13], v18 offset0:2 offset1:4
	ds_read2st64_b32 v[10:11], v18 offset0:6 offset1:8
	;; [unrolled: 1-line block ×6, first 2 shown]
	ds_read_b32 v14, v18 offset:6656
	v_mov_b32_e32 v1, s63
	v_add_co_u32_e64 v0, s[4:5], s62, v18
	v_addc_co_u32_e64 v1, s[4:5], 0, v1, s[4:5]
	s_and_saveexec_b64 s[4:5], vcc
	s_cbranch_execnz .LBB126_133
; %bb.119:
	s_or_b64 exec, exec, s[4:5]
	s_and_saveexec_b64 s[4:5], s[0:1]
	s_cbranch_execnz .LBB126_134
.LBB126_120:
	s_or_b64 exec, exec, s[4:5]
	s_and_saveexec_b64 s[0:1], s[2:3]
	s_cbranch_execnz .LBB126_135
.LBB126_121:
	s_or_b64 exec, exec, s[0:1]
	s_and_saveexec_b64 s[0:1], s[56:57]
	s_cbranch_execnz .LBB126_136
.LBB126_122:
	s_or_b64 exec, exec, s[0:1]
	s_and_saveexec_b64 s[0:1], s[6:7]
	s_cbranch_execnz .LBB126_137
.LBB126_123:
	s_or_b64 exec, exec, s[0:1]
	s_and_saveexec_b64 s[0:1], s[8:9]
	s_cbranch_execnz .LBB126_138
.LBB126_124:
	s_or_b64 exec, exec, s[0:1]
	s_and_saveexec_b64 s[0:1], s[10:11]
	s_cbranch_execnz .LBB126_139
.LBB126_125:
	s_or_b64 exec, exec, s[0:1]
	s_and_saveexec_b64 s[0:1], s[12:13]
	s_cbranch_execnz .LBB126_140
.LBB126_126:
	s_or_b64 exec, exec, s[0:1]
	s_and_saveexec_b64 s[0:1], s[14:15]
	s_cbranch_execnz .LBB126_141
.LBB126_127:
	s_or_b64 exec, exec, s[0:1]
	s_and_saveexec_b64 s[0:1], s[16:17]
	s_cbranch_execnz .LBB126_142
.LBB126_128:
	s_or_b64 exec, exec, s[0:1]
	s_and_saveexec_b64 s[0:1], s[18:19]
	s_cbranch_execnz .LBB126_143
.LBB126_129:
	s_or_b64 exec, exec, s[0:1]
	s_and_saveexec_b64 s[0:1], s[20:21]
	s_cbranch_execnz .LBB126_144
.LBB126_130:
	s_or_b64 exec, exec, s[0:1]
	s_and_saveexec_b64 s[0:1], s[22:23]
	s_cbranch_execnz .LBB126_145
.LBB126_131:
	s_or_b64 exec, exec, s[0:1]
	s_and_saveexec_b64 s[0:1], s[24:25]
	s_cbranch_execnz .LBB126_146
.LBB126_132:
	s_endpgm
.LBB126_133:
	ds_read_b32 v15, v18
	s_waitcnt lgkmcnt(0)
	global_store_dword v[0:1], v15, off
	s_or_b64 exec, exec, s[4:5]
	s_and_saveexec_b64 s[4:5], s[0:1]
	s_cbranch_execz .LBB126_120
.LBB126_134:
	s_waitcnt lgkmcnt(6)
	global_store_dword v[0:1], v12, off offset:512
	s_or_b64 exec, exec, s[4:5]
	s_and_saveexec_b64 s[0:1], s[2:3]
	s_cbranch_execz .LBB126_121
.LBB126_135:
	s_waitcnt lgkmcnt(6)
	global_store_dword v[0:1], v13, off offset:1024
	s_or_b64 exec, exec, s[0:1]
	s_and_saveexec_b64 s[0:1], s[56:57]
	s_cbranch_execz .LBB126_122
.LBB126_136:
	s_waitcnt lgkmcnt(5)
	global_store_dword v[0:1], v10, off offset:1536
	s_or_b64 exec, exec, s[0:1]
	s_and_saveexec_b64 s[0:1], s[6:7]
	s_cbranch_execz .LBB126_123
.LBB126_137:
	s_waitcnt lgkmcnt(5)
	global_store_dword v[0:1], v11, off offset:2048
	s_or_b64 exec, exec, s[0:1]
	s_and_saveexec_b64 s[0:1], s[8:9]
	s_cbranch_execz .LBB126_124
.LBB126_138:
	s_waitcnt lgkmcnt(4)
	global_store_dword v[0:1], v8, off offset:2560
	s_or_b64 exec, exec, s[0:1]
	s_and_saveexec_b64 s[0:1], s[10:11]
	s_cbranch_execz .LBB126_125
.LBB126_139:
	s_waitcnt lgkmcnt(4)
	global_store_dword v[0:1], v9, off offset:3072
	s_or_b64 exec, exec, s[0:1]
	s_and_saveexec_b64 s[0:1], s[12:13]
	s_cbranch_execz .LBB126_126
.LBB126_140:
	s_waitcnt lgkmcnt(3)
	global_store_dword v[0:1], v6, off offset:3584
	s_or_b64 exec, exec, s[0:1]
	s_and_saveexec_b64 s[0:1], s[14:15]
	s_cbranch_execz .LBB126_127
.LBB126_141:
	s_waitcnt lgkmcnt(4)
	v_add_co_u32_e32 v8, vcc, 0x1000, v0
	v_addc_co_u32_e32 v9, vcc, 0, v1, vcc
	s_waitcnt lgkmcnt(3)
	global_store_dword v[8:9], v7, off
	s_or_b64 exec, exec, s[0:1]
	s_and_saveexec_b64 s[0:1], s[16:17]
	s_cbranch_execz .LBB126_128
.LBB126_142:
	s_waitcnt lgkmcnt(3)
	v_add_co_u32_e32 v6, vcc, 0x1000, v0
	v_addc_co_u32_e32 v7, vcc, 0, v1, vcc
	s_waitcnt lgkmcnt(2)
	global_store_dword v[6:7], v4, off offset:512
	s_or_b64 exec, exec, s[0:1]
	s_and_saveexec_b64 s[0:1], s[18:19]
	s_cbranch_execz .LBB126_129
.LBB126_143:
	s_waitcnt lgkmcnt(3)
	v_add_co_u32_e32 v6, vcc, 0x1000, v0
	v_addc_co_u32_e32 v7, vcc, 0, v1, vcc
	s_waitcnt lgkmcnt(2)
	global_store_dword v[6:7], v5, off offset:1024
	s_or_b64 exec, exec, s[0:1]
	s_and_saveexec_b64 s[0:1], s[20:21]
	s_cbranch_execz .LBB126_130
.LBB126_144:
	s_waitcnt lgkmcnt(2)
	v_add_co_u32_e32 v4, vcc, 0x1000, v0
	v_addc_co_u32_e32 v5, vcc, 0, v1, vcc
	s_waitcnt lgkmcnt(1)
	global_store_dword v[4:5], v2, off offset:1536
	s_or_b64 exec, exec, s[0:1]
	s_and_saveexec_b64 s[0:1], s[22:23]
	s_cbranch_execz .LBB126_131
.LBB126_145:
	s_waitcnt lgkmcnt(2)
	v_add_co_u32_e32 v4, vcc, 0x1000, v0
	v_addc_co_u32_e32 v5, vcc, 0, v1, vcc
	s_waitcnt lgkmcnt(1)
	global_store_dword v[4:5], v3, off offset:2048
	s_or_b64 exec, exec, s[0:1]
	s_and_saveexec_b64 s[0:1], s[24:25]
	s_cbranch_execz .LBB126_132
.LBB126_146:
	v_add_co_u32_e32 v0, vcc, 0x1000, v0
	v_addc_co_u32_e32 v1, vcc, 0, v1, vcc
	s_waitcnt lgkmcnt(0)
	global_store_dword v[0:1], v14, off offset:2560
	s_endpgm
	.section	.rodata,"a",@progbits
	.p2align	6, 0x0
	.amdhsa_kernel _ZN7rocprim17ROCPRIM_400000_NS6detail17trampoline_kernelINS0_14default_configENS1_20scan_config_selectorIfEEZZNS1_9scan_implILNS1_25lookback_scan_determinismE0ELb0ELb0ES3_PKfPffZZZN2at6native31launch_logcumsumexp_cuda_kernelERKNSB_10TensorBaseESF_lENKUlvE_clEvENKUlvE0_clEvEUlffE_fEEDaPvRmT3_T4_T5_mT6_P12ihipStream_tbENKUlT_T0_E_clISt17integral_constantIbLb1EESW_EEDaSR_SS_EUlSR_E0_NS1_11comp_targetILNS1_3genE4ELNS1_11target_archE910ELNS1_3gpuE8ELNS1_3repE0EEENS1_30default_config_static_selectorELNS0_4arch9wavefront6targetE1EEEvT1_
		.amdhsa_group_segment_fixed_size 7168
		.amdhsa_private_segment_fixed_size 0
		.amdhsa_kernarg_size 32
		.amdhsa_user_sgpr_count 6
		.amdhsa_user_sgpr_private_segment_buffer 1
		.amdhsa_user_sgpr_dispatch_ptr 0
		.amdhsa_user_sgpr_queue_ptr 0
		.amdhsa_user_sgpr_kernarg_segment_ptr 1
		.amdhsa_user_sgpr_dispatch_id 0
		.amdhsa_user_sgpr_flat_scratch_init 0
		.amdhsa_user_sgpr_kernarg_preload_length 0
		.amdhsa_user_sgpr_kernarg_preload_offset 0
		.amdhsa_user_sgpr_private_segment_size 0
		.amdhsa_uses_dynamic_stack 0
		.amdhsa_system_sgpr_private_segment_wavefront_offset 0
		.amdhsa_system_sgpr_workgroup_id_x 1
		.amdhsa_system_sgpr_workgroup_id_y 0
		.amdhsa_system_sgpr_workgroup_id_z 0
		.amdhsa_system_sgpr_workgroup_info 0
		.amdhsa_system_vgpr_workitem_id 0
		.amdhsa_next_free_vgpr 57
		.amdhsa_next_free_sgpr 70
		.amdhsa_accum_offset 60
		.amdhsa_reserve_vcc 1
		.amdhsa_reserve_flat_scratch 0
		.amdhsa_float_round_mode_32 0
		.amdhsa_float_round_mode_16_64 0
		.amdhsa_float_denorm_mode_32 3
		.amdhsa_float_denorm_mode_16_64 3
		.amdhsa_dx10_clamp 1
		.amdhsa_ieee_mode 1
		.amdhsa_fp16_overflow 0
		.amdhsa_tg_split 0
		.amdhsa_exception_fp_ieee_invalid_op 0
		.amdhsa_exception_fp_denorm_src 0
		.amdhsa_exception_fp_ieee_div_zero 0
		.amdhsa_exception_fp_ieee_overflow 0
		.amdhsa_exception_fp_ieee_underflow 0
		.amdhsa_exception_fp_ieee_inexact 0
		.amdhsa_exception_int_div_zero 0
	.end_amdhsa_kernel
	.section	.text._ZN7rocprim17ROCPRIM_400000_NS6detail17trampoline_kernelINS0_14default_configENS1_20scan_config_selectorIfEEZZNS1_9scan_implILNS1_25lookback_scan_determinismE0ELb0ELb0ES3_PKfPffZZZN2at6native31launch_logcumsumexp_cuda_kernelERKNSB_10TensorBaseESF_lENKUlvE_clEvENKUlvE0_clEvEUlffE_fEEDaPvRmT3_T4_T5_mT6_P12ihipStream_tbENKUlT_T0_E_clISt17integral_constantIbLb1EESW_EEDaSR_SS_EUlSR_E0_NS1_11comp_targetILNS1_3genE4ELNS1_11target_archE910ELNS1_3gpuE8ELNS1_3repE0EEENS1_30default_config_static_selectorELNS0_4arch9wavefront6targetE1EEEvT1_,"axG",@progbits,_ZN7rocprim17ROCPRIM_400000_NS6detail17trampoline_kernelINS0_14default_configENS1_20scan_config_selectorIfEEZZNS1_9scan_implILNS1_25lookback_scan_determinismE0ELb0ELb0ES3_PKfPffZZZN2at6native31launch_logcumsumexp_cuda_kernelERKNSB_10TensorBaseESF_lENKUlvE_clEvENKUlvE0_clEvEUlffE_fEEDaPvRmT3_T4_T5_mT6_P12ihipStream_tbENKUlT_T0_E_clISt17integral_constantIbLb1EESW_EEDaSR_SS_EUlSR_E0_NS1_11comp_targetILNS1_3genE4ELNS1_11target_archE910ELNS1_3gpuE8ELNS1_3repE0EEENS1_30default_config_static_selectorELNS0_4arch9wavefront6targetE1EEEvT1_,comdat
.Lfunc_end126:
	.size	_ZN7rocprim17ROCPRIM_400000_NS6detail17trampoline_kernelINS0_14default_configENS1_20scan_config_selectorIfEEZZNS1_9scan_implILNS1_25lookback_scan_determinismE0ELb0ELb0ES3_PKfPffZZZN2at6native31launch_logcumsumexp_cuda_kernelERKNSB_10TensorBaseESF_lENKUlvE_clEvENKUlvE0_clEvEUlffE_fEEDaPvRmT3_T4_T5_mT6_P12ihipStream_tbENKUlT_T0_E_clISt17integral_constantIbLb1EESW_EEDaSR_SS_EUlSR_E0_NS1_11comp_targetILNS1_3genE4ELNS1_11target_archE910ELNS1_3gpuE8ELNS1_3repE0EEENS1_30default_config_static_selectorELNS0_4arch9wavefront6targetE1EEEvT1_, .Lfunc_end126-_ZN7rocprim17ROCPRIM_400000_NS6detail17trampoline_kernelINS0_14default_configENS1_20scan_config_selectorIfEEZZNS1_9scan_implILNS1_25lookback_scan_determinismE0ELb0ELb0ES3_PKfPffZZZN2at6native31launch_logcumsumexp_cuda_kernelERKNSB_10TensorBaseESF_lENKUlvE_clEvENKUlvE0_clEvEUlffE_fEEDaPvRmT3_T4_T5_mT6_P12ihipStream_tbENKUlT_T0_E_clISt17integral_constantIbLb1EESW_EEDaSR_SS_EUlSR_E0_NS1_11comp_targetILNS1_3genE4ELNS1_11target_archE910ELNS1_3gpuE8ELNS1_3repE0EEENS1_30default_config_static_selectorELNS0_4arch9wavefront6targetE1EEEvT1_
                                        ; -- End function
	.section	.AMDGPU.csdata,"",@progbits
; Kernel info:
; codeLenInByte = 33048
; NumSgprs: 74
; NumVgprs: 57
; NumAgprs: 0
; TotalNumVgprs: 57
; ScratchSize: 0
; MemoryBound: 0
; FloatMode: 240
; IeeeMode: 1
; LDSByteSize: 7168 bytes/workgroup (compile time only)
; SGPRBlocks: 9
; VGPRBlocks: 7
; NumSGPRsForWavesPerEU: 74
; NumVGPRsForWavesPerEU: 57
; AccumOffset: 60
; Occupancy: 5
; WaveLimiterHint : 0
; COMPUTE_PGM_RSRC2:SCRATCH_EN: 0
; COMPUTE_PGM_RSRC2:USER_SGPR: 6
; COMPUTE_PGM_RSRC2:TRAP_HANDLER: 0
; COMPUTE_PGM_RSRC2:TGID_X_EN: 1
; COMPUTE_PGM_RSRC2:TGID_Y_EN: 0
; COMPUTE_PGM_RSRC2:TGID_Z_EN: 0
; COMPUTE_PGM_RSRC2:TIDIG_COMP_CNT: 0
; COMPUTE_PGM_RSRC3_GFX90A:ACCUM_OFFSET: 14
; COMPUTE_PGM_RSRC3_GFX90A:TG_SPLIT: 0
	.section	.text._ZN7rocprim17ROCPRIM_400000_NS6detail17trampoline_kernelINS0_14default_configENS1_20scan_config_selectorIfEEZZNS1_9scan_implILNS1_25lookback_scan_determinismE0ELb0ELb0ES3_PKfPffZZZN2at6native31launch_logcumsumexp_cuda_kernelERKNSB_10TensorBaseESF_lENKUlvE_clEvENKUlvE0_clEvEUlffE_fEEDaPvRmT3_T4_T5_mT6_P12ihipStream_tbENKUlT_T0_E_clISt17integral_constantIbLb1EESW_EEDaSR_SS_EUlSR_E0_NS1_11comp_targetILNS1_3genE3ELNS1_11target_archE908ELNS1_3gpuE7ELNS1_3repE0EEENS1_30default_config_static_selectorELNS0_4arch9wavefront6targetE1EEEvT1_,"axG",@progbits,_ZN7rocprim17ROCPRIM_400000_NS6detail17trampoline_kernelINS0_14default_configENS1_20scan_config_selectorIfEEZZNS1_9scan_implILNS1_25lookback_scan_determinismE0ELb0ELb0ES3_PKfPffZZZN2at6native31launch_logcumsumexp_cuda_kernelERKNSB_10TensorBaseESF_lENKUlvE_clEvENKUlvE0_clEvEUlffE_fEEDaPvRmT3_T4_T5_mT6_P12ihipStream_tbENKUlT_T0_E_clISt17integral_constantIbLb1EESW_EEDaSR_SS_EUlSR_E0_NS1_11comp_targetILNS1_3genE3ELNS1_11target_archE908ELNS1_3gpuE7ELNS1_3repE0EEENS1_30default_config_static_selectorELNS0_4arch9wavefront6targetE1EEEvT1_,comdat
	.globl	_ZN7rocprim17ROCPRIM_400000_NS6detail17trampoline_kernelINS0_14default_configENS1_20scan_config_selectorIfEEZZNS1_9scan_implILNS1_25lookback_scan_determinismE0ELb0ELb0ES3_PKfPffZZZN2at6native31launch_logcumsumexp_cuda_kernelERKNSB_10TensorBaseESF_lENKUlvE_clEvENKUlvE0_clEvEUlffE_fEEDaPvRmT3_T4_T5_mT6_P12ihipStream_tbENKUlT_T0_E_clISt17integral_constantIbLb1EESW_EEDaSR_SS_EUlSR_E0_NS1_11comp_targetILNS1_3genE3ELNS1_11target_archE908ELNS1_3gpuE7ELNS1_3repE0EEENS1_30default_config_static_selectorELNS0_4arch9wavefront6targetE1EEEvT1_ ; -- Begin function _ZN7rocprim17ROCPRIM_400000_NS6detail17trampoline_kernelINS0_14default_configENS1_20scan_config_selectorIfEEZZNS1_9scan_implILNS1_25lookback_scan_determinismE0ELb0ELb0ES3_PKfPffZZZN2at6native31launch_logcumsumexp_cuda_kernelERKNSB_10TensorBaseESF_lENKUlvE_clEvENKUlvE0_clEvEUlffE_fEEDaPvRmT3_T4_T5_mT6_P12ihipStream_tbENKUlT_T0_E_clISt17integral_constantIbLb1EESW_EEDaSR_SS_EUlSR_E0_NS1_11comp_targetILNS1_3genE3ELNS1_11target_archE908ELNS1_3gpuE7ELNS1_3repE0EEENS1_30default_config_static_selectorELNS0_4arch9wavefront6targetE1EEEvT1_
	.p2align	8
	.type	_ZN7rocprim17ROCPRIM_400000_NS6detail17trampoline_kernelINS0_14default_configENS1_20scan_config_selectorIfEEZZNS1_9scan_implILNS1_25lookback_scan_determinismE0ELb0ELb0ES3_PKfPffZZZN2at6native31launch_logcumsumexp_cuda_kernelERKNSB_10TensorBaseESF_lENKUlvE_clEvENKUlvE0_clEvEUlffE_fEEDaPvRmT3_T4_T5_mT6_P12ihipStream_tbENKUlT_T0_E_clISt17integral_constantIbLb1EESW_EEDaSR_SS_EUlSR_E0_NS1_11comp_targetILNS1_3genE3ELNS1_11target_archE908ELNS1_3gpuE7ELNS1_3repE0EEENS1_30default_config_static_selectorELNS0_4arch9wavefront6targetE1EEEvT1_,@function
_ZN7rocprim17ROCPRIM_400000_NS6detail17trampoline_kernelINS0_14default_configENS1_20scan_config_selectorIfEEZZNS1_9scan_implILNS1_25lookback_scan_determinismE0ELb0ELb0ES3_PKfPffZZZN2at6native31launch_logcumsumexp_cuda_kernelERKNSB_10TensorBaseESF_lENKUlvE_clEvENKUlvE0_clEvEUlffE_fEEDaPvRmT3_T4_T5_mT6_P12ihipStream_tbENKUlT_T0_E_clISt17integral_constantIbLb1EESW_EEDaSR_SS_EUlSR_E0_NS1_11comp_targetILNS1_3genE3ELNS1_11target_archE908ELNS1_3gpuE7ELNS1_3repE0EEENS1_30default_config_static_selectorELNS0_4arch9wavefront6targetE1EEEvT1_: ; @_ZN7rocprim17ROCPRIM_400000_NS6detail17trampoline_kernelINS0_14default_configENS1_20scan_config_selectorIfEEZZNS1_9scan_implILNS1_25lookback_scan_determinismE0ELb0ELb0ES3_PKfPffZZZN2at6native31launch_logcumsumexp_cuda_kernelERKNSB_10TensorBaseESF_lENKUlvE_clEvENKUlvE0_clEvEUlffE_fEEDaPvRmT3_T4_T5_mT6_P12ihipStream_tbENKUlT_T0_E_clISt17integral_constantIbLb1EESW_EEDaSR_SS_EUlSR_E0_NS1_11comp_targetILNS1_3genE3ELNS1_11target_archE908ELNS1_3gpuE7ELNS1_3repE0EEENS1_30default_config_static_selectorELNS0_4arch9wavefront6targetE1EEEvT1_
; %bb.0:
	.section	.rodata,"a",@progbits
	.p2align	6, 0x0
	.amdhsa_kernel _ZN7rocprim17ROCPRIM_400000_NS6detail17trampoline_kernelINS0_14default_configENS1_20scan_config_selectorIfEEZZNS1_9scan_implILNS1_25lookback_scan_determinismE0ELb0ELb0ES3_PKfPffZZZN2at6native31launch_logcumsumexp_cuda_kernelERKNSB_10TensorBaseESF_lENKUlvE_clEvENKUlvE0_clEvEUlffE_fEEDaPvRmT3_T4_T5_mT6_P12ihipStream_tbENKUlT_T0_E_clISt17integral_constantIbLb1EESW_EEDaSR_SS_EUlSR_E0_NS1_11comp_targetILNS1_3genE3ELNS1_11target_archE908ELNS1_3gpuE7ELNS1_3repE0EEENS1_30default_config_static_selectorELNS0_4arch9wavefront6targetE1EEEvT1_
		.amdhsa_group_segment_fixed_size 0
		.amdhsa_private_segment_fixed_size 0
		.amdhsa_kernarg_size 32
		.amdhsa_user_sgpr_count 6
		.amdhsa_user_sgpr_private_segment_buffer 1
		.amdhsa_user_sgpr_dispatch_ptr 0
		.amdhsa_user_sgpr_queue_ptr 0
		.amdhsa_user_sgpr_kernarg_segment_ptr 1
		.amdhsa_user_sgpr_dispatch_id 0
		.amdhsa_user_sgpr_flat_scratch_init 0
		.amdhsa_user_sgpr_kernarg_preload_length 0
		.amdhsa_user_sgpr_kernarg_preload_offset 0
		.amdhsa_user_sgpr_private_segment_size 0
		.amdhsa_uses_dynamic_stack 0
		.amdhsa_system_sgpr_private_segment_wavefront_offset 0
		.amdhsa_system_sgpr_workgroup_id_x 1
		.amdhsa_system_sgpr_workgroup_id_y 0
		.amdhsa_system_sgpr_workgroup_id_z 0
		.amdhsa_system_sgpr_workgroup_info 0
		.amdhsa_system_vgpr_workitem_id 0
		.amdhsa_next_free_vgpr 1
		.amdhsa_next_free_sgpr 0
		.amdhsa_accum_offset 4
		.amdhsa_reserve_vcc 0
		.amdhsa_reserve_flat_scratch 0
		.amdhsa_float_round_mode_32 0
		.amdhsa_float_round_mode_16_64 0
		.amdhsa_float_denorm_mode_32 3
		.amdhsa_float_denorm_mode_16_64 3
		.amdhsa_dx10_clamp 1
		.amdhsa_ieee_mode 1
		.amdhsa_fp16_overflow 0
		.amdhsa_tg_split 0
		.amdhsa_exception_fp_ieee_invalid_op 0
		.amdhsa_exception_fp_denorm_src 0
		.amdhsa_exception_fp_ieee_div_zero 0
		.amdhsa_exception_fp_ieee_overflow 0
		.amdhsa_exception_fp_ieee_underflow 0
		.amdhsa_exception_fp_ieee_inexact 0
		.amdhsa_exception_int_div_zero 0
	.end_amdhsa_kernel
	.section	.text._ZN7rocprim17ROCPRIM_400000_NS6detail17trampoline_kernelINS0_14default_configENS1_20scan_config_selectorIfEEZZNS1_9scan_implILNS1_25lookback_scan_determinismE0ELb0ELb0ES3_PKfPffZZZN2at6native31launch_logcumsumexp_cuda_kernelERKNSB_10TensorBaseESF_lENKUlvE_clEvENKUlvE0_clEvEUlffE_fEEDaPvRmT3_T4_T5_mT6_P12ihipStream_tbENKUlT_T0_E_clISt17integral_constantIbLb1EESW_EEDaSR_SS_EUlSR_E0_NS1_11comp_targetILNS1_3genE3ELNS1_11target_archE908ELNS1_3gpuE7ELNS1_3repE0EEENS1_30default_config_static_selectorELNS0_4arch9wavefront6targetE1EEEvT1_,"axG",@progbits,_ZN7rocprim17ROCPRIM_400000_NS6detail17trampoline_kernelINS0_14default_configENS1_20scan_config_selectorIfEEZZNS1_9scan_implILNS1_25lookback_scan_determinismE0ELb0ELb0ES3_PKfPffZZZN2at6native31launch_logcumsumexp_cuda_kernelERKNSB_10TensorBaseESF_lENKUlvE_clEvENKUlvE0_clEvEUlffE_fEEDaPvRmT3_T4_T5_mT6_P12ihipStream_tbENKUlT_T0_E_clISt17integral_constantIbLb1EESW_EEDaSR_SS_EUlSR_E0_NS1_11comp_targetILNS1_3genE3ELNS1_11target_archE908ELNS1_3gpuE7ELNS1_3repE0EEENS1_30default_config_static_selectorELNS0_4arch9wavefront6targetE1EEEvT1_,comdat
.Lfunc_end127:
	.size	_ZN7rocprim17ROCPRIM_400000_NS6detail17trampoline_kernelINS0_14default_configENS1_20scan_config_selectorIfEEZZNS1_9scan_implILNS1_25lookback_scan_determinismE0ELb0ELb0ES3_PKfPffZZZN2at6native31launch_logcumsumexp_cuda_kernelERKNSB_10TensorBaseESF_lENKUlvE_clEvENKUlvE0_clEvEUlffE_fEEDaPvRmT3_T4_T5_mT6_P12ihipStream_tbENKUlT_T0_E_clISt17integral_constantIbLb1EESW_EEDaSR_SS_EUlSR_E0_NS1_11comp_targetILNS1_3genE3ELNS1_11target_archE908ELNS1_3gpuE7ELNS1_3repE0EEENS1_30default_config_static_selectorELNS0_4arch9wavefront6targetE1EEEvT1_, .Lfunc_end127-_ZN7rocprim17ROCPRIM_400000_NS6detail17trampoline_kernelINS0_14default_configENS1_20scan_config_selectorIfEEZZNS1_9scan_implILNS1_25lookback_scan_determinismE0ELb0ELb0ES3_PKfPffZZZN2at6native31launch_logcumsumexp_cuda_kernelERKNSB_10TensorBaseESF_lENKUlvE_clEvENKUlvE0_clEvEUlffE_fEEDaPvRmT3_T4_T5_mT6_P12ihipStream_tbENKUlT_T0_E_clISt17integral_constantIbLb1EESW_EEDaSR_SS_EUlSR_E0_NS1_11comp_targetILNS1_3genE3ELNS1_11target_archE908ELNS1_3gpuE7ELNS1_3repE0EEENS1_30default_config_static_selectorELNS0_4arch9wavefront6targetE1EEEvT1_
                                        ; -- End function
	.section	.AMDGPU.csdata,"",@progbits
; Kernel info:
; codeLenInByte = 0
; NumSgprs: 4
; NumVgprs: 0
; NumAgprs: 0
; TotalNumVgprs: 0
; ScratchSize: 0
; MemoryBound: 0
; FloatMode: 240
; IeeeMode: 1
; LDSByteSize: 0 bytes/workgroup (compile time only)
; SGPRBlocks: 0
; VGPRBlocks: 0
; NumSGPRsForWavesPerEU: 4
; NumVGPRsForWavesPerEU: 1
; AccumOffset: 4
; Occupancy: 8
; WaveLimiterHint : 0
; COMPUTE_PGM_RSRC2:SCRATCH_EN: 0
; COMPUTE_PGM_RSRC2:USER_SGPR: 6
; COMPUTE_PGM_RSRC2:TRAP_HANDLER: 0
; COMPUTE_PGM_RSRC2:TGID_X_EN: 1
; COMPUTE_PGM_RSRC2:TGID_Y_EN: 0
; COMPUTE_PGM_RSRC2:TGID_Z_EN: 0
; COMPUTE_PGM_RSRC2:TIDIG_COMP_CNT: 0
; COMPUTE_PGM_RSRC3_GFX90A:ACCUM_OFFSET: 0
; COMPUTE_PGM_RSRC3_GFX90A:TG_SPLIT: 0
	.section	.text._ZN7rocprim17ROCPRIM_400000_NS6detail17trampoline_kernelINS0_14default_configENS1_20scan_config_selectorIfEEZZNS1_9scan_implILNS1_25lookback_scan_determinismE0ELb0ELb0ES3_PKfPffZZZN2at6native31launch_logcumsumexp_cuda_kernelERKNSB_10TensorBaseESF_lENKUlvE_clEvENKUlvE0_clEvEUlffE_fEEDaPvRmT3_T4_T5_mT6_P12ihipStream_tbENKUlT_T0_E_clISt17integral_constantIbLb1EESW_EEDaSR_SS_EUlSR_E0_NS1_11comp_targetILNS1_3genE2ELNS1_11target_archE906ELNS1_3gpuE6ELNS1_3repE0EEENS1_30default_config_static_selectorELNS0_4arch9wavefront6targetE1EEEvT1_,"axG",@progbits,_ZN7rocprim17ROCPRIM_400000_NS6detail17trampoline_kernelINS0_14default_configENS1_20scan_config_selectorIfEEZZNS1_9scan_implILNS1_25lookback_scan_determinismE0ELb0ELb0ES3_PKfPffZZZN2at6native31launch_logcumsumexp_cuda_kernelERKNSB_10TensorBaseESF_lENKUlvE_clEvENKUlvE0_clEvEUlffE_fEEDaPvRmT3_T4_T5_mT6_P12ihipStream_tbENKUlT_T0_E_clISt17integral_constantIbLb1EESW_EEDaSR_SS_EUlSR_E0_NS1_11comp_targetILNS1_3genE2ELNS1_11target_archE906ELNS1_3gpuE6ELNS1_3repE0EEENS1_30default_config_static_selectorELNS0_4arch9wavefront6targetE1EEEvT1_,comdat
	.globl	_ZN7rocprim17ROCPRIM_400000_NS6detail17trampoline_kernelINS0_14default_configENS1_20scan_config_selectorIfEEZZNS1_9scan_implILNS1_25lookback_scan_determinismE0ELb0ELb0ES3_PKfPffZZZN2at6native31launch_logcumsumexp_cuda_kernelERKNSB_10TensorBaseESF_lENKUlvE_clEvENKUlvE0_clEvEUlffE_fEEDaPvRmT3_T4_T5_mT6_P12ihipStream_tbENKUlT_T0_E_clISt17integral_constantIbLb1EESW_EEDaSR_SS_EUlSR_E0_NS1_11comp_targetILNS1_3genE2ELNS1_11target_archE906ELNS1_3gpuE6ELNS1_3repE0EEENS1_30default_config_static_selectorELNS0_4arch9wavefront6targetE1EEEvT1_ ; -- Begin function _ZN7rocprim17ROCPRIM_400000_NS6detail17trampoline_kernelINS0_14default_configENS1_20scan_config_selectorIfEEZZNS1_9scan_implILNS1_25lookback_scan_determinismE0ELb0ELb0ES3_PKfPffZZZN2at6native31launch_logcumsumexp_cuda_kernelERKNSB_10TensorBaseESF_lENKUlvE_clEvENKUlvE0_clEvEUlffE_fEEDaPvRmT3_T4_T5_mT6_P12ihipStream_tbENKUlT_T0_E_clISt17integral_constantIbLb1EESW_EEDaSR_SS_EUlSR_E0_NS1_11comp_targetILNS1_3genE2ELNS1_11target_archE906ELNS1_3gpuE6ELNS1_3repE0EEENS1_30default_config_static_selectorELNS0_4arch9wavefront6targetE1EEEvT1_
	.p2align	8
	.type	_ZN7rocprim17ROCPRIM_400000_NS6detail17trampoline_kernelINS0_14default_configENS1_20scan_config_selectorIfEEZZNS1_9scan_implILNS1_25lookback_scan_determinismE0ELb0ELb0ES3_PKfPffZZZN2at6native31launch_logcumsumexp_cuda_kernelERKNSB_10TensorBaseESF_lENKUlvE_clEvENKUlvE0_clEvEUlffE_fEEDaPvRmT3_T4_T5_mT6_P12ihipStream_tbENKUlT_T0_E_clISt17integral_constantIbLb1EESW_EEDaSR_SS_EUlSR_E0_NS1_11comp_targetILNS1_3genE2ELNS1_11target_archE906ELNS1_3gpuE6ELNS1_3repE0EEENS1_30default_config_static_selectorELNS0_4arch9wavefront6targetE1EEEvT1_,@function
_ZN7rocprim17ROCPRIM_400000_NS6detail17trampoline_kernelINS0_14default_configENS1_20scan_config_selectorIfEEZZNS1_9scan_implILNS1_25lookback_scan_determinismE0ELb0ELb0ES3_PKfPffZZZN2at6native31launch_logcumsumexp_cuda_kernelERKNSB_10TensorBaseESF_lENKUlvE_clEvENKUlvE0_clEvEUlffE_fEEDaPvRmT3_T4_T5_mT6_P12ihipStream_tbENKUlT_T0_E_clISt17integral_constantIbLb1EESW_EEDaSR_SS_EUlSR_E0_NS1_11comp_targetILNS1_3genE2ELNS1_11target_archE906ELNS1_3gpuE6ELNS1_3repE0EEENS1_30default_config_static_selectorELNS0_4arch9wavefront6targetE1EEEvT1_: ; @_ZN7rocprim17ROCPRIM_400000_NS6detail17trampoline_kernelINS0_14default_configENS1_20scan_config_selectorIfEEZZNS1_9scan_implILNS1_25lookback_scan_determinismE0ELb0ELb0ES3_PKfPffZZZN2at6native31launch_logcumsumexp_cuda_kernelERKNSB_10TensorBaseESF_lENKUlvE_clEvENKUlvE0_clEvEUlffE_fEEDaPvRmT3_T4_T5_mT6_P12ihipStream_tbENKUlT_T0_E_clISt17integral_constantIbLb1EESW_EEDaSR_SS_EUlSR_E0_NS1_11comp_targetILNS1_3genE2ELNS1_11target_archE906ELNS1_3gpuE6ELNS1_3repE0EEENS1_30default_config_static_selectorELNS0_4arch9wavefront6targetE1EEEvT1_
; %bb.0:
	.section	.rodata,"a",@progbits
	.p2align	6, 0x0
	.amdhsa_kernel _ZN7rocprim17ROCPRIM_400000_NS6detail17trampoline_kernelINS0_14default_configENS1_20scan_config_selectorIfEEZZNS1_9scan_implILNS1_25lookback_scan_determinismE0ELb0ELb0ES3_PKfPffZZZN2at6native31launch_logcumsumexp_cuda_kernelERKNSB_10TensorBaseESF_lENKUlvE_clEvENKUlvE0_clEvEUlffE_fEEDaPvRmT3_T4_T5_mT6_P12ihipStream_tbENKUlT_T0_E_clISt17integral_constantIbLb1EESW_EEDaSR_SS_EUlSR_E0_NS1_11comp_targetILNS1_3genE2ELNS1_11target_archE906ELNS1_3gpuE6ELNS1_3repE0EEENS1_30default_config_static_selectorELNS0_4arch9wavefront6targetE1EEEvT1_
		.amdhsa_group_segment_fixed_size 0
		.amdhsa_private_segment_fixed_size 0
		.amdhsa_kernarg_size 32
		.amdhsa_user_sgpr_count 6
		.amdhsa_user_sgpr_private_segment_buffer 1
		.amdhsa_user_sgpr_dispatch_ptr 0
		.amdhsa_user_sgpr_queue_ptr 0
		.amdhsa_user_sgpr_kernarg_segment_ptr 1
		.amdhsa_user_sgpr_dispatch_id 0
		.amdhsa_user_sgpr_flat_scratch_init 0
		.amdhsa_user_sgpr_kernarg_preload_length 0
		.amdhsa_user_sgpr_kernarg_preload_offset 0
		.amdhsa_user_sgpr_private_segment_size 0
		.amdhsa_uses_dynamic_stack 0
		.amdhsa_system_sgpr_private_segment_wavefront_offset 0
		.amdhsa_system_sgpr_workgroup_id_x 1
		.amdhsa_system_sgpr_workgroup_id_y 0
		.amdhsa_system_sgpr_workgroup_id_z 0
		.amdhsa_system_sgpr_workgroup_info 0
		.amdhsa_system_vgpr_workitem_id 0
		.amdhsa_next_free_vgpr 1
		.amdhsa_next_free_sgpr 0
		.amdhsa_accum_offset 4
		.amdhsa_reserve_vcc 0
		.amdhsa_reserve_flat_scratch 0
		.amdhsa_float_round_mode_32 0
		.amdhsa_float_round_mode_16_64 0
		.amdhsa_float_denorm_mode_32 3
		.amdhsa_float_denorm_mode_16_64 3
		.amdhsa_dx10_clamp 1
		.amdhsa_ieee_mode 1
		.amdhsa_fp16_overflow 0
		.amdhsa_tg_split 0
		.amdhsa_exception_fp_ieee_invalid_op 0
		.amdhsa_exception_fp_denorm_src 0
		.amdhsa_exception_fp_ieee_div_zero 0
		.amdhsa_exception_fp_ieee_overflow 0
		.amdhsa_exception_fp_ieee_underflow 0
		.amdhsa_exception_fp_ieee_inexact 0
		.amdhsa_exception_int_div_zero 0
	.end_amdhsa_kernel
	.section	.text._ZN7rocprim17ROCPRIM_400000_NS6detail17trampoline_kernelINS0_14default_configENS1_20scan_config_selectorIfEEZZNS1_9scan_implILNS1_25lookback_scan_determinismE0ELb0ELb0ES3_PKfPffZZZN2at6native31launch_logcumsumexp_cuda_kernelERKNSB_10TensorBaseESF_lENKUlvE_clEvENKUlvE0_clEvEUlffE_fEEDaPvRmT3_T4_T5_mT6_P12ihipStream_tbENKUlT_T0_E_clISt17integral_constantIbLb1EESW_EEDaSR_SS_EUlSR_E0_NS1_11comp_targetILNS1_3genE2ELNS1_11target_archE906ELNS1_3gpuE6ELNS1_3repE0EEENS1_30default_config_static_selectorELNS0_4arch9wavefront6targetE1EEEvT1_,"axG",@progbits,_ZN7rocprim17ROCPRIM_400000_NS6detail17trampoline_kernelINS0_14default_configENS1_20scan_config_selectorIfEEZZNS1_9scan_implILNS1_25lookback_scan_determinismE0ELb0ELb0ES3_PKfPffZZZN2at6native31launch_logcumsumexp_cuda_kernelERKNSB_10TensorBaseESF_lENKUlvE_clEvENKUlvE0_clEvEUlffE_fEEDaPvRmT3_T4_T5_mT6_P12ihipStream_tbENKUlT_T0_E_clISt17integral_constantIbLb1EESW_EEDaSR_SS_EUlSR_E0_NS1_11comp_targetILNS1_3genE2ELNS1_11target_archE906ELNS1_3gpuE6ELNS1_3repE0EEENS1_30default_config_static_selectorELNS0_4arch9wavefront6targetE1EEEvT1_,comdat
.Lfunc_end128:
	.size	_ZN7rocprim17ROCPRIM_400000_NS6detail17trampoline_kernelINS0_14default_configENS1_20scan_config_selectorIfEEZZNS1_9scan_implILNS1_25lookback_scan_determinismE0ELb0ELb0ES3_PKfPffZZZN2at6native31launch_logcumsumexp_cuda_kernelERKNSB_10TensorBaseESF_lENKUlvE_clEvENKUlvE0_clEvEUlffE_fEEDaPvRmT3_T4_T5_mT6_P12ihipStream_tbENKUlT_T0_E_clISt17integral_constantIbLb1EESW_EEDaSR_SS_EUlSR_E0_NS1_11comp_targetILNS1_3genE2ELNS1_11target_archE906ELNS1_3gpuE6ELNS1_3repE0EEENS1_30default_config_static_selectorELNS0_4arch9wavefront6targetE1EEEvT1_, .Lfunc_end128-_ZN7rocprim17ROCPRIM_400000_NS6detail17trampoline_kernelINS0_14default_configENS1_20scan_config_selectorIfEEZZNS1_9scan_implILNS1_25lookback_scan_determinismE0ELb0ELb0ES3_PKfPffZZZN2at6native31launch_logcumsumexp_cuda_kernelERKNSB_10TensorBaseESF_lENKUlvE_clEvENKUlvE0_clEvEUlffE_fEEDaPvRmT3_T4_T5_mT6_P12ihipStream_tbENKUlT_T0_E_clISt17integral_constantIbLb1EESW_EEDaSR_SS_EUlSR_E0_NS1_11comp_targetILNS1_3genE2ELNS1_11target_archE906ELNS1_3gpuE6ELNS1_3repE0EEENS1_30default_config_static_selectorELNS0_4arch9wavefront6targetE1EEEvT1_
                                        ; -- End function
	.section	.AMDGPU.csdata,"",@progbits
; Kernel info:
; codeLenInByte = 0
; NumSgprs: 4
; NumVgprs: 0
; NumAgprs: 0
; TotalNumVgprs: 0
; ScratchSize: 0
; MemoryBound: 0
; FloatMode: 240
; IeeeMode: 1
; LDSByteSize: 0 bytes/workgroup (compile time only)
; SGPRBlocks: 0
; VGPRBlocks: 0
; NumSGPRsForWavesPerEU: 4
; NumVGPRsForWavesPerEU: 1
; AccumOffset: 4
; Occupancy: 8
; WaveLimiterHint : 0
; COMPUTE_PGM_RSRC2:SCRATCH_EN: 0
; COMPUTE_PGM_RSRC2:USER_SGPR: 6
; COMPUTE_PGM_RSRC2:TRAP_HANDLER: 0
; COMPUTE_PGM_RSRC2:TGID_X_EN: 1
; COMPUTE_PGM_RSRC2:TGID_Y_EN: 0
; COMPUTE_PGM_RSRC2:TGID_Z_EN: 0
; COMPUTE_PGM_RSRC2:TIDIG_COMP_CNT: 0
; COMPUTE_PGM_RSRC3_GFX90A:ACCUM_OFFSET: 0
; COMPUTE_PGM_RSRC3_GFX90A:TG_SPLIT: 0
	.section	.text._ZN7rocprim17ROCPRIM_400000_NS6detail17trampoline_kernelINS0_14default_configENS1_20scan_config_selectorIfEEZZNS1_9scan_implILNS1_25lookback_scan_determinismE0ELb0ELb0ES3_PKfPffZZZN2at6native31launch_logcumsumexp_cuda_kernelERKNSB_10TensorBaseESF_lENKUlvE_clEvENKUlvE0_clEvEUlffE_fEEDaPvRmT3_T4_T5_mT6_P12ihipStream_tbENKUlT_T0_E_clISt17integral_constantIbLb1EESW_EEDaSR_SS_EUlSR_E0_NS1_11comp_targetILNS1_3genE10ELNS1_11target_archE1201ELNS1_3gpuE5ELNS1_3repE0EEENS1_30default_config_static_selectorELNS0_4arch9wavefront6targetE1EEEvT1_,"axG",@progbits,_ZN7rocprim17ROCPRIM_400000_NS6detail17trampoline_kernelINS0_14default_configENS1_20scan_config_selectorIfEEZZNS1_9scan_implILNS1_25lookback_scan_determinismE0ELb0ELb0ES3_PKfPffZZZN2at6native31launch_logcumsumexp_cuda_kernelERKNSB_10TensorBaseESF_lENKUlvE_clEvENKUlvE0_clEvEUlffE_fEEDaPvRmT3_T4_T5_mT6_P12ihipStream_tbENKUlT_T0_E_clISt17integral_constantIbLb1EESW_EEDaSR_SS_EUlSR_E0_NS1_11comp_targetILNS1_3genE10ELNS1_11target_archE1201ELNS1_3gpuE5ELNS1_3repE0EEENS1_30default_config_static_selectorELNS0_4arch9wavefront6targetE1EEEvT1_,comdat
	.globl	_ZN7rocprim17ROCPRIM_400000_NS6detail17trampoline_kernelINS0_14default_configENS1_20scan_config_selectorIfEEZZNS1_9scan_implILNS1_25lookback_scan_determinismE0ELb0ELb0ES3_PKfPffZZZN2at6native31launch_logcumsumexp_cuda_kernelERKNSB_10TensorBaseESF_lENKUlvE_clEvENKUlvE0_clEvEUlffE_fEEDaPvRmT3_T4_T5_mT6_P12ihipStream_tbENKUlT_T0_E_clISt17integral_constantIbLb1EESW_EEDaSR_SS_EUlSR_E0_NS1_11comp_targetILNS1_3genE10ELNS1_11target_archE1201ELNS1_3gpuE5ELNS1_3repE0EEENS1_30default_config_static_selectorELNS0_4arch9wavefront6targetE1EEEvT1_ ; -- Begin function _ZN7rocprim17ROCPRIM_400000_NS6detail17trampoline_kernelINS0_14default_configENS1_20scan_config_selectorIfEEZZNS1_9scan_implILNS1_25lookback_scan_determinismE0ELb0ELb0ES3_PKfPffZZZN2at6native31launch_logcumsumexp_cuda_kernelERKNSB_10TensorBaseESF_lENKUlvE_clEvENKUlvE0_clEvEUlffE_fEEDaPvRmT3_T4_T5_mT6_P12ihipStream_tbENKUlT_T0_E_clISt17integral_constantIbLb1EESW_EEDaSR_SS_EUlSR_E0_NS1_11comp_targetILNS1_3genE10ELNS1_11target_archE1201ELNS1_3gpuE5ELNS1_3repE0EEENS1_30default_config_static_selectorELNS0_4arch9wavefront6targetE1EEEvT1_
	.p2align	8
	.type	_ZN7rocprim17ROCPRIM_400000_NS6detail17trampoline_kernelINS0_14default_configENS1_20scan_config_selectorIfEEZZNS1_9scan_implILNS1_25lookback_scan_determinismE0ELb0ELb0ES3_PKfPffZZZN2at6native31launch_logcumsumexp_cuda_kernelERKNSB_10TensorBaseESF_lENKUlvE_clEvENKUlvE0_clEvEUlffE_fEEDaPvRmT3_T4_T5_mT6_P12ihipStream_tbENKUlT_T0_E_clISt17integral_constantIbLb1EESW_EEDaSR_SS_EUlSR_E0_NS1_11comp_targetILNS1_3genE10ELNS1_11target_archE1201ELNS1_3gpuE5ELNS1_3repE0EEENS1_30default_config_static_selectorELNS0_4arch9wavefront6targetE1EEEvT1_,@function
_ZN7rocprim17ROCPRIM_400000_NS6detail17trampoline_kernelINS0_14default_configENS1_20scan_config_selectorIfEEZZNS1_9scan_implILNS1_25lookback_scan_determinismE0ELb0ELb0ES3_PKfPffZZZN2at6native31launch_logcumsumexp_cuda_kernelERKNSB_10TensorBaseESF_lENKUlvE_clEvENKUlvE0_clEvEUlffE_fEEDaPvRmT3_T4_T5_mT6_P12ihipStream_tbENKUlT_T0_E_clISt17integral_constantIbLb1EESW_EEDaSR_SS_EUlSR_E0_NS1_11comp_targetILNS1_3genE10ELNS1_11target_archE1201ELNS1_3gpuE5ELNS1_3repE0EEENS1_30default_config_static_selectorELNS0_4arch9wavefront6targetE1EEEvT1_: ; @_ZN7rocprim17ROCPRIM_400000_NS6detail17trampoline_kernelINS0_14default_configENS1_20scan_config_selectorIfEEZZNS1_9scan_implILNS1_25lookback_scan_determinismE0ELb0ELb0ES3_PKfPffZZZN2at6native31launch_logcumsumexp_cuda_kernelERKNSB_10TensorBaseESF_lENKUlvE_clEvENKUlvE0_clEvEUlffE_fEEDaPvRmT3_T4_T5_mT6_P12ihipStream_tbENKUlT_T0_E_clISt17integral_constantIbLb1EESW_EEDaSR_SS_EUlSR_E0_NS1_11comp_targetILNS1_3genE10ELNS1_11target_archE1201ELNS1_3gpuE5ELNS1_3repE0EEENS1_30default_config_static_selectorELNS0_4arch9wavefront6targetE1EEEvT1_
; %bb.0:
	.section	.rodata,"a",@progbits
	.p2align	6, 0x0
	.amdhsa_kernel _ZN7rocprim17ROCPRIM_400000_NS6detail17trampoline_kernelINS0_14default_configENS1_20scan_config_selectorIfEEZZNS1_9scan_implILNS1_25lookback_scan_determinismE0ELb0ELb0ES3_PKfPffZZZN2at6native31launch_logcumsumexp_cuda_kernelERKNSB_10TensorBaseESF_lENKUlvE_clEvENKUlvE0_clEvEUlffE_fEEDaPvRmT3_T4_T5_mT6_P12ihipStream_tbENKUlT_T0_E_clISt17integral_constantIbLb1EESW_EEDaSR_SS_EUlSR_E0_NS1_11comp_targetILNS1_3genE10ELNS1_11target_archE1201ELNS1_3gpuE5ELNS1_3repE0EEENS1_30default_config_static_selectorELNS0_4arch9wavefront6targetE1EEEvT1_
		.amdhsa_group_segment_fixed_size 0
		.amdhsa_private_segment_fixed_size 0
		.amdhsa_kernarg_size 32
		.amdhsa_user_sgpr_count 6
		.amdhsa_user_sgpr_private_segment_buffer 1
		.amdhsa_user_sgpr_dispatch_ptr 0
		.amdhsa_user_sgpr_queue_ptr 0
		.amdhsa_user_sgpr_kernarg_segment_ptr 1
		.amdhsa_user_sgpr_dispatch_id 0
		.amdhsa_user_sgpr_flat_scratch_init 0
		.amdhsa_user_sgpr_kernarg_preload_length 0
		.amdhsa_user_sgpr_kernarg_preload_offset 0
		.amdhsa_user_sgpr_private_segment_size 0
		.amdhsa_uses_dynamic_stack 0
		.amdhsa_system_sgpr_private_segment_wavefront_offset 0
		.amdhsa_system_sgpr_workgroup_id_x 1
		.amdhsa_system_sgpr_workgroup_id_y 0
		.amdhsa_system_sgpr_workgroup_id_z 0
		.amdhsa_system_sgpr_workgroup_info 0
		.amdhsa_system_vgpr_workitem_id 0
		.amdhsa_next_free_vgpr 1
		.amdhsa_next_free_sgpr 0
		.amdhsa_accum_offset 4
		.amdhsa_reserve_vcc 0
		.amdhsa_reserve_flat_scratch 0
		.amdhsa_float_round_mode_32 0
		.amdhsa_float_round_mode_16_64 0
		.amdhsa_float_denorm_mode_32 3
		.amdhsa_float_denorm_mode_16_64 3
		.amdhsa_dx10_clamp 1
		.amdhsa_ieee_mode 1
		.amdhsa_fp16_overflow 0
		.amdhsa_tg_split 0
		.amdhsa_exception_fp_ieee_invalid_op 0
		.amdhsa_exception_fp_denorm_src 0
		.amdhsa_exception_fp_ieee_div_zero 0
		.amdhsa_exception_fp_ieee_overflow 0
		.amdhsa_exception_fp_ieee_underflow 0
		.amdhsa_exception_fp_ieee_inexact 0
		.amdhsa_exception_int_div_zero 0
	.end_amdhsa_kernel
	.section	.text._ZN7rocprim17ROCPRIM_400000_NS6detail17trampoline_kernelINS0_14default_configENS1_20scan_config_selectorIfEEZZNS1_9scan_implILNS1_25lookback_scan_determinismE0ELb0ELb0ES3_PKfPffZZZN2at6native31launch_logcumsumexp_cuda_kernelERKNSB_10TensorBaseESF_lENKUlvE_clEvENKUlvE0_clEvEUlffE_fEEDaPvRmT3_T4_T5_mT6_P12ihipStream_tbENKUlT_T0_E_clISt17integral_constantIbLb1EESW_EEDaSR_SS_EUlSR_E0_NS1_11comp_targetILNS1_3genE10ELNS1_11target_archE1201ELNS1_3gpuE5ELNS1_3repE0EEENS1_30default_config_static_selectorELNS0_4arch9wavefront6targetE1EEEvT1_,"axG",@progbits,_ZN7rocprim17ROCPRIM_400000_NS6detail17trampoline_kernelINS0_14default_configENS1_20scan_config_selectorIfEEZZNS1_9scan_implILNS1_25lookback_scan_determinismE0ELb0ELb0ES3_PKfPffZZZN2at6native31launch_logcumsumexp_cuda_kernelERKNSB_10TensorBaseESF_lENKUlvE_clEvENKUlvE0_clEvEUlffE_fEEDaPvRmT3_T4_T5_mT6_P12ihipStream_tbENKUlT_T0_E_clISt17integral_constantIbLb1EESW_EEDaSR_SS_EUlSR_E0_NS1_11comp_targetILNS1_3genE10ELNS1_11target_archE1201ELNS1_3gpuE5ELNS1_3repE0EEENS1_30default_config_static_selectorELNS0_4arch9wavefront6targetE1EEEvT1_,comdat
.Lfunc_end129:
	.size	_ZN7rocprim17ROCPRIM_400000_NS6detail17trampoline_kernelINS0_14default_configENS1_20scan_config_selectorIfEEZZNS1_9scan_implILNS1_25lookback_scan_determinismE0ELb0ELb0ES3_PKfPffZZZN2at6native31launch_logcumsumexp_cuda_kernelERKNSB_10TensorBaseESF_lENKUlvE_clEvENKUlvE0_clEvEUlffE_fEEDaPvRmT3_T4_T5_mT6_P12ihipStream_tbENKUlT_T0_E_clISt17integral_constantIbLb1EESW_EEDaSR_SS_EUlSR_E0_NS1_11comp_targetILNS1_3genE10ELNS1_11target_archE1201ELNS1_3gpuE5ELNS1_3repE0EEENS1_30default_config_static_selectorELNS0_4arch9wavefront6targetE1EEEvT1_, .Lfunc_end129-_ZN7rocprim17ROCPRIM_400000_NS6detail17trampoline_kernelINS0_14default_configENS1_20scan_config_selectorIfEEZZNS1_9scan_implILNS1_25lookback_scan_determinismE0ELb0ELb0ES3_PKfPffZZZN2at6native31launch_logcumsumexp_cuda_kernelERKNSB_10TensorBaseESF_lENKUlvE_clEvENKUlvE0_clEvEUlffE_fEEDaPvRmT3_T4_T5_mT6_P12ihipStream_tbENKUlT_T0_E_clISt17integral_constantIbLb1EESW_EEDaSR_SS_EUlSR_E0_NS1_11comp_targetILNS1_3genE10ELNS1_11target_archE1201ELNS1_3gpuE5ELNS1_3repE0EEENS1_30default_config_static_selectorELNS0_4arch9wavefront6targetE1EEEvT1_
                                        ; -- End function
	.section	.AMDGPU.csdata,"",@progbits
; Kernel info:
; codeLenInByte = 0
; NumSgprs: 4
; NumVgprs: 0
; NumAgprs: 0
; TotalNumVgprs: 0
; ScratchSize: 0
; MemoryBound: 0
; FloatMode: 240
; IeeeMode: 1
; LDSByteSize: 0 bytes/workgroup (compile time only)
; SGPRBlocks: 0
; VGPRBlocks: 0
; NumSGPRsForWavesPerEU: 4
; NumVGPRsForWavesPerEU: 1
; AccumOffset: 4
; Occupancy: 8
; WaveLimiterHint : 0
; COMPUTE_PGM_RSRC2:SCRATCH_EN: 0
; COMPUTE_PGM_RSRC2:USER_SGPR: 6
; COMPUTE_PGM_RSRC2:TRAP_HANDLER: 0
; COMPUTE_PGM_RSRC2:TGID_X_EN: 1
; COMPUTE_PGM_RSRC2:TGID_Y_EN: 0
; COMPUTE_PGM_RSRC2:TGID_Z_EN: 0
; COMPUTE_PGM_RSRC2:TIDIG_COMP_CNT: 0
; COMPUTE_PGM_RSRC3_GFX90A:ACCUM_OFFSET: 0
; COMPUTE_PGM_RSRC3_GFX90A:TG_SPLIT: 0
	.section	.text._ZN7rocprim17ROCPRIM_400000_NS6detail17trampoline_kernelINS0_14default_configENS1_20scan_config_selectorIfEEZZNS1_9scan_implILNS1_25lookback_scan_determinismE0ELb0ELb0ES3_PKfPffZZZN2at6native31launch_logcumsumexp_cuda_kernelERKNSB_10TensorBaseESF_lENKUlvE_clEvENKUlvE0_clEvEUlffE_fEEDaPvRmT3_T4_T5_mT6_P12ihipStream_tbENKUlT_T0_E_clISt17integral_constantIbLb1EESW_EEDaSR_SS_EUlSR_E0_NS1_11comp_targetILNS1_3genE10ELNS1_11target_archE1200ELNS1_3gpuE4ELNS1_3repE0EEENS1_30default_config_static_selectorELNS0_4arch9wavefront6targetE1EEEvT1_,"axG",@progbits,_ZN7rocprim17ROCPRIM_400000_NS6detail17trampoline_kernelINS0_14default_configENS1_20scan_config_selectorIfEEZZNS1_9scan_implILNS1_25lookback_scan_determinismE0ELb0ELb0ES3_PKfPffZZZN2at6native31launch_logcumsumexp_cuda_kernelERKNSB_10TensorBaseESF_lENKUlvE_clEvENKUlvE0_clEvEUlffE_fEEDaPvRmT3_T4_T5_mT6_P12ihipStream_tbENKUlT_T0_E_clISt17integral_constantIbLb1EESW_EEDaSR_SS_EUlSR_E0_NS1_11comp_targetILNS1_3genE10ELNS1_11target_archE1200ELNS1_3gpuE4ELNS1_3repE0EEENS1_30default_config_static_selectorELNS0_4arch9wavefront6targetE1EEEvT1_,comdat
	.globl	_ZN7rocprim17ROCPRIM_400000_NS6detail17trampoline_kernelINS0_14default_configENS1_20scan_config_selectorIfEEZZNS1_9scan_implILNS1_25lookback_scan_determinismE0ELb0ELb0ES3_PKfPffZZZN2at6native31launch_logcumsumexp_cuda_kernelERKNSB_10TensorBaseESF_lENKUlvE_clEvENKUlvE0_clEvEUlffE_fEEDaPvRmT3_T4_T5_mT6_P12ihipStream_tbENKUlT_T0_E_clISt17integral_constantIbLb1EESW_EEDaSR_SS_EUlSR_E0_NS1_11comp_targetILNS1_3genE10ELNS1_11target_archE1200ELNS1_3gpuE4ELNS1_3repE0EEENS1_30default_config_static_selectorELNS0_4arch9wavefront6targetE1EEEvT1_ ; -- Begin function _ZN7rocprim17ROCPRIM_400000_NS6detail17trampoline_kernelINS0_14default_configENS1_20scan_config_selectorIfEEZZNS1_9scan_implILNS1_25lookback_scan_determinismE0ELb0ELb0ES3_PKfPffZZZN2at6native31launch_logcumsumexp_cuda_kernelERKNSB_10TensorBaseESF_lENKUlvE_clEvENKUlvE0_clEvEUlffE_fEEDaPvRmT3_T4_T5_mT6_P12ihipStream_tbENKUlT_T0_E_clISt17integral_constantIbLb1EESW_EEDaSR_SS_EUlSR_E0_NS1_11comp_targetILNS1_3genE10ELNS1_11target_archE1200ELNS1_3gpuE4ELNS1_3repE0EEENS1_30default_config_static_selectorELNS0_4arch9wavefront6targetE1EEEvT1_
	.p2align	8
	.type	_ZN7rocprim17ROCPRIM_400000_NS6detail17trampoline_kernelINS0_14default_configENS1_20scan_config_selectorIfEEZZNS1_9scan_implILNS1_25lookback_scan_determinismE0ELb0ELb0ES3_PKfPffZZZN2at6native31launch_logcumsumexp_cuda_kernelERKNSB_10TensorBaseESF_lENKUlvE_clEvENKUlvE0_clEvEUlffE_fEEDaPvRmT3_T4_T5_mT6_P12ihipStream_tbENKUlT_T0_E_clISt17integral_constantIbLb1EESW_EEDaSR_SS_EUlSR_E0_NS1_11comp_targetILNS1_3genE10ELNS1_11target_archE1200ELNS1_3gpuE4ELNS1_3repE0EEENS1_30default_config_static_selectorELNS0_4arch9wavefront6targetE1EEEvT1_,@function
_ZN7rocprim17ROCPRIM_400000_NS6detail17trampoline_kernelINS0_14default_configENS1_20scan_config_selectorIfEEZZNS1_9scan_implILNS1_25lookback_scan_determinismE0ELb0ELb0ES3_PKfPffZZZN2at6native31launch_logcumsumexp_cuda_kernelERKNSB_10TensorBaseESF_lENKUlvE_clEvENKUlvE0_clEvEUlffE_fEEDaPvRmT3_T4_T5_mT6_P12ihipStream_tbENKUlT_T0_E_clISt17integral_constantIbLb1EESW_EEDaSR_SS_EUlSR_E0_NS1_11comp_targetILNS1_3genE10ELNS1_11target_archE1200ELNS1_3gpuE4ELNS1_3repE0EEENS1_30default_config_static_selectorELNS0_4arch9wavefront6targetE1EEEvT1_: ; @_ZN7rocprim17ROCPRIM_400000_NS6detail17trampoline_kernelINS0_14default_configENS1_20scan_config_selectorIfEEZZNS1_9scan_implILNS1_25lookback_scan_determinismE0ELb0ELb0ES3_PKfPffZZZN2at6native31launch_logcumsumexp_cuda_kernelERKNSB_10TensorBaseESF_lENKUlvE_clEvENKUlvE0_clEvEUlffE_fEEDaPvRmT3_T4_T5_mT6_P12ihipStream_tbENKUlT_T0_E_clISt17integral_constantIbLb1EESW_EEDaSR_SS_EUlSR_E0_NS1_11comp_targetILNS1_3genE10ELNS1_11target_archE1200ELNS1_3gpuE4ELNS1_3repE0EEENS1_30default_config_static_selectorELNS0_4arch9wavefront6targetE1EEEvT1_
; %bb.0:
	.section	.rodata,"a",@progbits
	.p2align	6, 0x0
	.amdhsa_kernel _ZN7rocprim17ROCPRIM_400000_NS6detail17trampoline_kernelINS0_14default_configENS1_20scan_config_selectorIfEEZZNS1_9scan_implILNS1_25lookback_scan_determinismE0ELb0ELb0ES3_PKfPffZZZN2at6native31launch_logcumsumexp_cuda_kernelERKNSB_10TensorBaseESF_lENKUlvE_clEvENKUlvE0_clEvEUlffE_fEEDaPvRmT3_T4_T5_mT6_P12ihipStream_tbENKUlT_T0_E_clISt17integral_constantIbLb1EESW_EEDaSR_SS_EUlSR_E0_NS1_11comp_targetILNS1_3genE10ELNS1_11target_archE1200ELNS1_3gpuE4ELNS1_3repE0EEENS1_30default_config_static_selectorELNS0_4arch9wavefront6targetE1EEEvT1_
		.amdhsa_group_segment_fixed_size 0
		.amdhsa_private_segment_fixed_size 0
		.amdhsa_kernarg_size 32
		.amdhsa_user_sgpr_count 6
		.amdhsa_user_sgpr_private_segment_buffer 1
		.amdhsa_user_sgpr_dispatch_ptr 0
		.amdhsa_user_sgpr_queue_ptr 0
		.amdhsa_user_sgpr_kernarg_segment_ptr 1
		.amdhsa_user_sgpr_dispatch_id 0
		.amdhsa_user_sgpr_flat_scratch_init 0
		.amdhsa_user_sgpr_kernarg_preload_length 0
		.amdhsa_user_sgpr_kernarg_preload_offset 0
		.amdhsa_user_sgpr_private_segment_size 0
		.amdhsa_uses_dynamic_stack 0
		.amdhsa_system_sgpr_private_segment_wavefront_offset 0
		.amdhsa_system_sgpr_workgroup_id_x 1
		.amdhsa_system_sgpr_workgroup_id_y 0
		.amdhsa_system_sgpr_workgroup_id_z 0
		.amdhsa_system_sgpr_workgroup_info 0
		.amdhsa_system_vgpr_workitem_id 0
		.amdhsa_next_free_vgpr 1
		.amdhsa_next_free_sgpr 0
		.amdhsa_accum_offset 4
		.amdhsa_reserve_vcc 0
		.amdhsa_reserve_flat_scratch 0
		.amdhsa_float_round_mode_32 0
		.amdhsa_float_round_mode_16_64 0
		.amdhsa_float_denorm_mode_32 3
		.amdhsa_float_denorm_mode_16_64 3
		.amdhsa_dx10_clamp 1
		.amdhsa_ieee_mode 1
		.amdhsa_fp16_overflow 0
		.amdhsa_tg_split 0
		.amdhsa_exception_fp_ieee_invalid_op 0
		.amdhsa_exception_fp_denorm_src 0
		.amdhsa_exception_fp_ieee_div_zero 0
		.amdhsa_exception_fp_ieee_overflow 0
		.amdhsa_exception_fp_ieee_underflow 0
		.amdhsa_exception_fp_ieee_inexact 0
		.amdhsa_exception_int_div_zero 0
	.end_amdhsa_kernel
	.section	.text._ZN7rocprim17ROCPRIM_400000_NS6detail17trampoline_kernelINS0_14default_configENS1_20scan_config_selectorIfEEZZNS1_9scan_implILNS1_25lookback_scan_determinismE0ELb0ELb0ES3_PKfPffZZZN2at6native31launch_logcumsumexp_cuda_kernelERKNSB_10TensorBaseESF_lENKUlvE_clEvENKUlvE0_clEvEUlffE_fEEDaPvRmT3_T4_T5_mT6_P12ihipStream_tbENKUlT_T0_E_clISt17integral_constantIbLb1EESW_EEDaSR_SS_EUlSR_E0_NS1_11comp_targetILNS1_3genE10ELNS1_11target_archE1200ELNS1_3gpuE4ELNS1_3repE0EEENS1_30default_config_static_selectorELNS0_4arch9wavefront6targetE1EEEvT1_,"axG",@progbits,_ZN7rocprim17ROCPRIM_400000_NS6detail17trampoline_kernelINS0_14default_configENS1_20scan_config_selectorIfEEZZNS1_9scan_implILNS1_25lookback_scan_determinismE0ELb0ELb0ES3_PKfPffZZZN2at6native31launch_logcumsumexp_cuda_kernelERKNSB_10TensorBaseESF_lENKUlvE_clEvENKUlvE0_clEvEUlffE_fEEDaPvRmT3_T4_T5_mT6_P12ihipStream_tbENKUlT_T0_E_clISt17integral_constantIbLb1EESW_EEDaSR_SS_EUlSR_E0_NS1_11comp_targetILNS1_3genE10ELNS1_11target_archE1200ELNS1_3gpuE4ELNS1_3repE0EEENS1_30default_config_static_selectorELNS0_4arch9wavefront6targetE1EEEvT1_,comdat
.Lfunc_end130:
	.size	_ZN7rocprim17ROCPRIM_400000_NS6detail17trampoline_kernelINS0_14default_configENS1_20scan_config_selectorIfEEZZNS1_9scan_implILNS1_25lookback_scan_determinismE0ELb0ELb0ES3_PKfPffZZZN2at6native31launch_logcumsumexp_cuda_kernelERKNSB_10TensorBaseESF_lENKUlvE_clEvENKUlvE0_clEvEUlffE_fEEDaPvRmT3_T4_T5_mT6_P12ihipStream_tbENKUlT_T0_E_clISt17integral_constantIbLb1EESW_EEDaSR_SS_EUlSR_E0_NS1_11comp_targetILNS1_3genE10ELNS1_11target_archE1200ELNS1_3gpuE4ELNS1_3repE0EEENS1_30default_config_static_selectorELNS0_4arch9wavefront6targetE1EEEvT1_, .Lfunc_end130-_ZN7rocprim17ROCPRIM_400000_NS6detail17trampoline_kernelINS0_14default_configENS1_20scan_config_selectorIfEEZZNS1_9scan_implILNS1_25lookback_scan_determinismE0ELb0ELb0ES3_PKfPffZZZN2at6native31launch_logcumsumexp_cuda_kernelERKNSB_10TensorBaseESF_lENKUlvE_clEvENKUlvE0_clEvEUlffE_fEEDaPvRmT3_T4_T5_mT6_P12ihipStream_tbENKUlT_T0_E_clISt17integral_constantIbLb1EESW_EEDaSR_SS_EUlSR_E0_NS1_11comp_targetILNS1_3genE10ELNS1_11target_archE1200ELNS1_3gpuE4ELNS1_3repE0EEENS1_30default_config_static_selectorELNS0_4arch9wavefront6targetE1EEEvT1_
                                        ; -- End function
	.section	.AMDGPU.csdata,"",@progbits
; Kernel info:
; codeLenInByte = 0
; NumSgprs: 4
; NumVgprs: 0
; NumAgprs: 0
; TotalNumVgprs: 0
; ScratchSize: 0
; MemoryBound: 0
; FloatMode: 240
; IeeeMode: 1
; LDSByteSize: 0 bytes/workgroup (compile time only)
; SGPRBlocks: 0
; VGPRBlocks: 0
; NumSGPRsForWavesPerEU: 4
; NumVGPRsForWavesPerEU: 1
; AccumOffset: 4
; Occupancy: 8
; WaveLimiterHint : 0
; COMPUTE_PGM_RSRC2:SCRATCH_EN: 0
; COMPUTE_PGM_RSRC2:USER_SGPR: 6
; COMPUTE_PGM_RSRC2:TRAP_HANDLER: 0
; COMPUTE_PGM_RSRC2:TGID_X_EN: 1
; COMPUTE_PGM_RSRC2:TGID_Y_EN: 0
; COMPUTE_PGM_RSRC2:TGID_Z_EN: 0
; COMPUTE_PGM_RSRC2:TIDIG_COMP_CNT: 0
; COMPUTE_PGM_RSRC3_GFX90A:ACCUM_OFFSET: 0
; COMPUTE_PGM_RSRC3_GFX90A:TG_SPLIT: 0
	.section	.text._ZN7rocprim17ROCPRIM_400000_NS6detail17trampoline_kernelINS0_14default_configENS1_20scan_config_selectorIfEEZZNS1_9scan_implILNS1_25lookback_scan_determinismE0ELb0ELb0ES3_PKfPffZZZN2at6native31launch_logcumsumexp_cuda_kernelERKNSB_10TensorBaseESF_lENKUlvE_clEvENKUlvE0_clEvEUlffE_fEEDaPvRmT3_T4_T5_mT6_P12ihipStream_tbENKUlT_T0_E_clISt17integral_constantIbLb1EESW_EEDaSR_SS_EUlSR_E0_NS1_11comp_targetILNS1_3genE9ELNS1_11target_archE1100ELNS1_3gpuE3ELNS1_3repE0EEENS1_30default_config_static_selectorELNS0_4arch9wavefront6targetE1EEEvT1_,"axG",@progbits,_ZN7rocprim17ROCPRIM_400000_NS6detail17trampoline_kernelINS0_14default_configENS1_20scan_config_selectorIfEEZZNS1_9scan_implILNS1_25lookback_scan_determinismE0ELb0ELb0ES3_PKfPffZZZN2at6native31launch_logcumsumexp_cuda_kernelERKNSB_10TensorBaseESF_lENKUlvE_clEvENKUlvE0_clEvEUlffE_fEEDaPvRmT3_T4_T5_mT6_P12ihipStream_tbENKUlT_T0_E_clISt17integral_constantIbLb1EESW_EEDaSR_SS_EUlSR_E0_NS1_11comp_targetILNS1_3genE9ELNS1_11target_archE1100ELNS1_3gpuE3ELNS1_3repE0EEENS1_30default_config_static_selectorELNS0_4arch9wavefront6targetE1EEEvT1_,comdat
	.globl	_ZN7rocprim17ROCPRIM_400000_NS6detail17trampoline_kernelINS0_14default_configENS1_20scan_config_selectorIfEEZZNS1_9scan_implILNS1_25lookback_scan_determinismE0ELb0ELb0ES3_PKfPffZZZN2at6native31launch_logcumsumexp_cuda_kernelERKNSB_10TensorBaseESF_lENKUlvE_clEvENKUlvE0_clEvEUlffE_fEEDaPvRmT3_T4_T5_mT6_P12ihipStream_tbENKUlT_T0_E_clISt17integral_constantIbLb1EESW_EEDaSR_SS_EUlSR_E0_NS1_11comp_targetILNS1_3genE9ELNS1_11target_archE1100ELNS1_3gpuE3ELNS1_3repE0EEENS1_30default_config_static_selectorELNS0_4arch9wavefront6targetE1EEEvT1_ ; -- Begin function _ZN7rocprim17ROCPRIM_400000_NS6detail17trampoline_kernelINS0_14default_configENS1_20scan_config_selectorIfEEZZNS1_9scan_implILNS1_25lookback_scan_determinismE0ELb0ELb0ES3_PKfPffZZZN2at6native31launch_logcumsumexp_cuda_kernelERKNSB_10TensorBaseESF_lENKUlvE_clEvENKUlvE0_clEvEUlffE_fEEDaPvRmT3_T4_T5_mT6_P12ihipStream_tbENKUlT_T0_E_clISt17integral_constantIbLb1EESW_EEDaSR_SS_EUlSR_E0_NS1_11comp_targetILNS1_3genE9ELNS1_11target_archE1100ELNS1_3gpuE3ELNS1_3repE0EEENS1_30default_config_static_selectorELNS0_4arch9wavefront6targetE1EEEvT1_
	.p2align	8
	.type	_ZN7rocprim17ROCPRIM_400000_NS6detail17trampoline_kernelINS0_14default_configENS1_20scan_config_selectorIfEEZZNS1_9scan_implILNS1_25lookback_scan_determinismE0ELb0ELb0ES3_PKfPffZZZN2at6native31launch_logcumsumexp_cuda_kernelERKNSB_10TensorBaseESF_lENKUlvE_clEvENKUlvE0_clEvEUlffE_fEEDaPvRmT3_T4_T5_mT6_P12ihipStream_tbENKUlT_T0_E_clISt17integral_constantIbLb1EESW_EEDaSR_SS_EUlSR_E0_NS1_11comp_targetILNS1_3genE9ELNS1_11target_archE1100ELNS1_3gpuE3ELNS1_3repE0EEENS1_30default_config_static_selectorELNS0_4arch9wavefront6targetE1EEEvT1_,@function
_ZN7rocprim17ROCPRIM_400000_NS6detail17trampoline_kernelINS0_14default_configENS1_20scan_config_selectorIfEEZZNS1_9scan_implILNS1_25lookback_scan_determinismE0ELb0ELb0ES3_PKfPffZZZN2at6native31launch_logcumsumexp_cuda_kernelERKNSB_10TensorBaseESF_lENKUlvE_clEvENKUlvE0_clEvEUlffE_fEEDaPvRmT3_T4_T5_mT6_P12ihipStream_tbENKUlT_T0_E_clISt17integral_constantIbLb1EESW_EEDaSR_SS_EUlSR_E0_NS1_11comp_targetILNS1_3genE9ELNS1_11target_archE1100ELNS1_3gpuE3ELNS1_3repE0EEENS1_30default_config_static_selectorELNS0_4arch9wavefront6targetE1EEEvT1_: ; @_ZN7rocprim17ROCPRIM_400000_NS6detail17trampoline_kernelINS0_14default_configENS1_20scan_config_selectorIfEEZZNS1_9scan_implILNS1_25lookback_scan_determinismE0ELb0ELb0ES3_PKfPffZZZN2at6native31launch_logcumsumexp_cuda_kernelERKNSB_10TensorBaseESF_lENKUlvE_clEvENKUlvE0_clEvEUlffE_fEEDaPvRmT3_T4_T5_mT6_P12ihipStream_tbENKUlT_T0_E_clISt17integral_constantIbLb1EESW_EEDaSR_SS_EUlSR_E0_NS1_11comp_targetILNS1_3genE9ELNS1_11target_archE1100ELNS1_3gpuE3ELNS1_3repE0EEENS1_30default_config_static_selectorELNS0_4arch9wavefront6targetE1EEEvT1_
; %bb.0:
	.section	.rodata,"a",@progbits
	.p2align	6, 0x0
	.amdhsa_kernel _ZN7rocprim17ROCPRIM_400000_NS6detail17trampoline_kernelINS0_14default_configENS1_20scan_config_selectorIfEEZZNS1_9scan_implILNS1_25lookback_scan_determinismE0ELb0ELb0ES3_PKfPffZZZN2at6native31launch_logcumsumexp_cuda_kernelERKNSB_10TensorBaseESF_lENKUlvE_clEvENKUlvE0_clEvEUlffE_fEEDaPvRmT3_T4_T5_mT6_P12ihipStream_tbENKUlT_T0_E_clISt17integral_constantIbLb1EESW_EEDaSR_SS_EUlSR_E0_NS1_11comp_targetILNS1_3genE9ELNS1_11target_archE1100ELNS1_3gpuE3ELNS1_3repE0EEENS1_30default_config_static_selectorELNS0_4arch9wavefront6targetE1EEEvT1_
		.amdhsa_group_segment_fixed_size 0
		.amdhsa_private_segment_fixed_size 0
		.amdhsa_kernarg_size 32
		.amdhsa_user_sgpr_count 6
		.amdhsa_user_sgpr_private_segment_buffer 1
		.amdhsa_user_sgpr_dispatch_ptr 0
		.amdhsa_user_sgpr_queue_ptr 0
		.amdhsa_user_sgpr_kernarg_segment_ptr 1
		.amdhsa_user_sgpr_dispatch_id 0
		.amdhsa_user_sgpr_flat_scratch_init 0
		.amdhsa_user_sgpr_kernarg_preload_length 0
		.amdhsa_user_sgpr_kernarg_preload_offset 0
		.amdhsa_user_sgpr_private_segment_size 0
		.amdhsa_uses_dynamic_stack 0
		.amdhsa_system_sgpr_private_segment_wavefront_offset 0
		.amdhsa_system_sgpr_workgroup_id_x 1
		.amdhsa_system_sgpr_workgroup_id_y 0
		.amdhsa_system_sgpr_workgroup_id_z 0
		.amdhsa_system_sgpr_workgroup_info 0
		.amdhsa_system_vgpr_workitem_id 0
		.amdhsa_next_free_vgpr 1
		.amdhsa_next_free_sgpr 0
		.amdhsa_accum_offset 4
		.amdhsa_reserve_vcc 0
		.amdhsa_reserve_flat_scratch 0
		.amdhsa_float_round_mode_32 0
		.amdhsa_float_round_mode_16_64 0
		.amdhsa_float_denorm_mode_32 3
		.amdhsa_float_denorm_mode_16_64 3
		.amdhsa_dx10_clamp 1
		.amdhsa_ieee_mode 1
		.amdhsa_fp16_overflow 0
		.amdhsa_tg_split 0
		.amdhsa_exception_fp_ieee_invalid_op 0
		.amdhsa_exception_fp_denorm_src 0
		.amdhsa_exception_fp_ieee_div_zero 0
		.amdhsa_exception_fp_ieee_overflow 0
		.amdhsa_exception_fp_ieee_underflow 0
		.amdhsa_exception_fp_ieee_inexact 0
		.amdhsa_exception_int_div_zero 0
	.end_amdhsa_kernel
	.section	.text._ZN7rocprim17ROCPRIM_400000_NS6detail17trampoline_kernelINS0_14default_configENS1_20scan_config_selectorIfEEZZNS1_9scan_implILNS1_25lookback_scan_determinismE0ELb0ELb0ES3_PKfPffZZZN2at6native31launch_logcumsumexp_cuda_kernelERKNSB_10TensorBaseESF_lENKUlvE_clEvENKUlvE0_clEvEUlffE_fEEDaPvRmT3_T4_T5_mT6_P12ihipStream_tbENKUlT_T0_E_clISt17integral_constantIbLb1EESW_EEDaSR_SS_EUlSR_E0_NS1_11comp_targetILNS1_3genE9ELNS1_11target_archE1100ELNS1_3gpuE3ELNS1_3repE0EEENS1_30default_config_static_selectorELNS0_4arch9wavefront6targetE1EEEvT1_,"axG",@progbits,_ZN7rocprim17ROCPRIM_400000_NS6detail17trampoline_kernelINS0_14default_configENS1_20scan_config_selectorIfEEZZNS1_9scan_implILNS1_25lookback_scan_determinismE0ELb0ELb0ES3_PKfPffZZZN2at6native31launch_logcumsumexp_cuda_kernelERKNSB_10TensorBaseESF_lENKUlvE_clEvENKUlvE0_clEvEUlffE_fEEDaPvRmT3_T4_T5_mT6_P12ihipStream_tbENKUlT_T0_E_clISt17integral_constantIbLb1EESW_EEDaSR_SS_EUlSR_E0_NS1_11comp_targetILNS1_3genE9ELNS1_11target_archE1100ELNS1_3gpuE3ELNS1_3repE0EEENS1_30default_config_static_selectorELNS0_4arch9wavefront6targetE1EEEvT1_,comdat
.Lfunc_end131:
	.size	_ZN7rocprim17ROCPRIM_400000_NS6detail17trampoline_kernelINS0_14default_configENS1_20scan_config_selectorIfEEZZNS1_9scan_implILNS1_25lookback_scan_determinismE0ELb0ELb0ES3_PKfPffZZZN2at6native31launch_logcumsumexp_cuda_kernelERKNSB_10TensorBaseESF_lENKUlvE_clEvENKUlvE0_clEvEUlffE_fEEDaPvRmT3_T4_T5_mT6_P12ihipStream_tbENKUlT_T0_E_clISt17integral_constantIbLb1EESW_EEDaSR_SS_EUlSR_E0_NS1_11comp_targetILNS1_3genE9ELNS1_11target_archE1100ELNS1_3gpuE3ELNS1_3repE0EEENS1_30default_config_static_selectorELNS0_4arch9wavefront6targetE1EEEvT1_, .Lfunc_end131-_ZN7rocprim17ROCPRIM_400000_NS6detail17trampoline_kernelINS0_14default_configENS1_20scan_config_selectorIfEEZZNS1_9scan_implILNS1_25lookback_scan_determinismE0ELb0ELb0ES3_PKfPffZZZN2at6native31launch_logcumsumexp_cuda_kernelERKNSB_10TensorBaseESF_lENKUlvE_clEvENKUlvE0_clEvEUlffE_fEEDaPvRmT3_T4_T5_mT6_P12ihipStream_tbENKUlT_T0_E_clISt17integral_constantIbLb1EESW_EEDaSR_SS_EUlSR_E0_NS1_11comp_targetILNS1_3genE9ELNS1_11target_archE1100ELNS1_3gpuE3ELNS1_3repE0EEENS1_30default_config_static_selectorELNS0_4arch9wavefront6targetE1EEEvT1_
                                        ; -- End function
	.section	.AMDGPU.csdata,"",@progbits
; Kernel info:
; codeLenInByte = 0
; NumSgprs: 4
; NumVgprs: 0
; NumAgprs: 0
; TotalNumVgprs: 0
; ScratchSize: 0
; MemoryBound: 0
; FloatMode: 240
; IeeeMode: 1
; LDSByteSize: 0 bytes/workgroup (compile time only)
; SGPRBlocks: 0
; VGPRBlocks: 0
; NumSGPRsForWavesPerEU: 4
; NumVGPRsForWavesPerEU: 1
; AccumOffset: 4
; Occupancy: 8
; WaveLimiterHint : 0
; COMPUTE_PGM_RSRC2:SCRATCH_EN: 0
; COMPUTE_PGM_RSRC2:USER_SGPR: 6
; COMPUTE_PGM_RSRC2:TRAP_HANDLER: 0
; COMPUTE_PGM_RSRC2:TGID_X_EN: 1
; COMPUTE_PGM_RSRC2:TGID_Y_EN: 0
; COMPUTE_PGM_RSRC2:TGID_Z_EN: 0
; COMPUTE_PGM_RSRC2:TIDIG_COMP_CNT: 0
; COMPUTE_PGM_RSRC3_GFX90A:ACCUM_OFFSET: 0
; COMPUTE_PGM_RSRC3_GFX90A:TG_SPLIT: 0
	.section	.text._ZN7rocprim17ROCPRIM_400000_NS6detail17trampoline_kernelINS0_14default_configENS1_20scan_config_selectorIfEEZZNS1_9scan_implILNS1_25lookback_scan_determinismE0ELb0ELb0ES3_PKfPffZZZN2at6native31launch_logcumsumexp_cuda_kernelERKNSB_10TensorBaseESF_lENKUlvE_clEvENKUlvE0_clEvEUlffE_fEEDaPvRmT3_T4_T5_mT6_P12ihipStream_tbENKUlT_T0_E_clISt17integral_constantIbLb1EESW_EEDaSR_SS_EUlSR_E0_NS1_11comp_targetILNS1_3genE8ELNS1_11target_archE1030ELNS1_3gpuE2ELNS1_3repE0EEENS1_30default_config_static_selectorELNS0_4arch9wavefront6targetE1EEEvT1_,"axG",@progbits,_ZN7rocprim17ROCPRIM_400000_NS6detail17trampoline_kernelINS0_14default_configENS1_20scan_config_selectorIfEEZZNS1_9scan_implILNS1_25lookback_scan_determinismE0ELb0ELb0ES3_PKfPffZZZN2at6native31launch_logcumsumexp_cuda_kernelERKNSB_10TensorBaseESF_lENKUlvE_clEvENKUlvE0_clEvEUlffE_fEEDaPvRmT3_T4_T5_mT6_P12ihipStream_tbENKUlT_T0_E_clISt17integral_constantIbLb1EESW_EEDaSR_SS_EUlSR_E0_NS1_11comp_targetILNS1_3genE8ELNS1_11target_archE1030ELNS1_3gpuE2ELNS1_3repE0EEENS1_30default_config_static_selectorELNS0_4arch9wavefront6targetE1EEEvT1_,comdat
	.globl	_ZN7rocprim17ROCPRIM_400000_NS6detail17trampoline_kernelINS0_14default_configENS1_20scan_config_selectorIfEEZZNS1_9scan_implILNS1_25lookback_scan_determinismE0ELb0ELb0ES3_PKfPffZZZN2at6native31launch_logcumsumexp_cuda_kernelERKNSB_10TensorBaseESF_lENKUlvE_clEvENKUlvE0_clEvEUlffE_fEEDaPvRmT3_T4_T5_mT6_P12ihipStream_tbENKUlT_T0_E_clISt17integral_constantIbLb1EESW_EEDaSR_SS_EUlSR_E0_NS1_11comp_targetILNS1_3genE8ELNS1_11target_archE1030ELNS1_3gpuE2ELNS1_3repE0EEENS1_30default_config_static_selectorELNS0_4arch9wavefront6targetE1EEEvT1_ ; -- Begin function _ZN7rocprim17ROCPRIM_400000_NS6detail17trampoline_kernelINS0_14default_configENS1_20scan_config_selectorIfEEZZNS1_9scan_implILNS1_25lookback_scan_determinismE0ELb0ELb0ES3_PKfPffZZZN2at6native31launch_logcumsumexp_cuda_kernelERKNSB_10TensorBaseESF_lENKUlvE_clEvENKUlvE0_clEvEUlffE_fEEDaPvRmT3_T4_T5_mT6_P12ihipStream_tbENKUlT_T0_E_clISt17integral_constantIbLb1EESW_EEDaSR_SS_EUlSR_E0_NS1_11comp_targetILNS1_3genE8ELNS1_11target_archE1030ELNS1_3gpuE2ELNS1_3repE0EEENS1_30default_config_static_selectorELNS0_4arch9wavefront6targetE1EEEvT1_
	.p2align	8
	.type	_ZN7rocprim17ROCPRIM_400000_NS6detail17trampoline_kernelINS0_14default_configENS1_20scan_config_selectorIfEEZZNS1_9scan_implILNS1_25lookback_scan_determinismE0ELb0ELb0ES3_PKfPffZZZN2at6native31launch_logcumsumexp_cuda_kernelERKNSB_10TensorBaseESF_lENKUlvE_clEvENKUlvE0_clEvEUlffE_fEEDaPvRmT3_T4_T5_mT6_P12ihipStream_tbENKUlT_T0_E_clISt17integral_constantIbLb1EESW_EEDaSR_SS_EUlSR_E0_NS1_11comp_targetILNS1_3genE8ELNS1_11target_archE1030ELNS1_3gpuE2ELNS1_3repE0EEENS1_30default_config_static_selectorELNS0_4arch9wavefront6targetE1EEEvT1_,@function
_ZN7rocprim17ROCPRIM_400000_NS6detail17trampoline_kernelINS0_14default_configENS1_20scan_config_selectorIfEEZZNS1_9scan_implILNS1_25lookback_scan_determinismE0ELb0ELb0ES3_PKfPffZZZN2at6native31launch_logcumsumexp_cuda_kernelERKNSB_10TensorBaseESF_lENKUlvE_clEvENKUlvE0_clEvEUlffE_fEEDaPvRmT3_T4_T5_mT6_P12ihipStream_tbENKUlT_T0_E_clISt17integral_constantIbLb1EESW_EEDaSR_SS_EUlSR_E0_NS1_11comp_targetILNS1_3genE8ELNS1_11target_archE1030ELNS1_3gpuE2ELNS1_3repE0EEENS1_30default_config_static_selectorELNS0_4arch9wavefront6targetE1EEEvT1_: ; @_ZN7rocprim17ROCPRIM_400000_NS6detail17trampoline_kernelINS0_14default_configENS1_20scan_config_selectorIfEEZZNS1_9scan_implILNS1_25lookback_scan_determinismE0ELb0ELb0ES3_PKfPffZZZN2at6native31launch_logcumsumexp_cuda_kernelERKNSB_10TensorBaseESF_lENKUlvE_clEvENKUlvE0_clEvEUlffE_fEEDaPvRmT3_T4_T5_mT6_P12ihipStream_tbENKUlT_T0_E_clISt17integral_constantIbLb1EESW_EEDaSR_SS_EUlSR_E0_NS1_11comp_targetILNS1_3genE8ELNS1_11target_archE1030ELNS1_3gpuE2ELNS1_3repE0EEENS1_30default_config_static_selectorELNS0_4arch9wavefront6targetE1EEEvT1_
; %bb.0:
	.section	.rodata,"a",@progbits
	.p2align	6, 0x0
	.amdhsa_kernel _ZN7rocprim17ROCPRIM_400000_NS6detail17trampoline_kernelINS0_14default_configENS1_20scan_config_selectorIfEEZZNS1_9scan_implILNS1_25lookback_scan_determinismE0ELb0ELb0ES3_PKfPffZZZN2at6native31launch_logcumsumexp_cuda_kernelERKNSB_10TensorBaseESF_lENKUlvE_clEvENKUlvE0_clEvEUlffE_fEEDaPvRmT3_T4_T5_mT6_P12ihipStream_tbENKUlT_T0_E_clISt17integral_constantIbLb1EESW_EEDaSR_SS_EUlSR_E0_NS1_11comp_targetILNS1_3genE8ELNS1_11target_archE1030ELNS1_3gpuE2ELNS1_3repE0EEENS1_30default_config_static_selectorELNS0_4arch9wavefront6targetE1EEEvT1_
		.amdhsa_group_segment_fixed_size 0
		.amdhsa_private_segment_fixed_size 0
		.amdhsa_kernarg_size 32
		.amdhsa_user_sgpr_count 6
		.amdhsa_user_sgpr_private_segment_buffer 1
		.amdhsa_user_sgpr_dispatch_ptr 0
		.amdhsa_user_sgpr_queue_ptr 0
		.amdhsa_user_sgpr_kernarg_segment_ptr 1
		.amdhsa_user_sgpr_dispatch_id 0
		.amdhsa_user_sgpr_flat_scratch_init 0
		.amdhsa_user_sgpr_kernarg_preload_length 0
		.amdhsa_user_sgpr_kernarg_preload_offset 0
		.amdhsa_user_sgpr_private_segment_size 0
		.amdhsa_uses_dynamic_stack 0
		.amdhsa_system_sgpr_private_segment_wavefront_offset 0
		.amdhsa_system_sgpr_workgroup_id_x 1
		.amdhsa_system_sgpr_workgroup_id_y 0
		.amdhsa_system_sgpr_workgroup_id_z 0
		.amdhsa_system_sgpr_workgroup_info 0
		.amdhsa_system_vgpr_workitem_id 0
		.amdhsa_next_free_vgpr 1
		.amdhsa_next_free_sgpr 0
		.amdhsa_accum_offset 4
		.amdhsa_reserve_vcc 0
		.amdhsa_reserve_flat_scratch 0
		.amdhsa_float_round_mode_32 0
		.amdhsa_float_round_mode_16_64 0
		.amdhsa_float_denorm_mode_32 3
		.amdhsa_float_denorm_mode_16_64 3
		.amdhsa_dx10_clamp 1
		.amdhsa_ieee_mode 1
		.amdhsa_fp16_overflow 0
		.amdhsa_tg_split 0
		.amdhsa_exception_fp_ieee_invalid_op 0
		.amdhsa_exception_fp_denorm_src 0
		.amdhsa_exception_fp_ieee_div_zero 0
		.amdhsa_exception_fp_ieee_overflow 0
		.amdhsa_exception_fp_ieee_underflow 0
		.amdhsa_exception_fp_ieee_inexact 0
		.amdhsa_exception_int_div_zero 0
	.end_amdhsa_kernel
	.section	.text._ZN7rocprim17ROCPRIM_400000_NS6detail17trampoline_kernelINS0_14default_configENS1_20scan_config_selectorIfEEZZNS1_9scan_implILNS1_25lookback_scan_determinismE0ELb0ELb0ES3_PKfPffZZZN2at6native31launch_logcumsumexp_cuda_kernelERKNSB_10TensorBaseESF_lENKUlvE_clEvENKUlvE0_clEvEUlffE_fEEDaPvRmT3_T4_T5_mT6_P12ihipStream_tbENKUlT_T0_E_clISt17integral_constantIbLb1EESW_EEDaSR_SS_EUlSR_E0_NS1_11comp_targetILNS1_3genE8ELNS1_11target_archE1030ELNS1_3gpuE2ELNS1_3repE0EEENS1_30default_config_static_selectorELNS0_4arch9wavefront6targetE1EEEvT1_,"axG",@progbits,_ZN7rocprim17ROCPRIM_400000_NS6detail17trampoline_kernelINS0_14default_configENS1_20scan_config_selectorIfEEZZNS1_9scan_implILNS1_25lookback_scan_determinismE0ELb0ELb0ES3_PKfPffZZZN2at6native31launch_logcumsumexp_cuda_kernelERKNSB_10TensorBaseESF_lENKUlvE_clEvENKUlvE0_clEvEUlffE_fEEDaPvRmT3_T4_T5_mT6_P12ihipStream_tbENKUlT_T0_E_clISt17integral_constantIbLb1EESW_EEDaSR_SS_EUlSR_E0_NS1_11comp_targetILNS1_3genE8ELNS1_11target_archE1030ELNS1_3gpuE2ELNS1_3repE0EEENS1_30default_config_static_selectorELNS0_4arch9wavefront6targetE1EEEvT1_,comdat
.Lfunc_end132:
	.size	_ZN7rocprim17ROCPRIM_400000_NS6detail17trampoline_kernelINS0_14default_configENS1_20scan_config_selectorIfEEZZNS1_9scan_implILNS1_25lookback_scan_determinismE0ELb0ELb0ES3_PKfPffZZZN2at6native31launch_logcumsumexp_cuda_kernelERKNSB_10TensorBaseESF_lENKUlvE_clEvENKUlvE0_clEvEUlffE_fEEDaPvRmT3_T4_T5_mT6_P12ihipStream_tbENKUlT_T0_E_clISt17integral_constantIbLb1EESW_EEDaSR_SS_EUlSR_E0_NS1_11comp_targetILNS1_3genE8ELNS1_11target_archE1030ELNS1_3gpuE2ELNS1_3repE0EEENS1_30default_config_static_selectorELNS0_4arch9wavefront6targetE1EEEvT1_, .Lfunc_end132-_ZN7rocprim17ROCPRIM_400000_NS6detail17trampoline_kernelINS0_14default_configENS1_20scan_config_selectorIfEEZZNS1_9scan_implILNS1_25lookback_scan_determinismE0ELb0ELb0ES3_PKfPffZZZN2at6native31launch_logcumsumexp_cuda_kernelERKNSB_10TensorBaseESF_lENKUlvE_clEvENKUlvE0_clEvEUlffE_fEEDaPvRmT3_T4_T5_mT6_P12ihipStream_tbENKUlT_T0_E_clISt17integral_constantIbLb1EESW_EEDaSR_SS_EUlSR_E0_NS1_11comp_targetILNS1_3genE8ELNS1_11target_archE1030ELNS1_3gpuE2ELNS1_3repE0EEENS1_30default_config_static_selectorELNS0_4arch9wavefront6targetE1EEEvT1_
                                        ; -- End function
	.section	.AMDGPU.csdata,"",@progbits
; Kernel info:
; codeLenInByte = 0
; NumSgprs: 4
; NumVgprs: 0
; NumAgprs: 0
; TotalNumVgprs: 0
; ScratchSize: 0
; MemoryBound: 0
; FloatMode: 240
; IeeeMode: 1
; LDSByteSize: 0 bytes/workgroup (compile time only)
; SGPRBlocks: 0
; VGPRBlocks: 0
; NumSGPRsForWavesPerEU: 4
; NumVGPRsForWavesPerEU: 1
; AccumOffset: 4
; Occupancy: 8
; WaveLimiterHint : 0
; COMPUTE_PGM_RSRC2:SCRATCH_EN: 0
; COMPUTE_PGM_RSRC2:USER_SGPR: 6
; COMPUTE_PGM_RSRC2:TRAP_HANDLER: 0
; COMPUTE_PGM_RSRC2:TGID_X_EN: 1
; COMPUTE_PGM_RSRC2:TGID_Y_EN: 0
; COMPUTE_PGM_RSRC2:TGID_Z_EN: 0
; COMPUTE_PGM_RSRC2:TIDIG_COMP_CNT: 0
; COMPUTE_PGM_RSRC3_GFX90A:ACCUM_OFFSET: 0
; COMPUTE_PGM_RSRC3_GFX90A:TG_SPLIT: 0
	.section	.text._ZN7rocprim17ROCPRIM_400000_NS6detail31init_lookback_scan_state_kernelINS1_19lookback_scan_stateIfLb1ELb1EEENS1_16block_id_wrapperIjLb0EEEEEvT_jT0_jPNS7_10value_typeE,"axG",@progbits,_ZN7rocprim17ROCPRIM_400000_NS6detail31init_lookback_scan_state_kernelINS1_19lookback_scan_stateIfLb1ELb1EEENS1_16block_id_wrapperIjLb0EEEEEvT_jT0_jPNS7_10value_typeE,comdat
	.protected	_ZN7rocprim17ROCPRIM_400000_NS6detail31init_lookback_scan_state_kernelINS1_19lookback_scan_stateIfLb1ELb1EEENS1_16block_id_wrapperIjLb0EEEEEvT_jT0_jPNS7_10value_typeE ; -- Begin function _ZN7rocprim17ROCPRIM_400000_NS6detail31init_lookback_scan_state_kernelINS1_19lookback_scan_stateIfLb1ELb1EEENS1_16block_id_wrapperIjLb0EEEEEvT_jT0_jPNS7_10value_typeE
	.globl	_ZN7rocprim17ROCPRIM_400000_NS6detail31init_lookback_scan_state_kernelINS1_19lookback_scan_stateIfLb1ELb1EEENS1_16block_id_wrapperIjLb0EEEEEvT_jT0_jPNS7_10value_typeE
	.p2align	8
	.type	_ZN7rocprim17ROCPRIM_400000_NS6detail31init_lookback_scan_state_kernelINS1_19lookback_scan_stateIfLb1ELb1EEENS1_16block_id_wrapperIjLb0EEEEEvT_jT0_jPNS7_10value_typeE,@function
_ZN7rocprim17ROCPRIM_400000_NS6detail31init_lookback_scan_state_kernelINS1_19lookback_scan_stateIfLb1ELb1EEENS1_16block_id_wrapperIjLb0EEEEEvT_jT0_jPNS7_10value_typeE: ; @_ZN7rocprim17ROCPRIM_400000_NS6detail31init_lookback_scan_state_kernelINS1_19lookback_scan_stateIfLb1ELb1EEENS1_16block_id_wrapperIjLb0EEEEEvT_jT0_jPNS7_10value_typeE
; %bb.0:
	s_load_dword s7, s[4:5], 0x2c
	s_load_dwordx2 s[2:3], s[4:5], 0x18
	s_load_dwordx2 s[0:1], s[4:5], 0x0
	s_load_dword s8, s[4:5], 0x8
	s_waitcnt lgkmcnt(0)
	s_and_b32 s7, s7, 0xffff
	s_mul_i32 s6, s6, s7
	s_cmp_eq_u64 s[2:3], 0
	v_add_u32_e32 v0, s6, v0
	s_cbranch_scc1 .LBB133_9
; %bb.1:
	s_load_dword s6, s[4:5], 0x10
	s_mov_b32 s7, 0
	s_waitcnt lgkmcnt(0)
	s_cmp_lt_u32 s6, s8
	s_cselect_b32 s4, s6, 0
	v_cmp_eq_u32_e32 vcc, s4, v0
	s_and_saveexec_b64 s[4:5], vcc
	s_cbranch_execz .LBB133_8
; %bb.2:
	s_add_i32 s6, s6, 64
	s_lshl_b64 s[6:7], s[6:7], 3
	s_add_u32 s6, s0, s6
	s_addc_u32 s7, s1, s7
	v_mov_b32_e32 v2, 0
	global_load_dwordx2 v[4:5], v2, s[6:7] glc
	s_waitcnt vmcnt(0)
	v_and_b32_e32 v3, 0xff, v5
	v_cmp_ne_u64_e32 vcc, 0, v[2:3]
	s_cbranch_vccnz .LBB133_7
; %bb.3:
	s_mov_b32 s9, 1
.LBB133_4:                              ; =>This Loop Header: Depth=1
                                        ;     Child Loop BB133_5 Depth 2
	s_max_u32 s10, s9, 1
.LBB133_5:                              ;   Parent Loop BB133_4 Depth=1
                                        ; =>  This Inner Loop Header: Depth=2
	s_add_i32 s10, s10, -1
	s_cmp_eq_u32 s10, 0
	s_sleep 1
	s_cbranch_scc0 .LBB133_5
; %bb.6:                                ;   in Loop: Header=BB133_4 Depth=1
	global_load_dwordx2 v[4:5], v2, s[6:7] glc
	s_cmp_lt_u32 s9, 32
	s_cselect_b64 s[10:11], -1, 0
	s_cmp_lg_u64 s[10:11], 0
	s_addc_u32 s9, s9, 0
	s_waitcnt vmcnt(0)
	v_and_b32_e32 v3, 0xff, v5
	v_cmp_ne_u64_e32 vcc, 0, v[2:3]
	s_cbranch_vccz .LBB133_4
.LBB133_7:
	v_mov_b32_e32 v1, 0
	global_store_dword v1, v4, s[2:3]
.LBB133_8:
	s_or_b64 exec, exec, s[4:5]
.LBB133_9:
	v_cmp_gt_u32_e32 vcc, s8, v0
	s_and_saveexec_b64 s[2:3], vcc
	s_cbranch_execnz .LBB133_12
; %bb.10:
	s_or_b64 exec, exec, s[2:3]
	v_cmp_gt_u32_e32 vcc, 64, v0
	s_and_saveexec_b64 s[2:3], vcc
	s_cbranch_execnz .LBB133_13
.LBB133_11:
	s_endpgm
.LBB133_12:
	v_add_u32_e32 v2, 64, v0
	v_mov_b32_e32 v3, 0
	v_lshlrev_b64 v[4:5], 3, v[2:3]
	v_mov_b32_e32 v1, s1
	v_add_co_u32_e32 v4, vcc, s0, v4
	v_addc_co_u32_e32 v5, vcc, v1, v5, vcc
	v_mov_b32_e32 v2, v3
	global_store_dwordx2 v[4:5], v[2:3], off
	s_or_b64 exec, exec, s[2:3]
	v_cmp_gt_u32_e32 vcc, 64, v0
	s_and_saveexec_b64 s[2:3], vcc
	s_cbranch_execz .LBB133_11
.LBB133_13:
	v_mov_b32_e32 v1, 0
	v_lshlrev_b64 v[2:3], 3, v[0:1]
	v_mov_b32_e32 v0, s1
	v_add_co_u32_e32 v2, vcc, s0, v2
	v_addc_co_u32_e32 v3, vcc, v0, v3, vcc
	v_mov_b32_e32 v5, 0xff
	v_mov_b32_e32 v4, v1
	global_store_dwordx2 v[2:3], v[4:5], off
	s_endpgm
	.section	.rodata,"a",@progbits
	.p2align	6, 0x0
	.amdhsa_kernel _ZN7rocprim17ROCPRIM_400000_NS6detail31init_lookback_scan_state_kernelINS1_19lookback_scan_stateIfLb1ELb1EEENS1_16block_id_wrapperIjLb0EEEEEvT_jT0_jPNS7_10value_typeE
		.amdhsa_group_segment_fixed_size 0
		.amdhsa_private_segment_fixed_size 0
		.amdhsa_kernarg_size 288
		.amdhsa_user_sgpr_count 6
		.amdhsa_user_sgpr_private_segment_buffer 1
		.amdhsa_user_sgpr_dispatch_ptr 0
		.amdhsa_user_sgpr_queue_ptr 0
		.amdhsa_user_sgpr_kernarg_segment_ptr 1
		.amdhsa_user_sgpr_dispatch_id 0
		.amdhsa_user_sgpr_flat_scratch_init 0
		.amdhsa_user_sgpr_kernarg_preload_length 0
		.amdhsa_user_sgpr_kernarg_preload_offset 0
		.amdhsa_user_sgpr_private_segment_size 0
		.amdhsa_uses_dynamic_stack 0
		.amdhsa_system_sgpr_private_segment_wavefront_offset 0
		.amdhsa_system_sgpr_workgroup_id_x 1
		.amdhsa_system_sgpr_workgroup_id_y 0
		.amdhsa_system_sgpr_workgroup_id_z 0
		.amdhsa_system_sgpr_workgroup_info 0
		.amdhsa_system_vgpr_workitem_id 0
		.amdhsa_next_free_vgpr 6
		.amdhsa_next_free_sgpr 12
		.amdhsa_accum_offset 8
		.amdhsa_reserve_vcc 1
		.amdhsa_reserve_flat_scratch 0
		.amdhsa_float_round_mode_32 0
		.amdhsa_float_round_mode_16_64 0
		.amdhsa_float_denorm_mode_32 3
		.amdhsa_float_denorm_mode_16_64 3
		.amdhsa_dx10_clamp 1
		.amdhsa_ieee_mode 1
		.amdhsa_fp16_overflow 0
		.amdhsa_tg_split 0
		.amdhsa_exception_fp_ieee_invalid_op 0
		.amdhsa_exception_fp_denorm_src 0
		.amdhsa_exception_fp_ieee_div_zero 0
		.amdhsa_exception_fp_ieee_overflow 0
		.amdhsa_exception_fp_ieee_underflow 0
		.amdhsa_exception_fp_ieee_inexact 0
		.amdhsa_exception_int_div_zero 0
	.end_amdhsa_kernel
	.section	.text._ZN7rocprim17ROCPRIM_400000_NS6detail31init_lookback_scan_state_kernelINS1_19lookback_scan_stateIfLb1ELb1EEENS1_16block_id_wrapperIjLb0EEEEEvT_jT0_jPNS7_10value_typeE,"axG",@progbits,_ZN7rocprim17ROCPRIM_400000_NS6detail31init_lookback_scan_state_kernelINS1_19lookback_scan_stateIfLb1ELb1EEENS1_16block_id_wrapperIjLb0EEEEEvT_jT0_jPNS7_10value_typeE,comdat
.Lfunc_end133:
	.size	_ZN7rocprim17ROCPRIM_400000_NS6detail31init_lookback_scan_state_kernelINS1_19lookback_scan_stateIfLb1ELb1EEENS1_16block_id_wrapperIjLb0EEEEEvT_jT0_jPNS7_10value_typeE, .Lfunc_end133-_ZN7rocprim17ROCPRIM_400000_NS6detail31init_lookback_scan_state_kernelINS1_19lookback_scan_stateIfLb1ELb1EEENS1_16block_id_wrapperIjLb0EEEEEvT_jT0_jPNS7_10value_typeE
                                        ; -- End function
	.section	.AMDGPU.csdata,"",@progbits
; Kernel info:
; codeLenInByte = 364
; NumSgprs: 16
; NumVgprs: 6
; NumAgprs: 0
; TotalNumVgprs: 6
; ScratchSize: 0
; MemoryBound: 0
; FloatMode: 240
; IeeeMode: 1
; LDSByteSize: 0 bytes/workgroup (compile time only)
; SGPRBlocks: 1
; VGPRBlocks: 0
; NumSGPRsForWavesPerEU: 16
; NumVGPRsForWavesPerEU: 6
; AccumOffset: 8
; Occupancy: 8
; WaveLimiterHint : 0
; COMPUTE_PGM_RSRC2:SCRATCH_EN: 0
; COMPUTE_PGM_RSRC2:USER_SGPR: 6
; COMPUTE_PGM_RSRC2:TRAP_HANDLER: 0
; COMPUTE_PGM_RSRC2:TGID_X_EN: 1
; COMPUTE_PGM_RSRC2:TGID_Y_EN: 0
; COMPUTE_PGM_RSRC2:TGID_Z_EN: 0
; COMPUTE_PGM_RSRC2:TIDIG_COMP_CNT: 0
; COMPUTE_PGM_RSRC3_GFX90A:ACCUM_OFFSET: 1
; COMPUTE_PGM_RSRC3_GFX90A:TG_SPLIT: 0
	.section	.text._ZN7rocprim17ROCPRIM_400000_NS6detail17trampoline_kernelINS0_14default_configENS1_20scan_config_selectorIfEEZZNS1_9scan_implILNS1_25lookback_scan_determinismE0ELb0ELb0ES3_PKfPffZZZN2at6native31launch_logcumsumexp_cuda_kernelERKNSB_10TensorBaseESF_lENKUlvE_clEvENKUlvE0_clEvEUlffE_fEEDaPvRmT3_T4_T5_mT6_P12ihipStream_tbENKUlT_T0_E_clISt17integral_constantIbLb1EESV_IbLb0EEEEDaSR_SS_EUlSR_E_NS1_11comp_targetILNS1_3genE0ELNS1_11target_archE4294967295ELNS1_3gpuE0ELNS1_3repE0EEENS1_30default_config_static_selectorELNS0_4arch9wavefront6targetE1EEEvT1_,"axG",@progbits,_ZN7rocprim17ROCPRIM_400000_NS6detail17trampoline_kernelINS0_14default_configENS1_20scan_config_selectorIfEEZZNS1_9scan_implILNS1_25lookback_scan_determinismE0ELb0ELb0ES3_PKfPffZZZN2at6native31launch_logcumsumexp_cuda_kernelERKNSB_10TensorBaseESF_lENKUlvE_clEvENKUlvE0_clEvEUlffE_fEEDaPvRmT3_T4_T5_mT6_P12ihipStream_tbENKUlT_T0_E_clISt17integral_constantIbLb1EESV_IbLb0EEEEDaSR_SS_EUlSR_E_NS1_11comp_targetILNS1_3genE0ELNS1_11target_archE4294967295ELNS1_3gpuE0ELNS1_3repE0EEENS1_30default_config_static_selectorELNS0_4arch9wavefront6targetE1EEEvT1_,comdat
	.globl	_ZN7rocprim17ROCPRIM_400000_NS6detail17trampoline_kernelINS0_14default_configENS1_20scan_config_selectorIfEEZZNS1_9scan_implILNS1_25lookback_scan_determinismE0ELb0ELb0ES3_PKfPffZZZN2at6native31launch_logcumsumexp_cuda_kernelERKNSB_10TensorBaseESF_lENKUlvE_clEvENKUlvE0_clEvEUlffE_fEEDaPvRmT3_T4_T5_mT6_P12ihipStream_tbENKUlT_T0_E_clISt17integral_constantIbLb1EESV_IbLb0EEEEDaSR_SS_EUlSR_E_NS1_11comp_targetILNS1_3genE0ELNS1_11target_archE4294967295ELNS1_3gpuE0ELNS1_3repE0EEENS1_30default_config_static_selectorELNS0_4arch9wavefront6targetE1EEEvT1_ ; -- Begin function _ZN7rocprim17ROCPRIM_400000_NS6detail17trampoline_kernelINS0_14default_configENS1_20scan_config_selectorIfEEZZNS1_9scan_implILNS1_25lookback_scan_determinismE0ELb0ELb0ES3_PKfPffZZZN2at6native31launch_logcumsumexp_cuda_kernelERKNSB_10TensorBaseESF_lENKUlvE_clEvENKUlvE0_clEvEUlffE_fEEDaPvRmT3_T4_T5_mT6_P12ihipStream_tbENKUlT_T0_E_clISt17integral_constantIbLb1EESV_IbLb0EEEEDaSR_SS_EUlSR_E_NS1_11comp_targetILNS1_3genE0ELNS1_11target_archE4294967295ELNS1_3gpuE0ELNS1_3repE0EEENS1_30default_config_static_selectorELNS0_4arch9wavefront6targetE1EEEvT1_
	.p2align	8
	.type	_ZN7rocprim17ROCPRIM_400000_NS6detail17trampoline_kernelINS0_14default_configENS1_20scan_config_selectorIfEEZZNS1_9scan_implILNS1_25lookback_scan_determinismE0ELb0ELb0ES3_PKfPffZZZN2at6native31launch_logcumsumexp_cuda_kernelERKNSB_10TensorBaseESF_lENKUlvE_clEvENKUlvE0_clEvEUlffE_fEEDaPvRmT3_T4_T5_mT6_P12ihipStream_tbENKUlT_T0_E_clISt17integral_constantIbLb1EESV_IbLb0EEEEDaSR_SS_EUlSR_E_NS1_11comp_targetILNS1_3genE0ELNS1_11target_archE4294967295ELNS1_3gpuE0ELNS1_3repE0EEENS1_30default_config_static_selectorELNS0_4arch9wavefront6targetE1EEEvT1_,@function
_ZN7rocprim17ROCPRIM_400000_NS6detail17trampoline_kernelINS0_14default_configENS1_20scan_config_selectorIfEEZZNS1_9scan_implILNS1_25lookback_scan_determinismE0ELb0ELb0ES3_PKfPffZZZN2at6native31launch_logcumsumexp_cuda_kernelERKNSB_10TensorBaseESF_lENKUlvE_clEvENKUlvE0_clEvEUlffE_fEEDaPvRmT3_T4_T5_mT6_P12ihipStream_tbENKUlT_T0_E_clISt17integral_constantIbLb1EESV_IbLb0EEEEDaSR_SS_EUlSR_E_NS1_11comp_targetILNS1_3genE0ELNS1_11target_archE4294967295ELNS1_3gpuE0ELNS1_3repE0EEENS1_30default_config_static_selectorELNS0_4arch9wavefront6targetE1EEEvT1_: ; @_ZN7rocprim17ROCPRIM_400000_NS6detail17trampoline_kernelINS0_14default_configENS1_20scan_config_selectorIfEEZZNS1_9scan_implILNS1_25lookback_scan_determinismE0ELb0ELb0ES3_PKfPffZZZN2at6native31launch_logcumsumexp_cuda_kernelERKNSB_10TensorBaseESF_lENKUlvE_clEvENKUlvE0_clEvEUlffE_fEEDaPvRmT3_T4_T5_mT6_P12ihipStream_tbENKUlT_T0_E_clISt17integral_constantIbLb1EESV_IbLb0EEEEDaSR_SS_EUlSR_E_NS1_11comp_targetILNS1_3genE0ELNS1_11target_archE4294967295ELNS1_3gpuE0ELNS1_3repE0EEENS1_30default_config_static_selectorELNS0_4arch9wavefront6targetE1EEEvT1_
; %bb.0:
	.section	.rodata,"a",@progbits
	.p2align	6, 0x0
	.amdhsa_kernel _ZN7rocprim17ROCPRIM_400000_NS6detail17trampoline_kernelINS0_14default_configENS1_20scan_config_selectorIfEEZZNS1_9scan_implILNS1_25lookback_scan_determinismE0ELb0ELb0ES3_PKfPffZZZN2at6native31launch_logcumsumexp_cuda_kernelERKNSB_10TensorBaseESF_lENKUlvE_clEvENKUlvE0_clEvEUlffE_fEEDaPvRmT3_T4_T5_mT6_P12ihipStream_tbENKUlT_T0_E_clISt17integral_constantIbLb1EESV_IbLb0EEEEDaSR_SS_EUlSR_E_NS1_11comp_targetILNS1_3genE0ELNS1_11target_archE4294967295ELNS1_3gpuE0ELNS1_3repE0EEENS1_30default_config_static_selectorELNS0_4arch9wavefront6targetE1EEEvT1_
		.amdhsa_group_segment_fixed_size 0
		.amdhsa_private_segment_fixed_size 0
		.amdhsa_kernarg_size 96
		.amdhsa_user_sgpr_count 6
		.amdhsa_user_sgpr_private_segment_buffer 1
		.amdhsa_user_sgpr_dispatch_ptr 0
		.amdhsa_user_sgpr_queue_ptr 0
		.amdhsa_user_sgpr_kernarg_segment_ptr 1
		.amdhsa_user_sgpr_dispatch_id 0
		.amdhsa_user_sgpr_flat_scratch_init 0
		.amdhsa_user_sgpr_kernarg_preload_length 0
		.amdhsa_user_sgpr_kernarg_preload_offset 0
		.amdhsa_user_sgpr_private_segment_size 0
		.amdhsa_uses_dynamic_stack 0
		.amdhsa_system_sgpr_private_segment_wavefront_offset 0
		.amdhsa_system_sgpr_workgroup_id_x 1
		.amdhsa_system_sgpr_workgroup_id_y 0
		.amdhsa_system_sgpr_workgroup_id_z 0
		.amdhsa_system_sgpr_workgroup_info 0
		.amdhsa_system_vgpr_workitem_id 0
		.amdhsa_next_free_vgpr 1
		.amdhsa_next_free_sgpr 0
		.amdhsa_accum_offset 4
		.amdhsa_reserve_vcc 0
		.amdhsa_reserve_flat_scratch 0
		.amdhsa_float_round_mode_32 0
		.amdhsa_float_round_mode_16_64 0
		.amdhsa_float_denorm_mode_32 3
		.amdhsa_float_denorm_mode_16_64 3
		.amdhsa_dx10_clamp 1
		.amdhsa_ieee_mode 1
		.amdhsa_fp16_overflow 0
		.amdhsa_tg_split 0
		.amdhsa_exception_fp_ieee_invalid_op 0
		.amdhsa_exception_fp_denorm_src 0
		.amdhsa_exception_fp_ieee_div_zero 0
		.amdhsa_exception_fp_ieee_overflow 0
		.amdhsa_exception_fp_ieee_underflow 0
		.amdhsa_exception_fp_ieee_inexact 0
		.amdhsa_exception_int_div_zero 0
	.end_amdhsa_kernel
	.section	.text._ZN7rocprim17ROCPRIM_400000_NS6detail17trampoline_kernelINS0_14default_configENS1_20scan_config_selectorIfEEZZNS1_9scan_implILNS1_25lookback_scan_determinismE0ELb0ELb0ES3_PKfPffZZZN2at6native31launch_logcumsumexp_cuda_kernelERKNSB_10TensorBaseESF_lENKUlvE_clEvENKUlvE0_clEvEUlffE_fEEDaPvRmT3_T4_T5_mT6_P12ihipStream_tbENKUlT_T0_E_clISt17integral_constantIbLb1EESV_IbLb0EEEEDaSR_SS_EUlSR_E_NS1_11comp_targetILNS1_3genE0ELNS1_11target_archE4294967295ELNS1_3gpuE0ELNS1_3repE0EEENS1_30default_config_static_selectorELNS0_4arch9wavefront6targetE1EEEvT1_,"axG",@progbits,_ZN7rocprim17ROCPRIM_400000_NS6detail17trampoline_kernelINS0_14default_configENS1_20scan_config_selectorIfEEZZNS1_9scan_implILNS1_25lookback_scan_determinismE0ELb0ELb0ES3_PKfPffZZZN2at6native31launch_logcumsumexp_cuda_kernelERKNSB_10TensorBaseESF_lENKUlvE_clEvENKUlvE0_clEvEUlffE_fEEDaPvRmT3_T4_T5_mT6_P12ihipStream_tbENKUlT_T0_E_clISt17integral_constantIbLb1EESV_IbLb0EEEEDaSR_SS_EUlSR_E_NS1_11comp_targetILNS1_3genE0ELNS1_11target_archE4294967295ELNS1_3gpuE0ELNS1_3repE0EEENS1_30default_config_static_selectorELNS0_4arch9wavefront6targetE1EEEvT1_,comdat
.Lfunc_end134:
	.size	_ZN7rocprim17ROCPRIM_400000_NS6detail17trampoline_kernelINS0_14default_configENS1_20scan_config_selectorIfEEZZNS1_9scan_implILNS1_25lookback_scan_determinismE0ELb0ELb0ES3_PKfPffZZZN2at6native31launch_logcumsumexp_cuda_kernelERKNSB_10TensorBaseESF_lENKUlvE_clEvENKUlvE0_clEvEUlffE_fEEDaPvRmT3_T4_T5_mT6_P12ihipStream_tbENKUlT_T0_E_clISt17integral_constantIbLb1EESV_IbLb0EEEEDaSR_SS_EUlSR_E_NS1_11comp_targetILNS1_3genE0ELNS1_11target_archE4294967295ELNS1_3gpuE0ELNS1_3repE0EEENS1_30default_config_static_selectorELNS0_4arch9wavefront6targetE1EEEvT1_, .Lfunc_end134-_ZN7rocprim17ROCPRIM_400000_NS6detail17trampoline_kernelINS0_14default_configENS1_20scan_config_selectorIfEEZZNS1_9scan_implILNS1_25lookback_scan_determinismE0ELb0ELb0ES3_PKfPffZZZN2at6native31launch_logcumsumexp_cuda_kernelERKNSB_10TensorBaseESF_lENKUlvE_clEvENKUlvE0_clEvEUlffE_fEEDaPvRmT3_T4_T5_mT6_P12ihipStream_tbENKUlT_T0_E_clISt17integral_constantIbLb1EESV_IbLb0EEEEDaSR_SS_EUlSR_E_NS1_11comp_targetILNS1_3genE0ELNS1_11target_archE4294967295ELNS1_3gpuE0ELNS1_3repE0EEENS1_30default_config_static_selectorELNS0_4arch9wavefront6targetE1EEEvT1_
                                        ; -- End function
	.section	.AMDGPU.csdata,"",@progbits
; Kernel info:
; codeLenInByte = 0
; NumSgprs: 4
; NumVgprs: 0
; NumAgprs: 0
; TotalNumVgprs: 0
; ScratchSize: 0
; MemoryBound: 0
; FloatMode: 240
; IeeeMode: 1
; LDSByteSize: 0 bytes/workgroup (compile time only)
; SGPRBlocks: 0
; VGPRBlocks: 0
; NumSGPRsForWavesPerEU: 4
; NumVGPRsForWavesPerEU: 1
; AccumOffset: 4
; Occupancy: 8
; WaveLimiterHint : 0
; COMPUTE_PGM_RSRC2:SCRATCH_EN: 0
; COMPUTE_PGM_RSRC2:USER_SGPR: 6
; COMPUTE_PGM_RSRC2:TRAP_HANDLER: 0
; COMPUTE_PGM_RSRC2:TGID_X_EN: 1
; COMPUTE_PGM_RSRC2:TGID_Y_EN: 0
; COMPUTE_PGM_RSRC2:TGID_Z_EN: 0
; COMPUTE_PGM_RSRC2:TIDIG_COMP_CNT: 0
; COMPUTE_PGM_RSRC3_GFX90A:ACCUM_OFFSET: 0
; COMPUTE_PGM_RSRC3_GFX90A:TG_SPLIT: 0
	.section	.text._ZN7rocprim17ROCPRIM_400000_NS6detail17trampoline_kernelINS0_14default_configENS1_20scan_config_selectorIfEEZZNS1_9scan_implILNS1_25lookback_scan_determinismE0ELb0ELb0ES3_PKfPffZZZN2at6native31launch_logcumsumexp_cuda_kernelERKNSB_10TensorBaseESF_lENKUlvE_clEvENKUlvE0_clEvEUlffE_fEEDaPvRmT3_T4_T5_mT6_P12ihipStream_tbENKUlT_T0_E_clISt17integral_constantIbLb1EESV_IbLb0EEEEDaSR_SS_EUlSR_E_NS1_11comp_targetILNS1_3genE5ELNS1_11target_archE942ELNS1_3gpuE9ELNS1_3repE0EEENS1_30default_config_static_selectorELNS0_4arch9wavefront6targetE1EEEvT1_,"axG",@progbits,_ZN7rocprim17ROCPRIM_400000_NS6detail17trampoline_kernelINS0_14default_configENS1_20scan_config_selectorIfEEZZNS1_9scan_implILNS1_25lookback_scan_determinismE0ELb0ELb0ES3_PKfPffZZZN2at6native31launch_logcumsumexp_cuda_kernelERKNSB_10TensorBaseESF_lENKUlvE_clEvENKUlvE0_clEvEUlffE_fEEDaPvRmT3_T4_T5_mT6_P12ihipStream_tbENKUlT_T0_E_clISt17integral_constantIbLb1EESV_IbLb0EEEEDaSR_SS_EUlSR_E_NS1_11comp_targetILNS1_3genE5ELNS1_11target_archE942ELNS1_3gpuE9ELNS1_3repE0EEENS1_30default_config_static_selectorELNS0_4arch9wavefront6targetE1EEEvT1_,comdat
	.globl	_ZN7rocprim17ROCPRIM_400000_NS6detail17trampoline_kernelINS0_14default_configENS1_20scan_config_selectorIfEEZZNS1_9scan_implILNS1_25lookback_scan_determinismE0ELb0ELb0ES3_PKfPffZZZN2at6native31launch_logcumsumexp_cuda_kernelERKNSB_10TensorBaseESF_lENKUlvE_clEvENKUlvE0_clEvEUlffE_fEEDaPvRmT3_T4_T5_mT6_P12ihipStream_tbENKUlT_T0_E_clISt17integral_constantIbLb1EESV_IbLb0EEEEDaSR_SS_EUlSR_E_NS1_11comp_targetILNS1_3genE5ELNS1_11target_archE942ELNS1_3gpuE9ELNS1_3repE0EEENS1_30default_config_static_selectorELNS0_4arch9wavefront6targetE1EEEvT1_ ; -- Begin function _ZN7rocprim17ROCPRIM_400000_NS6detail17trampoline_kernelINS0_14default_configENS1_20scan_config_selectorIfEEZZNS1_9scan_implILNS1_25lookback_scan_determinismE0ELb0ELb0ES3_PKfPffZZZN2at6native31launch_logcumsumexp_cuda_kernelERKNSB_10TensorBaseESF_lENKUlvE_clEvENKUlvE0_clEvEUlffE_fEEDaPvRmT3_T4_T5_mT6_P12ihipStream_tbENKUlT_T0_E_clISt17integral_constantIbLb1EESV_IbLb0EEEEDaSR_SS_EUlSR_E_NS1_11comp_targetILNS1_3genE5ELNS1_11target_archE942ELNS1_3gpuE9ELNS1_3repE0EEENS1_30default_config_static_selectorELNS0_4arch9wavefront6targetE1EEEvT1_
	.p2align	8
	.type	_ZN7rocprim17ROCPRIM_400000_NS6detail17trampoline_kernelINS0_14default_configENS1_20scan_config_selectorIfEEZZNS1_9scan_implILNS1_25lookback_scan_determinismE0ELb0ELb0ES3_PKfPffZZZN2at6native31launch_logcumsumexp_cuda_kernelERKNSB_10TensorBaseESF_lENKUlvE_clEvENKUlvE0_clEvEUlffE_fEEDaPvRmT3_T4_T5_mT6_P12ihipStream_tbENKUlT_T0_E_clISt17integral_constantIbLb1EESV_IbLb0EEEEDaSR_SS_EUlSR_E_NS1_11comp_targetILNS1_3genE5ELNS1_11target_archE942ELNS1_3gpuE9ELNS1_3repE0EEENS1_30default_config_static_selectorELNS0_4arch9wavefront6targetE1EEEvT1_,@function
_ZN7rocprim17ROCPRIM_400000_NS6detail17trampoline_kernelINS0_14default_configENS1_20scan_config_selectorIfEEZZNS1_9scan_implILNS1_25lookback_scan_determinismE0ELb0ELb0ES3_PKfPffZZZN2at6native31launch_logcumsumexp_cuda_kernelERKNSB_10TensorBaseESF_lENKUlvE_clEvENKUlvE0_clEvEUlffE_fEEDaPvRmT3_T4_T5_mT6_P12ihipStream_tbENKUlT_T0_E_clISt17integral_constantIbLb1EESV_IbLb0EEEEDaSR_SS_EUlSR_E_NS1_11comp_targetILNS1_3genE5ELNS1_11target_archE942ELNS1_3gpuE9ELNS1_3repE0EEENS1_30default_config_static_selectorELNS0_4arch9wavefront6targetE1EEEvT1_: ; @_ZN7rocprim17ROCPRIM_400000_NS6detail17trampoline_kernelINS0_14default_configENS1_20scan_config_selectorIfEEZZNS1_9scan_implILNS1_25lookback_scan_determinismE0ELb0ELb0ES3_PKfPffZZZN2at6native31launch_logcumsumexp_cuda_kernelERKNSB_10TensorBaseESF_lENKUlvE_clEvENKUlvE0_clEvEUlffE_fEEDaPvRmT3_T4_T5_mT6_P12ihipStream_tbENKUlT_T0_E_clISt17integral_constantIbLb1EESV_IbLb0EEEEDaSR_SS_EUlSR_E_NS1_11comp_targetILNS1_3genE5ELNS1_11target_archE942ELNS1_3gpuE9ELNS1_3repE0EEENS1_30default_config_static_selectorELNS0_4arch9wavefront6targetE1EEEvT1_
; %bb.0:
	.section	.rodata,"a",@progbits
	.p2align	6, 0x0
	.amdhsa_kernel _ZN7rocprim17ROCPRIM_400000_NS6detail17trampoline_kernelINS0_14default_configENS1_20scan_config_selectorIfEEZZNS1_9scan_implILNS1_25lookback_scan_determinismE0ELb0ELb0ES3_PKfPffZZZN2at6native31launch_logcumsumexp_cuda_kernelERKNSB_10TensorBaseESF_lENKUlvE_clEvENKUlvE0_clEvEUlffE_fEEDaPvRmT3_T4_T5_mT6_P12ihipStream_tbENKUlT_T0_E_clISt17integral_constantIbLb1EESV_IbLb0EEEEDaSR_SS_EUlSR_E_NS1_11comp_targetILNS1_3genE5ELNS1_11target_archE942ELNS1_3gpuE9ELNS1_3repE0EEENS1_30default_config_static_selectorELNS0_4arch9wavefront6targetE1EEEvT1_
		.amdhsa_group_segment_fixed_size 0
		.amdhsa_private_segment_fixed_size 0
		.amdhsa_kernarg_size 96
		.amdhsa_user_sgpr_count 6
		.amdhsa_user_sgpr_private_segment_buffer 1
		.amdhsa_user_sgpr_dispatch_ptr 0
		.amdhsa_user_sgpr_queue_ptr 0
		.amdhsa_user_sgpr_kernarg_segment_ptr 1
		.amdhsa_user_sgpr_dispatch_id 0
		.amdhsa_user_sgpr_flat_scratch_init 0
		.amdhsa_user_sgpr_kernarg_preload_length 0
		.amdhsa_user_sgpr_kernarg_preload_offset 0
		.amdhsa_user_sgpr_private_segment_size 0
		.amdhsa_uses_dynamic_stack 0
		.amdhsa_system_sgpr_private_segment_wavefront_offset 0
		.amdhsa_system_sgpr_workgroup_id_x 1
		.amdhsa_system_sgpr_workgroup_id_y 0
		.amdhsa_system_sgpr_workgroup_id_z 0
		.amdhsa_system_sgpr_workgroup_info 0
		.amdhsa_system_vgpr_workitem_id 0
		.amdhsa_next_free_vgpr 1
		.amdhsa_next_free_sgpr 0
		.amdhsa_accum_offset 4
		.amdhsa_reserve_vcc 0
		.amdhsa_reserve_flat_scratch 0
		.amdhsa_float_round_mode_32 0
		.amdhsa_float_round_mode_16_64 0
		.amdhsa_float_denorm_mode_32 3
		.amdhsa_float_denorm_mode_16_64 3
		.amdhsa_dx10_clamp 1
		.amdhsa_ieee_mode 1
		.amdhsa_fp16_overflow 0
		.amdhsa_tg_split 0
		.amdhsa_exception_fp_ieee_invalid_op 0
		.amdhsa_exception_fp_denorm_src 0
		.amdhsa_exception_fp_ieee_div_zero 0
		.amdhsa_exception_fp_ieee_overflow 0
		.amdhsa_exception_fp_ieee_underflow 0
		.amdhsa_exception_fp_ieee_inexact 0
		.amdhsa_exception_int_div_zero 0
	.end_amdhsa_kernel
	.section	.text._ZN7rocprim17ROCPRIM_400000_NS6detail17trampoline_kernelINS0_14default_configENS1_20scan_config_selectorIfEEZZNS1_9scan_implILNS1_25lookback_scan_determinismE0ELb0ELb0ES3_PKfPffZZZN2at6native31launch_logcumsumexp_cuda_kernelERKNSB_10TensorBaseESF_lENKUlvE_clEvENKUlvE0_clEvEUlffE_fEEDaPvRmT3_T4_T5_mT6_P12ihipStream_tbENKUlT_T0_E_clISt17integral_constantIbLb1EESV_IbLb0EEEEDaSR_SS_EUlSR_E_NS1_11comp_targetILNS1_3genE5ELNS1_11target_archE942ELNS1_3gpuE9ELNS1_3repE0EEENS1_30default_config_static_selectorELNS0_4arch9wavefront6targetE1EEEvT1_,"axG",@progbits,_ZN7rocprim17ROCPRIM_400000_NS6detail17trampoline_kernelINS0_14default_configENS1_20scan_config_selectorIfEEZZNS1_9scan_implILNS1_25lookback_scan_determinismE0ELb0ELb0ES3_PKfPffZZZN2at6native31launch_logcumsumexp_cuda_kernelERKNSB_10TensorBaseESF_lENKUlvE_clEvENKUlvE0_clEvEUlffE_fEEDaPvRmT3_T4_T5_mT6_P12ihipStream_tbENKUlT_T0_E_clISt17integral_constantIbLb1EESV_IbLb0EEEEDaSR_SS_EUlSR_E_NS1_11comp_targetILNS1_3genE5ELNS1_11target_archE942ELNS1_3gpuE9ELNS1_3repE0EEENS1_30default_config_static_selectorELNS0_4arch9wavefront6targetE1EEEvT1_,comdat
.Lfunc_end135:
	.size	_ZN7rocprim17ROCPRIM_400000_NS6detail17trampoline_kernelINS0_14default_configENS1_20scan_config_selectorIfEEZZNS1_9scan_implILNS1_25lookback_scan_determinismE0ELb0ELb0ES3_PKfPffZZZN2at6native31launch_logcumsumexp_cuda_kernelERKNSB_10TensorBaseESF_lENKUlvE_clEvENKUlvE0_clEvEUlffE_fEEDaPvRmT3_T4_T5_mT6_P12ihipStream_tbENKUlT_T0_E_clISt17integral_constantIbLb1EESV_IbLb0EEEEDaSR_SS_EUlSR_E_NS1_11comp_targetILNS1_3genE5ELNS1_11target_archE942ELNS1_3gpuE9ELNS1_3repE0EEENS1_30default_config_static_selectorELNS0_4arch9wavefront6targetE1EEEvT1_, .Lfunc_end135-_ZN7rocprim17ROCPRIM_400000_NS6detail17trampoline_kernelINS0_14default_configENS1_20scan_config_selectorIfEEZZNS1_9scan_implILNS1_25lookback_scan_determinismE0ELb0ELb0ES3_PKfPffZZZN2at6native31launch_logcumsumexp_cuda_kernelERKNSB_10TensorBaseESF_lENKUlvE_clEvENKUlvE0_clEvEUlffE_fEEDaPvRmT3_T4_T5_mT6_P12ihipStream_tbENKUlT_T0_E_clISt17integral_constantIbLb1EESV_IbLb0EEEEDaSR_SS_EUlSR_E_NS1_11comp_targetILNS1_3genE5ELNS1_11target_archE942ELNS1_3gpuE9ELNS1_3repE0EEENS1_30default_config_static_selectorELNS0_4arch9wavefront6targetE1EEEvT1_
                                        ; -- End function
	.section	.AMDGPU.csdata,"",@progbits
; Kernel info:
; codeLenInByte = 0
; NumSgprs: 4
; NumVgprs: 0
; NumAgprs: 0
; TotalNumVgprs: 0
; ScratchSize: 0
; MemoryBound: 0
; FloatMode: 240
; IeeeMode: 1
; LDSByteSize: 0 bytes/workgroup (compile time only)
; SGPRBlocks: 0
; VGPRBlocks: 0
; NumSGPRsForWavesPerEU: 4
; NumVGPRsForWavesPerEU: 1
; AccumOffset: 4
; Occupancy: 8
; WaveLimiterHint : 0
; COMPUTE_PGM_RSRC2:SCRATCH_EN: 0
; COMPUTE_PGM_RSRC2:USER_SGPR: 6
; COMPUTE_PGM_RSRC2:TRAP_HANDLER: 0
; COMPUTE_PGM_RSRC2:TGID_X_EN: 1
; COMPUTE_PGM_RSRC2:TGID_Y_EN: 0
; COMPUTE_PGM_RSRC2:TGID_Z_EN: 0
; COMPUTE_PGM_RSRC2:TIDIG_COMP_CNT: 0
; COMPUTE_PGM_RSRC3_GFX90A:ACCUM_OFFSET: 0
; COMPUTE_PGM_RSRC3_GFX90A:TG_SPLIT: 0
	.section	.text._ZN7rocprim17ROCPRIM_400000_NS6detail17trampoline_kernelINS0_14default_configENS1_20scan_config_selectorIfEEZZNS1_9scan_implILNS1_25lookback_scan_determinismE0ELb0ELb0ES3_PKfPffZZZN2at6native31launch_logcumsumexp_cuda_kernelERKNSB_10TensorBaseESF_lENKUlvE_clEvENKUlvE0_clEvEUlffE_fEEDaPvRmT3_T4_T5_mT6_P12ihipStream_tbENKUlT_T0_E_clISt17integral_constantIbLb1EESV_IbLb0EEEEDaSR_SS_EUlSR_E_NS1_11comp_targetILNS1_3genE4ELNS1_11target_archE910ELNS1_3gpuE8ELNS1_3repE0EEENS1_30default_config_static_selectorELNS0_4arch9wavefront6targetE1EEEvT1_,"axG",@progbits,_ZN7rocprim17ROCPRIM_400000_NS6detail17trampoline_kernelINS0_14default_configENS1_20scan_config_selectorIfEEZZNS1_9scan_implILNS1_25lookback_scan_determinismE0ELb0ELb0ES3_PKfPffZZZN2at6native31launch_logcumsumexp_cuda_kernelERKNSB_10TensorBaseESF_lENKUlvE_clEvENKUlvE0_clEvEUlffE_fEEDaPvRmT3_T4_T5_mT6_P12ihipStream_tbENKUlT_T0_E_clISt17integral_constantIbLb1EESV_IbLb0EEEEDaSR_SS_EUlSR_E_NS1_11comp_targetILNS1_3genE4ELNS1_11target_archE910ELNS1_3gpuE8ELNS1_3repE0EEENS1_30default_config_static_selectorELNS0_4arch9wavefront6targetE1EEEvT1_,comdat
	.globl	_ZN7rocprim17ROCPRIM_400000_NS6detail17trampoline_kernelINS0_14default_configENS1_20scan_config_selectorIfEEZZNS1_9scan_implILNS1_25lookback_scan_determinismE0ELb0ELb0ES3_PKfPffZZZN2at6native31launch_logcumsumexp_cuda_kernelERKNSB_10TensorBaseESF_lENKUlvE_clEvENKUlvE0_clEvEUlffE_fEEDaPvRmT3_T4_T5_mT6_P12ihipStream_tbENKUlT_T0_E_clISt17integral_constantIbLb1EESV_IbLb0EEEEDaSR_SS_EUlSR_E_NS1_11comp_targetILNS1_3genE4ELNS1_11target_archE910ELNS1_3gpuE8ELNS1_3repE0EEENS1_30default_config_static_selectorELNS0_4arch9wavefront6targetE1EEEvT1_ ; -- Begin function _ZN7rocprim17ROCPRIM_400000_NS6detail17trampoline_kernelINS0_14default_configENS1_20scan_config_selectorIfEEZZNS1_9scan_implILNS1_25lookback_scan_determinismE0ELb0ELb0ES3_PKfPffZZZN2at6native31launch_logcumsumexp_cuda_kernelERKNSB_10TensorBaseESF_lENKUlvE_clEvENKUlvE0_clEvEUlffE_fEEDaPvRmT3_T4_T5_mT6_P12ihipStream_tbENKUlT_T0_E_clISt17integral_constantIbLb1EESV_IbLb0EEEEDaSR_SS_EUlSR_E_NS1_11comp_targetILNS1_3genE4ELNS1_11target_archE910ELNS1_3gpuE8ELNS1_3repE0EEENS1_30default_config_static_selectorELNS0_4arch9wavefront6targetE1EEEvT1_
	.p2align	8
	.type	_ZN7rocprim17ROCPRIM_400000_NS6detail17trampoline_kernelINS0_14default_configENS1_20scan_config_selectorIfEEZZNS1_9scan_implILNS1_25lookback_scan_determinismE0ELb0ELb0ES3_PKfPffZZZN2at6native31launch_logcumsumexp_cuda_kernelERKNSB_10TensorBaseESF_lENKUlvE_clEvENKUlvE0_clEvEUlffE_fEEDaPvRmT3_T4_T5_mT6_P12ihipStream_tbENKUlT_T0_E_clISt17integral_constantIbLb1EESV_IbLb0EEEEDaSR_SS_EUlSR_E_NS1_11comp_targetILNS1_3genE4ELNS1_11target_archE910ELNS1_3gpuE8ELNS1_3repE0EEENS1_30default_config_static_selectorELNS0_4arch9wavefront6targetE1EEEvT1_,@function
_ZN7rocprim17ROCPRIM_400000_NS6detail17trampoline_kernelINS0_14default_configENS1_20scan_config_selectorIfEEZZNS1_9scan_implILNS1_25lookback_scan_determinismE0ELb0ELb0ES3_PKfPffZZZN2at6native31launch_logcumsumexp_cuda_kernelERKNSB_10TensorBaseESF_lENKUlvE_clEvENKUlvE0_clEvEUlffE_fEEDaPvRmT3_T4_T5_mT6_P12ihipStream_tbENKUlT_T0_E_clISt17integral_constantIbLb1EESV_IbLb0EEEEDaSR_SS_EUlSR_E_NS1_11comp_targetILNS1_3genE4ELNS1_11target_archE910ELNS1_3gpuE8ELNS1_3repE0EEENS1_30default_config_static_selectorELNS0_4arch9wavefront6targetE1EEEvT1_: ; @_ZN7rocprim17ROCPRIM_400000_NS6detail17trampoline_kernelINS0_14default_configENS1_20scan_config_selectorIfEEZZNS1_9scan_implILNS1_25lookback_scan_determinismE0ELb0ELb0ES3_PKfPffZZZN2at6native31launch_logcumsumexp_cuda_kernelERKNSB_10TensorBaseESF_lENKUlvE_clEvENKUlvE0_clEvEUlffE_fEEDaPvRmT3_T4_T5_mT6_P12ihipStream_tbENKUlT_T0_E_clISt17integral_constantIbLb1EESV_IbLb0EEEEDaSR_SS_EUlSR_E_NS1_11comp_targetILNS1_3genE4ELNS1_11target_archE910ELNS1_3gpuE8ELNS1_3repE0EEENS1_30default_config_static_selectorELNS0_4arch9wavefront6targetE1EEEvT1_
; %bb.0:
	s_load_dwordx8 s[40:47], s[4:5], 0x0
	s_load_dword s1, s[4:5], 0x30
	s_mul_i32 s0, s6, 0x700
	v_lshlrev_b32_e32 v32, 2, v0
	s_waitcnt lgkmcnt(0)
	s_lshl_b64 s[48:49], s[42:43], 2
	s_add_u32 s2, s40, s48
	s_addc_u32 s3, s41, s49
	s_add_i32 s7, s1, -1
	s_mul_i32 s8, s7, 0x700
	s_sub_u32 s33, s46, s8
	s_subb_u32 s56, s47, 0
	s_mov_b32 s1, 0
	s_cmp_lg_u32 s6, s7
	s_cselect_b64 s[46:47], -1, 0
	s_lshl_b64 s[50:51], s[0:1], 2
	s_add_u32 s2, s2, s50
	s_addc_u32 s3, s3, s51
	s_mov_b64 s[0:1], -1
	s_and_b64 vcc, exec, s[46:47]
	s_cbranch_vccz .LBB136_2
; %bb.1:
	v_mov_b32_e32 v1, s3
	v_add_co_u32_e32 v2, vcc, s2, v32
	v_addc_co_u32_e32 v1, vcc, 0, v1, vcc
	v_add_co_u32_e32 v2, vcc, 0x1000, v2
	v_addc_co_u32_e32 v3, vcc, 0, v1, vcc
	global_load_dword v4, v32, s[2:3]
	global_load_dword v5, v32, s[2:3] offset:512
	global_load_dword v6, v32, s[2:3] offset:1024
	;; [unrolled: 1-line block ×7, first 2 shown]
	global_load_dword v1, v[2:3], off
	global_load_dword v12, v[2:3], off offset:512
	global_load_dword v13, v[2:3], off offset:1024
	;; [unrolled: 1-line block ×5, first 2 shown]
	s_mov_b64 s[0:1], 0
	s_waitcnt vmcnt(12)
	ds_write2st64_b32 v32, v4, v5 offset1:2
	s_waitcnt vmcnt(10)
	ds_write2st64_b32 v32, v6, v7 offset0:4 offset1:6
	s_waitcnt vmcnt(8)
	ds_write2st64_b32 v32, v8, v9 offset0:8 offset1:10
	;; [unrolled: 2-line block ×6, first 2 shown]
	s_waitcnt lgkmcnt(0)
	s_barrier
.LBB136_2:
	s_load_dwordx2 s[52:53], s[4:5], 0x28
	s_andn2_b64 vcc, exec, s[0:1]
	v_cmp_gt_u32_e64 s[0:1], s33, v0
	s_cbranch_vccnz .LBB136_32
; %bb.3:
	s_load_dword s8, s[2:3], 0x0
	s_waitcnt lgkmcnt(0)
	s_mov_b32 s9, s8
	s_mov_b32 s10, s8
	;; [unrolled: 1-line block ×13, first 2 shown]
	v_pk_mov_b32 v[2:3], s[8:9], s[8:9] op_sel:[0,1]
	v_pk_mov_b32 v[4:5], s[10:11], s[10:11] op_sel:[0,1]
	;; [unrolled: 1-line block ×7, first 2 shown]
	v_mov_b32_e32 v1, s8
	v_pk_mov_b32 v[16:17], s[22:23], s[22:23] op_sel:[0,1]
	s_and_saveexec_b64 s[10:11], s[0:1]
	s_cbranch_execz .LBB136_5
; %bb.4:
	global_load_dword v1, v32, s[2:3]
	v_mov_b32_e32 v3, s8
	v_mov_b32_e32 v4, s8
	;; [unrolled: 1-line block ×13, first 2 shown]
.LBB136_5:
	s_or_b64 exec, exec, s[10:11]
	v_or_b32_e32 v2, 0x80, v0
	v_cmp_gt_u32_e32 vcc, s33, v2
	s_and_saveexec_b64 s[0:1], vcc
	s_cbranch_execz .LBB136_7
; %bb.6:
	global_load_dword v3, v32, s[2:3] offset:512
.LBB136_7:
	s_or_b64 exec, exec, s[0:1]
	v_or_b32_e32 v2, 0x100, v0
	v_cmp_gt_u32_e32 vcc, s33, v2
	s_and_saveexec_b64 s[0:1], vcc
	s_cbranch_execz .LBB136_9
; %bb.8:
	global_load_dword v4, v32, s[2:3] offset:1024
.LBB136_9:
	s_or_b64 exec, exec, s[0:1]
	v_or_b32_e32 v2, 0x180, v0
	v_cmp_gt_u32_e32 vcc, s33, v2
	s_and_saveexec_b64 s[0:1], vcc
	s_cbranch_execz .LBB136_11
; %bb.10:
	global_load_dword v5, v32, s[2:3] offset:1536
.LBB136_11:
	s_or_b64 exec, exec, s[0:1]
	v_or_b32_e32 v2, 0x200, v0
	v_cmp_gt_u32_e32 vcc, s33, v2
	s_and_saveexec_b64 s[0:1], vcc
	s_cbranch_execz .LBB136_13
; %bb.12:
	global_load_dword v6, v32, s[2:3] offset:2048
.LBB136_13:
	s_or_b64 exec, exec, s[0:1]
	v_or_b32_e32 v2, 0x280, v0
	v_cmp_gt_u32_e32 vcc, s33, v2
	s_and_saveexec_b64 s[0:1], vcc
	s_cbranch_execz .LBB136_15
; %bb.14:
	global_load_dword v7, v32, s[2:3] offset:2560
.LBB136_15:
	s_or_b64 exec, exec, s[0:1]
	v_or_b32_e32 v2, 0x300, v0
	v_cmp_gt_u32_e32 vcc, s33, v2
	s_and_saveexec_b64 s[0:1], vcc
	s_cbranch_execz .LBB136_17
; %bb.16:
	global_load_dword v8, v32, s[2:3] offset:3072
.LBB136_17:
	s_or_b64 exec, exec, s[0:1]
	v_or_b32_e32 v2, 0x380, v0
	v_cmp_gt_u32_e32 vcc, s33, v2
	s_and_saveexec_b64 s[0:1], vcc
	s_cbranch_execz .LBB136_19
; %bb.18:
	global_load_dword v9, v32, s[2:3] offset:3584
.LBB136_19:
	s_or_b64 exec, exec, s[0:1]
	v_or_b32_e32 v2, 0x400, v0
	v_cmp_gt_u32_e32 vcc, s33, v2
	s_and_saveexec_b64 s[0:1], vcc
	s_cbranch_execz .LBB136_21
; %bb.20:
	v_lshlrev_b32_e32 v2, 2, v2
	global_load_dword v10, v2, s[2:3]
.LBB136_21:
	s_or_b64 exec, exec, s[0:1]
	v_or_b32_e32 v2, 0x480, v0
	v_cmp_gt_u32_e32 vcc, s33, v2
	s_and_saveexec_b64 s[0:1], vcc
	s_cbranch_execz .LBB136_23
; %bb.22:
	v_lshlrev_b32_e32 v2, 2, v2
	global_load_dword v11, v2, s[2:3]
.LBB136_23:
	;; [unrolled: 9-line block ×6, first 2 shown]
	s_or_b64 exec, exec, s[0:1]
	s_waitcnt vmcnt(0)
	ds_write2st64_b32 v32, v1, v3 offset1:2
	ds_write2st64_b32 v32, v4, v5 offset0:4 offset1:6
	ds_write2st64_b32 v32, v6, v7 offset0:8 offset1:10
	;; [unrolled: 1-line block ×6, first 2 shown]
	s_waitcnt lgkmcnt(0)
	s_barrier
.LBB136_32:
	v_mul_u32_u24_e32 v33, 14, v0
	v_lshlrev_b32_e32 v1, 2, v33
	s_waitcnt lgkmcnt(0)
	ds_read2_b64 v[2:5], v1 offset1:1
	ds_read2_b64 v[26:29], v1 offset0:2 offset1:3
	ds_read2_b64 v[22:25], v1 offset0:4 offset1:5
	ds_read_b64 v[30:31], v1 offset:48
	s_cmp_lg_u32 s6, 0
	s_waitcnt lgkmcnt(0)
	s_barrier
	s_cbranch_scc0 .LBB136_201
; %bb.33:
	v_max_f32_e32 v18, v3, v3
	v_max_f32_e32 v43, v2, v2
	v_min_f32_e32 v6, v43, v18
	v_cmp_u_f32_e64 s[28:29], v2, v2
	v_cndmask_b32_e64 v6, v6, v2, s[28:29]
	v_cmp_u_f32_e64 s[0:1], v3, v3
	v_cndmask_b32_e64 v7, v6, v3, s[0:1]
	v_max_f32_e32 v6, v43, v18
	v_cndmask_b32_e64 v6, v6, v2, s[28:29]
	v_cndmask_b32_e64 v6, v6, v3, s[0:1]
	s_movk_i32 s7, 0x1f8
	v_cmp_neq_f32_e32 vcc, v7, v6
	v_cmp_class_f32_e64 s[2:3], v7, s7
	s_or_b64 s[8:9], vcc, s[2:3]
	v_mov_b32_e32 v44, v2
	s_and_saveexec_b64 s[2:3], s[8:9]
	s_cbranch_execz .LBB136_35
; %bb.34:
	v_sub_f32_e32 v7, v7, v6
	s_mov_b32 s8, 0x3fb8aa3b
	v_mul_f32_e32 v8, 0x3fb8aa3b, v7
	v_fma_f32 v9, v7, s8, -v8
	v_rndne_f32_e32 v10, v8
	v_fmac_f32_e32 v9, 0x32a5705f, v7
	v_sub_f32_e32 v8, v8, v10
	v_add_f32_e32 v8, v8, v9
	v_exp_f32_e32 v8, v8
	v_cvt_i32_f32_e32 v9, v10
	s_mov_b32 s8, 0xc2ce8ed0
	v_cmp_ngt_f32_e32 vcc, s8, v7
	s_mov_b32 s8, 0x42b17218
	v_ldexp_f32 v8, v8, v9
	v_cndmask_b32_e32 v8, 0, v8, vcc
	v_mov_b32_e32 v9, 0x7f800000
	v_cmp_nlt_f32_e32 vcc, s8, v7
	v_cndmask_b32_e32 v19, v9, v8, vcc
	v_add_f32_e32 v7, 1.0, v19
	v_add_f32_e32 v8, -1.0, v7
	v_sub_f32_e32 v9, v8, v7
	v_add_f32_e32 v9, 1.0, v9
	v_sub_f32_e32 v8, v19, v8
	v_add_f32_e32 v10, v8, v9
	v_frexp_mant_f32_e32 v11, v7
	s_mov_b32 s8, 0x3f2aaaab
	v_cvt_f64_f32_e32 v[8:9], v7
	v_frexp_exp_i32_f64_e32 v8, v[8:9]
	v_cmp_gt_f32_e32 vcc, s8, v11
	v_subbrev_co_u32_e32 v16, vcc, 0, v8, vcc
	v_sub_u32_e32 v8, 0, v16
	v_ldexp_f32 v7, v7, v8
	v_ldexp_f32 v8, v10, v8
	v_add_f32_e32 v10, -1.0, v7
	v_add_f32_e32 v9, 1.0, v10
	v_sub_f32_e32 v9, v7, v9
	v_add_f32_e32 v11, v8, v9
	v_add_f32_e32 v9, 1.0, v7
	v_add_f32_e32 v12, -1.0, v9
	v_sub_f32_e32 v7, v7, v12
	v_add_f32_e32 v7, v8, v7
	v_add_f32_e32 v17, v9, v7
	v_rcp_f32_e32 v20, v17
	v_sub_f32_e32 v8, v9, v17
	v_add_f32_e32 v9, v10, v11
	v_add_f32_e32 v7, v7, v8
	v_mul_f32_e32 v34, v9, v20
	v_sub_f32_e32 v8, v10, v9
	v_mul_f32_e32 v10, v17, v34
	v_fma_f32 v12, v34, v17, -v10
	v_fmac_f32_e32 v12, v34, v7
	v_add_f32_e32 v21, v11, v8
	v_add_f32_e32 v8, v10, v12
	v_sub_f32_e32 v11, v9, v8
	v_pk_add_f32 v[14:15], v[8:9], v[10:11] neg_lo:[0,1] neg_hi:[0,1]
	v_mov_b32_e32 v13, v8
	v_pk_add_f32 v[8:9], v[14:15], v[12:13] neg_lo:[0,1] neg_hi:[0,1]
	v_add_f32_e32 v9, v21, v9
	v_add_f32_e32 v8, v8, v9
	;; [unrolled: 1-line block ×3, first 2 shown]
	v_mul_f32_e32 v21, v20, v9
	v_mul_f32_e32 v10, v17, v21
	v_fma_f32 v12, v21, v17, -v10
	v_fmac_f32_e32 v12, v21, v7
	v_sub_f32_e32 v7, v11, v9
	v_add_f32_e32 v7, v8, v7
	v_add_f32_e32 v8, v10, v12
	v_sub_f32_e32 v11, v9, v8
	v_pk_add_f32 v[14:15], v[8:9], v[10:11] neg_lo:[0,1] neg_hi:[0,1]
	v_mov_b32_e32 v13, v8
	v_pk_add_f32 v[8:9], v[14:15], v[12:13] neg_lo:[0,1] neg_hi:[0,1]
	v_add_f32_e32 v7, v7, v9
	v_add_f32_e32 v7, v8, v7
	;; [unrolled: 1-line block ×4, first 2 shown]
	v_sub_f32_e32 v9, v8, v34
	v_mul_f32_e32 v7, v20, v7
	v_sub_f32_e32 v9, v21, v9
	v_add_f32_e32 v7, v9, v7
	v_add_f32_e32 v11, v8, v7
	v_mul_f32_e32 v12, v11, v11
	v_mov_b32_e32 v10, 0x3ecc95a3
	v_fmac_f32_e32 v10, 0x3e9b6dac, v12
	v_mov_b32_e32 v9, 0x3f2aaada
	v_fmac_f32_e32 v9, v12, v10
	v_cvt_f32_i32_e32 v10, v16
	v_sub_f32_e32 v8, v11, v8
	v_sub_f32_e32 v7, v7, v8
	v_ldexp_f32 v13, v11, 1
	v_mul_f32_e32 v11, v11, v12
	v_mov_b32_e32 v8, 0x3f317218
	s_mov_b32 s8, 0x3f317218
	v_pk_mul_f32 v[8:9], v[10:11], v[8:9]
	v_fma_f32 v12, v10, s8, -v8
	v_fmac_f32_e32 v12, 0xb102e308, v10
	v_pk_add_f32 v[10:11], v[8:9], v[12:13]
	v_sub_f32_e32 v13, v11, v13
	v_ldexp_f32 v7, v7, 1
	v_sub_f32_e32 v13, v9, v13
	v_add_f32_e32 v15, v7, v13
	v_mov_b32_e32 v14, v8
	v_pk_add_f32 v[8:9], v[10:11], v[8:9] neg_lo:[0,1] neg_hi:[0,1]
	v_pk_add_f32 v[16:17], v[10:11], v[14:15]
	v_mov_b32_e32 v9, v17
	v_mov_b32_e32 v13, v10
	v_pk_add_f32 v[20:21], v[12:13], v[8:9] neg_lo:[0,1] neg_hi:[0,1]
	v_pk_add_f32 v[8:9], v[12:13], v[8:9]
	v_mov_b32_e32 v12, v9
	v_pk_add_f32 v[34:35], v[12:13], v[10:11] neg_lo:[0,1] neg_hi:[0,1]
	v_mov_b32_e32 v7, v34
	v_pk_add_f32 v[36:37], v[16:17], v[6:7] neg_lo:[0,1] neg_hi:[0,1]
	v_mov_b32_e32 v8, v17
	v_mov_b32_e32 v16, v11
	;; [unrolled: 1-line block ×4, first 2 shown]
	v_pk_add_f32 v[8:9], v[8:9], v[16:17] neg_lo:[0,1] neg_hi:[0,1]
	v_mov_b32_e32 v14, v15
	v_mov_b32_e32 v15, v10
	v_pk_add_f32 v[8:9], v[14:15], v[8:9] neg_lo:[0,1] neg_hi:[0,1]
	v_mov_b32_e32 v36, v20
	v_pk_add_f32 v[10:11], v[36:37], v[8:9]
	v_mov_b32_e32 v14, v11
	v_pk_add_f32 v[14:15], v[10:11], v[14:15]
	v_pk_add_f32 v[12:13], v[12:13], v[14:15]
	v_mov_b32_e32 v11, v12
	v_pk_add_f32 v[16:17], v[10:11], v[20:21] neg_lo:[0,1] neg_hi:[0,1]
	v_mov_b32_e32 v9, v14
	v_sub_f32_e32 v7, v10, v16
	v_pk_add_f32 v[8:9], v[8:9], v[16:17] neg_lo:[0,1] neg_hi:[0,1]
	v_sub_f32_e32 v7, v20, v7
	s_mov_b32 s9, 0x7f800000
	v_add_f32_e32 v7, v8, v7
	s_mov_b32 s8, 0x33800000
	v_add_f32_e32 v7, v7, v9
	v_cmp_eq_f32_e32 vcc, s9, v19
	v_cmp_lt_f32_e64 s[8:9], |v19|, s8
	v_add_f32_e32 v7, v12, v7
	s_or_b64 vcc, vcc, s[8:9]
	v_cndmask_b32_e32 v7, v7, v19, vcc
	v_add_f32_e32 v44, v6, v7
.LBB136_35:
	s_or_b64 exec, exec, s[2:3]
	v_max_f32_e32 v6, v44, v44
	v_max_f32_e32 v19, v4, v4
	v_min_f32_e32 v7, v6, v19
	v_cmp_u_f32_e32 vcc, v44, v44
	v_max_f32_e32 v6, v6, v19
	v_cndmask_b32_e32 v7, v7, v44, vcc
	v_cmp_u_f32_e64 s[2:3], v4, v4
	v_cndmask_b32_e32 v6, v6, v44, vcc
	v_cndmask_b32_e64 v7, v7, v4, s[2:3]
	v_cndmask_b32_e64 v6, v6, v4, s[2:3]
	v_cmp_neq_f32_e32 vcc, v7, v6
	v_cmp_class_f32_e64 s[8:9], v7, s7
	s_or_b64 s[10:11], vcc, s[8:9]
	s_and_saveexec_b64 s[8:9], s[10:11]
	s_cbranch_execz .LBB136_37
; %bb.36:
	v_sub_f32_e32 v7, v7, v6
	s_mov_b32 s7, 0x3fb8aa3b
	v_mul_f32_e32 v8, 0x3fb8aa3b, v7
	v_fma_f32 v9, v7, s7, -v8
	v_rndne_f32_e32 v10, v8
	v_fmac_f32_e32 v9, 0x32a5705f, v7
	v_sub_f32_e32 v8, v8, v10
	v_add_f32_e32 v8, v8, v9
	v_exp_f32_e32 v8, v8
	v_cvt_i32_f32_e32 v9, v10
	s_mov_b32 s7, 0xc2ce8ed0
	v_cmp_ngt_f32_e32 vcc, s7, v7
	s_mov_b32 s7, 0x42b17218
	v_ldexp_f32 v8, v8, v9
	v_cndmask_b32_e32 v8, 0, v8, vcc
	v_mov_b32_e32 v9, 0x7f800000
	v_cmp_nlt_f32_e32 vcc, s7, v7
	v_cndmask_b32_e32 v38, v9, v8, vcc
	v_add_f32_e32 v7, 1.0, v38
	v_add_f32_e32 v8, -1.0, v7
	v_sub_f32_e32 v9, v8, v7
	v_add_f32_e32 v9, 1.0, v9
	v_sub_f32_e32 v8, v38, v8
	v_add_f32_e32 v10, v8, v9
	v_frexp_mant_f32_e32 v11, v7
	s_mov_b32 s7, 0x3f2aaaab
	v_cvt_f64_f32_e32 v[8:9], v7
	v_frexp_exp_i32_f64_e32 v8, v[8:9]
	v_cmp_gt_f32_e32 vcc, s7, v11
	v_subbrev_co_u32_e32 v16, vcc, 0, v8, vcc
	v_sub_u32_e32 v8, 0, v16
	v_ldexp_f32 v7, v7, v8
	v_ldexp_f32 v8, v10, v8
	v_add_f32_e32 v10, -1.0, v7
	v_add_f32_e32 v9, 1.0, v10
	v_sub_f32_e32 v9, v7, v9
	v_add_f32_e32 v11, v8, v9
	v_add_f32_e32 v9, 1.0, v7
	v_add_f32_e32 v12, -1.0, v9
	v_sub_f32_e32 v7, v7, v12
	v_add_f32_e32 v7, v8, v7
	v_add_f32_e32 v17, v9, v7
	v_rcp_f32_e32 v20, v17
	v_sub_f32_e32 v8, v9, v17
	v_add_f32_e32 v9, v10, v11
	v_add_f32_e32 v7, v7, v8
	v_mul_f32_e32 v34, v9, v20
	v_sub_f32_e32 v8, v10, v9
	v_mul_f32_e32 v10, v17, v34
	v_fma_f32 v12, v34, v17, -v10
	v_fmac_f32_e32 v12, v34, v7
	v_add_f32_e32 v21, v11, v8
	v_add_f32_e32 v8, v10, v12
	v_sub_f32_e32 v11, v9, v8
	v_pk_add_f32 v[14:15], v[8:9], v[10:11] neg_lo:[0,1] neg_hi:[0,1]
	v_mov_b32_e32 v13, v8
	v_pk_add_f32 v[8:9], v[14:15], v[12:13] neg_lo:[0,1] neg_hi:[0,1]
	v_add_f32_e32 v9, v21, v9
	v_add_f32_e32 v8, v8, v9
	;; [unrolled: 1-line block ×3, first 2 shown]
	v_mul_f32_e32 v21, v20, v9
	v_mul_f32_e32 v10, v17, v21
	v_fma_f32 v12, v21, v17, -v10
	v_fmac_f32_e32 v12, v21, v7
	v_sub_f32_e32 v7, v11, v9
	v_add_f32_e32 v7, v8, v7
	v_add_f32_e32 v8, v10, v12
	v_sub_f32_e32 v11, v9, v8
	v_pk_add_f32 v[14:15], v[8:9], v[10:11] neg_lo:[0,1] neg_hi:[0,1]
	v_mov_b32_e32 v13, v8
	v_pk_add_f32 v[8:9], v[14:15], v[12:13] neg_lo:[0,1] neg_hi:[0,1]
	v_add_f32_e32 v7, v7, v9
	v_add_f32_e32 v7, v8, v7
	;; [unrolled: 1-line block ×4, first 2 shown]
	v_sub_f32_e32 v9, v8, v34
	v_mul_f32_e32 v7, v20, v7
	v_sub_f32_e32 v9, v21, v9
	v_add_f32_e32 v7, v9, v7
	v_add_f32_e32 v11, v8, v7
	v_mul_f32_e32 v12, v11, v11
	v_mov_b32_e32 v10, 0x3ecc95a3
	v_fmac_f32_e32 v10, 0x3e9b6dac, v12
	v_mov_b32_e32 v9, 0x3f2aaada
	v_fmac_f32_e32 v9, v12, v10
	v_cvt_f32_i32_e32 v10, v16
	v_sub_f32_e32 v8, v11, v8
	v_sub_f32_e32 v7, v7, v8
	v_ldexp_f32 v13, v11, 1
	v_mul_f32_e32 v11, v11, v12
	v_mov_b32_e32 v8, 0x3f317218
	s_mov_b32 s7, 0x3f317218
	v_pk_mul_f32 v[8:9], v[10:11], v[8:9]
	v_fma_f32 v12, v10, s7, -v8
	v_fmac_f32_e32 v12, 0xb102e308, v10
	v_pk_add_f32 v[10:11], v[8:9], v[12:13]
	v_sub_f32_e32 v13, v11, v13
	v_ldexp_f32 v7, v7, 1
	v_sub_f32_e32 v13, v9, v13
	v_add_f32_e32 v15, v7, v13
	v_mov_b32_e32 v14, v8
	v_pk_add_f32 v[8:9], v[10:11], v[8:9] neg_lo:[0,1] neg_hi:[0,1]
	v_pk_add_f32 v[16:17], v[10:11], v[14:15]
	v_mov_b32_e32 v9, v17
	v_mov_b32_e32 v13, v10
	v_pk_add_f32 v[20:21], v[12:13], v[8:9] neg_lo:[0,1] neg_hi:[0,1]
	v_pk_add_f32 v[8:9], v[12:13], v[8:9]
	v_mov_b32_e32 v12, v9
	v_pk_add_f32 v[34:35], v[12:13], v[10:11] neg_lo:[0,1] neg_hi:[0,1]
	v_mov_b32_e32 v7, v34
	v_pk_add_f32 v[36:37], v[16:17], v[6:7] neg_lo:[0,1] neg_hi:[0,1]
	v_mov_b32_e32 v8, v17
	v_mov_b32_e32 v16, v11
	;; [unrolled: 1-line block ×4, first 2 shown]
	v_pk_add_f32 v[8:9], v[8:9], v[16:17] neg_lo:[0,1] neg_hi:[0,1]
	v_mov_b32_e32 v14, v15
	v_mov_b32_e32 v15, v10
	v_pk_add_f32 v[8:9], v[14:15], v[8:9] neg_lo:[0,1] neg_hi:[0,1]
	v_mov_b32_e32 v36, v20
	v_pk_add_f32 v[10:11], v[36:37], v[8:9]
	v_mov_b32_e32 v14, v11
	v_pk_add_f32 v[14:15], v[10:11], v[14:15]
	v_pk_add_f32 v[12:13], v[12:13], v[14:15]
	v_mov_b32_e32 v11, v12
	v_pk_add_f32 v[16:17], v[10:11], v[20:21] neg_lo:[0,1] neg_hi:[0,1]
	v_mov_b32_e32 v9, v14
	v_sub_f32_e32 v7, v10, v16
	v_pk_add_f32 v[8:9], v[8:9], v[16:17] neg_lo:[0,1] neg_hi:[0,1]
	v_sub_f32_e32 v7, v20, v7
	s_mov_b32 s10, 0x7f800000
	v_add_f32_e32 v7, v8, v7
	s_mov_b32 s7, 0x33800000
	v_add_f32_e32 v7, v7, v9
	v_cmp_eq_f32_e32 vcc, s10, v38
	v_cmp_lt_f32_e64 s[10:11], |v38|, s7
	v_add_f32_e32 v7, v12, v7
	s_or_b64 vcc, vcc, s[10:11]
	v_cndmask_b32_e32 v7, v7, v38, vcc
	v_add_f32_e32 v44, v6, v7
.LBB136_37:
	s_or_b64 exec, exec, s[8:9]
	v_max_f32_e32 v6, v44, v44
	v_max_f32_e32 v20, v5, v5
	v_min_f32_e32 v7, v6, v20
	v_cmp_u_f32_e32 vcc, v44, v44
	v_max_f32_e32 v6, v6, v20
	v_cndmask_b32_e32 v7, v7, v44, vcc
	v_cmp_u_f32_e64 s[38:39], v5, v5
	v_cndmask_b32_e32 v6, v6, v44, vcc
	v_cndmask_b32_e64 v7, v7, v5, s[38:39]
	v_cndmask_b32_e64 v6, v6, v5, s[38:39]
	s_movk_i32 s7, 0x1f8
	v_cmp_neq_f32_e32 vcc, v7, v6
	v_cmp_class_f32_e64 s[8:9], v7, s7
	s_or_b64 s[10:11], vcc, s[8:9]
	s_and_saveexec_b64 s[8:9], s[10:11]
	s_cbranch_execz .LBB136_39
; %bb.38:
	v_sub_f32_e32 v7, v7, v6
	s_mov_b32 s10, 0x3fb8aa3b
	v_mul_f32_e32 v8, 0x3fb8aa3b, v7
	v_fma_f32 v9, v7, s10, -v8
	v_rndne_f32_e32 v10, v8
	v_fmac_f32_e32 v9, 0x32a5705f, v7
	v_sub_f32_e32 v8, v8, v10
	v_add_f32_e32 v8, v8, v9
	v_exp_f32_e32 v8, v8
	v_cvt_i32_f32_e32 v9, v10
	s_mov_b32 s10, 0xc2ce8ed0
	v_cmp_ngt_f32_e32 vcc, s10, v7
	s_mov_b32 s10, 0x42b17218
	v_ldexp_f32 v8, v8, v9
	v_cndmask_b32_e32 v8, 0, v8, vcc
	v_mov_b32_e32 v9, 0x7f800000
	v_cmp_nlt_f32_e32 vcc, s10, v7
	v_cndmask_b32_e32 v21, v9, v8, vcc
	v_add_f32_e32 v7, 1.0, v21
	v_add_f32_e32 v8, -1.0, v7
	v_sub_f32_e32 v9, v8, v7
	v_add_f32_e32 v9, 1.0, v9
	v_sub_f32_e32 v8, v21, v8
	v_add_f32_e32 v10, v8, v9
	v_frexp_mant_f32_e32 v11, v7
	s_mov_b32 s10, 0x3f2aaaab
	v_cvt_f64_f32_e32 v[8:9], v7
	v_frexp_exp_i32_f64_e32 v8, v[8:9]
	v_cmp_gt_f32_e32 vcc, s10, v11
	v_subbrev_co_u32_e32 v16, vcc, 0, v8, vcc
	v_sub_u32_e32 v8, 0, v16
	v_ldexp_f32 v7, v7, v8
	v_ldexp_f32 v8, v10, v8
	v_add_f32_e32 v10, -1.0, v7
	v_add_f32_e32 v9, 1.0, v10
	v_sub_f32_e32 v9, v7, v9
	v_add_f32_e32 v11, v8, v9
	v_add_f32_e32 v9, 1.0, v7
	v_add_f32_e32 v12, -1.0, v9
	v_sub_f32_e32 v7, v7, v12
	v_add_f32_e32 v7, v8, v7
	v_add_f32_e32 v17, v9, v7
	v_rcp_f32_e32 v34, v17
	v_sub_f32_e32 v8, v9, v17
	v_add_f32_e32 v9, v10, v11
	v_add_f32_e32 v7, v7, v8
	v_mul_f32_e32 v36, v9, v34
	v_sub_f32_e32 v8, v10, v9
	v_mul_f32_e32 v10, v17, v36
	v_fma_f32 v12, v36, v17, -v10
	v_fmac_f32_e32 v12, v36, v7
	v_add_f32_e32 v35, v11, v8
	v_add_f32_e32 v8, v10, v12
	v_sub_f32_e32 v11, v9, v8
	v_pk_add_f32 v[14:15], v[8:9], v[10:11] neg_lo:[0,1] neg_hi:[0,1]
	v_mov_b32_e32 v13, v8
	v_pk_add_f32 v[8:9], v[14:15], v[12:13] neg_lo:[0,1] neg_hi:[0,1]
	v_add_f32_e32 v9, v35, v9
	v_add_f32_e32 v8, v8, v9
	;; [unrolled: 1-line block ×3, first 2 shown]
	v_mul_f32_e32 v35, v34, v9
	v_mul_f32_e32 v10, v17, v35
	v_fma_f32 v12, v35, v17, -v10
	v_fmac_f32_e32 v12, v35, v7
	v_sub_f32_e32 v7, v11, v9
	v_add_f32_e32 v7, v8, v7
	v_add_f32_e32 v8, v10, v12
	v_sub_f32_e32 v11, v9, v8
	v_pk_add_f32 v[14:15], v[8:9], v[10:11] neg_lo:[0,1] neg_hi:[0,1]
	v_mov_b32_e32 v13, v8
	v_pk_add_f32 v[8:9], v[14:15], v[12:13] neg_lo:[0,1] neg_hi:[0,1]
	v_add_f32_e32 v7, v7, v9
	v_add_f32_e32 v7, v8, v7
	;; [unrolled: 1-line block ×4, first 2 shown]
	v_sub_f32_e32 v9, v8, v36
	v_mul_f32_e32 v7, v34, v7
	v_sub_f32_e32 v9, v35, v9
	v_add_f32_e32 v7, v9, v7
	v_add_f32_e32 v11, v8, v7
	v_mul_f32_e32 v12, v11, v11
	v_mov_b32_e32 v10, 0x3ecc95a3
	v_fmac_f32_e32 v10, 0x3e9b6dac, v12
	v_mov_b32_e32 v9, 0x3f2aaada
	v_fmac_f32_e32 v9, v12, v10
	v_cvt_f32_i32_e32 v10, v16
	v_sub_f32_e32 v8, v11, v8
	v_sub_f32_e32 v7, v7, v8
	v_ldexp_f32 v13, v11, 1
	v_mul_f32_e32 v11, v11, v12
	v_mov_b32_e32 v8, 0x3f317218
	s_mov_b32 s10, 0x3f317218
	v_pk_mul_f32 v[8:9], v[10:11], v[8:9]
	v_fma_f32 v12, v10, s10, -v8
	v_fmac_f32_e32 v12, 0xb102e308, v10
	v_pk_add_f32 v[10:11], v[8:9], v[12:13]
	v_sub_f32_e32 v13, v11, v13
	v_ldexp_f32 v7, v7, 1
	v_sub_f32_e32 v13, v9, v13
	v_add_f32_e32 v15, v7, v13
	v_mov_b32_e32 v14, v8
	v_pk_add_f32 v[8:9], v[10:11], v[8:9] neg_lo:[0,1] neg_hi:[0,1]
	v_pk_add_f32 v[16:17], v[10:11], v[14:15]
	v_mov_b32_e32 v9, v17
	v_mov_b32_e32 v13, v10
	v_pk_add_f32 v[34:35], v[12:13], v[8:9] neg_lo:[0,1] neg_hi:[0,1]
	v_pk_add_f32 v[8:9], v[12:13], v[8:9]
	v_mov_b32_e32 v12, v9
	v_pk_add_f32 v[36:37], v[12:13], v[10:11] neg_lo:[0,1] neg_hi:[0,1]
	v_mov_b32_e32 v7, v36
	v_pk_add_f32 v[38:39], v[16:17], v[6:7] neg_lo:[0,1] neg_hi:[0,1]
	v_mov_b32_e32 v8, v17
	v_mov_b32_e32 v16, v11
	;; [unrolled: 1-line block ×4, first 2 shown]
	v_pk_add_f32 v[8:9], v[8:9], v[16:17] neg_lo:[0,1] neg_hi:[0,1]
	v_mov_b32_e32 v14, v15
	v_mov_b32_e32 v15, v10
	v_pk_add_f32 v[8:9], v[14:15], v[8:9] neg_lo:[0,1] neg_hi:[0,1]
	v_mov_b32_e32 v38, v34
	v_pk_add_f32 v[10:11], v[38:39], v[8:9]
	v_mov_b32_e32 v14, v11
	v_pk_add_f32 v[14:15], v[10:11], v[14:15]
	v_pk_add_f32 v[12:13], v[12:13], v[14:15]
	v_mov_b32_e32 v11, v12
	v_pk_add_f32 v[16:17], v[10:11], v[34:35] neg_lo:[0,1] neg_hi:[0,1]
	v_mov_b32_e32 v9, v14
	v_sub_f32_e32 v7, v10, v16
	v_pk_add_f32 v[8:9], v[8:9], v[16:17] neg_lo:[0,1] neg_hi:[0,1]
	v_sub_f32_e32 v7, v34, v7
	s_mov_b32 s11, 0x7f800000
	v_add_f32_e32 v7, v8, v7
	s_mov_b32 s10, 0x33800000
	v_add_f32_e32 v7, v7, v9
	v_cmp_eq_f32_e32 vcc, s11, v21
	v_cmp_lt_f32_e64 s[10:11], |v21|, s10
	v_add_f32_e32 v7, v12, v7
	s_or_b64 vcc, vcc, s[10:11]
	v_cndmask_b32_e32 v7, v7, v21, vcc
	v_add_f32_e32 v44, v6, v7
.LBB136_39:
	s_or_b64 exec, exec, s[8:9]
	v_max_f32_e32 v6, v44, v44
	v_max_f32_e32 v21, v26, v26
	v_min_f32_e32 v7, v6, v21
	v_cmp_u_f32_e32 vcc, v44, v44
	v_max_f32_e32 v6, v6, v21
	v_cndmask_b32_e32 v7, v7, v44, vcc
	v_cmp_u_f32_e64 s[8:9], v26, v26
	v_cndmask_b32_e32 v6, v6, v44, vcc
	v_cndmask_b32_e64 v7, v7, v26, s[8:9]
	v_cndmask_b32_e64 v6, v6, v26, s[8:9]
	v_cmp_neq_f32_e32 vcc, v7, v6
	v_cmp_class_f32_e64 s[10:11], v7, s7
	s_or_b64 s[12:13], vcc, s[10:11]
	s_and_saveexec_b64 s[10:11], s[12:13]
	s_cbranch_execz .LBB136_41
; %bb.40:
	v_sub_f32_e32 v7, v7, v6
	s_mov_b32 s7, 0x3fb8aa3b
	v_mul_f32_e32 v8, 0x3fb8aa3b, v7
	v_fma_f32 v9, v7, s7, -v8
	v_rndne_f32_e32 v10, v8
	v_fmac_f32_e32 v9, 0x32a5705f, v7
	v_sub_f32_e32 v8, v8, v10
	v_add_f32_e32 v8, v8, v9
	v_exp_f32_e32 v8, v8
	v_cvt_i32_f32_e32 v9, v10
	s_mov_b32 s7, 0xc2ce8ed0
	v_cmp_ngt_f32_e32 vcc, s7, v7
	s_mov_b32 s7, 0x42b17218
	v_ldexp_f32 v8, v8, v9
	v_cndmask_b32_e32 v8, 0, v8, vcc
	v_mov_b32_e32 v9, 0x7f800000
	v_cmp_nlt_f32_e32 vcc, s7, v7
	v_cndmask_b32_e32 v40, v9, v8, vcc
	v_add_f32_e32 v7, 1.0, v40
	v_add_f32_e32 v8, -1.0, v7
	v_sub_f32_e32 v9, v8, v7
	v_add_f32_e32 v9, 1.0, v9
	v_sub_f32_e32 v8, v40, v8
	v_add_f32_e32 v10, v8, v9
	v_frexp_mant_f32_e32 v11, v7
	s_mov_b32 s7, 0x3f2aaaab
	v_cvt_f64_f32_e32 v[8:9], v7
	v_frexp_exp_i32_f64_e32 v8, v[8:9]
	v_cmp_gt_f32_e32 vcc, s7, v11
	v_subbrev_co_u32_e32 v16, vcc, 0, v8, vcc
	v_sub_u32_e32 v8, 0, v16
	v_ldexp_f32 v7, v7, v8
	v_ldexp_f32 v8, v10, v8
	v_add_f32_e32 v10, -1.0, v7
	v_add_f32_e32 v9, 1.0, v10
	v_sub_f32_e32 v9, v7, v9
	v_add_f32_e32 v11, v8, v9
	v_add_f32_e32 v9, 1.0, v7
	v_add_f32_e32 v12, -1.0, v9
	v_sub_f32_e32 v7, v7, v12
	v_add_f32_e32 v7, v8, v7
	v_add_f32_e32 v17, v9, v7
	v_rcp_f32_e32 v34, v17
	v_sub_f32_e32 v8, v9, v17
	v_add_f32_e32 v9, v10, v11
	v_add_f32_e32 v7, v7, v8
	v_mul_f32_e32 v36, v9, v34
	v_sub_f32_e32 v8, v10, v9
	v_mul_f32_e32 v10, v17, v36
	v_fma_f32 v12, v36, v17, -v10
	v_fmac_f32_e32 v12, v36, v7
	v_add_f32_e32 v35, v11, v8
	v_add_f32_e32 v8, v10, v12
	v_sub_f32_e32 v11, v9, v8
	v_pk_add_f32 v[14:15], v[8:9], v[10:11] neg_lo:[0,1] neg_hi:[0,1]
	v_mov_b32_e32 v13, v8
	v_pk_add_f32 v[8:9], v[14:15], v[12:13] neg_lo:[0,1] neg_hi:[0,1]
	v_add_f32_e32 v9, v35, v9
	v_add_f32_e32 v8, v8, v9
	;; [unrolled: 1-line block ×3, first 2 shown]
	v_mul_f32_e32 v35, v34, v9
	v_mul_f32_e32 v10, v17, v35
	v_fma_f32 v12, v35, v17, -v10
	v_fmac_f32_e32 v12, v35, v7
	v_sub_f32_e32 v7, v11, v9
	v_add_f32_e32 v7, v8, v7
	v_add_f32_e32 v8, v10, v12
	v_sub_f32_e32 v11, v9, v8
	v_pk_add_f32 v[14:15], v[8:9], v[10:11] neg_lo:[0,1] neg_hi:[0,1]
	v_mov_b32_e32 v13, v8
	v_pk_add_f32 v[8:9], v[14:15], v[12:13] neg_lo:[0,1] neg_hi:[0,1]
	v_add_f32_e32 v7, v7, v9
	v_add_f32_e32 v7, v8, v7
	;; [unrolled: 1-line block ×4, first 2 shown]
	v_sub_f32_e32 v9, v8, v36
	v_mul_f32_e32 v7, v34, v7
	v_sub_f32_e32 v9, v35, v9
	v_add_f32_e32 v7, v9, v7
	v_add_f32_e32 v11, v8, v7
	v_mul_f32_e32 v12, v11, v11
	v_mov_b32_e32 v10, 0x3ecc95a3
	v_fmac_f32_e32 v10, 0x3e9b6dac, v12
	v_mov_b32_e32 v9, 0x3f2aaada
	v_fmac_f32_e32 v9, v12, v10
	v_cvt_f32_i32_e32 v10, v16
	v_sub_f32_e32 v8, v11, v8
	v_sub_f32_e32 v7, v7, v8
	v_ldexp_f32 v13, v11, 1
	v_mul_f32_e32 v11, v11, v12
	v_mov_b32_e32 v8, 0x3f317218
	s_mov_b32 s7, 0x3f317218
	v_pk_mul_f32 v[8:9], v[10:11], v[8:9]
	v_fma_f32 v12, v10, s7, -v8
	v_fmac_f32_e32 v12, 0xb102e308, v10
	v_pk_add_f32 v[10:11], v[8:9], v[12:13]
	v_sub_f32_e32 v13, v11, v13
	v_ldexp_f32 v7, v7, 1
	v_sub_f32_e32 v13, v9, v13
	v_add_f32_e32 v15, v7, v13
	v_mov_b32_e32 v14, v8
	v_pk_add_f32 v[8:9], v[10:11], v[8:9] neg_lo:[0,1] neg_hi:[0,1]
	v_pk_add_f32 v[16:17], v[10:11], v[14:15]
	v_mov_b32_e32 v9, v17
	v_mov_b32_e32 v13, v10
	v_pk_add_f32 v[34:35], v[12:13], v[8:9] neg_lo:[0,1] neg_hi:[0,1]
	v_pk_add_f32 v[8:9], v[12:13], v[8:9]
	v_mov_b32_e32 v12, v9
	v_pk_add_f32 v[36:37], v[12:13], v[10:11] neg_lo:[0,1] neg_hi:[0,1]
	v_mov_b32_e32 v7, v36
	v_pk_add_f32 v[38:39], v[16:17], v[6:7] neg_lo:[0,1] neg_hi:[0,1]
	v_mov_b32_e32 v8, v17
	v_mov_b32_e32 v16, v11
	;; [unrolled: 1-line block ×4, first 2 shown]
	v_pk_add_f32 v[8:9], v[8:9], v[16:17] neg_lo:[0,1] neg_hi:[0,1]
	v_mov_b32_e32 v14, v15
	v_mov_b32_e32 v15, v10
	v_pk_add_f32 v[8:9], v[14:15], v[8:9] neg_lo:[0,1] neg_hi:[0,1]
	v_mov_b32_e32 v38, v34
	v_pk_add_f32 v[10:11], v[38:39], v[8:9]
	v_mov_b32_e32 v14, v11
	v_pk_add_f32 v[14:15], v[10:11], v[14:15]
	v_pk_add_f32 v[12:13], v[12:13], v[14:15]
	v_mov_b32_e32 v11, v12
	v_pk_add_f32 v[16:17], v[10:11], v[34:35] neg_lo:[0,1] neg_hi:[0,1]
	v_mov_b32_e32 v9, v14
	v_sub_f32_e32 v7, v10, v16
	v_pk_add_f32 v[8:9], v[8:9], v[16:17] neg_lo:[0,1] neg_hi:[0,1]
	v_sub_f32_e32 v7, v34, v7
	s_mov_b32 s12, 0x7f800000
	v_add_f32_e32 v7, v8, v7
	s_mov_b32 s7, 0x33800000
	v_add_f32_e32 v7, v7, v9
	v_cmp_eq_f32_e32 vcc, s12, v40
	v_cmp_lt_f32_e64 s[12:13], |v40|, s7
	v_add_f32_e32 v7, v12, v7
	s_or_b64 vcc, vcc, s[12:13]
	v_cndmask_b32_e32 v7, v7, v40, vcc
	v_add_f32_e32 v44, v6, v7
.LBB136_41:
	s_or_b64 exec, exec, s[10:11]
	v_max_f32_e32 v6, v44, v44
	v_max_f32_e32 v34, v27, v27
	v_min_f32_e32 v7, v6, v34
	v_cmp_u_f32_e32 vcc, v44, v44
	v_max_f32_e32 v6, v6, v34
	v_cndmask_b32_e32 v7, v7, v44, vcc
	v_cmp_u_f32_e64 s[10:11], v27, v27
	v_cndmask_b32_e32 v6, v6, v44, vcc
	v_cndmask_b32_e64 v7, v7, v27, s[10:11]
	v_cndmask_b32_e64 v6, v6, v27, s[10:11]
	s_movk_i32 s7, 0x1f8
	v_cmp_neq_f32_e32 vcc, v7, v6
	v_cmp_class_f32_e64 s[12:13], v7, s7
	s_or_b64 s[14:15], vcc, s[12:13]
	s_and_saveexec_b64 s[12:13], s[14:15]
	s_cbranch_execz .LBB136_43
; %bb.42:
	v_sub_f32_e32 v7, v7, v6
	s_mov_b32 s14, 0x3fb8aa3b
	v_mul_f32_e32 v8, 0x3fb8aa3b, v7
	v_fma_f32 v9, v7, s14, -v8
	v_rndne_f32_e32 v10, v8
	v_fmac_f32_e32 v9, 0x32a5705f, v7
	v_sub_f32_e32 v8, v8, v10
	v_add_f32_e32 v8, v8, v9
	v_exp_f32_e32 v8, v8
	v_cvt_i32_f32_e32 v9, v10
	s_mov_b32 s14, 0xc2ce8ed0
	v_cmp_ngt_f32_e32 vcc, s14, v7
	s_mov_b32 s14, 0x42b17218
	v_ldexp_f32 v8, v8, v9
	v_cndmask_b32_e32 v8, 0, v8, vcc
	v_mov_b32_e32 v9, 0x7f800000
	v_cmp_nlt_f32_e32 vcc, s14, v7
	v_cndmask_b32_e32 v35, v9, v8, vcc
	v_add_f32_e32 v7, 1.0, v35
	v_add_f32_e32 v8, -1.0, v7
	v_sub_f32_e32 v9, v8, v7
	v_add_f32_e32 v9, 1.0, v9
	v_sub_f32_e32 v8, v35, v8
	v_add_f32_e32 v10, v8, v9
	v_frexp_mant_f32_e32 v11, v7
	s_mov_b32 s14, 0x3f2aaaab
	v_cvt_f64_f32_e32 v[8:9], v7
	v_frexp_exp_i32_f64_e32 v8, v[8:9]
	v_cmp_gt_f32_e32 vcc, s14, v11
	v_subbrev_co_u32_e32 v16, vcc, 0, v8, vcc
	v_sub_u32_e32 v8, 0, v16
	v_ldexp_f32 v7, v7, v8
	v_ldexp_f32 v8, v10, v8
	v_add_f32_e32 v10, -1.0, v7
	v_add_f32_e32 v9, 1.0, v10
	v_sub_f32_e32 v9, v7, v9
	v_add_f32_e32 v11, v8, v9
	v_add_f32_e32 v9, 1.0, v7
	v_add_f32_e32 v12, -1.0, v9
	v_sub_f32_e32 v7, v7, v12
	v_add_f32_e32 v7, v8, v7
	v_add_f32_e32 v17, v9, v7
	v_rcp_f32_e32 v36, v17
	v_sub_f32_e32 v8, v9, v17
	v_add_f32_e32 v9, v10, v11
	v_add_f32_e32 v7, v7, v8
	v_mul_f32_e32 v38, v9, v36
	v_sub_f32_e32 v8, v10, v9
	v_mul_f32_e32 v10, v17, v38
	v_fma_f32 v12, v38, v17, -v10
	v_fmac_f32_e32 v12, v38, v7
	v_add_f32_e32 v37, v11, v8
	v_add_f32_e32 v8, v10, v12
	v_sub_f32_e32 v11, v9, v8
	v_pk_add_f32 v[14:15], v[8:9], v[10:11] neg_lo:[0,1] neg_hi:[0,1]
	v_mov_b32_e32 v13, v8
	v_pk_add_f32 v[8:9], v[14:15], v[12:13] neg_lo:[0,1] neg_hi:[0,1]
	v_add_f32_e32 v9, v37, v9
	v_add_f32_e32 v8, v8, v9
	;; [unrolled: 1-line block ×3, first 2 shown]
	v_mul_f32_e32 v37, v36, v9
	v_mul_f32_e32 v10, v17, v37
	v_fma_f32 v12, v37, v17, -v10
	v_fmac_f32_e32 v12, v37, v7
	v_sub_f32_e32 v7, v11, v9
	v_add_f32_e32 v7, v8, v7
	v_add_f32_e32 v8, v10, v12
	v_sub_f32_e32 v11, v9, v8
	v_pk_add_f32 v[14:15], v[8:9], v[10:11] neg_lo:[0,1] neg_hi:[0,1]
	v_mov_b32_e32 v13, v8
	v_pk_add_f32 v[8:9], v[14:15], v[12:13] neg_lo:[0,1] neg_hi:[0,1]
	v_add_f32_e32 v7, v7, v9
	v_add_f32_e32 v7, v8, v7
	;; [unrolled: 1-line block ×4, first 2 shown]
	v_sub_f32_e32 v9, v8, v38
	v_mul_f32_e32 v7, v36, v7
	v_sub_f32_e32 v9, v37, v9
	v_add_f32_e32 v7, v9, v7
	v_add_f32_e32 v11, v8, v7
	v_mul_f32_e32 v12, v11, v11
	v_mov_b32_e32 v10, 0x3ecc95a3
	v_fmac_f32_e32 v10, 0x3e9b6dac, v12
	v_mov_b32_e32 v9, 0x3f2aaada
	v_fmac_f32_e32 v9, v12, v10
	v_cvt_f32_i32_e32 v10, v16
	v_sub_f32_e32 v8, v11, v8
	v_sub_f32_e32 v7, v7, v8
	v_ldexp_f32 v13, v11, 1
	v_mul_f32_e32 v11, v11, v12
	v_mov_b32_e32 v8, 0x3f317218
	s_mov_b32 s14, 0x3f317218
	v_pk_mul_f32 v[8:9], v[10:11], v[8:9]
	v_fma_f32 v12, v10, s14, -v8
	v_fmac_f32_e32 v12, 0xb102e308, v10
	v_pk_add_f32 v[10:11], v[8:9], v[12:13]
	v_sub_f32_e32 v13, v11, v13
	v_ldexp_f32 v7, v7, 1
	v_sub_f32_e32 v13, v9, v13
	v_add_f32_e32 v15, v7, v13
	v_mov_b32_e32 v14, v8
	v_pk_add_f32 v[8:9], v[10:11], v[8:9] neg_lo:[0,1] neg_hi:[0,1]
	v_pk_add_f32 v[16:17], v[10:11], v[14:15]
	v_mov_b32_e32 v9, v17
	v_mov_b32_e32 v13, v10
	v_pk_add_f32 v[36:37], v[12:13], v[8:9] neg_lo:[0,1] neg_hi:[0,1]
	v_pk_add_f32 v[8:9], v[12:13], v[8:9]
	v_mov_b32_e32 v12, v9
	v_pk_add_f32 v[38:39], v[12:13], v[10:11] neg_lo:[0,1] neg_hi:[0,1]
	v_mov_b32_e32 v7, v38
	v_pk_add_f32 v[40:41], v[16:17], v[6:7] neg_lo:[0,1] neg_hi:[0,1]
	v_mov_b32_e32 v8, v17
	v_mov_b32_e32 v16, v11
	v_mov_b32_e32 v17, v38
	v_mov_b32_e32 v37, v9
	v_pk_add_f32 v[8:9], v[8:9], v[16:17] neg_lo:[0,1] neg_hi:[0,1]
	v_mov_b32_e32 v14, v15
	v_mov_b32_e32 v15, v10
	v_pk_add_f32 v[8:9], v[14:15], v[8:9] neg_lo:[0,1] neg_hi:[0,1]
	v_mov_b32_e32 v40, v36
	v_pk_add_f32 v[10:11], v[40:41], v[8:9]
	v_mov_b32_e32 v14, v11
	v_pk_add_f32 v[14:15], v[10:11], v[14:15]
	v_pk_add_f32 v[12:13], v[12:13], v[14:15]
	v_mov_b32_e32 v11, v12
	v_pk_add_f32 v[16:17], v[10:11], v[36:37] neg_lo:[0,1] neg_hi:[0,1]
	v_mov_b32_e32 v9, v14
	v_sub_f32_e32 v7, v10, v16
	v_pk_add_f32 v[8:9], v[8:9], v[16:17] neg_lo:[0,1] neg_hi:[0,1]
	v_sub_f32_e32 v7, v36, v7
	s_mov_b32 s15, 0x7f800000
	v_add_f32_e32 v7, v8, v7
	s_mov_b32 s14, 0x33800000
	v_add_f32_e32 v7, v7, v9
	v_cmp_eq_f32_e32 vcc, s15, v35
	v_cmp_lt_f32_e64 s[14:15], |v35|, s14
	v_add_f32_e32 v7, v12, v7
	s_or_b64 vcc, vcc, s[14:15]
	v_cndmask_b32_e32 v7, v7, v35, vcc
	v_add_f32_e32 v44, v6, v7
.LBB136_43:
	s_or_b64 exec, exec, s[12:13]
	v_max_f32_e32 v6, v44, v44
	v_max_f32_e32 v35, v28, v28
	v_min_f32_e32 v7, v6, v35
	v_cmp_u_f32_e32 vcc, v44, v44
	v_max_f32_e32 v6, v6, v35
	v_cndmask_b32_e32 v7, v7, v44, vcc
	v_cmp_u_f32_e64 s[12:13], v28, v28
	v_cndmask_b32_e32 v6, v6, v44, vcc
	v_cndmask_b32_e64 v7, v7, v28, s[12:13]
	v_cndmask_b32_e64 v6, v6, v28, s[12:13]
	v_cmp_neq_f32_e32 vcc, v7, v6
	v_cmp_class_f32_e64 s[14:15], v7, s7
	s_or_b64 s[16:17], vcc, s[14:15]
	s_and_saveexec_b64 s[14:15], s[16:17]
	s_cbranch_execz .LBB136_45
; %bb.44:
	v_sub_f32_e32 v7, v7, v6
	s_mov_b32 s7, 0x3fb8aa3b
	v_mul_f32_e32 v8, 0x3fb8aa3b, v7
	v_fma_f32 v9, v7, s7, -v8
	v_rndne_f32_e32 v10, v8
	v_fmac_f32_e32 v9, 0x32a5705f, v7
	v_sub_f32_e32 v8, v8, v10
	v_add_f32_e32 v8, v8, v9
	v_exp_f32_e32 v8, v8
	v_cvt_i32_f32_e32 v9, v10
	s_mov_b32 s7, 0xc2ce8ed0
	v_cmp_ngt_f32_e32 vcc, s7, v7
	s_mov_b32 s7, 0x42b17218
	v_ldexp_f32 v8, v8, v9
	v_cndmask_b32_e32 v8, 0, v8, vcc
	v_mov_b32_e32 v9, 0x7f800000
	v_cmp_nlt_f32_e32 vcc, s7, v7
	v_cndmask_b32_e32 v42, v9, v8, vcc
	v_add_f32_e32 v7, 1.0, v42
	v_add_f32_e32 v8, -1.0, v7
	v_sub_f32_e32 v9, v8, v7
	v_add_f32_e32 v9, 1.0, v9
	v_sub_f32_e32 v8, v42, v8
	v_add_f32_e32 v10, v8, v9
	v_frexp_mant_f32_e32 v11, v7
	s_mov_b32 s7, 0x3f2aaaab
	v_cvt_f64_f32_e32 v[8:9], v7
	v_frexp_exp_i32_f64_e32 v8, v[8:9]
	v_cmp_gt_f32_e32 vcc, s7, v11
	v_subbrev_co_u32_e32 v16, vcc, 0, v8, vcc
	v_sub_u32_e32 v8, 0, v16
	v_ldexp_f32 v7, v7, v8
	v_ldexp_f32 v8, v10, v8
	v_add_f32_e32 v10, -1.0, v7
	v_add_f32_e32 v9, 1.0, v10
	v_sub_f32_e32 v9, v7, v9
	v_add_f32_e32 v11, v8, v9
	v_add_f32_e32 v9, 1.0, v7
	v_add_f32_e32 v12, -1.0, v9
	v_sub_f32_e32 v7, v7, v12
	v_add_f32_e32 v7, v8, v7
	v_add_f32_e32 v17, v9, v7
	v_rcp_f32_e32 v36, v17
	v_sub_f32_e32 v8, v9, v17
	v_add_f32_e32 v9, v10, v11
	v_add_f32_e32 v7, v7, v8
	v_mul_f32_e32 v38, v9, v36
	v_sub_f32_e32 v8, v10, v9
	v_mul_f32_e32 v10, v17, v38
	v_fma_f32 v12, v38, v17, -v10
	v_fmac_f32_e32 v12, v38, v7
	v_add_f32_e32 v37, v11, v8
	v_add_f32_e32 v8, v10, v12
	v_sub_f32_e32 v11, v9, v8
	v_pk_add_f32 v[14:15], v[8:9], v[10:11] neg_lo:[0,1] neg_hi:[0,1]
	v_mov_b32_e32 v13, v8
	v_pk_add_f32 v[8:9], v[14:15], v[12:13] neg_lo:[0,1] neg_hi:[0,1]
	v_add_f32_e32 v9, v37, v9
	v_add_f32_e32 v8, v8, v9
	;; [unrolled: 1-line block ×3, first 2 shown]
	v_mul_f32_e32 v37, v36, v9
	v_mul_f32_e32 v10, v17, v37
	v_fma_f32 v12, v37, v17, -v10
	v_fmac_f32_e32 v12, v37, v7
	v_sub_f32_e32 v7, v11, v9
	v_add_f32_e32 v7, v8, v7
	v_add_f32_e32 v8, v10, v12
	v_sub_f32_e32 v11, v9, v8
	v_pk_add_f32 v[14:15], v[8:9], v[10:11] neg_lo:[0,1] neg_hi:[0,1]
	v_mov_b32_e32 v13, v8
	v_pk_add_f32 v[8:9], v[14:15], v[12:13] neg_lo:[0,1] neg_hi:[0,1]
	v_add_f32_e32 v7, v7, v9
	v_add_f32_e32 v7, v8, v7
	;; [unrolled: 1-line block ×4, first 2 shown]
	v_sub_f32_e32 v9, v8, v38
	v_mul_f32_e32 v7, v36, v7
	v_sub_f32_e32 v9, v37, v9
	v_add_f32_e32 v7, v9, v7
	v_add_f32_e32 v11, v8, v7
	v_mul_f32_e32 v12, v11, v11
	v_mov_b32_e32 v10, 0x3ecc95a3
	v_fmac_f32_e32 v10, 0x3e9b6dac, v12
	v_mov_b32_e32 v9, 0x3f2aaada
	v_fmac_f32_e32 v9, v12, v10
	v_cvt_f32_i32_e32 v10, v16
	v_sub_f32_e32 v8, v11, v8
	v_sub_f32_e32 v7, v7, v8
	v_ldexp_f32 v13, v11, 1
	v_mul_f32_e32 v11, v11, v12
	v_mov_b32_e32 v8, 0x3f317218
	s_mov_b32 s7, 0x3f317218
	v_pk_mul_f32 v[8:9], v[10:11], v[8:9]
	v_fma_f32 v12, v10, s7, -v8
	v_fmac_f32_e32 v12, 0xb102e308, v10
	v_pk_add_f32 v[10:11], v[8:9], v[12:13]
	v_sub_f32_e32 v13, v11, v13
	v_ldexp_f32 v7, v7, 1
	v_sub_f32_e32 v13, v9, v13
	v_add_f32_e32 v15, v7, v13
	v_mov_b32_e32 v14, v8
	v_pk_add_f32 v[8:9], v[10:11], v[8:9] neg_lo:[0,1] neg_hi:[0,1]
	v_pk_add_f32 v[16:17], v[10:11], v[14:15]
	v_mov_b32_e32 v9, v17
	v_mov_b32_e32 v13, v10
	v_pk_add_f32 v[36:37], v[12:13], v[8:9] neg_lo:[0,1] neg_hi:[0,1]
	v_pk_add_f32 v[8:9], v[12:13], v[8:9]
	v_mov_b32_e32 v12, v9
	v_pk_add_f32 v[38:39], v[12:13], v[10:11] neg_lo:[0,1] neg_hi:[0,1]
	v_mov_b32_e32 v7, v38
	v_pk_add_f32 v[40:41], v[16:17], v[6:7] neg_lo:[0,1] neg_hi:[0,1]
	v_mov_b32_e32 v8, v17
	v_mov_b32_e32 v16, v11
	;; [unrolled: 1-line block ×4, first 2 shown]
	v_pk_add_f32 v[8:9], v[8:9], v[16:17] neg_lo:[0,1] neg_hi:[0,1]
	v_mov_b32_e32 v14, v15
	v_mov_b32_e32 v15, v10
	v_pk_add_f32 v[8:9], v[14:15], v[8:9] neg_lo:[0,1] neg_hi:[0,1]
	v_mov_b32_e32 v40, v36
	v_pk_add_f32 v[10:11], v[40:41], v[8:9]
	v_mov_b32_e32 v14, v11
	v_pk_add_f32 v[14:15], v[10:11], v[14:15]
	v_pk_add_f32 v[12:13], v[12:13], v[14:15]
	v_mov_b32_e32 v11, v12
	v_pk_add_f32 v[16:17], v[10:11], v[36:37] neg_lo:[0,1] neg_hi:[0,1]
	v_mov_b32_e32 v9, v14
	v_sub_f32_e32 v7, v10, v16
	v_pk_add_f32 v[8:9], v[8:9], v[16:17] neg_lo:[0,1] neg_hi:[0,1]
	v_sub_f32_e32 v7, v36, v7
	s_mov_b32 s16, 0x7f800000
	v_add_f32_e32 v7, v8, v7
	s_mov_b32 s7, 0x33800000
	v_add_f32_e32 v7, v7, v9
	v_cmp_eq_f32_e32 vcc, s16, v42
	v_cmp_lt_f32_e64 s[16:17], |v42|, s7
	v_add_f32_e32 v7, v12, v7
	s_or_b64 vcc, vcc, s[16:17]
	v_cndmask_b32_e32 v7, v7, v42, vcc
	v_add_f32_e32 v44, v6, v7
.LBB136_45:
	s_or_b64 exec, exec, s[14:15]
	v_max_f32_e32 v6, v44, v44
	v_max_f32_e32 v36, v29, v29
	v_min_f32_e32 v7, v6, v36
	v_cmp_u_f32_e32 vcc, v44, v44
	v_max_f32_e32 v6, v6, v36
	v_cndmask_b32_e32 v7, v7, v44, vcc
	v_cmp_u_f32_e64 s[14:15], v29, v29
	v_cndmask_b32_e32 v6, v6, v44, vcc
	v_cndmask_b32_e64 v7, v7, v29, s[14:15]
	v_cndmask_b32_e64 v6, v6, v29, s[14:15]
	s_movk_i32 s7, 0x1f8
	v_cmp_neq_f32_e32 vcc, v7, v6
	v_cmp_class_f32_e64 s[16:17], v7, s7
	s_or_b64 s[18:19], vcc, s[16:17]
	s_and_saveexec_b64 s[16:17], s[18:19]
	s_cbranch_execz .LBB136_47
; %bb.46:
	v_sub_f32_e32 v7, v7, v6
	s_mov_b32 s18, 0x3fb8aa3b
	v_mul_f32_e32 v8, 0x3fb8aa3b, v7
	v_fma_f32 v9, v7, s18, -v8
	v_rndne_f32_e32 v10, v8
	v_fmac_f32_e32 v9, 0x32a5705f, v7
	v_sub_f32_e32 v8, v8, v10
	v_add_f32_e32 v8, v8, v9
	v_exp_f32_e32 v8, v8
	v_cvt_i32_f32_e32 v9, v10
	s_mov_b32 s18, 0xc2ce8ed0
	v_cmp_ngt_f32_e32 vcc, s18, v7
	s_mov_b32 s18, 0x42b17218
	v_ldexp_f32 v8, v8, v9
	v_cndmask_b32_e32 v8, 0, v8, vcc
	v_mov_b32_e32 v9, 0x7f800000
	v_cmp_nlt_f32_e32 vcc, s18, v7
	v_cndmask_b32_e32 v37, v9, v8, vcc
	v_add_f32_e32 v7, 1.0, v37
	v_add_f32_e32 v8, -1.0, v7
	v_sub_f32_e32 v9, v8, v7
	v_add_f32_e32 v9, 1.0, v9
	v_sub_f32_e32 v8, v37, v8
	v_add_f32_e32 v10, v8, v9
	v_frexp_mant_f32_e32 v11, v7
	s_mov_b32 s18, 0x3f2aaaab
	v_cvt_f64_f32_e32 v[8:9], v7
	v_frexp_exp_i32_f64_e32 v8, v[8:9]
	v_cmp_gt_f32_e32 vcc, s18, v11
	v_subbrev_co_u32_e32 v16, vcc, 0, v8, vcc
	v_sub_u32_e32 v8, 0, v16
	v_ldexp_f32 v7, v7, v8
	v_ldexp_f32 v8, v10, v8
	v_add_f32_e32 v10, -1.0, v7
	v_add_f32_e32 v9, 1.0, v10
	v_sub_f32_e32 v9, v7, v9
	v_add_f32_e32 v11, v8, v9
	v_add_f32_e32 v9, 1.0, v7
	v_add_f32_e32 v12, -1.0, v9
	v_sub_f32_e32 v7, v7, v12
	v_add_f32_e32 v7, v8, v7
	v_add_f32_e32 v17, v9, v7
	v_rcp_f32_e32 v38, v17
	v_sub_f32_e32 v8, v9, v17
	v_add_f32_e32 v9, v10, v11
	v_add_f32_e32 v7, v7, v8
	v_mul_f32_e32 v40, v9, v38
	v_sub_f32_e32 v8, v10, v9
	v_mul_f32_e32 v10, v17, v40
	v_fma_f32 v12, v40, v17, -v10
	v_fmac_f32_e32 v12, v40, v7
	v_add_f32_e32 v39, v11, v8
	v_add_f32_e32 v8, v10, v12
	v_sub_f32_e32 v11, v9, v8
	v_pk_add_f32 v[14:15], v[8:9], v[10:11] neg_lo:[0,1] neg_hi:[0,1]
	v_mov_b32_e32 v13, v8
	v_pk_add_f32 v[8:9], v[14:15], v[12:13] neg_lo:[0,1] neg_hi:[0,1]
	v_add_f32_e32 v9, v39, v9
	v_add_f32_e32 v8, v8, v9
	;; [unrolled: 1-line block ×3, first 2 shown]
	v_mul_f32_e32 v39, v38, v9
	v_mul_f32_e32 v10, v17, v39
	v_fma_f32 v12, v39, v17, -v10
	v_fmac_f32_e32 v12, v39, v7
	v_sub_f32_e32 v7, v11, v9
	v_add_f32_e32 v7, v8, v7
	v_add_f32_e32 v8, v10, v12
	v_sub_f32_e32 v11, v9, v8
	v_pk_add_f32 v[14:15], v[8:9], v[10:11] neg_lo:[0,1] neg_hi:[0,1]
	v_mov_b32_e32 v13, v8
	v_pk_add_f32 v[8:9], v[14:15], v[12:13] neg_lo:[0,1] neg_hi:[0,1]
	v_add_f32_e32 v7, v7, v9
	v_add_f32_e32 v7, v8, v7
	;; [unrolled: 1-line block ×4, first 2 shown]
	v_sub_f32_e32 v9, v8, v40
	v_mul_f32_e32 v7, v38, v7
	v_sub_f32_e32 v9, v39, v9
	v_add_f32_e32 v7, v9, v7
	v_add_f32_e32 v11, v8, v7
	v_mul_f32_e32 v12, v11, v11
	v_mov_b32_e32 v10, 0x3ecc95a3
	v_fmac_f32_e32 v10, 0x3e9b6dac, v12
	v_mov_b32_e32 v9, 0x3f2aaada
	v_fmac_f32_e32 v9, v12, v10
	v_cvt_f32_i32_e32 v10, v16
	v_sub_f32_e32 v8, v11, v8
	v_sub_f32_e32 v7, v7, v8
	v_ldexp_f32 v13, v11, 1
	v_mul_f32_e32 v11, v11, v12
	v_mov_b32_e32 v8, 0x3f317218
	s_mov_b32 s18, 0x3f317218
	v_pk_mul_f32 v[8:9], v[10:11], v[8:9]
	v_fma_f32 v12, v10, s18, -v8
	v_fmac_f32_e32 v12, 0xb102e308, v10
	v_pk_add_f32 v[10:11], v[8:9], v[12:13]
	v_sub_f32_e32 v13, v11, v13
	v_ldexp_f32 v7, v7, 1
	v_sub_f32_e32 v13, v9, v13
	v_add_f32_e32 v15, v7, v13
	v_mov_b32_e32 v14, v8
	v_pk_add_f32 v[8:9], v[10:11], v[8:9] neg_lo:[0,1] neg_hi:[0,1]
	v_pk_add_f32 v[16:17], v[10:11], v[14:15]
	v_mov_b32_e32 v9, v17
	v_mov_b32_e32 v13, v10
	v_pk_add_f32 v[38:39], v[12:13], v[8:9] neg_lo:[0,1] neg_hi:[0,1]
	v_pk_add_f32 v[8:9], v[12:13], v[8:9]
	v_mov_b32_e32 v12, v9
	v_pk_add_f32 v[40:41], v[12:13], v[10:11] neg_lo:[0,1] neg_hi:[0,1]
	v_mov_b32_e32 v7, v40
	v_pk_add_f32 v[44:45], v[16:17], v[6:7] neg_lo:[0,1] neg_hi:[0,1]
	v_mov_b32_e32 v8, v17
	v_mov_b32_e32 v16, v11
	;; [unrolled: 1-line block ×4, first 2 shown]
	v_pk_add_f32 v[8:9], v[8:9], v[16:17] neg_lo:[0,1] neg_hi:[0,1]
	v_mov_b32_e32 v14, v15
	v_mov_b32_e32 v15, v10
	v_pk_add_f32 v[8:9], v[14:15], v[8:9] neg_lo:[0,1] neg_hi:[0,1]
	v_mov_b32_e32 v44, v38
	v_pk_add_f32 v[10:11], v[44:45], v[8:9]
	v_mov_b32_e32 v14, v11
	v_pk_add_f32 v[14:15], v[10:11], v[14:15]
	v_pk_add_f32 v[12:13], v[12:13], v[14:15]
	v_mov_b32_e32 v11, v12
	v_pk_add_f32 v[16:17], v[10:11], v[38:39] neg_lo:[0,1] neg_hi:[0,1]
	v_mov_b32_e32 v9, v14
	v_sub_f32_e32 v7, v10, v16
	v_pk_add_f32 v[8:9], v[8:9], v[16:17] neg_lo:[0,1] neg_hi:[0,1]
	v_sub_f32_e32 v7, v38, v7
	s_mov_b32 s19, 0x7f800000
	v_add_f32_e32 v7, v8, v7
	s_mov_b32 s18, 0x33800000
	v_add_f32_e32 v7, v7, v9
	v_cmp_eq_f32_e32 vcc, s19, v37
	v_cmp_lt_f32_e64 s[18:19], |v37|, s18
	v_add_f32_e32 v7, v12, v7
	s_or_b64 vcc, vcc, s[18:19]
	v_cndmask_b32_e32 v7, v7, v37, vcc
	v_add_f32_e32 v44, v6, v7
.LBB136_47:
	s_or_b64 exec, exec, s[16:17]
	v_max_f32_e32 v6, v44, v44
	v_max_f32_e32 v37, v22, v22
	v_min_f32_e32 v7, v6, v37
	v_cmp_u_f32_e32 vcc, v44, v44
	v_max_f32_e32 v6, v6, v37
	v_cndmask_b32_e32 v7, v7, v44, vcc
	v_cmp_u_f32_e64 s[16:17], v22, v22
	v_cndmask_b32_e32 v6, v6, v44, vcc
	v_cndmask_b32_e64 v7, v7, v22, s[16:17]
	v_cndmask_b32_e64 v6, v6, v22, s[16:17]
	v_cmp_neq_f32_e32 vcc, v7, v6
	v_cmp_class_f32_e64 s[18:19], v7, s7
	s_or_b64 s[20:21], vcc, s[18:19]
	s_and_saveexec_b64 s[18:19], s[20:21]
	s_cbranch_execz .LBB136_49
; %bb.48:
	v_sub_f32_e32 v7, v7, v6
	s_mov_b32 s7, 0x3fb8aa3b
	v_mul_f32_e32 v8, 0x3fb8aa3b, v7
	v_fma_f32 v9, v7, s7, -v8
	v_rndne_f32_e32 v10, v8
	v_fmac_f32_e32 v9, 0x32a5705f, v7
	v_sub_f32_e32 v8, v8, v10
	v_add_f32_e32 v8, v8, v9
	v_exp_f32_e32 v8, v8
	v_cvt_i32_f32_e32 v9, v10
	s_mov_b32 s7, 0xc2ce8ed0
	v_cmp_ngt_f32_e32 vcc, s7, v7
	s_mov_b32 s7, 0x42b17218
	v_ldexp_f32 v8, v8, v9
	v_cndmask_b32_e32 v8, 0, v8, vcc
	v_mov_b32_e32 v9, 0x7f800000
	v_cmp_nlt_f32_e32 vcc, s7, v7
	v_cndmask_b32_e32 v42, v9, v8, vcc
	v_add_f32_e32 v7, 1.0, v42
	v_add_f32_e32 v8, -1.0, v7
	v_sub_f32_e32 v9, v8, v7
	v_add_f32_e32 v9, 1.0, v9
	v_sub_f32_e32 v8, v42, v8
	v_add_f32_e32 v10, v8, v9
	v_frexp_mant_f32_e32 v11, v7
	s_mov_b32 s7, 0x3f2aaaab
	v_cvt_f64_f32_e32 v[8:9], v7
	v_frexp_exp_i32_f64_e32 v8, v[8:9]
	v_cmp_gt_f32_e32 vcc, s7, v11
	v_subbrev_co_u32_e32 v16, vcc, 0, v8, vcc
	v_sub_u32_e32 v8, 0, v16
	v_ldexp_f32 v7, v7, v8
	v_ldexp_f32 v8, v10, v8
	v_add_f32_e32 v10, -1.0, v7
	v_add_f32_e32 v9, 1.0, v10
	v_sub_f32_e32 v9, v7, v9
	v_add_f32_e32 v11, v8, v9
	v_add_f32_e32 v9, 1.0, v7
	v_add_f32_e32 v12, -1.0, v9
	v_sub_f32_e32 v7, v7, v12
	v_add_f32_e32 v7, v8, v7
	v_add_f32_e32 v17, v9, v7
	v_rcp_f32_e32 v38, v17
	v_sub_f32_e32 v8, v9, v17
	v_add_f32_e32 v9, v10, v11
	v_add_f32_e32 v7, v7, v8
	v_mul_f32_e32 v40, v9, v38
	v_sub_f32_e32 v8, v10, v9
	v_mul_f32_e32 v10, v17, v40
	v_fma_f32 v12, v40, v17, -v10
	v_fmac_f32_e32 v12, v40, v7
	v_add_f32_e32 v39, v11, v8
	v_add_f32_e32 v8, v10, v12
	v_sub_f32_e32 v11, v9, v8
	v_pk_add_f32 v[14:15], v[8:9], v[10:11] neg_lo:[0,1] neg_hi:[0,1]
	v_mov_b32_e32 v13, v8
	v_pk_add_f32 v[8:9], v[14:15], v[12:13] neg_lo:[0,1] neg_hi:[0,1]
	v_add_f32_e32 v9, v39, v9
	v_add_f32_e32 v8, v8, v9
	;; [unrolled: 1-line block ×3, first 2 shown]
	v_mul_f32_e32 v39, v38, v9
	v_mul_f32_e32 v10, v17, v39
	v_fma_f32 v12, v39, v17, -v10
	v_fmac_f32_e32 v12, v39, v7
	v_sub_f32_e32 v7, v11, v9
	v_add_f32_e32 v7, v8, v7
	v_add_f32_e32 v8, v10, v12
	v_sub_f32_e32 v11, v9, v8
	v_pk_add_f32 v[14:15], v[8:9], v[10:11] neg_lo:[0,1] neg_hi:[0,1]
	v_mov_b32_e32 v13, v8
	v_pk_add_f32 v[8:9], v[14:15], v[12:13] neg_lo:[0,1] neg_hi:[0,1]
	v_add_f32_e32 v7, v7, v9
	v_add_f32_e32 v7, v8, v7
	;; [unrolled: 1-line block ×4, first 2 shown]
	v_sub_f32_e32 v9, v8, v40
	v_mul_f32_e32 v7, v38, v7
	v_sub_f32_e32 v9, v39, v9
	v_add_f32_e32 v7, v9, v7
	v_add_f32_e32 v11, v8, v7
	v_mul_f32_e32 v12, v11, v11
	v_mov_b32_e32 v10, 0x3ecc95a3
	v_fmac_f32_e32 v10, 0x3e9b6dac, v12
	v_mov_b32_e32 v9, 0x3f2aaada
	v_fmac_f32_e32 v9, v12, v10
	v_cvt_f32_i32_e32 v10, v16
	v_sub_f32_e32 v8, v11, v8
	v_sub_f32_e32 v7, v7, v8
	v_ldexp_f32 v13, v11, 1
	v_mul_f32_e32 v11, v11, v12
	v_mov_b32_e32 v8, 0x3f317218
	s_mov_b32 s7, 0x3f317218
	v_pk_mul_f32 v[8:9], v[10:11], v[8:9]
	v_fma_f32 v12, v10, s7, -v8
	v_fmac_f32_e32 v12, 0xb102e308, v10
	v_pk_add_f32 v[10:11], v[8:9], v[12:13]
	v_sub_f32_e32 v13, v11, v13
	v_ldexp_f32 v7, v7, 1
	v_sub_f32_e32 v13, v9, v13
	v_add_f32_e32 v15, v7, v13
	v_mov_b32_e32 v14, v8
	v_pk_add_f32 v[8:9], v[10:11], v[8:9] neg_lo:[0,1] neg_hi:[0,1]
	v_pk_add_f32 v[16:17], v[10:11], v[14:15]
	v_mov_b32_e32 v9, v17
	v_mov_b32_e32 v13, v10
	v_pk_add_f32 v[38:39], v[12:13], v[8:9] neg_lo:[0,1] neg_hi:[0,1]
	v_pk_add_f32 v[8:9], v[12:13], v[8:9]
	v_mov_b32_e32 v12, v9
	v_pk_add_f32 v[40:41], v[12:13], v[10:11] neg_lo:[0,1] neg_hi:[0,1]
	v_mov_b32_e32 v7, v40
	v_pk_add_f32 v[44:45], v[16:17], v[6:7] neg_lo:[0,1] neg_hi:[0,1]
	v_mov_b32_e32 v8, v17
	v_mov_b32_e32 v16, v11
	;; [unrolled: 1-line block ×4, first 2 shown]
	v_pk_add_f32 v[8:9], v[8:9], v[16:17] neg_lo:[0,1] neg_hi:[0,1]
	v_mov_b32_e32 v14, v15
	v_mov_b32_e32 v15, v10
	v_pk_add_f32 v[8:9], v[14:15], v[8:9] neg_lo:[0,1] neg_hi:[0,1]
	v_mov_b32_e32 v44, v38
	v_pk_add_f32 v[10:11], v[44:45], v[8:9]
	v_mov_b32_e32 v14, v11
	v_pk_add_f32 v[14:15], v[10:11], v[14:15]
	v_pk_add_f32 v[12:13], v[12:13], v[14:15]
	v_mov_b32_e32 v11, v12
	v_pk_add_f32 v[16:17], v[10:11], v[38:39] neg_lo:[0,1] neg_hi:[0,1]
	v_mov_b32_e32 v9, v14
	v_sub_f32_e32 v7, v10, v16
	v_pk_add_f32 v[8:9], v[8:9], v[16:17] neg_lo:[0,1] neg_hi:[0,1]
	v_sub_f32_e32 v7, v38, v7
	s_mov_b32 s20, 0x7f800000
	v_add_f32_e32 v7, v8, v7
	s_mov_b32 s7, 0x33800000
	v_add_f32_e32 v7, v7, v9
	v_cmp_eq_f32_e32 vcc, s20, v42
	v_cmp_lt_f32_e64 s[20:21], |v42|, s7
	v_add_f32_e32 v7, v12, v7
	s_or_b64 vcc, vcc, s[20:21]
	v_cndmask_b32_e32 v7, v7, v42, vcc
	v_add_f32_e32 v44, v6, v7
.LBB136_49:
	s_or_b64 exec, exec, s[18:19]
	v_max_f32_e32 v6, v44, v44
	v_max_f32_e32 v38, v23, v23
	v_min_f32_e32 v7, v6, v38
	v_cmp_u_f32_e32 vcc, v44, v44
	v_max_f32_e32 v6, v6, v38
	v_cndmask_b32_e32 v7, v7, v44, vcc
	v_cmp_u_f32_e64 s[18:19], v23, v23
	v_cndmask_b32_e32 v6, v6, v44, vcc
	v_cndmask_b32_e64 v7, v7, v23, s[18:19]
	v_cndmask_b32_e64 v6, v6, v23, s[18:19]
	s_movk_i32 s7, 0x1f8
	v_cmp_neq_f32_e32 vcc, v7, v6
	v_cmp_class_f32_e64 s[20:21], v7, s7
	s_or_b64 s[22:23], vcc, s[20:21]
	s_and_saveexec_b64 s[20:21], s[22:23]
	s_cbranch_execz .LBB136_51
; %bb.50:
	v_sub_f32_e32 v7, v7, v6
	s_mov_b32 s22, 0x3fb8aa3b
	v_mul_f32_e32 v8, 0x3fb8aa3b, v7
	v_fma_f32 v9, v7, s22, -v8
	v_rndne_f32_e32 v10, v8
	v_fmac_f32_e32 v9, 0x32a5705f, v7
	v_sub_f32_e32 v8, v8, v10
	v_add_f32_e32 v8, v8, v9
	v_exp_f32_e32 v8, v8
	v_cvt_i32_f32_e32 v9, v10
	s_mov_b32 s22, 0xc2ce8ed0
	v_cmp_ngt_f32_e32 vcc, s22, v7
	s_mov_b32 s22, 0x42b17218
	v_ldexp_f32 v8, v8, v9
	v_cndmask_b32_e32 v8, 0, v8, vcc
	v_mov_b32_e32 v9, 0x7f800000
	v_cmp_nlt_f32_e32 vcc, s22, v7
	v_cndmask_b32_e32 v39, v9, v8, vcc
	v_add_f32_e32 v7, 1.0, v39
	v_add_f32_e32 v8, -1.0, v7
	v_sub_f32_e32 v9, v8, v7
	v_add_f32_e32 v9, 1.0, v9
	v_sub_f32_e32 v8, v39, v8
	v_add_f32_e32 v10, v8, v9
	v_frexp_mant_f32_e32 v11, v7
	s_mov_b32 s22, 0x3f2aaaab
	v_cvt_f64_f32_e32 v[8:9], v7
	v_frexp_exp_i32_f64_e32 v8, v[8:9]
	v_cmp_gt_f32_e32 vcc, s22, v11
	v_subbrev_co_u32_e32 v16, vcc, 0, v8, vcc
	v_sub_u32_e32 v8, 0, v16
	v_ldexp_f32 v7, v7, v8
	v_ldexp_f32 v8, v10, v8
	v_add_f32_e32 v10, -1.0, v7
	v_add_f32_e32 v9, 1.0, v10
	v_sub_f32_e32 v9, v7, v9
	v_add_f32_e32 v11, v8, v9
	v_add_f32_e32 v9, 1.0, v7
	v_add_f32_e32 v12, -1.0, v9
	v_sub_f32_e32 v7, v7, v12
	v_add_f32_e32 v7, v8, v7
	v_add_f32_e32 v17, v9, v7
	v_rcp_f32_e32 v40, v17
	v_sub_f32_e32 v8, v9, v17
	v_add_f32_e32 v9, v10, v11
	v_add_f32_e32 v7, v7, v8
	v_mul_f32_e32 v42, v9, v40
	v_sub_f32_e32 v8, v10, v9
	v_mul_f32_e32 v10, v17, v42
	v_fma_f32 v12, v42, v17, -v10
	v_fmac_f32_e32 v12, v42, v7
	v_add_f32_e32 v41, v11, v8
	v_add_f32_e32 v8, v10, v12
	v_sub_f32_e32 v11, v9, v8
	v_pk_add_f32 v[14:15], v[8:9], v[10:11] neg_lo:[0,1] neg_hi:[0,1]
	v_mov_b32_e32 v13, v8
	v_pk_add_f32 v[8:9], v[14:15], v[12:13] neg_lo:[0,1] neg_hi:[0,1]
	v_add_f32_e32 v9, v41, v9
	v_add_f32_e32 v8, v8, v9
	;; [unrolled: 1-line block ×3, first 2 shown]
	v_mul_f32_e32 v41, v40, v9
	v_mul_f32_e32 v10, v17, v41
	v_fma_f32 v12, v41, v17, -v10
	v_fmac_f32_e32 v12, v41, v7
	v_sub_f32_e32 v7, v11, v9
	v_add_f32_e32 v7, v8, v7
	v_add_f32_e32 v8, v10, v12
	v_sub_f32_e32 v11, v9, v8
	v_pk_add_f32 v[14:15], v[8:9], v[10:11] neg_lo:[0,1] neg_hi:[0,1]
	v_mov_b32_e32 v13, v8
	v_pk_add_f32 v[8:9], v[14:15], v[12:13] neg_lo:[0,1] neg_hi:[0,1]
	v_add_f32_e32 v7, v7, v9
	v_add_f32_e32 v7, v8, v7
	;; [unrolled: 1-line block ×4, first 2 shown]
	v_sub_f32_e32 v9, v8, v42
	v_mul_f32_e32 v7, v40, v7
	v_sub_f32_e32 v9, v41, v9
	v_add_f32_e32 v7, v9, v7
	v_add_f32_e32 v11, v8, v7
	v_mul_f32_e32 v12, v11, v11
	v_mov_b32_e32 v10, 0x3ecc95a3
	v_fmac_f32_e32 v10, 0x3e9b6dac, v12
	v_mov_b32_e32 v9, 0x3f2aaada
	v_fmac_f32_e32 v9, v12, v10
	v_cvt_f32_i32_e32 v10, v16
	v_sub_f32_e32 v8, v11, v8
	v_sub_f32_e32 v7, v7, v8
	v_ldexp_f32 v13, v11, 1
	v_mul_f32_e32 v11, v11, v12
	v_mov_b32_e32 v8, 0x3f317218
	s_mov_b32 s22, 0x3f317218
	v_pk_mul_f32 v[8:9], v[10:11], v[8:9]
	v_fma_f32 v12, v10, s22, -v8
	v_fmac_f32_e32 v12, 0xb102e308, v10
	v_pk_add_f32 v[10:11], v[8:9], v[12:13]
	v_sub_f32_e32 v13, v11, v13
	v_ldexp_f32 v7, v7, 1
	v_sub_f32_e32 v13, v9, v13
	v_add_f32_e32 v15, v7, v13
	v_mov_b32_e32 v14, v8
	v_pk_add_f32 v[8:9], v[10:11], v[8:9] neg_lo:[0,1] neg_hi:[0,1]
	v_pk_add_f32 v[16:17], v[10:11], v[14:15]
	v_mov_b32_e32 v9, v17
	v_mov_b32_e32 v13, v10
	v_pk_add_f32 v[40:41], v[12:13], v[8:9] neg_lo:[0,1] neg_hi:[0,1]
	v_pk_add_f32 v[8:9], v[12:13], v[8:9]
	v_mov_b32_e32 v12, v9
	v_pk_add_f32 v[44:45], v[12:13], v[10:11] neg_lo:[0,1] neg_hi:[0,1]
	v_mov_b32_e32 v7, v44
	v_pk_add_f32 v[46:47], v[16:17], v[6:7] neg_lo:[0,1] neg_hi:[0,1]
	v_mov_b32_e32 v8, v17
	v_mov_b32_e32 v16, v11
	;; [unrolled: 1-line block ×4, first 2 shown]
	v_pk_add_f32 v[8:9], v[8:9], v[16:17] neg_lo:[0,1] neg_hi:[0,1]
	v_mov_b32_e32 v14, v15
	v_mov_b32_e32 v15, v10
	v_pk_add_f32 v[8:9], v[14:15], v[8:9] neg_lo:[0,1] neg_hi:[0,1]
	v_mov_b32_e32 v46, v40
	v_pk_add_f32 v[10:11], v[46:47], v[8:9]
	v_mov_b32_e32 v14, v11
	v_pk_add_f32 v[14:15], v[10:11], v[14:15]
	v_pk_add_f32 v[12:13], v[12:13], v[14:15]
	v_mov_b32_e32 v11, v12
	v_pk_add_f32 v[16:17], v[10:11], v[40:41] neg_lo:[0,1] neg_hi:[0,1]
	v_mov_b32_e32 v9, v14
	v_sub_f32_e32 v7, v10, v16
	v_pk_add_f32 v[8:9], v[8:9], v[16:17] neg_lo:[0,1] neg_hi:[0,1]
	v_sub_f32_e32 v7, v40, v7
	s_mov_b32 s23, 0x7f800000
	v_add_f32_e32 v7, v8, v7
	s_mov_b32 s22, 0x33800000
	v_add_f32_e32 v7, v7, v9
	v_cmp_eq_f32_e32 vcc, s23, v39
	v_cmp_lt_f32_e64 s[22:23], |v39|, s22
	v_add_f32_e32 v7, v12, v7
	s_or_b64 vcc, vcc, s[22:23]
	v_cndmask_b32_e32 v7, v7, v39, vcc
	v_add_f32_e32 v44, v6, v7
.LBB136_51:
	s_or_b64 exec, exec, s[20:21]
	v_max_f32_e32 v6, v44, v44
	v_max_f32_e32 v39, v24, v24
	v_min_f32_e32 v7, v6, v39
	v_cmp_u_f32_e32 vcc, v44, v44
	v_max_f32_e32 v6, v6, v39
	v_cndmask_b32_e32 v7, v7, v44, vcc
	v_cmp_u_f32_e64 s[20:21], v24, v24
	v_cndmask_b32_e32 v6, v6, v44, vcc
	v_cndmask_b32_e64 v7, v7, v24, s[20:21]
	v_cndmask_b32_e64 v6, v6, v24, s[20:21]
	v_cmp_neq_f32_e32 vcc, v7, v6
	v_cmp_class_f32_e64 s[22:23], v7, s7
	s_or_b64 s[24:25], vcc, s[22:23]
	s_and_saveexec_b64 s[22:23], s[24:25]
	s_cbranch_execz .LBB136_53
; %bb.52:
	v_sub_f32_e32 v7, v7, v6
	s_mov_b32 s7, 0x3fb8aa3b
	v_mul_f32_e32 v8, 0x3fb8aa3b, v7
	v_fma_f32 v9, v7, s7, -v8
	v_rndne_f32_e32 v10, v8
	v_fmac_f32_e32 v9, 0x32a5705f, v7
	v_sub_f32_e32 v8, v8, v10
	v_add_f32_e32 v8, v8, v9
	v_exp_f32_e32 v8, v8
	v_cvt_i32_f32_e32 v9, v10
	s_mov_b32 s7, 0xc2ce8ed0
	v_cmp_ngt_f32_e32 vcc, s7, v7
	s_mov_b32 s7, 0x42b17218
	v_ldexp_f32 v8, v8, v9
	v_cndmask_b32_e32 v8, 0, v8, vcc
	v_mov_b32_e32 v9, 0x7f800000
	v_cmp_nlt_f32_e32 vcc, s7, v7
	v_cndmask_b32_e32 v42, v9, v8, vcc
	v_add_f32_e32 v7, 1.0, v42
	v_add_f32_e32 v8, -1.0, v7
	v_sub_f32_e32 v9, v8, v7
	v_add_f32_e32 v9, 1.0, v9
	v_sub_f32_e32 v8, v42, v8
	v_add_f32_e32 v10, v8, v9
	v_frexp_mant_f32_e32 v11, v7
	s_mov_b32 s7, 0x3f2aaaab
	v_cvt_f64_f32_e32 v[8:9], v7
	v_frexp_exp_i32_f64_e32 v8, v[8:9]
	v_cmp_gt_f32_e32 vcc, s7, v11
	v_subbrev_co_u32_e32 v16, vcc, 0, v8, vcc
	v_sub_u32_e32 v8, 0, v16
	v_ldexp_f32 v7, v7, v8
	v_ldexp_f32 v8, v10, v8
	v_add_f32_e32 v10, -1.0, v7
	v_add_f32_e32 v9, 1.0, v10
	v_sub_f32_e32 v9, v7, v9
	v_add_f32_e32 v11, v8, v9
	v_add_f32_e32 v9, 1.0, v7
	v_add_f32_e32 v12, -1.0, v9
	v_sub_f32_e32 v7, v7, v12
	v_add_f32_e32 v7, v8, v7
	v_add_f32_e32 v17, v9, v7
	v_rcp_f32_e32 v40, v17
	v_sub_f32_e32 v8, v9, v17
	v_add_f32_e32 v9, v10, v11
	v_add_f32_e32 v7, v7, v8
	v_mul_f32_e32 v44, v9, v40
	v_sub_f32_e32 v8, v10, v9
	v_mul_f32_e32 v10, v17, v44
	v_fma_f32 v12, v44, v17, -v10
	v_fmac_f32_e32 v12, v44, v7
	v_add_f32_e32 v41, v11, v8
	v_add_f32_e32 v8, v10, v12
	v_sub_f32_e32 v11, v9, v8
	v_pk_add_f32 v[14:15], v[8:9], v[10:11] neg_lo:[0,1] neg_hi:[0,1]
	v_mov_b32_e32 v13, v8
	v_pk_add_f32 v[8:9], v[14:15], v[12:13] neg_lo:[0,1] neg_hi:[0,1]
	v_add_f32_e32 v9, v41, v9
	v_add_f32_e32 v8, v8, v9
	;; [unrolled: 1-line block ×3, first 2 shown]
	v_mul_f32_e32 v41, v40, v9
	v_mul_f32_e32 v10, v17, v41
	v_fma_f32 v12, v41, v17, -v10
	v_fmac_f32_e32 v12, v41, v7
	v_sub_f32_e32 v7, v11, v9
	v_add_f32_e32 v7, v8, v7
	v_add_f32_e32 v8, v10, v12
	v_sub_f32_e32 v11, v9, v8
	v_pk_add_f32 v[14:15], v[8:9], v[10:11] neg_lo:[0,1] neg_hi:[0,1]
	v_mov_b32_e32 v13, v8
	v_pk_add_f32 v[8:9], v[14:15], v[12:13] neg_lo:[0,1] neg_hi:[0,1]
	v_add_f32_e32 v7, v7, v9
	v_add_f32_e32 v7, v8, v7
	;; [unrolled: 1-line block ×4, first 2 shown]
	v_sub_f32_e32 v9, v8, v44
	v_mul_f32_e32 v7, v40, v7
	v_sub_f32_e32 v9, v41, v9
	v_add_f32_e32 v7, v9, v7
	v_add_f32_e32 v11, v8, v7
	v_mul_f32_e32 v12, v11, v11
	v_mov_b32_e32 v10, 0x3ecc95a3
	v_fmac_f32_e32 v10, 0x3e9b6dac, v12
	v_mov_b32_e32 v9, 0x3f2aaada
	v_fmac_f32_e32 v9, v12, v10
	v_cvt_f32_i32_e32 v10, v16
	v_sub_f32_e32 v8, v11, v8
	v_sub_f32_e32 v7, v7, v8
	v_ldexp_f32 v13, v11, 1
	v_mul_f32_e32 v11, v11, v12
	v_mov_b32_e32 v8, 0x3f317218
	s_mov_b32 s7, 0x3f317218
	v_pk_mul_f32 v[8:9], v[10:11], v[8:9]
	v_fma_f32 v12, v10, s7, -v8
	v_fmac_f32_e32 v12, 0xb102e308, v10
	v_pk_add_f32 v[10:11], v[8:9], v[12:13]
	v_sub_f32_e32 v13, v11, v13
	v_ldexp_f32 v7, v7, 1
	v_sub_f32_e32 v13, v9, v13
	v_add_f32_e32 v15, v7, v13
	v_mov_b32_e32 v14, v8
	v_pk_add_f32 v[8:9], v[10:11], v[8:9] neg_lo:[0,1] neg_hi:[0,1]
	v_pk_add_f32 v[16:17], v[10:11], v[14:15]
	v_mov_b32_e32 v9, v17
	v_mov_b32_e32 v13, v10
	v_pk_add_f32 v[40:41], v[12:13], v[8:9] neg_lo:[0,1] neg_hi:[0,1]
	v_pk_add_f32 v[8:9], v[12:13], v[8:9]
	v_mov_b32_e32 v12, v9
	v_pk_add_f32 v[44:45], v[12:13], v[10:11] neg_lo:[0,1] neg_hi:[0,1]
	v_mov_b32_e32 v7, v44
	v_pk_add_f32 v[46:47], v[16:17], v[6:7] neg_lo:[0,1] neg_hi:[0,1]
	v_mov_b32_e32 v8, v17
	v_mov_b32_e32 v16, v11
	;; [unrolled: 1-line block ×4, first 2 shown]
	v_pk_add_f32 v[8:9], v[8:9], v[16:17] neg_lo:[0,1] neg_hi:[0,1]
	v_mov_b32_e32 v14, v15
	v_mov_b32_e32 v15, v10
	v_pk_add_f32 v[8:9], v[14:15], v[8:9] neg_lo:[0,1] neg_hi:[0,1]
	v_mov_b32_e32 v46, v40
	v_pk_add_f32 v[10:11], v[46:47], v[8:9]
	v_mov_b32_e32 v14, v11
	v_pk_add_f32 v[14:15], v[10:11], v[14:15]
	v_pk_add_f32 v[12:13], v[12:13], v[14:15]
	v_mov_b32_e32 v11, v12
	v_pk_add_f32 v[16:17], v[10:11], v[40:41] neg_lo:[0,1] neg_hi:[0,1]
	v_mov_b32_e32 v9, v14
	v_sub_f32_e32 v7, v10, v16
	v_pk_add_f32 v[8:9], v[8:9], v[16:17] neg_lo:[0,1] neg_hi:[0,1]
	v_sub_f32_e32 v7, v40, v7
	s_mov_b32 s24, 0x7f800000
	v_add_f32_e32 v7, v8, v7
	s_mov_b32 s7, 0x33800000
	v_add_f32_e32 v7, v7, v9
	v_cmp_eq_f32_e32 vcc, s24, v42
	v_cmp_lt_f32_e64 s[24:25], |v42|, s7
	v_add_f32_e32 v7, v12, v7
	s_or_b64 vcc, vcc, s[24:25]
	v_cndmask_b32_e32 v7, v7, v42, vcc
	v_add_f32_e32 v44, v6, v7
.LBB136_53:
	s_or_b64 exec, exec, s[22:23]
	v_max_f32_e32 v6, v44, v44
	v_max_f32_e32 v40, v25, v25
	v_min_f32_e32 v7, v6, v40
	v_cmp_u_f32_e32 vcc, v44, v44
	v_max_f32_e32 v6, v6, v40
	v_cndmask_b32_e32 v7, v7, v44, vcc
	v_cmp_u_f32_e64 s[22:23], v25, v25
	v_cndmask_b32_e32 v6, v6, v44, vcc
	v_cndmask_b32_e64 v7, v7, v25, s[22:23]
	v_cndmask_b32_e64 v6, v6, v25, s[22:23]
	s_movk_i32 s7, 0x1f8
	v_cmp_neq_f32_e32 vcc, v7, v6
	v_cmp_class_f32_e64 s[24:25], v7, s7
	s_or_b64 s[26:27], vcc, s[24:25]
	s_and_saveexec_b64 s[24:25], s[26:27]
	s_cbranch_execz .LBB136_55
; %bb.54:
	v_sub_f32_e32 v7, v7, v6
	s_mov_b32 s26, 0x3fb8aa3b
	v_mul_f32_e32 v8, 0x3fb8aa3b, v7
	v_fma_f32 v9, v7, s26, -v8
	v_rndne_f32_e32 v10, v8
	v_fmac_f32_e32 v9, 0x32a5705f, v7
	v_sub_f32_e32 v8, v8, v10
	v_add_f32_e32 v8, v8, v9
	v_exp_f32_e32 v8, v8
	v_cvt_i32_f32_e32 v9, v10
	s_mov_b32 s26, 0xc2ce8ed0
	v_cmp_ngt_f32_e32 vcc, s26, v7
	s_mov_b32 s26, 0x42b17218
	v_ldexp_f32 v8, v8, v9
	v_cndmask_b32_e32 v8, 0, v8, vcc
	v_mov_b32_e32 v9, 0x7f800000
	v_cmp_nlt_f32_e32 vcc, s26, v7
	v_cndmask_b32_e32 v41, v9, v8, vcc
	v_add_f32_e32 v7, 1.0, v41
	v_add_f32_e32 v8, -1.0, v7
	v_sub_f32_e32 v9, v8, v7
	v_add_f32_e32 v9, 1.0, v9
	v_sub_f32_e32 v8, v41, v8
	v_add_f32_e32 v10, v8, v9
	v_frexp_mant_f32_e32 v11, v7
	s_mov_b32 s26, 0x3f2aaaab
	v_cvt_f64_f32_e32 v[8:9], v7
	v_frexp_exp_i32_f64_e32 v8, v[8:9]
	v_cmp_gt_f32_e32 vcc, s26, v11
	v_subbrev_co_u32_e32 v16, vcc, 0, v8, vcc
	v_sub_u32_e32 v8, 0, v16
	v_ldexp_f32 v7, v7, v8
	v_ldexp_f32 v8, v10, v8
	v_add_f32_e32 v10, -1.0, v7
	v_add_f32_e32 v9, 1.0, v10
	v_sub_f32_e32 v9, v7, v9
	v_add_f32_e32 v11, v8, v9
	v_add_f32_e32 v9, 1.0, v7
	v_add_f32_e32 v12, -1.0, v9
	v_sub_f32_e32 v7, v7, v12
	v_add_f32_e32 v7, v8, v7
	v_add_f32_e32 v17, v9, v7
	v_rcp_f32_e32 v42, v17
	v_sub_f32_e32 v8, v9, v17
	v_add_f32_e32 v9, v10, v11
	v_add_f32_e32 v7, v7, v8
	v_mul_f32_e32 v45, v9, v42
	v_sub_f32_e32 v8, v10, v9
	v_mul_f32_e32 v10, v17, v45
	v_fma_f32 v12, v45, v17, -v10
	v_fmac_f32_e32 v12, v45, v7
	v_add_f32_e32 v44, v11, v8
	v_add_f32_e32 v8, v10, v12
	v_sub_f32_e32 v11, v9, v8
	v_pk_add_f32 v[14:15], v[8:9], v[10:11] neg_lo:[0,1] neg_hi:[0,1]
	v_mov_b32_e32 v13, v8
	v_pk_add_f32 v[8:9], v[14:15], v[12:13] neg_lo:[0,1] neg_hi:[0,1]
	v_add_f32_e32 v9, v44, v9
	v_add_f32_e32 v8, v8, v9
	;; [unrolled: 1-line block ×3, first 2 shown]
	v_mul_f32_e32 v44, v42, v9
	v_mul_f32_e32 v10, v17, v44
	v_fma_f32 v12, v44, v17, -v10
	v_fmac_f32_e32 v12, v44, v7
	v_sub_f32_e32 v7, v11, v9
	v_add_f32_e32 v7, v8, v7
	v_add_f32_e32 v8, v10, v12
	v_sub_f32_e32 v11, v9, v8
	v_pk_add_f32 v[14:15], v[8:9], v[10:11] neg_lo:[0,1] neg_hi:[0,1]
	v_mov_b32_e32 v13, v8
	v_pk_add_f32 v[8:9], v[14:15], v[12:13] neg_lo:[0,1] neg_hi:[0,1]
	v_add_f32_e32 v7, v7, v9
	v_add_f32_e32 v7, v8, v7
	;; [unrolled: 1-line block ×4, first 2 shown]
	v_sub_f32_e32 v9, v8, v45
	v_mul_f32_e32 v7, v42, v7
	v_sub_f32_e32 v9, v44, v9
	v_add_f32_e32 v7, v9, v7
	v_add_f32_e32 v11, v8, v7
	v_mul_f32_e32 v12, v11, v11
	v_mov_b32_e32 v10, 0x3ecc95a3
	v_fmac_f32_e32 v10, 0x3e9b6dac, v12
	v_mov_b32_e32 v9, 0x3f2aaada
	v_fmac_f32_e32 v9, v12, v10
	v_cvt_f32_i32_e32 v10, v16
	v_sub_f32_e32 v8, v11, v8
	v_sub_f32_e32 v7, v7, v8
	v_ldexp_f32 v13, v11, 1
	v_mul_f32_e32 v11, v11, v12
	v_mov_b32_e32 v8, 0x3f317218
	s_mov_b32 s26, 0x3f317218
	v_pk_mul_f32 v[8:9], v[10:11], v[8:9]
	v_fma_f32 v12, v10, s26, -v8
	v_fmac_f32_e32 v12, 0xb102e308, v10
	v_pk_add_f32 v[10:11], v[8:9], v[12:13]
	v_sub_f32_e32 v13, v11, v13
	v_ldexp_f32 v7, v7, 1
	v_sub_f32_e32 v13, v9, v13
	v_add_f32_e32 v15, v7, v13
	v_mov_b32_e32 v14, v8
	v_pk_add_f32 v[8:9], v[10:11], v[8:9] neg_lo:[0,1] neg_hi:[0,1]
	v_pk_add_f32 v[16:17], v[10:11], v[14:15]
	v_mov_b32_e32 v9, v17
	v_mov_b32_e32 v13, v10
	v_pk_add_f32 v[44:45], v[12:13], v[8:9] neg_lo:[0,1] neg_hi:[0,1]
	v_pk_add_f32 v[8:9], v[12:13], v[8:9]
	v_mov_b32_e32 v12, v9
	v_pk_add_f32 v[46:47], v[12:13], v[10:11] neg_lo:[0,1] neg_hi:[0,1]
	v_mov_b32_e32 v7, v46
	v_pk_add_f32 v[48:49], v[16:17], v[6:7] neg_lo:[0,1] neg_hi:[0,1]
	v_mov_b32_e32 v8, v17
	v_mov_b32_e32 v16, v11
	v_mov_b32_e32 v17, v46
	v_mov_b32_e32 v45, v9
	v_pk_add_f32 v[8:9], v[8:9], v[16:17] neg_lo:[0,1] neg_hi:[0,1]
	v_mov_b32_e32 v14, v15
	v_mov_b32_e32 v15, v10
	v_pk_add_f32 v[8:9], v[14:15], v[8:9] neg_lo:[0,1] neg_hi:[0,1]
	v_mov_b32_e32 v48, v44
	v_pk_add_f32 v[10:11], v[48:49], v[8:9]
	v_mov_b32_e32 v14, v11
	v_pk_add_f32 v[14:15], v[10:11], v[14:15]
	v_pk_add_f32 v[12:13], v[12:13], v[14:15]
	v_mov_b32_e32 v11, v12
	v_pk_add_f32 v[16:17], v[10:11], v[44:45] neg_lo:[0,1] neg_hi:[0,1]
	v_mov_b32_e32 v9, v14
	v_sub_f32_e32 v7, v10, v16
	v_pk_add_f32 v[8:9], v[8:9], v[16:17] neg_lo:[0,1] neg_hi:[0,1]
	v_sub_f32_e32 v7, v44, v7
	s_mov_b32 s27, 0x7f800000
	v_add_f32_e32 v7, v8, v7
	s_mov_b32 s26, 0x33800000
	v_add_f32_e32 v7, v7, v9
	v_cmp_eq_f32_e32 vcc, s27, v41
	v_cmp_lt_f32_e64 s[26:27], |v41|, s26
	v_add_f32_e32 v7, v12, v7
	s_or_b64 vcc, vcc, s[26:27]
	v_cndmask_b32_e32 v7, v7, v41, vcc
	v_add_f32_e32 v44, v6, v7
.LBB136_55:
	s_or_b64 exec, exec, s[24:25]
	v_max_f32_e32 v6, v44, v44
	v_max_f32_e32 v41, v30, v30
	v_min_f32_e32 v7, v6, v41
	v_cmp_u_f32_e32 vcc, v44, v44
	v_max_f32_e32 v6, v6, v41
	v_cndmask_b32_e32 v7, v7, v44, vcc
	v_cmp_u_f32_e64 s[24:25], v30, v30
	v_cndmask_b32_e32 v6, v6, v44, vcc
	v_cndmask_b32_e64 v7, v7, v30, s[24:25]
	v_cndmask_b32_e64 v6, v6, v30, s[24:25]
	v_cmp_neq_f32_e32 vcc, v7, v6
	v_cmp_class_f32_e64 s[26:27], v7, s7
	s_or_b64 s[30:31], vcc, s[26:27]
	s_and_saveexec_b64 s[26:27], s[30:31]
	s_cbranch_execz .LBB136_57
; %bb.56:
	v_sub_f32_e32 v7, v7, v6
	s_mov_b32 s7, 0x3fb8aa3b
	v_mul_f32_e32 v8, 0x3fb8aa3b, v7
	v_fma_f32 v9, v7, s7, -v8
	v_rndne_f32_e32 v10, v8
	v_fmac_f32_e32 v9, 0x32a5705f, v7
	v_sub_f32_e32 v8, v8, v10
	v_add_f32_e32 v8, v8, v9
	v_exp_f32_e32 v8, v8
	v_cvt_i32_f32_e32 v9, v10
	s_mov_b32 s7, 0xc2ce8ed0
	v_cmp_ngt_f32_e32 vcc, s7, v7
	s_mov_b32 s7, 0x42b17218
	v_ldexp_f32 v8, v8, v9
	v_cndmask_b32_e32 v8, 0, v8, vcc
	v_mov_b32_e32 v9, 0x7f800000
	v_cmp_nlt_f32_e32 vcc, s7, v7
	v_cndmask_b32_e32 v42, v9, v8, vcc
	v_add_f32_e32 v7, 1.0, v42
	v_add_f32_e32 v8, -1.0, v7
	v_sub_f32_e32 v9, v8, v7
	v_add_f32_e32 v9, 1.0, v9
	v_sub_f32_e32 v8, v42, v8
	v_add_f32_e32 v10, v8, v9
	v_frexp_mant_f32_e32 v11, v7
	s_mov_b32 s7, 0x3f2aaaab
	v_cvt_f64_f32_e32 v[8:9], v7
	v_frexp_exp_i32_f64_e32 v8, v[8:9]
	v_cmp_gt_f32_e32 vcc, s7, v11
	v_subbrev_co_u32_e32 v16, vcc, 0, v8, vcc
	v_sub_u32_e32 v8, 0, v16
	v_ldexp_f32 v7, v7, v8
	v_ldexp_f32 v8, v10, v8
	v_add_f32_e32 v10, -1.0, v7
	v_add_f32_e32 v9, 1.0, v10
	v_sub_f32_e32 v9, v7, v9
	v_add_f32_e32 v11, v8, v9
	v_add_f32_e32 v9, 1.0, v7
	v_add_f32_e32 v12, -1.0, v9
	v_sub_f32_e32 v7, v7, v12
	v_add_f32_e32 v7, v8, v7
	v_add_f32_e32 v17, v9, v7
	v_rcp_f32_e32 v44, v17
	v_sub_f32_e32 v8, v9, v17
	v_add_f32_e32 v9, v10, v11
	v_add_f32_e32 v7, v7, v8
	v_mul_f32_e32 v46, v9, v44
	v_sub_f32_e32 v8, v10, v9
	v_mul_f32_e32 v10, v17, v46
	v_fma_f32 v12, v46, v17, -v10
	v_fmac_f32_e32 v12, v46, v7
	v_add_f32_e32 v45, v11, v8
	v_add_f32_e32 v8, v10, v12
	v_sub_f32_e32 v11, v9, v8
	v_pk_add_f32 v[14:15], v[8:9], v[10:11] neg_lo:[0,1] neg_hi:[0,1]
	v_mov_b32_e32 v13, v8
	v_pk_add_f32 v[8:9], v[14:15], v[12:13] neg_lo:[0,1] neg_hi:[0,1]
	v_add_f32_e32 v9, v45, v9
	v_add_f32_e32 v8, v8, v9
	;; [unrolled: 1-line block ×3, first 2 shown]
	v_mul_f32_e32 v45, v44, v9
	v_mul_f32_e32 v10, v17, v45
	v_fma_f32 v12, v45, v17, -v10
	v_fmac_f32_e32 v12, v45, v7
	v_sub_f32_e32 v7, v11, v9
	v_add_f32_e32 v7, v8, v7
	v_add_f32_e32 v8, v10, v12
	v_sub_f32_e32 v11, v9, v8
	v_pk_add_f32 v[14:15], v[8:9], v[10:11] neg_lo:[0,1] neg_hi:[0,1]
	v_mov_b32_e32 v13, v8
	v_pk_add_f32 v[8:9], v[14:15], v[12:13] neg_lo:[0,1] neg_hi:[0,1]
	v_add_f32_e32 v7, v7, v9
	v_add_f32_e32 v7, v8, v7
	;; [unrolled: 1-line block ×4, first 2 shown]
	v_sub_f32_e32 v9, v8, v46
	v_mul_f32_e32 v7, v44, v7
	v_sub_f32_e32 v9, v45, v9
	v_add_f32_e32 v7, v9, v7
	v_add_f32_e32 v11, v8, v7
	v_mul_f32_e32 v12, v11, v11
	v_mov_b32_e32 v10, 0x3ecc95a3
	v_fmac_f32_e32 v10, 0x3e9b6dac, v12
	v_mov_b32_e32 v9, 0x3f2aaada
	v_fmac_f32_e32 v9, v12, v10
	v_cvt_f32_i32_e32 v10, v16
	v_sub_f32_e32 v8, v11, v8
	v_sub_f32_e32 v7, v7, v8
	v_ldexp_f32 v13, v11, 1
	v_mul_f32_e32 v11, v11, v12
	v_mov_b32_e32 v8, 0x3f317218
	s_mov_b32 s7, 0x3f317218
	v_pk_mul_f32 v[8:9], v[10:11], v[8:9]
	v_fma_f32 v12, v10, s7, -v8
	v_fmac_f32_e32 v12, 0xb102e308, v10
	v_pk_add_f32 v[10:11], v[8:9], v[12:13]
	v_sub_f32_e32 v13, v11, v13
	v_ldexp_f32 v7, v7, 1
	v_sub_f32_e32 v13, v9, v13
	v_add_f32_e32 v15, v7, v13
	v_mov_b32_e32 v14, v8
	v_pk_add_f32 v[8:9], v[10:11], v[8:9] neg_lo:[0,1] neg_hi:[0,1]
	v_pk_add_f32 v[16:17], v[10:11], v[14:15]
	v_mov_b32_e32 v9, v17
	v_mov_b32_e32 v13, v10
	v_pk_add_f32 v[44:45], v[12:13], v[8:9] neg_lo:[0,1] neg_hi:[0,1]
	v_pk_add_f32 v[8:9], v[12:13], v[8:9]
	v_mov_b32_e32 v12, v9
	v_pk_add_f32 v[46:47], v[12:13], v[10:11] neg_lo:[0,1] neg_hi:[0,1]
	v_mov_b32_e32 v7, v46
	v_pk_add_f32 v[48:49], v[16:17], v[6:7] neg_lo:[0,1] neg_hi:[0,1]
	v_mov_b32_e32 v8, v17
	v_mov_b32_e32 v16, v11
	v_mov_b32_e32 v17, v46
	v_mov_b32_e32 v45, v9
	v_pk_add_f32 v[8:9], v[8:9], v[16:17] neg_lo:[0,1] neg_hi:[0,1]
	v_mov_b32_e32 v14, v15
	v_mov_b32_e32 v15, v10
	v_pk_add_f32 v[8:9], v[14:15], v[8:9] neg_lo:[0,1] neg_hi:[0,1]
	v_mov_b32_e32 v48, v44
	v_pk_add_f32 v[10:11], v[48:49], v[8:9]
	v_mov_b32_e32 v14, v11
	v_pk_add_f32 v[14:15], v[10:11], v[14:15]
	v_pk_add_f32 v[12:13], v[12:13], v[14:15]
	v_mov_b32_e32 v11, v12
	v_pk_add_f32 v[16:17], v[10:11], v[44:45] neg_lo:[0,1] neg_hi:[0,1]
	v_mov_b32_e32 v9, v14
	v_sub_f32_e32 v7, v10, v16
	v_pk_add_f32 v[8:9], v[8:9], v[16:17] neg_lo:[0,1] neg_hi:[0,1]
	v_sub_f32_e32 v7, v44, v7
	s_mov_b32 s30, 0x7f800000
	v_add_f32_e32 v7, v8, v7
	s_mov_b32 s7, 0x33800000
	v_add_f32_e32 v7, v7, v9
	v_cmp_eq_f32_e32 vcc, s30, v42
	v_cmp_lt_f32_e64 s[30:31], |v42|, s7
	v_add_f32_e32 v7, v12, v7
	s_or_b64 vcc, vcc, s[30:31]
	v_cndmask_b32_e32 v7, v7, v42, vcc
	v_add_f32_e32 v44, v6, v7
.LBB136_57:
	s_or_b64 exec, exec, s[26:27]
	v_max_f32_e32 v6, v44, v44
	v_max_f32_e32 v42, v31, v31
	v_min_f32_e32 v7, v6, v42
	v_cmp_u_f32_e32 vcc, v44, v44
	v_max_f32_e32 v6, v6, v42
	v_cndmask_b32_e32 v7, v7, v44, vcc
	v_cmp_u_f32_e64 s[26:27], v31, v31
	v_cndmask_b32_e32 v6, v6, v44, vcc
	v_cndmask_b32_e64 v7, v7, v31, s[26:27]
	v_cndmask_b32_e64 v6, v6, v31, s[26:27]
	s_movk_i32 s7, 0x1f8
	v_cmp_neq_f32_e32 vcc, v7, v6
	v_cmp_class_f32_e64 s[30:31], v7, s7
	s_or_b64 s[34:35], vcc, s[30:31]
	s_and_saveexec_b64 s[30:31], s[34:35]
	s_cbranch_execz .LBB136_59
; %bb.58:
	v_sub_f32_e32 v7, v7, v6
	s_mov_b32 s7, 0x3fb8aa3b
	v_mul_f32_e32 v8, 0x3fb8aa3b, v7
	v_fma_f32 v9, v7, s7, -v8
	v_rndne_f32_e32 v10, v8
	v_fmac_f32_e32 v9, 0x32a5705f, v7
	v_sub_f32_e32 v8, v8, v10
	v_add_f32_e32 v8, v8, v9
	v_exp_f32_e32 v8, v8
	v_cvt_i32_f32_e32 v9, v10
	s_mov_b32 s7, 0xc2ce8ed0
	v_cmp_ngt_f32_e32 vcc, s7, v7
	s_mov_b32 s7, 0x42b17218
	v_ldexp_f32 v8, v8, v9
	v_cndmask_b32_e32 v8, 0, v8, vcc
	v_mov_b32_e32 v9, 0x7f800000
	v_cmp_nlt_f32_e32 vcc, s7, v7
	v_cndmask_b32_e32 v50, v9, v8, vcc
	v_add_f32_e32 v7, 1.0, v50
	v_add_f32_e32 v8, -1.0, v7
	v_sub_f32_e32 v9, v8, v7
	v_add_f32_e32 v9, 1.0, v9
	v_sub_f32_e32 v8, v50, v8
	v_add_f32_e32 v10, v8, v9
	v_frexp_mant_f32_e32 v11, v7
	s_mov_b32 s7, 0x3f2aaaab
	v_cvt_f64_f32_e32 v[8:9], v7
	v_frexp_exp_i32_f64_e32 v8, v[8:9]
	v_cmp_gt_f32_e32 vcc, s7, v11
	v_subbrev_co_u32_e32 v16, vcc, 0, v8, vcc
	v_sub_u32_e32 v8, 0, v16
	v_ldexp_f32 v7, v7, v8
	v_ldexp_f32 v8, v10, v8
	v_add_f32_e32 v10, -1.0, v7
	v_add_f32_e32 v9, 1.0, v10
	v_sub_f32_e32 v9, v7, v9
	v_add_f32_e32 v11, v8, v9
	v_add_f32_e32 v9, 1.0, v7
	v_add_f32_e32 v12, -1.0, v9
	v_sub_f32_e32 v7, v7, v12
	v_add_f32_e32 v7, v8, v7
	v_add_f32_e32 v17, v9, v7
	v_rcp_f32_e32 v44, v17
	v_sub_f32_e32 v8, v9, v17
	v_add_f32_e32 v9, v10, v11
	v_add_f32_e32 v7, v7, v8
	v_mul_f32_e32 v46, v9, v44
	v_sub_f32_e32 v8, v10, v9
	v_mul_f32_e32 v10, v17, v46
	v_fma_f32 v12, v46, v17, -v10
	v_fmac_f32_e32 v12, v46, v7
	v_add_f32_e32 v45, v11, v8
	v_add_f32_e32 v8, v10, v12
	v_sub_f32_e32 v11, v9, v8
	v_pk_add_f32 v[14:15], v[8:9], v[10:11] neg_lo:[0,1] neg_hi:[0,1]
	v_mov_b32_e32 v13, v8
	v_pk_add_f32 v[8:9], v[14:15], v[12:13] neg_lo:[0,1] neg_hi:[0,1]
	v_add_f32_e32 v9, v45, v9
	v_add_f32_e32 v8, v8, v9
	;; [unrolled: 1-line block ×3, first 2 shown]
	v_mul_f32_e32 v45, v44, v9
	v_mul_f32_e32 v10, v17, v45
	v_fma_f32 v12, v45, v17, -v10
	v_fmac_f32_e32 v12, v45, v7
	v_sub_f32_e32 v7, v11, v9
	v_add_f32_e32 v7, v8, v7
	v_add_f32_e32 v8, v10, v12
	v_sub_f32_e32 v11, v9, v8
	v_pk_add_f32 v[14:15], v[8:9], v[10:11] neg_lo:[0,1] neg_hi:[0,1]
	v_mov_b32_e32 v13, v8
	v_pk_add_f32 v[8:9], v[14:15], v[12:13] neg_lo:[0,1] neg_hi:[0,1]
	v_add_f32_e32 v7, v7, v9
	v_add_f32_e32 v7, v8, v7
	;; [unrolled: 1-line block ×4, first 2 shown]
	v_sub_f32_e32 v9, v8, v46
	v_mul_f32_e32 v7, v44, v7
	v_sub_f32_e32 v9, v45, v9
	v_add_f32_e32 v7, v9, v7
	v_add_f32_e32 v11, v8, v7
	v_mul_f32_e32 v12, v11, v11
	v_mov_b32_e32 v10, 0x3ecc95a3
	v_fmac_f32_e32 v10, 0x3e9b6dac, v12
	v_mov_b32_e32 v9, 0x3f2aaada
	v_fmac_f32_e32 v9, v12, v10
	v_cvt_f32_i32_e32 v10, v16
	v_sub_f32_e32 v8, v11, v8
	v_sub_f32_e32 v7, v7, v8
	v_ldexp_f32 v13, v11, 1
	v_mul_f32_e32 v11, v11, v12
	v_mov_b32_e32 v8, 0x3f317218
	s_mov_b32 s7, 0x3f317218
	v_pk_mul_f32 v[8:9], v[10:11], v[8:9]
	v_fma_f32 v12, v10, s7, -v8
	v_fmac_f32_e32 v12, 0xb102e308, v10
	v_pk_add_f32 v[10:11], v[8:9], v[12:13]
	v_sub_f32_e32 v13, v11, v13
	v_ldexp_f32 v7, v7, 1
	v_sub_f32_e32 v13, v9, v13
	v_add_f32_e32 v15, v7, v13
	v_mov_b32_e32 v14, v8
	v_pk_add_f32 v[8:9], v[10:11], v[8:9] neg_lo:[0,1] neg_hi:[0,1]
	v_pk_add_f32 v[16:17], v[10:11], v[14:15]
	v_mov_b32_e32 v9, v17
	v_mov_b32_e32 v13, v10
	v_pk_add_f32 v[44:45], v[12:13], v[8:9] neg_lo:[0,1] neg_hi:[0,1]
	v_pk_add_f32 v[8:9], v[12:13], v[8:9]
	v_mov_b32_e32 v12, v9
	v_pk_add_f32 v[46:47], v[12:13], v[10:11] neg_lo:[0,1] neg_hi:[0,1]
	v_mov_b32_e32 v7, v46
	v_pk_add_f32 v[48:49], v[16:17], v[6:7] neg_lo:[0,1] neg_hi:[0,1]
	v_mov_b32_e32 v8, v17
	v_mov_b32_e32 v16, v11
	;; [unrolled: 1-line block ×4, first 2 shown]
	v_pk_add_f32 v[8:9], v[8:9], v[16:17] neg_lo:[0,1] neg_hi:[0,1]
	v_mov_b32_e32 v14, v15
	v_mov_b32_e32 v15, v10
	v_pk_add_f32 v[8:9], v[14:15], v[8:9] neg_lo:[0,1] neg_hi:[0,1]
	v_mov_b32_e32 v48, v44
	v_pk_add_f32 v[10:11], v[48:49], v[8:9]
	v_mov_b32_e32 v14, v11
	v_pk_add_f32 v[14:15], v[10:11], v[14:15]
	v_pk_add_f32 v[12:13], v[12:13], v[14:15]
	v_mov_b32_e32 v11, v12
	v_pk_add_f32 v[16:17], v[10:11], v[44:45] neg_lo:[0,1] neg_hi:[0,1]
	v_mov_b32_e32 v9, v14
	v_sub_f32_e32 v7, v10, v16
	v_pk_add_f32 v[8:9], v[8:9], v[16:17] neg_lo:[0,1] neg_hi:[0,1]
	v_sub_f32_e32 v7, v44, v7
	s_mov_b32 s34, 0x7f800000
	v_add_f32_e32 v7, v8, v7
	s_mov_b32 s7, 0x33800000
	v_add_f32_e32 v7, v7, v9
	v_cmp_eq_f32_e32 vcc, s34, v50
	v_cmp_lt_f32_e64 s[34:35], |v50|, s7
	v_add_f32_e32 v7, v12, v7
	s_or_b64 vcc, vcc, s[34:35]
	v_cndmask_b32_e32 v7, v7, v50, vcc
	v_add_f32_e32 v44, v6, v7
.LBB136_59:
	s_or_b64 exec, exec, s[30:31]
	v_lshrrev_b32_e32 v6, 5, v0
	v_add_lshl_u32 v6, v6, v0, 2
	v_cmp_gt_u32_e32 vcc, 64, v0
	ds_write_b32 v6, v44
	s_waitcnt lgkmcnt(0)
	s_barrier
	s_and_saveexec_b64 s[40:41], vcc
	s_cbranch_execz .LBB136_91
; %bb.60:
	v_lshlrev_b32_e32 v6, 1, v0
	v_lshrrev_b32_e32 v7, 4, v0
	v_add_lshl_u32 v8, v7, v6, 2
	ds_read2_b32 v[6:7], v8 offset1:1
	s_movk_i32 s7, 0x1f8
	s_waitcnt lgkmcnt(0)
	v_max_f32_e32 v11, v7, v7
	v_max_f32_e32 v9, v6, v6
	v_min_f32_e32 v10, v9, v11
	v_cmp_u_f32_e64 s[30:31], v6, v6
	v_max_f32_e32 v11, v9, v11
	v_cndmask_b32_e64 v10, v10, v6, s[30:31]
	v_cmp_u_f32_e64 s[34:35], v7, v7
	v_cndmask_b32_e64 v11, v11, v6, s[30:31]
	v_cndmask_b32_e64 v10, v10, v7, s[34:35]
	;; [unrolled: 1-line block ×3, first 2 shown]
	v_cmp_neq_f32_e64 s[34:35], v10, v7
	v_cmp_class_f32_e64 s[36:37], v10, s7
	s_or_b64 s[34:35], s[34:35], s[36:37]
	v_mov_b32_e32 v11, v6
	s_and_saveexec_b64 s[36:37], s[34:35]
	s_cbranch_execz .LBB136_62
; %bb.61:
	v_sub_f32_e32 v10, v10, v7
	s_mov_b32 s7, 0x3fb8aa3b
	v_mul_f32_e32 v11, 0x3fb8aa3b, v10
	v_fma_f32 v12, v10, s7, -v11
	v_rndne_f32_e32 v13, v11
	v_fmac_f32_e32 v12, 0x32a5705f, v10
	v_sub_f32_e32 v11, v11, v13
	v_add_f32_e32 v11, v11, v12
	v_exp_f32_e32 v11, v11
	v_cvt_i32_f32_e32 v12, v13
	s_mov_b32 s7, 0xc2ce8ed0
	v_cmp_ngt_f32_e64 s[34:35], s7, v10
	s_mov_b32 s7, 0x42b17218
	v_ldexp_f32 v11, v11, v12
	v_cndmask_b32_e64 v11, 0, v11, s[34:35]
	v_mov_b32_e32 v12, 0x7f800000
	v_cmp_nlt_f32_e64 s[34:35], s7, v10
	v_cndmask_b32_e64 v45, v12, v11, s[34:35]
	v_add_f32_e32 v12, 1.0, v45
	v_add_f32_e32 v10, -1.0, v12
	v_sub_f32_e32 v11, v10, v12
	v_add_f32_e32 v11, 1.0, v11
	v_sub_f32_e32 v10, v45, v10
	v_add_f32_e32 v13, v10, v11
	v_frexp_mant_f32_e32 v14, v12
	s_mov_b32 s7, 0x3f2aaaab
	v_cvt_f64_f32_e32 v[10:11], v12
	v_frexp_exp_i32_f64_e32 v10, v[10:11]
	v_cmp_gt_f32_e64 s[34:35], s7, v14
	v_subbrev_co_u32_e64 v46, s[34:35], 0, v10, s[34:35]
	v_sub_u32_e32 v10, 0, v46
	v_ldexp_f32 v11, v12, v10
	v_add_f32_e32 v12, -1.0, v11
	v_add_f32_e32 v14, 1.0, v11
	v_ldexp_f32 v10, v13, v10
	v_add_f32_e32 v13, 1.0, v12
	v_add_f32_e32 v15, -1.0, v14
	v_sub_f32_e32 v13, v11, v13
	v_sub_f32_e32 v11, v11, v15
	v_add_f32_e32 v13, v10, v13
	v_add_f32_e32 v10, v10, v11
	;; [unrolled: 1-line block ×3, first 2 shown]
	v_rcp_f32_e32 v49, v47
	v_sub_f32_e32 v11, v14, v47
	v_add_f32_e32 v48, v10, v11
	v_add_f32_e32 v11, v12, v13
	v_mul_f32_e32 v51, v11, v49
	v_sub_f32_e32 v10, v12, v11
	v_mul_f32_e32 v12, v47, v51
	v_fma_f32 v14, v51, v47, -v12
	v_fmac_f32_e32 v14, v51, v48
	v_add_f32_e32 v50, v13, v10
	v_add_f32_e32 v10, v12, v14
	v_sub_f32_e32 v13, v11, v10
	v_pk_add_f32 v[16:17], v[10:11], v[12:13] neg_lo:[0,1] neg_hi:[0,1]
	v_mov_b32_e32 v15, v10
	v_pk_add_f32 v[10:11], v[16:17], v[14:15] neg_lo:[0,1] neg_hi:[0,1]
	v_add_f32_e32 v11, v50, v11
	v_add_f32_e32 v10, v10, v11
	;; [unrolled: 1-line block ×3, first 2 shown]
	v_mul_f32_e32 v50, v49, v11
	v_mul_f32_e32 v12, v47, v50
	v_fma_f32 v14, v50, v47, -v12
	v_fmac_f32_e32 v14, v50, v48
	v_sub_f32_e32 v13, v13, v11
	v_add_f32_e32 v47, v10, v13
	v_add_f32_e32 v10, v12, v14
	v_sub_f32_e32 v13, v11, v10
	v_pk_add_f32 v[16:17], v[10:11], v[12:13] neg_lo:[0,1] neg_hi:[0,1]
	v_mov_b32_e32 v15, v10
	v_pk_add_f32 v[10:11], v[16:17], v[14:15] neg_lo:[0,1] neg_hi:[0,1]
	v_add_f32_e32 v11, v47, v11
	v_add_f32_e32 v10, v10, v11
	;; [unrolled: 1-line block ×4, first 2 shown]
	v_sub_f32_e32 v11, v13, v51
	v_mul_f32_e32 v10, v49, v10
	v_sub_f32_e32 v11, v50, v11
	v_add_f32_e32 v10, v11, v10
	v_add_f32_e32 v14, v13, v10
	v_mul_f32_e32 v16, v14, v14
	v_mov_b32_e32 v12, 0x3ecc95a3
	v_fmac_f32_e32 v12, 0x3e9b6dac, v16
	v_mov_b32_e32 v11, 0x3f2aaada
	v_fmac_f32_e32 v11, v16, v12
	v_cvt_f32_i32_e32 v12, v46
	v_sub_f32_e32 v13, v14, v13
	v_sub_f32_e32 v10, v10, v13
	v_ldexp_f32 v17, v10, 1
	v_mul_f32_e32 v13, v14, v16
	v_mov_b32_e32 v10, 0x3f317218
	s_mov_b32 s7, 0x3f317218
	v_pk_mul_f32 v[10:11], v[12:13], v[10:11]
	v_ldexp_f32 v15, v14, 1
	v_fma_f32 v14, v12, s7, -v10
	v_fmac_f32_e32 v14, 0xb102e308, v12
	v_pk_add_f32 v[12:13], v[10:11], v[14:15]
	v_sub_f32_e32 v15, v13, v15
	v_sub_f32_e32 v15, v11, v15
	v_add_f32_e32 v17, v17, v15
	v_mov_b32_e32 v16, v10
	v_pk_add_f32 v[10:11], v[12:13], v[10:11] neg_lo:[0,1] neg_hi:[0,1]
	v_pk_add_f32 v[46:47], v[12:13], v[16:17]
	v_mov_b32_e32 v11, v47
	v_mov_b32_e32 v15, v12
	v_pk_add_f32 v[48:49], v[14:15], v[10:11] neg_lo:[0,1] neg_hi:[0,1]
	v_pk_add_f32 v[10:11], v[14:15], v[10:11]
	v_mov_b32_e32 v14, v11
	v_pk_add_f32 v[50:51], v[14:15], v[12:13] neg_lo:[0,1] neg_hi:[0,1]
	v_mov_b32_e32 v15, v50
	v_pk_add_f32 v[52:53], v[46:47], v[14:15] neg_lo:[0,1] neg_hi:[0,1]
	v_mov_b32_e32 v10, v47
	v_mov_b32_e32 v46, v13
	;; [unrolled: 1-line block ×4, first 2 shown]
	v_pk_add_f32 v[10:11], v[10:11], v[46:47] neg_lo:[0,1] neg_hi:[0,1]
	v_mov_b32_e32 v16, v17
	v_mov_b32_e32 v17, v12
	v_pk_add_f32 v[10:11], v[16:17], v[10:11] neg_lo:[0,1] neg_hi:[0,1]
	v_mov_b32_e32 v52, v48
	v_pk_add_f32 v[12:13], v[52:53], v[10:11]
	v_mov_b32_e32 v16, v13
	v_pk_add_f32 v[16:17], v[12:13], v[16:17]
	v_pk_add_f32 v[14:15], v[14:15], v[16:17]
	v_mov_b32_e32 v13, v14
	v_pk_add_f32 v[46:47], v[12:13], v[48:49] neg_lo:[0,1] neg_hi:[0,1]
	v_mov_b32_e32 v11, v16
	v_sub_f32_e32 v12, v12, v46
	v_pk_add_f32 v[10:11], v[10:11], v[46:47] neg_lo:[0,1] neg_hi:[0,1]
	v_sub_f32_e32 v12, v48, v12
	s_mov_b32 s42, 0x7f800000
	v_add_f32_e32 v10, v10, v12
	s_mov_b32 s7, 0x33800000
	v_add_f32_e32 v10, v10, v11
	v_cmp_eq_f32_e64 s[34:35], s42, v45
	v_cmp_lt_f32_e64 s[42:43], |v45|, s7
	v_add_f32_e32 v10, v14, v10
	s_or_b64 s[34:35], s[34:35], s[42:43]
	v_cndmask_b32_e64 v10, v10, v45, s[34:35]
	v_add_f32_e32 v11, v7, v10
.LBB136_62:
	s_or_b64 exec, exec, s[36:37]
	v_mbcnt_lo_u32_b32 v7, -1, 0
	v_mbcnt_hi_u32_b32 v7, -1, v7
	v_and_b32_e32 v10, 15, v7
	v_mov_b32_dpp v12, v11 row_shr:1 row_mask:0xf bank_mask:0xf
	v_cmp_ne_u32_e64 s[34:35], 0, v10
	s_and_saveexec_b64 s[42:43], s[34:35]
	s_cbranch_execz .LBB136_66
; %bb.63:
	v_max_f32_e32 v14, v11, v11
	v_max_f32_e32 v15, v12, v12
	v_min_f32_e32 v13, v15, v14
	v_cmp_u_f32_e64 s[34:35], v12, v12
	v_max_f32_e32 v14, v15, v14
	v_cndmask_b32_e64 v13, v13, v12, s[34:35]
	v_cmp_u_f32_e64 s[36:37], v11, v11
	v_cndmask_b32_e64 v14, v14, v12, s[34:35]
	v_cndmask_b32_e64 v13, v13, v11, s[36:37]
	;; [unrolled: 1-line block ×3, first 2 shown]
	s_movk_i32 s7, 0x1f8
	v_cmp_neq_f32_e64 s[34:35], v13, v11
	v_cmp_class_f32_e64 s[36:37], v13, s7
	s_or_b64 s[34:35], s[34:35], s[36:37]
	s_and_saveexec_b64 s[36:37], s[34:35]
	s_cbranch_execz .LBB136_65
; %bb.64:
	v_sub_f32_e32 v12, v13, v11
	s_mov_b32 s7, 0x3fb8aa3b
	v_mul_f32_e32 v13, 0x3fb8aa3b, v12
	v_fma_f32 v14, v12, s7, -v13
	v_rndne_f32_e32 v15, v13
	v_fmac_f32_e32 v14, 0x32a5705f, v12
	v_sub_f32_e32 v13, v13, v15
	v_add_f32_e32 v13, v13, v14
	v_exp_f32_e32 v13, v13
	v_cvt_i32_f32_e32 v14, v15
	s_mov_b32 s7, 0xc2ce8ed0
	v_cmp_ngt_f32_e64 s[34:35], s7, v12
	s_mov_b32 s7, 0x42b17218
	v_ldexp_f32 v13, v13, v14
	v_cndmask_b32_e64 v13, 0, v13, s[34:35]
	v_mov_b32_e32 v14, 0x7f800000
	v_cmp_nlt_f32_e64 s[34:35], s7, v12
	v_cndmask_b32_e64 v45, v14, v13, s[34:35]
	v_add_f32_e32 v14, 1.0, v45
	v_add_f32_e32 v12, -1.0, v14
	v_sub_f32_e32 v13, v12, v14
	v_add_f32_e32 v13, 1.0, v13
	v_sub_f32_e32 v12, v45, v12
	v_add_f32_e32 v15, v12, v13
	v_frexp_mant_f32_e32 v16, v14
	s_mov_b32 s7, 0x3f2aaaab
	v_cvt_f64_f32_e32 v[12:13], v14
	v_frexp_exp_i32_f64_e32 v12, v[12:13]
	v_cmp_gt_f32_e64 s[34:35], s7, v16
	v_subbrev_co_u32_e64 v48, s[34:35], 0, v12, s[34:35]
	v_sub_u32_e32 v12, 0, v48
	v_ldexp_f32 v13, v14, v12
	v_add_f32_e32 v14, -1.0, v13
	v_add_f32_e32 v16, 1.0, v13
	v_ldexp_f32 v12, v15, v12
	v_add_f32_e32 v15, 1.0, v14
	v_add_f32_e32 v17, -1.0, v16
	v_sub_f32_e32 v15, v13, v15
	v_sub_f32_e32 v13, v13, v17
	v_add_f32_e32 v15, v12, v15
	v_add_f32_e32 v12, v12, v13
	;; [unrolled: 1-line block ×3, first 2 shown]
	v_rcp_f32_e32 v51, v49
	v_sub_f32_e32 v13, v16, v49
	v_add_f32_e32 v50, v12, v13
	v_add_f32_e32 v13, v14, v15
	v_mul_f32_e32 v53, v13, v51
	v_sub_f32_e32 v12, v14, v13
	v_mul_f32_e32 v14, v49, v53
	v_fma_f32 v16, v53, v49, -v14
	v_fmac_f32_e32 v16, v53, v50
	v_add_f32_e32 v52, v15, v12
	v_add_f32_e32 v12, v14, v16
	v_sub_f32_e32 v15, v13, v12
	v_pk_add_f32 v[46:47], v[12:13], v[14:15] neg_lo:[0,1] neg_hi:[0,1]
	v_mov_b32_e32 v17, v12
	v_pk_add_f32 v[12:13], v[46:47], v[16:17] neg_lo:[0,1] neg_hi:[0,1]
	v_add_f32_e32 v13, v52, v13
	v_add_f32_e32 v12, v12, v13
	;; [unrolled: 1-line block ×3, first 2 shown]
	v_mul_f32_e32 v52, v51, v13
	v_mul_f32_e32 v14, v49, v52
	v_fma_f32 v16, v52, v49, -v14
	v_fmac_f32_e32 v16, v52, v50
	v_sub_f32_e32 v15, v15, v13
	v_add_f32_e32 v49, v12, v15
	v_add_f32_e32 v12, v14, v16
	v_sub_f32_e32 v15, v13, v12
	v_pk_add_f32 v[46:47], v[12:13], v[14:15] neg_lo:[0,1] neg_hi:[0,1]
	v_mov_b32_e32 v17, v12
	v_pk_add_f32 v[12:13], v[46:47], v[16:17] neg_lo:[0,1] neg_hi:[0,1]
	v_add_f32_e32 v13, v49, v13
	v_add_f32_e32 v12, v12, v13
	;; [unrolled: 1-line block ×4, first 2 shown]
	v_sub_f32_e32 v13, v15, v53
	v_mul_f32_e32 v12, v51, v12
	v_sub_f32_e32 v13, v52, v13
	v_add_f32_e32 v12, v13, v12
	v_add_f32_e32 v16, v15, v12
	v_mul_f32_e32 v46, v16, v16
	v_mov_b32_e32 v14, 0x3ecc95a3
	v_fmac_f32_e32 v14, 0x3e9b6dac, v46
	v_mov_b32_e32 v13, 0x3f2aaada
	v_fmac_f32_e32 v13, v46, v14
	v_cvt_f32_i32_e32 v14, v48
	v_sub_f32_e32 v15, v16, v15
	v_sub_f32_e32 v12, v12, v15
	v_ldexp_f32 v47, v12, 1
	v_mul_f32_e32 v15, v16, v46
	v_mov_b32_e32 v12, 0x3f317218
	s_mov_b32 s7, 0x3f317218
	v_pk_mul_f32 v[12:13], v[14:15], v[12:13]
	v_ldexp_f32 v17, v16, 1
	v_fma_f32 v16, v14, s7, -v12
	v_fmac_f32_e32 v16, 0xb102e308, v14
	v_pk_add_f32 v[14:15], v[12:13], v[16:17]
	v_sub_f32_e32 v17, v15, v17
	v_sub_f32_e32 v17, v13, v17
	v_add_f32_e32 v47, v47, v17
	v_mov_b32_e32 v46, v12
	v_pk_add_f32 v[12:13], v[14:15], v[12:13] neg_lo:[0,1] neg_hi:[0,1]
	v_pk_add_f32 v[48:49], v[14:15], v[46:47]
	v_mov_b32_e32 v13, v49
	v_mov_b32_e32 v17, v14
	v_pk_add_f32 v[50:51], v[16:17], v[12:13] neg_lo:[0,1] neg_hi:[0,1]
	v_pk_add_f32 v[12:13], v[16:17], v[12:13]
	v_mov_b32_e32 v16, v13
	v_pk_add_f32 v[52:53], v[16:17], v[14:15] neg_lo:[0,1] neg_hi:[0,1]
	v_mov_b32_e32 v17, v52
	v_pk_add_f32 v[54:55], v[48:49], v[16:17] neg_lo:[0,1] neg_hi:[0,1]
	v_mov_b32_e32 v12, v49
	v_mov_b32_e32 v48, v15
	;; [unrolled: 1-line block ×4, first 2 shown]
	v_pk_add_f32 v[12:13], v[12:13], v[48:49] neg_lo:[0,1] neg_hi:[0,1]
	v_mov_b32_e32 v46, v47
	v_mov_b32_e32 v47, v14
	v_pk_add_f32 v[12:13], v[46:47], v[12:13] neg_lo:[0,1] neg_hi:[0,1]
	v_mov_b32_e32 v54, v50
	v_pk_add_f32 v[14:15], v[54:55], v[12:13]
	v_mov_b32_e32 v46, v15
	v_pk_add_f32 v[46:47], v[14:15], v[46:47]
	v_pk_add_f32 v[16:17], v[16:17], v[46:47]
	v_mov_b32_e32 v15, v16
	v_pk_add_f32 v[48:49], v[14:15], v[50:51] neg_lo:[0,1] neg_hi:[0,1]
	v_mov_b32_e32 v13, v46
	v_sub_f32_e32 v14, v14, v48
	v_pk_add_f32 v[12:13], v[12:13], v[48:49] neg_lo:[0,1] neg_hi:[0,1]
	v_sub_f32_e32 v14, v50, v14
	s_mov_b32 s54, 0x7f800000
	v_add_f32_e32 v12, v12, v14
	s_mov_b32 s7, 0x33800000
	v_add_f32_e32 v12, v12, v13
	v_cmp_eq_f32_e64 s[34:35], s54, v45
	v_cmp_lt_f32_e64 s[54:55], |v45|, s7
	v_add_f32_e32 v12, v16, v12
	s_or_b64 s[34:35], s[34:35], s[54:55]
	v_cndmask_b32_e64 v12, v12, v45, s[34:35]
	v_add_f32_e32 v12, v11, v12
.LBB136_65:
	s_or_b64 exec, exec, s[36:37]
	v_mov_b32_e32 v11, v12
.LBB136_66:
	s_or_b64 exec, exec, s[42:43]
	s_nop 0
	v_mov_b32_dpp v12, v11 row_shr:2 row_mask:0xf bank_mask:0xf
	v_cmp_lt_u32_e64 s[34:35], 1, v10
	s_and_saveexec_b64 s[42:43], s[34:35]
	s_cbranch_execz .LBB136_70
; %bb.67:
	v_max_f32_e32 v14, v11, v11
	v_max_f32_e32 v15, v12, v12
	v_min_f32_e32 v13, v15, v14
	v_cmp_u_f32_e64 s[34:35], v12, v12
	v_max_f32_e32 v14, v15, v14
	v_cndmask_b32_e64 v13, v13, v12, s[34:35]
	v_cmp_u_f32_e64 s[36:37], v11, v11
	v_cndmask_b32_e64 v14, v14, v12, s[34:35]
	v_cndmask_b32_e64 v13, v13, v11, s[36:37]
	;; [unrolled: 1-line block ×3, first 2 shown]
	s_movk_i32 s7, 0x1f8
	v_cmp_neq_f32_e64 s[34:35], v13, v11
	v_cmp_class_f32_e64 s[36:37], v13, s7
	s_or_b64 s[34:35], s[34:35], s[36:37]
	s_and_saveexec_b64 s[36:37], s[34:35]
	s_cbranch_execz .LBB136_69
; %bb.68:
	v_sub_f32_e32 v12, v13, v11
	s_mov_b32 s7, 0x3fb8aa3b
	v_mul_f32_e32 v13, 0x3fb8aa3b, v12
	v_fma_f32 v14, v12, s7, -v13
	v_rndne_f32_e32 v15, v13
	v_fmac_f32_e32 v14, 0x32a5705f, v12
	v_sub_f32_e32 v13, v13, v15
	v_add_f32_e32 v13, v13, v14
	v_exp_f32_e32 v13, v13
	v_cvt_i32_f32_e32 v14, v15
	s_mov_b32 s7, 0xc2ce8ed0
	v_cmp_ngt_f32_e64 s[34:35], s7, v12
	s_mov_b32 s7, 0x42b17218
	v_ldexp_f32 v13, v13, v14
	v_cndmask_b32_e64 v13, 0, v13, s[34:35]
	v_mov_b32_e32 v14, 0x7f800000
	v_cmp_nlt_f32_e64 s[34:35], s7, v12
	v_cndmask_b32_e64 v45, v14, v13, s[34:35]
	v_add_f32_e32 v14, 1.0, v45
	v_add_f32_e32 v12, -1.0, v14
	v_sub_f32_e32 v13, v12, v14
	v_add_f32_e32 v13, 1.0, v13
	v_sub_f32_e32 v12, v45, v12
	v_add_f32_e32 v15, v12, v13
	v_frexp_mant_f32_e32 v16, v14
	s_mov_b32 s7, 0x3f2aaaab
	v_cvt_f64_f32_e32 v[12:13], v14
	v_frexp_exp_i32_f64_e32 v12, v[12:13]
	v_cmp_gt_f32_e64 s[34:35], s7, v16
	v_subbrev_co_u32_e64 v48, s[34:35], 0, v12, s[34:35]
	v_sub_u32_e32 v12, 0, v48
	v_ldexp_f32 v13, v14, v12
	v_add_f32_e32 v14, -1.0, v13
	v_add_f32_e32 v16, 1.0, v13
	v_ldexp_f32 v12, v15, v12
	v_add_f32_e32 v15, 1.0, v14
	v_add_f32_e32 v17, -1.0, v16
	v_sub_f32_e32 v15, v13, v15
	v_sub_f32_e32 v13, v13, v17
	v_add_f32_e32 v15, v12, v15
	v_add_f32_e32 v12, v12, v13
	;; [unrolled: 1-line block ×3, first 2 shown]
	v_rcp_f32_e32 v51, v49
	v_sub_f32_e32 v13, v16, v49
	v_add_f32_e32 v50, v12, v13
	v_add_f32_e32 v13, v14, v15
	v_mul_f32_e32 v53, v13, v51
	v_sub_f32_e32 v12, v14, v13
	v_mul_f32_e32 v14, v49, v53
	v_fma_f32 v16, v53, v49, -v14
	v_fmac_f32_e32 v16, v53, v50
	v_add_f32_e32 v52, v15, v12
	v_add_f32_e32 v12, v14, v16
	v_sub_f32_e32 v15, v13, v12
	v_pk_add_f32 v[46:47], v[12:13], v[14:15] neg_lo:[0,1] neg_hi:[0,1]
	v_mov_b32_e32 v17, v12
	v_pk_add_f32 v[12:13], v[46:47], v[16:17] neg_lo:[0,1] neg_hi:[0,1]
	v_add_f32_e32 v13, v52, v13
	v_add_f32_e32 v12, v12, v13
	;; [unrolled: 1-line block ×3, first 2 shown]
	v_mul_f32_e32 v52, v51, v13
	v_mul_f32_e32 v14, v49, v52
	v_fma_f32 v16, v52, v49, -v14
	v_fmac_f32_e32 v16, v52, v50
	v_sub_f32_e32 v15, v15, v13
	v_add_f32_e32 v49, v12, v15
	v_add_f32_e32 v12, v14, v16
	v_sub_f32_e32 v15, v13, v12
	v_pk_add_f32 v[46:47], v[12:13], v[14:15] neg_lo:[0,1] neg_hi:[0,1]
	v_mov_b32_e32 v17, v12
	v_pk_add_f32 v[12:13], v[46:47], v[16:17] neg_lo:[0,1] neg_hi:[0,1]
	v_add_f32_e32 v13, v49, v13
	v_add_f32_e32 v12, v12, v13
	;; [unrolled: 1-line block ×4, first 2 shown]
	v_sub_f32_e32 v13, v15, v53
	v_mul_f32_e32 v12, v51, v12
	v_sub_f32_e32 v13, v52, v13
	v_add_f32_e32 v12, v13, v12
	v_add_f32_e32 v16, v15, v12
	v_mul_f32_e32 v46, v16, v16
	v_mov_b32_e32 v14, 0x3ecc95a3
	v_fmac_f32_e32 v14, 0x3e9b6dac, v46
	v_mov_b32_e32 v13, 0x3f2aaada
	v_fmac_f32_e32 v13, v46, v14
	v_cvt_f32_i32_e32 v14, v48
	v_sub_f32_e32 v15, v16, v15
	v_sub_f32_e32 v12, v12, v15
	v_ldexp_f32 v47, v12, 1
	v_mul_f32_e32 v15, v16, v46
	v_mov_b32_e32 v12, 0x3f317218
	s_mov_b32 s7, 0x3f317218
	v_pk_mul_f32 v[12:13], v[14:15], v[12:13]
	v_ldexp_f32 v17, v16, 1
	v_fma_f32 v16, v14, s7, -v12
	v_fmac_f32_e32 v16, 0xb102e308, v14
	v_pk_add_f32 v[14:15], v[12:13], v[16:17]
	v_sub_f32_e32 v17, v15, v17
	v_sub_f32_e32 v17, v13, v17
	v_add_f32_e32 v47, v47, v17
	v_mov_b32_e32 v46, v12
	v_pk_add_f32 v[12:13], v[14:15], v[12:13] neg_lo:[0,1] neg_hi:[0,1]
	v_pk_add_f32 v[48:49], v[14:15], v[46:47]
	v_mov_b32_e32 v13, v49
	v_mov_b32_e32 v17, v14
	v_pk_add_f32 v[50:51], v[16:17], v[12:13] neg_lo:[0,1] neg_hi:[0,1]
	v_pk_add_f32 v[12:13], v[16:17], v[12:13]
	v_mov_b32_e32 v16, v13
	v_pk_add_f32 v[52:53], v[16:17], v[14:15] neg_lo:[0,1] neg_hi:[0,1]
	v_mov_b32_e32 v17, v52
	v_pk_add_f32 v[54:55], v[48:49], v[16:17] neg_lo:[0,1] neg_hi:[0,1]
	v_mov_b32_e32 v12, v49
	v_mov_b32_e32 v48, v15
	;; [unrolled: 1-line block ×4, first 2 shown]
	v_pk_add_f32 v[12:13], v[12:13], v[48:49] neg_lo:[0,1] neg_hi:[0,1]
	v_mov_b32_e32 v46, v47
	v_mov_b32_e32 v47, v14
	v_pk_add_f32 v[12:13], v[46:47], v[12:13] neg_lo:[0,1] neg_hi:[0,1]
	v_mov_b32_e32 v54, v50
	v_pk_add_f32 v[14:15], v[54:55], v[12:13]
	v_mov_b32_e32 v46, v15
	v_pk_add_f32 v[46:47], v[14:15], v[46:47]
	v_pk_add_f32 v[16:17], v[16:17], v[46:47]
	v_mov_b32_e32 v15, v16
	v_pk_add_f32 v[48:49], v[14:15], v[50:51] neg_lo:[0,1] neg_hi:[0,1]
	v_mov_b32_e32 v13, v46
	v_sub_f32_e32 v14, v14, v48
	v_pk_add_f32 v[12:13], v[12:13], v[48:49] neg_lo:[0,1] neg_hi:[0,1]
	v_sub_f32_e32 v14, v50, v14
	s_mov_b32 s54, 0x7f800000
	v_add_f32_e32 v12, v12, v14
	s_mov_b32 s7, 0x33800000
	v_add_f32_e32 v12, v12, v13
	v_cmp_eq_f32_e64 s[34:35], s54, v45
	v_cmp_lt_f32_e64 s[54:55], |v45|, s7
	v_add_f32_e32 v12, v16, v12
	s_or_b64 s[34:35], s[34:35], s[54:55]
	v_cndmask_b32_e64 v12, v12, v45, s[34:35]
	v_add_f32_e32 v12, v11, v12
.LBB136_69:
	s_or_b64 exec, exec, s[36:37]
	v_mov_b32_e32 v11, v12
.LBB136_70:
	s_or_b64 exec, exec, s[42:43]
	s_nop 0
	v_mov_b32_dpp v12, v11 row_shr:4 row_mask:0xf bank_mask:0xf
	v_cmp_lt_u32_e64 s[34:35], 3, v10
	s_and_saveexec_b64 s[42:43], s[34:35]
	s_cbranch_execz .LBB136_74
; %bb.71:
	v_max_f32_e32 v14, v11, v11
	v_max_f32_e32 v15, v12, v12
	v_min_f32_e32 v13, v15, v14
	v_cmp_u_f32_e64 s[34:35], v12, v12
	v_max_f32_e32 v14, v15, v14
	v_cndmask_b32_e64 v13, v13, v12, s[34:35]
	v_cmp_u_f32_e64 s[36:37], v11, v11
	v_cndmask_b32_e64 v14, v14, v12, s[34:35]
	v_cndmask_b32_e64 v13, v13, v11, s[36:37]
	;; [unrolled: 1-line block ×3, first 2 shown]
	s_movk_i32 s7, 0x1f8
	v_cmp_neq_f32_e64 s[34:35], v13, v11
	v_cmp_class_f32_e64 s[36:37], v13, s7
	s_or_b64 s[34:35], s[34:35], s[36:37]
	s_and_saveexec_b64 s[36:37], s[34:35]
	s_cbranch_execz .LBB136_73
; %bb.72:
	v_sub_f32_e32 v12, v13, v11
	s_mov_b32 s7, 0x3fb8aa3b
	v_mul_f32_e32 v13, 0x3fb8aa3b, v12
	v_fma_f32 v14, v12, s7, -v13
	v_rndne_f32_e32 v15, v13
	v_fmac_f32_e32 v14, 0x32a5705f, v12
	v_sub_f32_e32 v13, v13, v15
	v_add_f32_e32 v13, v13, v14
	v_exp_f32_e32 v13, v13
	v_cvt_i32_f32_e32 v14, v15
	s_mov_b32 s7, 0xc2ce8ed0
	v_cmp_ngt_f32_e64 s[34:35], s7, v12
	s_mov_b32 s7, 0x42b17218
	v_ldexp_f32 v13, v13, v14
	v_cndmask_b32_e64 v13, 0, v13, s[34:35]
	v_mov_b32_e32 v14, 0x7f800000
	v_cmp_nlt_f32_e64 s[34:35], s7, v12
	v_cndmask_b32_e64 v45, v14, v13, s[34:35]
	v_add_f32_e32 v14, 1.0, v45
	v_add_f32_e32 v12, -1.0, v14
	v_sub_f32_e32 v13, v12, v14
	v_add_f32_e32 v13, 1.0, v13
	v_sub_f32_e32 v12, v45, v12
	v_add_f32_e32 v15, v12, v13
	v_frexp_mant_f32_e32 v16, v14
	s_mov_b32 s7, 0x3f2aaaab
	v_cvt_f64_f32_e32 v[12:13], v14
	v_frexp_exp_i32_f64_e32 v12, v[12:13]
	v_cmp_gt_f32_e64 s[34:35], s7, v16
	v_subbrev_co_u32_e64 v48, s[34:35], 0, v12, s[34:35]
	v_sub_u32_e32 v12, 0, v48
	v_ldexp_f32 v13, v14, v12
	v_add_f32_e32 v14, -1.0, v13
	v_add_f32_e32 v16, 1.0, v13
	v_ldexp_f32 v12, v15, v12
	v_add_f32_e32 v15, 1.0, v14
	v_add_f32_e32 v17, -1.0, v16
	v_sub_f32_e32 v15, v13, v15
	v_sub_f32_e32 v13, v13, v17
	v_add_f32_e32 v15, v12, v15
	v_add_f32_e32 v12, v12, v13
	;; [unrolled: 1-line block ×3, first 2 shown]
	v_rcp_f32_e32 v51, v49
	v_sub_f32_e32 v13, v16, v49
	v_add_f32_e32 v50, v12, v13
	v_add_f32_e32 v13, v14, v15
	v_mul_f32_e32 v53, v13, v51
	v_sub_f32_e32 v12, v14, v13
	v_mul_f32_e32 v14, v49, v53
	v_fma_f32 v16, v53, v49, -v14
	v_fmac_f32_e32 v16, v53, v50
	v_add_f32_e32 v52, v15, v12
	v_add_f32_e32 v12, v14, v16
	v_sub_f32_e32 v15, v13, v12
	v_pk_add_f32 v[46:47], v[12:13], v[14:15] neg_lo:[0,1] neg_hi:[0,1]
	v_mov_b32_e32 v17, v12
	v_pk_add_f32 v[12:13], v[46:47], v[16:17] neg_lo:[0,1] neg_hi:[0,1]
	v_add_f32_e32 v13, v52, v13
	v_add_f32_e32 v12, v12, v13
	;; [unrolled: 1-line block ×3, first 2 shown]
	v_mul_f32_e32 v52, v51, v13
	v_mul_f32_e32 v14, v49, v52
	v_fma_f32 v16, v52, v49, -v14
	v_fmac_f32_e32 v16, v52, v50
	v_sub_f32_e32 v15, v15, v13
	v_add_f32_e32 v49, v12, v15
	v_add_f32_e32 v12, v14, v16
	v_sub_f32_e32 v15, v13, v12
	v_pk_add_f32 v[46:47], v[12:13], v[14:15] neg_lo:[0,1] neg_hi:[0,1]
	v_mov_b32_e32 v17, v12
	v_pk_add_f32 v[12:13], v[46:47], v[16:17] neg_lo:[0,1] neg_hi:[0,1]
	v_add_f32_e32 v13, v49, v13
	v_add_f32_e32 v12, v12, v13
	;; [unrolled: 1-line block ×4, first 2 shown]
	v_sub_f32_e32 v13, v15, v53
	v_mul_f32_e32 v12, v51, v12
	v_sub_f32_e32 v13, v52, v13
	v_add_f32_e32 v12, v13, v12
	v_add_f32_e32 v16, v15, v12
	v_mul_f32_e32 v46, v16, v16
	v_mov_b32_e32 v14, 0x3ecc95a3
	v_fmac_f32_e32 v14, 0x3e9b6dac, v46
	v_mov_b32_e32 v13, 0x3f2aaada
	v_fmac_f32_e32 v13, v46, v14
	v_cvt_f32_i32_e32 v14, v48
	v_sub_f32_e32 v15, v16, v15
	v_sub_f32_e32 v12, v12, v15
	v_ldexp_f32 v47, v12, 1
	v_mul_f32_e32 v15, v16, v46
	v_mov_b32_e32 v12, 0x3f317218
	s_mov_b32 s7, 0x3f317218
	v_pk_mul_f32 v[12:13], v[14:15], v[12:13]
	v_ldexp_f32 v17, v16, 1
	v_fma_f32 v16, v14, s7, -v12
	v_fmac_f32_e32 v16, 0xb102e308, v14
	v_pk_add_f32 v[14:15], v[12:13], v[16:17]
	v_sub_f32_e32 v17, v15, v17
	v_sub_f32_e32 v17, v13, v17
	v_add_f32_e32 v47, v47, v17
	v_mov_b32_e32 v46, v12
	v_pk_add_f32 v[12:13], v[14:15], v[12:13] neg_lo:[0,1] neg_hi:[0,1]
	v_pk_add_f32 v[48:49], v[14:15], v[46:47]
	v_mov_b32_e32 v13, v49
	v_mov_b32_e32 v17, v14
	v_pk_add_f32 v[50:51], v[16:17], v[12:13] neg_lo:[0,1] neg_hi:[0,1]
	v_pk_add_f32 v[12:13], v[16:17], v[12:13]
	v_mov_b32_e32 v16, v13
	v_pk_add_f32 v[52:53], v[16:17], v[14:15] neg_lo:[0,1] neg_hi:[0,1]
	v_mov_b32_e32 v17, v52
	v_pk_add_f32 v[54:55], v[48:49], v[16:17] neg_lo:[0,1] neg_hi:[0,1]
	v_mov_b32_e32 v12, v49
	v_mov_b32_e32 v48, v15
	;; [unrolled: 1-line block ×4, first 2 shown]
	v_pk_add_f32 v[12:13], v[12:13], v[48:49] neg_lo:[0,1] neg_hi:[0,1]
	v_mov_b32_e32 v46, v47
	v_mov_b32_e32 v47, v14
	v_pk_add_f32 v[12:13], v[46:47], v[12:13] neg_lo:[0,1] neg_hi:[0,1]
	v_mov_b32_e32 v54, v50
	v_pk_add_f32 v[14:15], v[54:55], v[12:13]
	v_mov_b32_e32 v46, v15
	v_pk_add_f32 v[46:47], v[14:15], v[46:47]
	v_pk_add_f32 v[16:17], v[16:17], v[46:47]
	v_mov_b32_e32 v15, v16
	v_pk_add_f32 v[48:49], v[14:15], v[50:51] neg_lo:[0,1] neg_hi:[0,1]
	v_mov_b32_e32 v13, v46
	v_sub_f32_e32 v14, v14, v48
	v_pk_add_f32 v[12:13], v[12:13], v[48:49] neg_lo:[0,1] neg_hi:[0,1]
	v_sub_f32_e32 v14, v50, v14
	s_mov_b32 s54, 0x7f800000
	v_add_f32_e32 v12, v12, v14
	s_mov_b32 s7, 0x33800000
	v_add_f32_e32 v12, v12, v13
	v_cmp_eq_f32_e64 s[34:35], s54, v45
	v_cmp_lt_f32_e64 s[54:55], |v45|, s7
	v_add_f32_e32 v12, v16, v12
	s_or_b64 s[34:35], s[34:35], s[54:55]
	v_cndmask_b32_e64 v12, v12, v45, s[34:35]
	v_add_f32_e32 v12, v11, v12
.LBB136_73:
	s_or_b64 exec, exec, s[36:37]
	v_mov_b32_e32 v11, v12
.LBB136_74:
	s_or_b64 exec, exec, s[42:43]
	s_nop 0
	v_mov_b32_dpp v12, v11 row_shr:8 row_mask:0xf bank_mask:0xf
	v_cmp_lt_u32_e64 s[34:35], 7, v10
	s_and_saveexec_b64 s[42:43], s[34:35]
	s_cbranch_execz .LBB136_78
; %bb.75:
	v_max_f32_e32 v10, v11, v11
	v_max_f32_e32 v14, v12, v12
	v_min_f32_e32 v13, v14, v10
	v_cmp_u_f32_e64 s[34:35], v12, v12
	v_max_f32_e32 v10, v14, v10
	v_cndmask_b32_e64 v13, v13, v12, s[34:35]
	v_cmp_u_f32_e64 s[36:37], v11, v11
	v_cndmask_b32_e64 v10, v10, v12, s[34:35]
	v_cndmask_b32_e64 v13, v13, v11, s[36:37]
	v_cndmask_b32_e64 v10, v10, v11, s[36:37]
	s_movk_i32 s7, 0x1f8
	v_cmp_neq_f32_e64 s[34:35], v13, v10
	v_cmp_class_f32_e64 s[36:37], v13, s7
	s_or_b64 s[34:35], s[34:35], s[36:37]
	s_and_saveexec_b64 s[36:37], s[34:35]
	s_cbranch_execz .LBB136_77
; %bb.76:
	v_sub_f32_e32 v11, v13, v10
	s_mov_b32 s7, 0x3fb8aa3b
	v_mul_f32_e32 v12, 0x3fb8aa3b, v11
	v_fma_f32 v13, v11, s7, -v12
	v_rndne_f32_e32 v14, v12
	v_fmac_f32_e32 v13, 0x32a5705f, v11
	v_sub_f32_e32 v12, v12, v14
	v_add_f32_e32 v12, v12, v13
	v_exp_f32_e32 v12, v12
	v_cvt_i32_f32_e32 v13, v14
	s_mov_b32 s7, 0xc2ce8ed0
	v_cmp_ngt_f32_e64 s[34:35], s7, v11
	s_mov_b32 s7, 0x42b17218
	v_ldexp_f32 v12, v12, v13
	v_cndmask_b32_e64 v12, 0, v12, s[34:35]
	v_mov_b32_e32 v13, 0x7f800000
	v_cmp_nlt_f32_e64 s[34:35], s7, v11
	v_cndmask_b32_e64 v45, v13, v12, s[34:35]
	v_add_f32_e32 v11, 1.0, v45
	v_add_f32_e32 v12, -1.0, v11
	v_sub_f32_e32 v13, v12, v11
	v_add_f32_e32 v13, 1.0, v13
	v_sub_f32_e32 v12, v45, v12
	v_add_f32_e32 v14, v12, v13
	v_frexp_mant_f32_e32 v15, v11
	s_mov_b32 s7, 0x3f2aaaab
	v_cvt_f64_f32_e32 v[12:13], v11
	v_frexp_exp_i32_f64_e32 v12, v[12:13]
	v_cmp_gt_f32_e64 s[34:35], s7, v15
	v_subbrev_co_u32_e64 v48, s[34:35], 0, v12, s[34:35]
	v_sub_u32_e32 v12, 0, v48
	v_ldexp_f32 v11, v11, v12
	v_ldexp_f32 v12, v14, v12
	v_add_f32_e32 v14, -1.0, v11
	v_add_f32_e32 v13, 1.0, v14
	v_sub_f32_e32 v13, v11, v13
	v_add_f32_e32 v15, v12, v13
	v_add_f32_e32 v13, 1.0, v11
	v_add_f32_e32 v16, -1.0, v13
	v_sub_f32_e32 v11, v11, v16
	v_add_f32_e32 v11, v12, v11
	v_add_f32_e32 v49, v13, v11
	v_rcp_f32_e32 v50, v49
	v_sub_f32_e32 v12, v13, v49
	v_add_f32_e32 v13, v14, v15
	v_add_f32_e32 v11, v11, v12
	v_mul_f32_e32 v52, v13, v50
	v_sub_f32_e32 v12, v14, v13
	v_mul_f32_e32 v14, v49, v52
	v_fma_f32 v16, v52, v49, -v14
	v_fmac_f32_e32 v16, v52, v11
	v_add_f32_e32 v51, v15, v12
	v_add_f32_e32 v12, v14, v16
	v_sub_f32_e32 v15, v13, v12
	v_pk_add_f32 v[46:47], v[12:13], v[14:15] neg_lo:[0,1] neg_hi:[0,1]
	v_mov_b32_e32 v17, v12
	v_pk_add_f32 v[12:13], v[46:47], v[16:17] neg_lo:[0,1] neg_hi:[0,1]
	v_add_f32_e32 v13, v51, v13
	v_add_f32_e32 v12, v12, v13
	v_add_f32_e32 v13, v15, v12
	v_mul_f32_e32 v51, v50, v13
	v_mul_f32_e32 v14, v49, v51
	v_fma_f32 v16, v51, v49, -v14
	v_fmac_f32_e32 v16, v51, v11
	v_sub_f32_e32 v11, v15, v13
	v_add_f32_e32 v11, v12, v11
	v_add_f32_e32 v12, v14, v16
	v_sub_f32_e32 v15, v13, v12
	v_pk_add_f32 v[46:47], v[12:13], v[14:15] neg_lo:[0,1] neg_hi:[0,1]
	v_mov_b32_e32 v17, v12
	v_pk_add_f32 v[12:13], v[46:47], v[16:17] neg_lo:[0,1] neg_hi:[0,1]
	v_add_f32_e32 v11, v11, v13
	v_add_f32_e32 v11, v12, v11
	;; [unrolled: 1-line block ×4, first 2 shown]
	v_sub_f32_e32 v13, v12, v52
	v_mul_f32_e32 v11, v50, v11
	v_sub_f32_e32 v13, v51, v13
	v_add_f32_e32 v11, v13, v11
	v_add_f32_e32 v15, v12, v11
	v_mul_f32_e32 v16, v15, v15
	v_mov_b32_e32 v14, 0x3ecc95a3
	v_fmac_f32_e32 v14, 0x3e9b6dac, v16
	v_mov_b32_e32 v13, 0x3f2aaada
	v_fmac_f32_e32 v13, v16, v14
	v_cvt_f32_i32_e32 v14, v48
	v_sub_f32_e32 v12, v15, v12
	v_sub_f32_e32 v11, v11, v12
	v_ldexp_f32 v17, v15, 1
	v_mul_f32_e32 v15, v15, v16
	v_mov_b32_e32 v12, 0x3f317218
	s_mov_b32 s7, 0x3f317218
	v_pk_mul_f32 v[12:13], v[14:15], v[12:13]
	v_fma_f32 v16, v14, s7, -v12
	v_fmac_f32_e32 v16, 0xb102e308, v14
	v_pk_add_f32 v[14:15], v[12:13], v[16:17]
	v_sub_f32_e32 v17, v15, v17
	v_ldexp_f32 v11, v11, 1
	v_sub_f32_e32 v17, v13, v17
	v_add_f32_e32 v47, v11, v17
	v_mov_b32_e32 v46, v12
	v_pk_add_f32 v[12:13], v[14:15], v[12:13] neg_lo:[0,1] neg_hi:[0,1]
	v_pk_add_f32 v[48:49], v[14:15], v[46:47]
	v_mov_b32_e32 v13, v49
	v_mov_b32_e32 v17, v14
	v_pk_add_f32 v[50:51], v[16:17], v[12:13] neg_lo:[0,1] neg_hi:[0,1]
	v_pk_add_f32 v[12:13], v[16:17], v[12:13]
	v_mov_b32_e32 v16, v13
	v_pk_add_f32 v[52:53], v[16:17], v[14:15] neg_lo:[0,1] neg_hi:[0,1]
	v_mov_b32_e32 v11, v52
	v_pk_add_f32 v[54:55], v[48:49], v[10:11] neg_lo:[0,1] neg_hi:[0,1]
	v_mov_b32_e32 v12, v49
	v_mov_b32_e32 v48, v15
	;; [unrolled: 1-line block ×4, first 2 shown]
	v_pk_add_f32 v[12:13], v[12:13], v[48:49] neg_lo:[0,1] neg_hi:[0,1]
	v_mov_b32_e32 v46, v47
	v_mov_b32_e32 v47, v14
	v_pk_add_f32 v[12:13], v[46:47], v[12:13] neg_lo:[0,1] neg_hi:[0,1]
	v_mov_b32_e32 v54, v50
	v_pk_add_f32 v[14:15], v[54:55], v[12:13]
	v_mov_b32_e32 v46, v15
	v_pk_add_f32 v[46:47], v[14:15], v[46:47]
	v_pk_add_f32 v[16:17], v[16:17], v[46:47]
	v_mov_b32_e32 v15, v16
	v_pk_add_f32 v[48:49], v[14:15], v[50:51] neg_lo:[0,1] neg_hi:[0,1]
	v_mov_b32_e32 v13, v46
	v_sub_f32_e32 v11, v14, v48
	v_pk_add_f32 v[12:13], v[12:13], v[48:49] neg_lo:[0,1] neg_hi:[0,1]
	v_sub_f32_e32 v11, v50, v11
	s_mov_b32 s54, 0x7f800000
	v_add_f32_e32 v11, v12, v11
	s_mov_b32 s7, 0x33800000
	v_add_f32_e32 v11, v11, v13
	v_cmp_eq_f32_e64 s[34:35], s54, v45
	v_cmp_lt_f32_e64 s[54:55], |v45|, s7
	v_add_f32_e32 v11, v16, v11
	s_or_b64 s[34:35], s[34:35], s[54:55]
	v_cndmask_b32_e64 v11, v11, v45, s[34:35]
	v_add_f32_e32 v12, v10, v11
.LBB136_77:
	s_or_b64 exec, exec, s[36:37]
	v_mov_b32_e32 v11, v12
.LBB136_78:
	s_or_b64 exec, exec, s[42:43]
	v_and_b32_e32 v10, 16, v7
	v_mov_b32_dpp v12, v11 row_bcast:15 row_mask:0xf bank_mask:0xf
	v_cmp_ne_u32_e64 s[34:35], 0, v10
	s_and_saveexec_b64 s[42:43], s[34:35]
	s_cbranch_execz .LBB136_82
; %bb.79:
	v_max_f32_e32 v10, v11, v11
	v_max_f32_e32 v14, v12, v12
	v_min_f32_e32 v13, v14, v10
	v_cmp_u_f32_e64 s[34:35], v12, v12
	v_max_f32_e32 v10, v14, v10
	v_cndmask_b32_e64 v13, v13, v12, s[34:35]
	v_cmp_u_f32_e64 s[36:37], v11, v11
	v_cndmask_b32_e64 v10, v10, v12, s[34:35]
	v_cndmask_b32_e64 v13, v13, v11, s[36:37]
	;; [unrolled: 1-line block ×3, first 2 shown]
	s_movk_i32 s7, 0x1f8
	v_cmp_neq_f32_e64 s[34:35], v13, v10
	v_cmp_class_f32_e64 s[36:37], v13, s7
	s_or_b64 s[34:35], s[34:35], s[36:37]
	s_and_saveexec_b64 s[36:37], s[34:35]
	s_cbranch_execz .LBB136_81
; %bb.80:
	v_sub_f32_e32 v11, v13, v10
	s_mov_b32 s7, 0x3fb8aa3b
	v_mul_f32_e32 v12, 0x3fb8aa3b, v11
	v_fma_f32 v13, v11, s7, -v12
	v_rndne_f32_e32 v14, v12
	v_fmac_f32_e32 v13, 0x32a5705f, v11
	v_sub_f32_e32 v12, v12, v14
	v_add_f32_e32 v12, v12, v13
	v_exp_f32_e32 v12, v12
	v_cvt_i32_f32_e32 v13, v14
	s_mov_b32 s7, 0xc2ce8ed0
	v_cmp_ngt_f32_e64 s[34:35], s7, v11
	s_mov_b32 s7, 0x42b17218
	v_ldexp_f32 v12, v12, v13
	v_cndmask_b32_e64 v12, 0, v12, s[34:35]
	v_mov_b32_e32 v13, 0x7f800000
	v_cmp_nlt_f32_e64 s[34:35], s7, v11
	v_cndmask_b32_e64 v45, v13, v12, s[34:35]
	v_add_f32_e32 v11, 1.0, v45
	v_add_f32_e32 v12, -1.0, v11
	v_sub_f32_e32 v13, v12, v11
	v_add_f32_e32 v13, 1.0, v13
	v_sub_f32_e32 v12, v45, v12
	v_add_f32_e32 v14, v12, v13
	v_frexp_mant_f32_e32 v15, v11
	s_mov_b32 s7, 0x3f2aaaab
	v_cvt_f64_f32_e32 v[12:13], v11
	v_frexp_exp_i32_f64_e32 v12, v[12:13]
	v_cmp_gt_f32_e64 s[34:35], s7, v15
	v_subbrev_co_u32_e64 v48, s[34:35], 0, v12, s[34:35]
	v_sub_u32_e32 v12, 0, v48
	v_ldexp_f32 v11, v11, v12
	v_ldexp_f32 v12, v14, v12
	v_add_f32_e32 v14, -1.0, v11
	v_add_f32_e32 v13, 1.0, v14
	v_sub_f32_e32 v13, v11, v13
	v_add_f32_e32 v15, v12, v13
	v_add_f32_e32 v13, 1.0, v11
	v_add_f32_e32 v16, -1.0, v13
	v_sub_f32_e32 v11, v11, v16
	v_add_f32_e32 v11, v12, v11
	v_add_f32_e32 v49, v13, v11
	v_rcp_f32_e32 v50, v49
	v_sub_f32_e32 v12, v13, v49
	v_add_f32_e32 v13, v14, v15
	v_add_f32_e32 v11, v11, v12
	v_mul_f32_e32 v52, v13, v50
	v_sub_f32_e32 v12, v14, v13
	v_mul_f32_e32 v14, v49, v52
	v_fma_f32 v16, v52, v49, -v14
	v_fmac_f32_e32 v16, v52, v11
	v_add_f32_e32 v51, v15, v12
	v_add_f32_e32 v12, v14, v16
	v_sub_f32_e32 v15, v13, v12
	v_pk_add_f32 v[46:47], v[12:13], v[14:15] neg_lo:[0,1] neg_hi:[0,1]
	v_mov_b32_e32 v17, v12
	v_pk_add_f32 v[12:13], v[46:47], v[16:17] neg_lo:[0,1] neg_hi:[0,1]
	v_add_f32_e32 v13, v51, v13
	v_add_f32_e32 v12, v12, v13
	;; [unrolled: 1-line block ×3, first 2 shown]
	v_mul_f32_e32 v51, v50, v13
	v_mul_f32_e32 v14, v49, v51
	v_fma_f32 v16, v51, v49, -v14
	v_fmac_f32_e32 v16, v51, v11
	v_sub_f32_e32 v11, v15, v13
	v_add_f32_e32 v11, v12, v11
	v_add_f32_e32 v12, v14, v16
	v_sub_f32_e32 v15, v13, v12
	v_pk_add_f32 v[46:47], v[12:13], v[14:15] neg_lo:[0,1] neg_hi:[0,1]
	v_mov_b32_e32 v17, v12
	v_pk_add_f32 v[12:13], v[46:47], v[16:17] neg_lo:[0,1] neg_hi:[0,1]
	v_add_f32_e32 v11, v11, v13
	v_add_f32_e32 v11, v12, v11
	;; [unrolled: 1-line block ×4, first 2 shown]
	v_sub_f32_e32 v13, v12, v52
	v_mul_f32_e32 v11, v50, v11
	v_sub_f32_e32 v13, v51, v13
	v_add_f32_e32 v11, v13, v11
	v_add_f32_e32 v15, v12, v11
	v_mul_f32_e32 v16, v15, v15
	v_mov_b32_e32 v14, 0x3ecc95a3
	v_fmac_f32_e32 v14, 0x3e9b6dac, v16
	v_mov_b32_e32 v13, 0x3f2aaada
	v_fmac_f32_e32 v13, v16, v14
	v_cvt_f32_i32_e32 v14, v48
	v_sub_f32_e32 v12, v15, v12
	v_sub_f32_e32 v11, v11, v12
	v_ldexp_f32 v17, v15, 1
	v_mul_f32_e32 v15, v15, v16
	v_mov_b32_e32 v12, 0x3f317218
	s_mov_b32 s7, 0x3f317218
	v_pk_mul_f32 v[12:13], v[14:15], v[12:13]
	v_fma_f32 v16, v14, s7, -v12
	v_fmac_f32_e32 v16, 0xb102e308, v14
	v_pk_add_f32 v[14:15], v[12:13], v[16:17]
	v_sub_f32_e32 v17, v15, v17
	v_ldexp_f32 v11, v11, 1
	v_sub_f32_e32 v17, v13, v17
	v_add_f32_e32 v47, v11, v17
	v_mov_b32_e32 v46, v12
	v_pk_add_f32 v[12:13], v[14:15], v[12:13] neg_lo:[0,1] neg_hi:[0,1]
	v_pk_add_f32 v[48:49], v[14:15], v[46:47]
	v_mov_b32_e32 v13, v49
	v_mov_b32_e32 v17, v14
	v_pk_add_f32 v[50:51], v[16:17], v[12:13] neg_lo:[0,1] neg_hi:[0,1]
	v_pk_add_f32 v[12:13], v[16:17], v[12:13]
	v_mov_b32_e32 v16, v13
	v_pk_add_f32 v[52:53], v[16:17], v[14:15] neg_lo:[0,1] neg_hi:[0,1]
	v_mov_b32_e32 v11, v52
	v_pk_add_f32 v[54:55], v[48:49], v[10:11] neg_lo:[0,1] neg_hi:[0,1]
	v_mov_b32_e32 v12, v49
	v_mov_b32_e32 v48, v15
	;; [unrolled: 1-line block ×4, first 2 shown]
	v_pk_add_f32 v[12:13], v[12:13], v[48:49] neg_lo:[0,1] neg_hi:[0,1]
	v_mov_b32_e32 v46, v47
	v_mov_b32_e32 v47, v14
	v_pk_add_f32 v[12:13], v[46:47], v[12:13] neg_lo:[0,1] neg_hi:[0,1]
	v_mov_b32_e32 v54, v50
	v_pk_add_f32 v[14:15], v[54:55], v[12:13]
	v_mov_b32_e32 v46, v15
	v_pk_add_f32 v[46:47], v[14:15], v[46:47]
	v_pk_add_f32 v[16:17], v[16:17], v[46:47]
	v_mov_b32_e32 v15, v16
	v_pk_add_f32 v[48:49], v[14:15], v[50:51] neg_lo:[0,1] neg_hi:[0,1]
	v_mov_b32_e32 v13, v46
	v_sub_f32_e32 v11, v14, v48
	v_pk_add_f32 v[12:13], v[12:13], v[48:49] neg_lo:[0,1] neg_hi:[0,1]
	v_sub_f32_e32 v11, v50, v11
	s_mov_b32 s54, 0x7f800000
	v_add_f32_e32 v11, v12, v11
	s_mov_b32 s7, 0x33800000
	v_add_f32_e32 v11, v11, v13
	v_cmp_eq_f32_e64 s[34:35], s54, v45
	v_cmp_lt_f32_e64 s[54:55], |v45|, s7
	v_add_f32_e32 v11, v16, v11
	s_or_b64 s[34:35], s[34:35], s[54:55]
	v_cndmask_b32_e64 v11, v11, v45, s[34:35]
	v_add_f32_e32 v12, v10, v11
.LBB136_81:
	s_or_b64 exec, exec, s[36:37]
	v_mov_b32_e32 v11, v12
.LBB136_82:
	s_or_b64 exec, exec, s[42:43]
	s_nop 0
	v_mov_b32_dpp v12, v11 row_bcast:31 row_mask:0xf bank_mask:0xf
	v_cmp_lt_u32_e64 s[34:35], 31, v7
	s_and_saveexec_b64 s[42:43], s[34:35]
	s_cbranch_execz .LBB136_86
; %bb.83:
	v_max_f32_e32 v10, v11, v11
	v_max_f32_e32 v14, v12, v12
	v_min_f32_e32 v13, v14, v10
	v_cmp_u_f32_e64 s[34:35], v12, v12
	v_max_f32_e32 v10, v14, v10
	v_cndmask_b32_e64 v13, v13, v12, s[34:35]
	v_cmp_u_f32_e64 s[36:37], v11, v11
	v_cndmask_b32_e64 v10, v10, v12, s[34:35]
	v_cndmask_b32_e64 v13, v13, v11, s[36:37]
	;; [unrolled: 1-line block ×3, first 2 shown]
	s_movk_i32 s7, 0x1f8
	v_cmp_neq_f32_e64 s[34:35], v13, v10
	v_cmp_class_f32_e64 s[36:37], v13, s7
	s_or_b64 s[34:35], s[34:35], s[36:37]
	s_and_saveexec_b64 s[36:37], s[34:35]
	s_cbranch_execz .LBB136_85
; %bb.84:
	v_sub_f32_e32 v11, v13, v10
	s_mov_b32 s7, 0x3fb8aa3b
	v_mul_f32_e32 v12, 0x3fb8aa3b, v11
	v_fma_f32 v13, v11, s7, -v12
	v_rndne_f32_e32 v14, v12
	v_fmac_f32_e32 v13, 0x32a5705f, v11
	v_sub_f32_e32 v12, v12, v14
	v_add_f32_e32 v12, v12, v13
	v_exp_f32_e32 v12, v12
	v_cvt_i32_f32_e32 v13, v14
	s_mov_b32 s7, 0xc2ce8ed0
	v_cmp_ngt_f32_e64 s[34:35], s7, v11
	s_mov_b32 s7, 0x42b17218
	v_ldexp_f32 v12, v12, v13
	v_cndmask_b32_e64 v12, 0, v12, s[34:35]
	v_mov_b32_e32 v13, 0x7f800000
	v_cmp_nlt_f32_e64 s[34:35], s7, v11
	v_cndmask_b32_e64 v45, v13, v12, s[34:35]
	v_add_f32_e32 v11, 1.0, v45
	v_add_f32_e32 v12, -1.0, v11
	v_sub_f32_e32 v13, v12, v11
	v_add_f32_e32 v13, 1.0, v13
	v_sub_f32_e32 v12, v45, v12
	v_add_f32_e32 v14, v12, v13
	v_frexp_mant_f32_e32 v15, v11
	s_mov_b32 s7, 0x3f2aaaab
	v_cvt_f64_f32_e32 v[12:13], v11
	v_frexp_exp_i32_f64_e32 v12, v[12:13]
	v_cmp_gt_f32_e64 s[34:35], s7, v15
	v_subbrev_co_u32_e64 v48, s[34:35], 0, v12, s[34:35]
	v_sub_u32_e32 v12, 0, v48
	v_ldexp_f32 v11, v11, v12
	v_ldexp_f32 v12, v14, v12
	v_add_f32_e32 v14, -1.0, v11
	v_add_f32_e32 v13, 1.0, v14
	v_sub_f32_e32 v13, v11, v13
	v_add_f32_e32 v15, v12, v13
	v_add_f32_e32 v13, 1.0, v11
	v_add_f32_e32 v16, -1.0, v13
	v_sub_f32_e32 v11, v11, v16
	v_add_f32_e32 v11, v12, v11
	v_add_f32_e32 v49, v13, v11
	v_rcp_f32_e32 v50, v49
	v_sub_f32_e32 v12, v13, v49
	v_add_f32_e32 v13, v14, v15
	v_add_f32_e32 v11, v11, v12
	v_mul_f32_e32 v52, v13, v50
	v_sub_f32_e32 v12, v14, v13
	v_mul_f32_e32 v14, v49, v52
	v_fma_f32 v16, v52, v49, -v14
	v_fmac_f32_e32 v16, v52, v11
	v_add_f32_e32 v51, v15, v12
	v_add_f32_e32 v12, v14, v16
	v_sub_f32_e32 v15, v13, v12
	v_pk_add_f32 v[46:47], v[12:13], v[14:15] neg_lo:[0,1] neg_hi:[0,1]
	v_mov_b32_e32 v17, v12
	v_pk_add_f32 v[12:13], v[46:47], v[16:17] neg_lo:[0,1] neg_hi:[0,1]
	v_add_f32_e32 v13, v51, v13
	v_add_f32_e32 v12, v12, v13
	;; [unrolled: 1-line block ×3, first 2 shown]
	v_mul_f32_e32 v51, v50, v13
	v_mul_f32_e32 v14, v49, v51
	v_fma_f32 v16, v51, v49, -v14
	v_fmac_f32_e32 v16, v51, v11
	v_sub_f32_e32 v11, v15, v13
	v_add_f32_e32 v11, v12, v11
	v_add_f32_e32 v12, v14, v16
	v_sub_f32_e32 v15, v13, v12
	v_pk_add_f32 v[46:47], v[12:13], v[14:15] neg_lo:[0,1] neg_hi:[0,1]
	v_mov_b32_e32 v17, v12
	v_pk_add_f32 v[12:13], v[46:47], v[16:17] neg_lo:[0,1] neg_hi:[0,1]
	v_add_f32_e32 v11, v11, v13
	v_add_f32_e32 v11, v12, v11
	;; [unrolled: 1-line block ×4, first 2 shown]
	v_sub_f32_e32 v13, v12, v52
	v_mul_f32_e32 v11, v50, v11
	v_sub_f32_e32 v13, v51, v13
	v_add_f32_e32 v11, v13, v11
	v_add_f32_e32 v15, v12, v11
	v_mul_f32_e32 v16, v15, v15
	v_mov_b32_e32 v14, 0x3ecc95a3
	v_fmac_f32_e32 v14, 0x3e9b6dac, v16
	v_mov_b32_e32 v13, 0x3f2aaada
	v_fmac_f32_e32 v13, v16, v14
	v_cvt_f32_i32_e32 v14, v48
	v_sub_f32_e32 v12, v15, v12
	v_sub_f32_e32 v11, v11, v12
	v_ldexp_f32 v17, v15, 1
	v_mul_f32_e32 v15, v15, v16
	v_mov_b32_e32 v12, 0x3f317218
	s_mov_b32 s7, 0x3f317218
	v_pk_mul_f32 v[12:13], v[14:15], v[12:13]
	v_fma_f32 v16, v14, s7, -v12
	v_fmac_f32_e32 v16, 0xb102e308, v14
	v_pk_add_f32 v[14:15], v[12:13], v[16:17]
	v_sub_f32_e32 v17, v15, v17
	v_ldexp_f32 v11, v11, 1
	v_sub_f32_e32 v17, v13, v17
	v_add_f32_e32 v47, v11, v17
	v_mov_b32_e32 v46, v12
	v_pk_add_f32 v[12:13], v[14:15], v[12:13] neg_lo:[0,1] neg_hi:[0,1]
	v_pk_add_f32 v[48:49], v[14:15], v[46:47]
	v_mov_b32_e32 v13, v49
	v_mov_b32_e32 v17, v14
	v_pk_add_f32 v[50:51], v[16:17], v[12:13] neg_lo:[0,1] neg_hi:[0,1]
	v_pk_add_f32 v[12:13], v[16:17], v[12:13]
	v_mov_b32_e32 v16, v13
	v_pk_add_f32 v[52:53], v[16:17], v[14:15] neg_lo:[0,1] neg_hi:[0,1]
	v_mov_b32_e32 v11, v52
	v_pk_add_f32 v[54:55], v[48:49], v[10:11] neg_lo:[0,1] neg_hi:[0,1]
	v_mov_b32_e32 v12, v49
	v_mov_b32_e32 v48, v15
	;; [unrolled: 1-line block ×4, first 2 shown]
	v_pk_add_f32 v[12:13], v[12:13], v[48:49] neg_lo:[0,1] neg_hi:[0,1]
	v_mov_b32_e32 v46, v47
	v_mov_b32_e32 v47, v14
	v_pk_add_f32 v[12:13], v[46:47], v[12:13] neg_lo:[0,1] neg_hi:[0,1]
	v_mov_b32_e32 v54, v50
	v_pk_add_f32 v[14:15], v[54:55], v[12:13]
	v_mov_b32_e32 v46, v15
	v_pk_add_f32 v[46:47], v[14:15], v[46:47]
	v_pk_add_f32 v[16:17], v[16:17], v[46:47]
	v_mov_b32_e32 v15, v16
	v_pk_add_f32 v[48:49], v[14:15], v[50:51] neg_lo:[0,1] neg_hi:[0,1]
	v_mov_b32_e32 v13, v46
	v_sub_f32_e32 v11, v14, v48
	v_pk_add_f32 v[12:13], v[12:13], v[48:49] neg_lo:[0,1] neg_hi:[0,1]
	v_sub_f32_e32 v11, v50, v11
	s_mov_b32 s54, 0x7f800000
	v_add_f32_e32 v11, v12, v11
	s_mov_b32 s7, 0x33800000
	v_add_f32_e32 v11, v11, v13
	v_cmp_eq_f32_e64 s[34:35], s54, v45
	v_cmp_lt_f32_e64 s[54:55], |v45|, s7
	v_add_f32_e32 v11, v16, v11
	s_or_b64 s[34:35], s[34:35], s[54:55]
	v_cndmask_b32_e64 v11, v11, v45, s[34:35]
	v_add_f32_e32 v12, v10, v11
.LBB136_85:
	s_or_b64 exec, exec, s[36:37]
	v_mov_b32_e32 v11, v12
.LBB136_86:
	s_or_b64 exec, exec, s[42:43]
	v_add_u32_e32 v10, -1, v7
	v_and_b32_e32 v12, 64, v7
	v_cmp_lt_i32_e64 s[34:35], v10, v12
	v_cndmask_b32_e64 v7, v10, v7, s[34:35]
	v_lshlrev_b32_e32 v7, 2, v7
	ds_bpermute_b32 v7, v7, v11
	s_movk_i32 s7, 0x1f8
	s_waitcnt lgkmcnt(0)
	v_max_f32_e32 v10, v7, v7
	v_min_f32_e32 v11, v10, v9
	v_max_f32_e32 v10, v10, v9
	v_cmp_u_f32_e64 s[34:35], v7, v7
	v_cndmask_b32_e64 v9, v11, v7, s[34:35]
	v_cndmask_b32_e64 v10, v10, v7, s[34:35]
	v_cndmask_b32_e64 v9, v9, v6, s[30:31]
	v_cndmask_b32_e64 v6, v10, v6, s[30:31]
	v_cmp_neq_f32_e64 s[30:31], v9, v6
	v_cmp_class_f32_e64 s[34:35], v9, s7
	s_or_b64 s[30:31], s[30:31], s[34:35]
	s_and_saveexec_b64 s[34:35], s[30:31]
	s_cbranch_execz .LBB136_88
; %bb.87:
	v_sub_f32_e32 v7, v9, v6
	s_mov_b32 s30, 0x3fb8aa3b
	v_mul_f32_e32 v9, 0x3fb8aa3b, v7
	v_fma_f32 v10, v7, s30, -v9
	v_rndne_f32_e32 v11, v9
	v_fmac_f32_e32 v10, 0x32a5705f, v7
	v_sub_f32_e32 v9, v9, v11
	v_add_f32_e32 v9, v9, v10
	v_exp_f32_e32 v9, v9
	v_cvt_i32_f32_e32 v10, v11
	s_mov_b32 s30, 0xc2ce8ed0
	v_cmp_ngt_f32_e64 s[30:31], s30, v7
	s_mov_b32 s36, 0x7f800000
	v_ldexp_f32 v9, v9, v10
	v_cndmask_b32_e64 v9, 0, v9, s[30:31]
	s_mov_b32 s30, 0x42b17218
	v_mov_b32_e32 v10, 0x7f800000
	v_cmp_nlt_f32_e64 s[30:31], s30, v7
	v_cndmask_b32_e64 v9, v10, v9, s[30:31]
	v_add_f32_e32 v7, 1.0, v9
	v_add_f32_e32 v10, -1.0, v7
	v_sub_f32_e32 v11, v10, v7
	v_add_f32_e32 v11, 1.0, v11
	v_sub_f32_e32 v10, v9, v10
	v_add_f32_e32 v12, v10, v11
	v_frexp_mant_f32_e32 v13, v7
	s_mov_b32 s30, 0x3f2aaaab
	v_cvt_f64_f32_e32 v[10:11], v7
	v_frexp_exp_i32_f64_e32 v10, v[10:11]
	v_cmp_gt_f32_e64 s[30:31], s30, v13
	v_subbrev_co_u32_e64 v45, s[30:31], 0, v10, s[30:31]
	v_sub_u32_e32 v10, 0, v45
	v_ldexp_f32 v7, v7, v10
	v_ldexp_f32 v10, v12, v10
	v_add_f32_e32 v12, -1.0, v7
	v_add_f32_e32 v11, 1.0, v12
	v_sub_f32_e32 v11, v7, v11
	v_add_f32_e32 v13, v10, v11
	v_add_f32_e32 v11, 1.0, v7
	v_add_f32_e32 v14, -1.0, v11
	v_sub_f32_e32 v7, v7, v14
	v_add_f32_e32 v7, v10, v7
	v_add_f32_e32 v46, v11, v7
	v_rcp_f32_e32 v47, v46
	v_sub_f32_e32 v10, v11, v46
	v_add_f32_e32 v11, v12, v13
	v_add_f32_e32 v7, v7, v10
	v_mul_f32_e32 v49, v11, v47
	v_sub_f32_e32 v10, v12, v11
	v_mul_f32_e32 v12, v46, v49
	v_fma_f32 v14, v49, v46, -v12
	v_fmac_f32_e32 v14, v49, v7
	v_add_f32_e32 v48, v13, v10
	v_add_f32_e32 v10, v12, v14
	v_sub_f32_e32 v13, v11, v10
	v_pk_add_f32 v[16:17], v[10:11], v[12:13] neg_lo:[0,1] neg_hi:[0,1]
	v_mov_b32_e32 v15, v10
	v_pk_add_f32 v[10:11], v[16:17], v[14:15] neg_lo:[0,1] neg_hi:[0,1]
	v_add_f32_e32 v11, v48, v11
	v_add_f32_e32 v10, v10, v11
	;; [unrolled: 1-line block ×3, first 2 shown]
	v_mul_f32_e32 v48, v47, v11
	v_mul_f32_e32 v12, v46, v48
	v_fma_f32 v14, v48, v46, -v12
	v_fmac_f32_e32 v14, v48, v7
	v_sub_f32_e32 v7, v13, v11
	v_add_f32_e32 v7, v10, v7
	v_add_f32_e32 v10, v12, v14
	v_sub_f32_e32 v13, v11, v10
	v_pk_add_f32 v[16:17], v[10:11], v[12:13] neg_lo:[0,1] neg_hi:[0,1]
	v_mov_b32_e32 v15, v10
	v_pk_add_f32 v[10:11], v[16:17], v[14:15] neg_lo:[0,1] neg_hi:[0,1]
	v_add_f32_e32 v7, v7, v11
	v_add_f32_e32 v7, v10, v7
	;; [unrolled: 1-line block ×4, first 2 shown]
	v_sub_f32_e32 v11, v10, v49
	v_mul_f32_e32 v7, v47, v7
	v_sub_f32_e32 v11, v48, v11
	v_add_f32_e32 v7, v11, v7
	v_add_f32_e32 v13, v10, v7
	v_mul_f32_e32 v14, v13, v13
	v_mov_b32_e32 v12, 0x3ecc95a3
	v_fmac_f32_e32 v12, 0x3e9b6dac, v14
	v_mov_b32_e32 v11, 0x3f2aaada
	v_fmac_f32_e32 v11, v14, v12
	v_cvt_f32_i32_e32 v12, v45
	v_sub_f32_e32 v10, v13, v10
	v_sub_f32_e32 v7, v7, v10
	v_ldexp_f32 v15, v13, 1
	v_mul_f32_e32 v13, v13, v14
	v_mov_b32_e32 v10, 0x3f317218
	s_mov_b32 s30, 0x3f317218
	v_pk_mul_f32 v[10:11], v[12:13], v[10:11]
	v_fma_f32 v14, v12, s30, -v10
	v_fmac_f32_e32 v14, 0xb102e308, v12
	v_pk_add_f32 v[12:13], v[10:11], v[14:15]
	v_sub_f32_e32 v15, v13, v15
	v_ldexp_f32 v7, v7, 1
	v_sub_f32_e32 v15, v11, v15
	v_add_f32_e32 v17, v7, v15
	v_mov_b32_e32 v16, v10
	v_pk_add_f32 v[10:11], v[12:13], v[10:11] neg_lo:[0,1] neg_hi:[0,1]
	v_pk_add_f32 v[46:47], v[12:13], v[16:17]
	v_mov_b32_e32 v11, v47
	v_mov_b32_e32 v15, v12
	v_pk_add_f32 v[48:49], v[14:15], v[10:11] neg_lo:[0,1] neg_hi:[0,1]
	v_pk_add_f32 v[10:11], v[14:15], v[10:11]
	v_mov_b32_e32 v14, v11
	v_pk_add_f32 v[50:51], v[14:15], v[12:13] neg_lo:[0,1] neg_hi:[0,1]
	v_mov_b32_e32 v7, v50
	v_pk_add_f32 v[52:53], v[46:47], v[6:7] neg_lo:[0,1] neg_hi:[0,1]
	v_mov_b32_e32 v10, v47
	v_mov_b32_e32 v46, v13
	;; [unrolled: 1-line block ×4, first 2 shown]
	v_pk_add_f32 v[10:11], v[10:11], v[46:47] neg_lo:[0,1] neg_hi:[0,1]
	v_mov_b32_e32 v16, v17
	v_mov_b32_e32 v17, v12
	v_pk_add_f32 v[10:11], v[16:17], v[10:11] neg_lo:[0,1] neg_hi:[0,1]
	v_mov_b32_e32 v52, v48
	v_pk_add_f32 v[12:13], v[52:53], v[10:11]
	v_mov_b32_e32 v16, v13
	v_pk_add_f32 v[16:17], v[12:13], v[16:17]
	v_pk_add_f32 v[14:15], v[14:15], v[16:17]
	v_mov_b32_e32 v13, v14
	v_pk_add_f32 v[46:47], v[12:13], v[48:49] neg_lo:[0,1] neg_hi:[0,1]
	v_mov_b32_e32 v11, v16
	v_sub_f32_e32 v7, v12, v46
	v_pk_add_f32 v[10:11], v[10:11], v[46:47] neg_lo:[0,1] neg_hi:[0,1]
	v_sub_f32_e32 v7, v48, v7
	v_add_f32_e32 v7, v10, v7
	v_cmp_eq_f32_e64 s[30:31], s36, v9
	s_mov_b32 s36, 0x33800000
	v_add_f32_e32 v7, v7, v11
	v_cmp_lt_f32_e64 s[36:37], |v9|, s36
	v_add_f32_e32 v7, v14, v7
	s_or_b64 s[30:31], s[30:31], s[36:37]
	v_cndmask_b32_e64 v7, v7, v9, s[30:31]
	v_add_f32_e32 v7, v6, v7
.LBB136_88:
	s_or_b64 exec, exec, s[34:35]
	v_cmp_eq_u32_e64 s[30:31], 0, v0
	v_cndmask_b32_e64 v7, v7, v44, s[30:31]
	; wave barrier
	ds_write_b32 v8, v7
	; wave barrier
	ds_read_b32 v6, v8 offset:4
	v_max_f32_e32 v10, v7, v7
	v_cmp_u_f32_e64 s[30:31], v7, v7
	s_waitcnt lgkmcnt(0)
	v_max_f32_e32 v11, v6, v6
	v_min_f32_e32 v9, v10, v11
	v_max_f32_e32 v10, v10, v11
	v_cndmask_b32_e64 v9, v9, v7, s[30:31]
	v_cmp_u_f32_e64 s[34:35], v6, v6
	v_cndmask_b32_e64 v10, v10, v7, s[30:31]
	v_cndmask_b32_e64 v9, v9, v6, s[34:35]
	;; [unrolled: 1-line block ×3, first 2 shown]
	v_cmp_neq_f32_e64 s[30:31], v9, v6
	v_cmp_class_f32_e64 s[34:35], v9, s7
	s_or_b64 s[30:31], s[30:31], s[34:35]
	s_and_saveexec_b64 s[34:35], s[30:31]
	s_cbranch_execz .LBB136_90
; %bb.89:
	v_sub_f32_e32 v7, v9, v6
	s_mov_b32 s7, 0x3fb8aa3b
	v_mul_f32_e32 v9, 0x3fb8aa3b, v7
	v_fma_f32 v10, v7, s7, -v9
	v_rndne_f32_e32 v11, v9
	v_fmac_f32_e32 v10, 0x32a5705f, v7
	v_sub_f32_e32 v9, v9, v11
	v_add_f32_e32 v9, v9, v10
	v_exp_f32_e32 v9, v9
	v_cvt_i32_f32_e32 v10, v11
	s_mov_b32 s7, 0xc2ce8ed0
	v_cmp_ngt_f32_e64 s[30:31], s7, v7
	s_mov_b32 s7, 0x42b17218
	v_ldexp_f32 v9, v9, v10
	v_cndmask_b32_e64 v9, 0, v9, s[30:31]
	v_mov_b32_e32 v10, 0x7f800000
	v_cmp_nlt_f32_e64 s[30:31], s7, v7
	v_cndmask_b32_e64 v9, v10, v9, s[30:31]
	v_add_f32_e32 v7, 1.0, v9
	v_add_f32_e32 v10, -1.0, v7
	v_sub_f32_e32 v11, v10, v7
	v_add_f32_e32 v11, 1.0, v11
	v_sub_f32_e32 v10, v9, v10
	v_add_f32_e32 v12, v10, v11
	v_frexp_mant_f32_e32 v13, v7
	s_mov_b32 s7, 0x3f2aaaab
	v_cvt_f64_f32_e32 v[10:11], v7
	v_frexp_exp_i32_f64_e32 v10, v[10:11]
	v_cmp_gt_f32_e64 s[30:31], s7, v13
	v_subbrev_co_u32_e64 v45, s[30:31], 0, v10, s[30:31]
	v_sub_u32_e32 v10, 0, v45
	v_ldexp_f32 v7, v7, v10
	v_ldexp_f32 v10, v12, v10
	v_add_f32_e32 v12, -1.0, v7
	v_add_f32_e32 v11, 1.0, v12
	v_sub_f32_e32 v11, v7, v11
	v_add_f32_e32 v13, v10, v11
	v_add_f32_e32 v11, 1.0, v7
	v_add_f32_e32 v14, -1.0, v11
	v_sub_f32_e32 v7, v7, v14
	v_add_f32_e32 v7, v10, v7
	v_add_f32_e32 v46, v11, v7
	v_rcp_f32_e32 v47, v46
	v_sub_f32_e32 v10, v11, v46
	v_add_f32_e32 v11, v12, v13
	v_add_f32_e32 v7, v7, v10
	v_mul_f32_e32 v49, v11, v47
	v_sub_f32_e32 v10, v12, v11
	v_mul_f32_e32 v12, v46, v49
	v_fma_f32 v14, v49, v46, -v12
	v_fmac_f32_e32 v14, v49, v7
	v_add_f32_e32 v48, v13, v10
	v_add_f32_e32 v10, v12, v14
	v_sub_f32_e32 v13, v11, v10
	v_pk_add_f32 v[16:17], v[10:11], v[12:13] neg_lo:[0,1] neg_hi:[0,1]
	v_mov_b32_e32 v15, v10
	v_pk_add_f32 v[10:11], v[16:17], v[14:15] neg_lo:[0,1] neg_hi:[0,1]
	v_add_f32_e32 v11, v48, v11
	v_add_f32_e32 v10, v10, v11
	;; [unrolled: 1-line block ×3, first 2 shown]
	v_mul_f32_e32 v48, v47, v11
	v_mul_f32_e32 v12, v46, v48
	v_fma_f32 v14, v48, v46, -v12
	v_fmac_f32_e32 v14, v48, v7
	v_sub_f32_e32 v7, v13, v11
	v_add_f32_e32 v7, v10, v7
	v_add_f32_e32 v10, v12, v14
	v_sub_f32_e32 v13, v11, v10
	v_pk_add_f32 v[16:17], v[10:11], v[12:13] neg_lo:[0,1] neg_hi:[0,1]
	v_mov_b32_e32 v15, v10
	v_pk_add_f32 v[10:11], v[16:17], v[14:15] neg_lo:[0,1] neg_hi:[0,1]
	v_add_f32_e32 v7, v7, v11
	v_add_f32_e32 v7, v10, v7
	;; [unrolled: 1-line block ×4, first 2 shown]
	v_sub_f32_e32 v11, v10, v49
	v_mul_f32_e32 v7, v47, v7
	v_sub_f32_e32 v11, v48, v11
	v_add_f32_e32 v7, v11, v7
	v_add_f32_e32 v13, v10, v7
	v_mul_f32_e32 v14, v13, v13
	v_mov_b32_e32 v12, 0x3ecc95a3
	v_fmac_f32_e32 v12, 0x3e9b6dac, v14
	v_mov_b32_e32 v11, 0x3f2aaada
	v_fmac_f32_e32 v11, v14, v12
	v_cvt_f32_i32_e32 v12, v45
	v_sub_f32_e32 v10, v13, v10
	v_sub_f32_e32 v7, v7, v10
	v_ldexp_f32 v15, v13, 1
	v_mul_f32_e32 v13, v13, v14
	v_mov_b32_e32 v10, 0x3f317218
	s_mov_b32 s7, 0x3f317218
	v_pk_mul_f32 v[10:11], v[12:13], v[10:11]
	v_fma_f32 v14, v12, s7, -v10
	v_fmac_f32_e32 v14, 0xb102e308, v12
	v_pk_add_f32 v[12:13], v[10:11], v[14:15]
	v_sub_f32_e32 v15, v13, v15
	v_ldexp_f32 v7, v7, 1
	v_sub_f32_e32 v15, v11, v15
	v_add_f32_e32 v17, v7, v15
	v_mov_b32_e32 v16, v10
	v_pk_add_f32 v[10:11], v[12:13], v[10:11] neg_lo:[0,1] neg_hi:[0,1]
	v_pk_add_f32 v[46:47], v[12:13], v[16:17]
	v_mov_b32_e32 v11, v47
	v_mov_b32_e32 v15, v12
	v_pk_add_f32 v[48:49], v[14:15], v[10:11] neg_lo:[0,1] neg_hi:[0,1]
	v_pk_add_f32 v[10:11], v[14:15], v[10:11]
	v_mov_b32_e32 v14, v11
	v_pk_add_f32 v[50:51], v[14:15], v[12:13] neg_lo:[0,1] neg_hi:[0,1]
	v_mov_b32_e32 v7, v50
	v_pk_add_f32 v[52:53], v[46:47], v[6:7] neg_lo:[0,1] neg_hi:[0,1]
	v_mov_b32_e32 v10, v47
	v_mov_b32_e32 v46, v13
	;; [unrolled: 1-line block ×4, first 2 shown]
	v_pk_add_f32 v[10:11], v[10:11], v[46:47] neg_lo:[0,1] neg_hi:[0,1]
	v_mov_b32_e32 v16, v17
	v_mov_b32_e32 v17, v12
	v_pk_add_f32 v[10:11], v[16:17], v[10:11] neg_lo:[0,1] neg_hi:[0,1]
	v_mov_b32_e32 v52, v48
	v_pk_add_f32 v[12:13], v[52:53], v[10:11]
	v_mov_b32_e32 v16, v13
	v_pk_add_f32 v[16:17], v[12:13], v[16:17]
	v_pk_add_f32 v[14:15], v[14:15], v[16:17]
	v_mov_b32_e32 v13, v14
	v_pk_add_f32 v[46:47], v[12:13], v[48:49] neg_lo:[0,1] neg_hi:[0,1]
	v_mov_b32_e32 v11, v16
	v_sub_f32_e32 v7, v12, v46
	v_pk_add_f32 v[10:11], v[10:11], v[46:47] neg_lo:[0,1] neg_hi:[0,1]
	v_sub_f32_e32 v7, v48, v7
	s_mov_b32 s36, 0x7f800000
	v_add_f32_e32 v7, v10, v7
	s_mov_b32 s7, 0x33800000
	v_add_f32_e32 v7, v7, v11
	v_cmp_eq_f32_e64 s[30:31], s36, v9
	v_cmp_lt_f32_e64 s[36:37], |v9|, s7
	v_add_f32_e32 v7, v14, v7
	s_or_b64 s[30:31], s[30:31], s[36:37]
	v_cndmask_b32_e64 v7, v7, v9, s[30:31]
	v_add_f32_e32 v7, v6, v7
.LBB136_90:
	s_or_b64 exec, exec, s[34:35]
	ds_write_b32 v8, v7 offset:4
.LBB136_91:
	s_or_b64 exec, exec, s[40:41]
	v_cmp_eq_u32_e64 s[34:35], 0, v0
	v_cmp_ne_u32_e64 s[30:31], 0, v0
	s_waitcnt lgkmcnt(0)
	s_barrier
	s_and_saveexec_b64 s[36:37], s[30:31]
	s_cbranch_execz .LBB136_93
; %bb.92:
	v_add_u32_e32 v6, -1, v0
	v_lshrrev_b32_e32 v7, 5, v6
	v_add_lshl_u32 v6, v7, v6, 2
	ds_read_b32 v44, v6
.LBB136_93:
	s_or_b64 exec, exec, s[36:37]
	s_and_saveexec_b64 s[42:43], vcc
	s_cbranch_execz .LBB136_168
; %bb.94:
	v_mov_b32_e32 v15, 0
	ds_read_b32 v6, v15 offset:520
	v_mbcnt_lo_u32_b32 v7, -1, 0
	v_mbcnt_hi_u32_b32 v9, -1, v7
	s_mov_b32 s55, 0
	v_cmp_eq_u32_e64 s[36:37], 0, v9
	s_and_saveexec_b64 s[40:41], s[36:37]
	s_cbranch_execz .LBB136_96
; %bb.95:
	s_add_i32 s54, s6, 64
	s_lshl_b64 s[54:55], s[54:55], 3
	s_add_u32 s54, s52, s54
	v_mov_b32_e32 v7, 1
	s_addc_u32 s55, s53, s55
	s_waitcnt lgkmcnt(0)
	global_store_dwordx2 v15, v[6:7], s[54:55]
.LBB136_96:
	s_or_b64 exec, exec, s[40:41]
	v_xad_u32 v8, v9, -1, s6
	v_add_u32_e32 v14, 64, v8
	v_lshlrev_b64 v[10:11], 3, v[14:15]
	v_mov_b32_e32 v7, s53
	v_add_co_u32_e32 v10, vcc, s52, v10
	v_addc_co_u32_e32 v11, vcc, v7, v11, vcc
	global_load_dwordx2 v[12:13], v[10:11], off glc
	s_waitcnt vmcnt(0)
	v_cmp_eq_u16_sdwa s[54:55], v13, v15 src0_sel:BYTE_0 src1_sel:DWORD
	s_and_saveexec_b64 s[40:41], s[54:55]
	s_cbranch_execz .LBB136_102
; %bb.97:
	s_mov_b32 s7, 1
	s_mov_b64 s[54:55], 0
	v_mov_b32_e32 v7, 0
.LBB136_98:                             ; =>This Loop Header: Depth=1
                                        ;     Child Loop BB136_99 Depth 2
	s_max_u32 s57, s7, 1
.LBB136_99:                             ;   Parent Loop BB136_98 Depth=1
                                        ; =>  This Inner Loop Header: Depth=2
	s_add_i32 s57, s57, -1
	s_cmp_eq_u32 s57, 0
	s_sleep 1
	s_cbranch_scc0 .LBB136_99
; %bb.100:                              ;   in Loop: Header=BB136_98 Depth=1
	global_load_dwordx2 v[12:13], v[10:11], off glc
	s_cmp_lt_u32 s7, 32
	s_cselect_b64 s[58:59], -1, 0
	s_cmp_lg_u64 s[58:59], 0
	s_addc_u32 s7, s7, 0
	s_waitcnt vmcnt(0)
	v_cmp_ne_u16_sdwa s[58:59], v13, v7 src0_sel:BYTE_0 src1_sel:DWORD
	s_or_b64 s[54:55], s[58:59], s[54:55]
	s_andn2_b64 exec, exec, s[54:55]
	s_cbranch_execnz .LBB136_98
; %bb.101:
	s_or_b64 exec, exec, s[54:55]
.LBB136_102:
	s_or_b64 exec, exec, s[40:41]
	v_mov_b32_e32 v7, 2
	v_cmp_eq_u16_sdwa s[40:41], v13, v7 src0_sel:BYTE_0 src1_sel:DWORD
	v_lshlrev_b64 v[10:11], v9, -1
	v_and_b32_e32 v7, s41, v11
	v_or_b32_e32 v7, 0x80000000, v7
	v_ffbl_b32_e32 v7, v7
	v_add_u32_e32 v15, 32, v7
	v_and_b32_e32 v7, 63, v9
	v_cmp_ne_u32_e32 vcc, 63, v7
	v_addc_co_u32_e32 v16, vcc, 0, v9, vcc
	v_lshlrev_b32_e32 v45, 2, v16
	ds_bpermute_b32 v16, v45, v12
	v_and_b32_e32 v14, s40, v10
	v_ffbl_b32_e32 v14, v14
	v_min_u32_e32 v14, v14, v15
	v_cmp_lt_u32_e32 vcc, v7, v14
	v_mov_b32_e32 v15, v12
	s_and_saveexec_b64 s[54:55], vcc
	s_cbranch_execz .LBB136_106
; %bb.103:
	v_max_f32_e32 v17, v12, v12
	s_waitcnt lgkmcnt(0)
	v_max_f32_e32 v46, v16, v16
	v_min_f32_e32 v15, v46, v17
	v_cmp_u_f32_e32 vcc, v16, v16
	v_max_f32_e32 v17, v46, v17
	v_cndmask_b32_e32 v15, v15, v16, vcc
	v_cmp_u_f32_e64 s[40:41], v12, v12
	v_cndmask_b32_e32 v17, v17, v16, vcc
	v_cndmask_b32_e64 v15, v15, v12, s[40:41]
	v_cndmask_b32_e64 v12, v17, v12, s[40:41]
	s_movk_i32 s7, 0x1f8
	v_cmp_neq_f32_e32 vcc, v15, v12
	v_cmp_class_f32_e64 s[40:41], v15, s7
	s_or_b64 s[58:59], vcc, s[40:41]
	s_and_saveexec_b64 s[40:41], s[58:59]
	s_cbranch_execz .LBB136_105
; %bb.104:
	v_sub_f32_e32 v15, v15, v12
	s_mov_b32 s7, 0x3fb8aa3b
	v_mul_f32_e32 v16, 0x3fb8aa3b, v15
	v_fma_f32 v17, v15, s7, -v16
	v_rndne_f32_e32 v46, v16
	v_fmac_f32_e32 v17, 0x32a5705f, v15
	v_sub_f32_e32 v16, v16, v46
	v_add_f32_e32 v16, v16, v17
	v_exp_f32_e32 v16, v16
	v_cvt_i32_f32_e32 v17, v46
	s_mov_b32 s7, 0xc2ce8ed0
	v_cmp_ngt_f32_e32 vcc, s7, v15
	s_mov_b32 s7, 0x42b17218
	v_ldexp_f32 v16, v16, v17
	v_cndmask_b32_e32 v16, 0, v16, vcc
	v_mov_b32_e32 v17, 0x7f800000
	v_cmp_nlt_f32_e32 vcc, s7, v15
	v_cndmask_b32_e32 v60, v17, v16, vcc
	v_add_f32_e32 v15, 1.0, v60
	v_add_f32_e32 v16, -1.0, v15
	v_sub_f32_e32 v17, v16, v15
	v_add_f32_e32 v17, 1.0, v17
	v_sub_f32_e32 v16, v60, v16
	v_add_f32_e32 v46, v16, v17
	v_frexp_mant_f32_e32 v47, v15
	s_mov_b32 s7, 0x3f2aaaab
	v_cvt_f64_f32_e32 v[16:17], v15
	v_frexp_exp_i32_f64_e32 v16, v[16:17]
	v_cmp_gt_f32_e32 vcc, s7, v47
	v_subbrev_co_u32_e32 v52, vcc, 0, v16, vcc
	v_sub_u32_e32 v16, 0, v52
	v_ldexp_f32 v15, v15, v16
	v_ldexp_f32 v16, v46, v16
	v_add_f32_e32 v46, -1.0, v15
	v_add_f32_e32 v17, 1.0, v46
	v_sub_f32_e32 v17, v15, v17
	v_add_f32_e32 v47, v16, v17
	v_add_f32_e32 v17, 1.0, v15
	v_add_f32_e32 v48, -1.0, v17
	v_sub_f32_e32 v15, v15, v48
	v_add_f32_e32 v15, v16, v15
	v_add_f32_e32 v53, v17, v15
	v_rcp_f32_e32 v54, v53
	v_sub_f32_e32 v16, v17, v53
	v_add_f32_e32 v17, v46, v47
	v_add_f32_e32 v15, v15, v16
	v_mul_f32_e32 v56, v17, v54
	v_sub_f32_e32 v16, v46, v17
	v_mul_f32_e32 v46, v53, v56
	v_fma_f32 v48, v56, v53, -v46
	v_fmac_f32_e32 v48, v56, v15
	v_add_f32_e32 v55, v47, v16
	v_add_f32_e32 v16, v46, v48
	v_sub_f32_e32 v47, v17, v16
	v_pk_add_f32 v[50:51], v[16:17], v[46:47] neg_lo:[0,1] neg_hi:[0,1]
	v_mov_b32_e32 v49, v16
	v_pk_add_f32 v[16:17], v[50:51], v[48:49] neg_lo:[0,1] neg_hi:[0,1]
	v_add_f32_e32 v17, v55, v17
	v_add_f32_e32 v16, v16, v17
	;; [unrolled: 1-line block ×3, first 2 shown]
	v_mul_f32_e32 v55, v54, v17
	v_mul_f32_e32 v46, v53, v55
	v_fma_f32 v48, v55, v53, -v46
	v_fmac_f32_e32 v48, v55, v15
	v_sub_f32_e32 v15, v47, v17
	v_add_f32_e32 v15, v16, v15
	v_add_f32_e32 v16, v46, v48
	v_sub_f32_e32 v47, v17, v16
	v_pk_add_f32 v[50:51], v[16:17], v[46:47] neg_lo:[0,1] neg_hi:[0,1]
	v_mov_b32_e32 v49, v16
	v_pk_add_f32 v[16:17], v[50:51], v[48:49] neg_lo:[0,1] neg_hi:[0,1]
	v_add_f32_e32 v15, v15, v17
	v_add_f32_e32 v15, v16, v15
	;; [unrolled: 1-line block ×4, first 2 shown]
	v_sub_f32_e32 v17, v16, v56
	v_mul_f32_e32 v15, v54, v15
	v_sub_f32_e32 v17, v55, v17
	v_add_f32_e32 v15, v17, v15
	v_add_f32_e32 v47, v16, v15
	v_mul_f32_e32 v48, v47, v47
	v_mov_b32_e32 v46, 0x3ecc95a3
	v_fmac_f32_e32 v46, 0x3e9b6dac, v48
	v_mov_b32_e32 v17, 0x3f2aaada
	v_fmac_f32_e32 v17, v48, v46
	v_cvt_f32_i32_e32 v46, v52
	v_sub_f32_e32 v16, v47, v16
	v_sub_f32_e32 v15, v15, v16
	v_ldexp_f32 v49, v47, 1
	v_mul_f32_e32 v47, v47, v48
	v_mov_b32_e32 v16, 0x3f317218
	s_mov_b32 s7, 0x3f317218
	v_pk_mul_f32 v[16:17], v[46:47], v[16:17]
	v_fma_f32 v48, v46, s7, -v16
	v_fmac_f32_e32 v48, 0xb102e308, v46
	v_pk_add_f32 v[46:47], v[16:17], v[48:49]
	v_sub_f32_e32 v49, v47, v49
	v_ldexp_f32 v15, v15, 1
	v_sub_f32_e32 v49, v17, v49
	v_add_f32_e32 v51, v15, v49
	v_mov_b32_e32 v50, v16
	v_pk_add_f32 v[16:17], v[46:47], v[16:17] neg_lo:[0,1] neg_hi:[0,1]
	v_pk_add_f32 v[52:53], v[46:47], v[50:51]
	v_mov_b32_e32 v17, v53
	v_mov_b32_e32 v49, v46
	v_pk_add_f32 v[54:55], v[48:49], v[16:17] neg_lo:[0,1] neg_hi:[0,1]
	v_pk_add_f32 v[16:17], v[48:49], v[16:17]
	v_mov_b32_e32 v48, v17
	v_pk_add_f32 v[56:57], v[48:49], v[46:47] neg_lo:[0,1] neg_hi:[0,1]
	v_mov_b32_e32 v15, v56
	v_pk_add_f32 v[58:59], v[52:53], v[14:15] neg_lo:[0,1] neg_hi:[0,1]
	v_mov_b32_e32 v16, v53
	v_mov_b32_e32 v52, v47
	;; [unrolled: 1-line block ×4, first 2 shown]
	v_pk_add_f32 v[16:17], v[16:17], v[52:53] neg_lo:[0,1] neg_hi:[0,1]
	v_mov_b32_e32 v50, v51
	v_mov_b32_e32 v51, v46
	v_pk_add_f32 v[16:17], v[50:51], v[16:17] neg_lo:[0,1] neg_hi:[0,1]
	v_mov_b32_e32 v58, v54
	v_pk_add_f32 v[46:47], v[58:59], v[16:17]
	v_mov_b32_e32 v50, v47
	v_pk_add_f32 v[50:51], v[46:47], v[50:51]
	v_pk_add_f32 v[48:49], v[48:49], v[50:51]
	v_mov_b32_e32 v47, v48
	v_pk_add_f32 v[52:53], v[46:47], v[54:55] neg_lo:[0,1] neg_hi:[0,1]
	v_mov_b32_e32 v17, v50
	v_sub_f32_e32 v15, v46, v52
	v_pk_add_f32 v[16:17], v[16:17], v[52:53] neg_lo:[0,1] neg_hi:[0,1]
	v_sub_f32_e32 v15, v54, v15
	s_mov_b32 s57, 0x7f800000
	v_add_f32_e32 v15, v16, v15
	s_mov_b32 s7, 0x33800000
	v_add_f32_e32 v15, v15, v17
	v_cmp_eq_f32_e32 vcc, s57, v60
	v_cmp_lt_f32_e64 s[58:59], |v60|, s7
	v_add_f32_e32 v15, v48, v15
	s_or_b64 vcc, vcc, s[58:59]
	v_cndmask_b32_e32 v15, v15, v60, vcc
	v_add_f32_e32 v16, v12, v15
.LBB136_105:
	s_or_b64 exec, exec, s[40:41]
	v_mov_b32_e32 v12, v16
	v_mov_b32_e32 v15, v16
.LBB136_106:
	s_or_b64 exec, exec, s[54:55]
	v_cmp_gt_u32_e32 vcc, 62, v7
	s_waitcnt lgkmcnt(0)
	v_cndmask_b32_e64 v16, 0, 1, vcc
	v_lshlrev_b32_e32 v16, 1, v16
	v_add_lshl_u32 v46, v16, v9, 2
	ds_bpermute_b32 v16, v46, v12
	v_add_u32_e32 v47, 2, v7
	v_cmp_le_u32_e32 vcc, v47, v14
	s_and_saveexec_b64 s[54:55], vcc
	s_cbranch_execz .LBB136_110
; %bb.107:
	v_max_f32_e32 v12, v15, v15
	s_waitcnt lgkmcnt(0)
	v_max_f32_e32 v48, v16, v16
	v_min_f32_e32 v17, v48, v12
	v_cmp_u_f32_e32 vcc, v16, v16
	v_max_f32_e32 v12, v48, v12
	v_cndmask_b32_e32 v17, v17, v16, vcc
	v_cmp_u_f32_e64 s[40:41], v15, v15
	v_cndmask_b32_e32 v12, v12, v16, vcc
	v_cndmask_b32_e64 v17, v17, v15, s[40:41]
	v_cndmask_b32_e64 v12, v12, v15, s[40:41]
	s_movk_i32 s7, 0x1f8
	v_cmp_neq_f32_e32 vcc, v17, v12
	v_cmp_class_f32_e64 s[40:41], v17, s7
	s_or_b64 s[58:59], vcc, s[40:41]
	s_and_saveexec_b64 s[40:41], s[58:59]
	s_cbranch_execz .LBB136_109
; %bb.108:
	v_sub_f32_e32 v15, v17, v12
	s_mov_b32 s7, 0x3fb8aa3b
	v_mul_f32_e32 v16, 0x3fb8aa3b, v15
	v_fma_f32 v17, v15, s7, -v16
	v_rndne_f32_e32 v48, v16
	v_fmac_f32_e32 v17, 0x32a5705f, v15
	v_sub_f32_e32 v16, v16, v48
	v_add_f32_e32 v16, v16, v17
	v_exp_f32_e32 v16, v16
	v_cvt_i32_f32_e32 v17, v48
	s_mov_b32 s7, 0xc2ce8ed0
	v_cmp_ngt_f32_e32 vcc, s7, v15
	s_mov_b32 s7, 0x42b17218
	v_ldexp_f32 v16, v16, v17
	v_cndmask_b32_e32 v16, 0, v16, vcc
	v_mov_b32_e32 v17, 0x7f800000
	v_cmp_nlt_f32_e32 vcc, s7, v15
	v_cndmask_b32_e32 v62, v17, v16, vcc
	v_add_f32_e32 v15, 1.0, v62
	v_add_f32_e32 v16, -1.0, v15
	v_sub_f32_e32 v17, v16, v15
	v_add_f32_e32 v17, 1.0, v17
	v_sub_f32_e32 v16, v62, v16
	v_add_f32_e32 v48, v16, v17
	v_frexp_mant_f32_e32 v49, v15
	s_mov_b32 s7, 0x3f2aaaab
	v_cvt_f64_f32_e32 v[16:17], v15
	v_frexp_exp_i32_f64_e32 v16, v[16:17]
	v_cmp_gt_f32_e32 vcc, s7, v49
	v_subbrev_co_u32_e32 v54, vcc, 0, v16, vcc
	v_sub_u32_e32 v16, 0, v54
	v_ldexp_f32 v15, v15, v16
	v_ldexp_f32 v16, v48, v16
	v_add_f32_e32 v48, -1.0, v15
	v_add_f32_e32 v17, 1.0, v48
	v_sub_f32_e32 v17, v15, v17
	v_add_f32_e32 v49, v16, v17
	v_add_f32_e32 v17, 1.0, v15
	v_add_f32_e32 v50, -1.0, v17
	v_sub_f32_e32 v15, v15, v50
	v_add_f32_e32 v15, v16, v15
	v_add_f32_e32 v55, v17, v15
	v_rcp_f32_e32 v56, v55
	v_sub_f32_e32 v16, v17, v55
	v_add_f32_e32 v17, v48, v49
	v_add_f32_e32 v15, v15, v16
	v_mul_f32_e32 v58, v17, v56
	v_sub_f32_e32 v16, v48, v17
	v_mul_f32_e32 v48, v55, v58
	v_fma_f32 v50, v58, v55, -v48
	v_fmac_f32_e32 v50, v58, v15
	v_add_f32_e32 v57, v49, v16
	v_add_f32_e32 v16, v48, v50
	v_sub_f32_e32 v49, v17, v16
	v_pk_add_f32 v[52:53], v[16:17], v[48:49] neg_lo:[0,1] neg_hi:[0,1]
	v_mov_b32_e32 v51, v16
	v_pk_add_f32 v[16:17], v[52:53], v[50:51] neg_lo:[0,1] neg_hi:[0,1]
	v_add_f32_e32 v17, v57, v17
	v_add_f32_e32 v16, v16, v17
	;; [unrolled: 1-line block ×3, first 2 shown]
	v_mul_f32_e32 v57, v56, v17
	v_mul_f32_e32 v48, v55, v57
	v_fma_f32 v50, v57, v55, -v48
	v_fmac_f32_e32 v50, v57, v15
	v_sub_f32_e32 v15, v49, v17
	v_add_f32_e32 v15, v16, v15
	v_add_f32_e32 v16, v48, v50
	v_sub_f32_e32 v49, v17, v16
	v_pk_add_f32 v[52:53], v[16:17], v[48:49] neg_lo:[0,1] neg_hi:[0,1]
	v_mov_b32_e32 v51, v16
	v_pk_add_f32 v[16:17], v[52:53], v[50:51] neg_lo:[0,1] neg_hi:[0,1]
	v_add_f32_e32 v15, v15, v17
	v_add_f32_e32 v15, v16, v15
	;; [unrolled: 1-line block ×4, first 2 shown]
	v_sub_f32_e32 v17, v16, v58
	v_mul_f32_e32 v15, v56, v15
	v_sub_f32_e32 v17, v57, v17
	v_add_f32_e32 v15, v17, v15
	v_add_f32_e32 v49, v16, v15
	v_mul_f32_e32 v50, v49, v49
	v_mov_b32_e32 v48, 0x3ecc95a3
	v_fmac_f32_e32 v48, 0x3e9b6dac, v50
	v_mov_b32_e32 v17, 0x3f2aaada
	v_fmac_f32_e32 v17, v50, v48
	v_cvt_f32_i32_e32 v48, v54
	v_sub_f32_e32 v16, v49, v16
	v_sub_f32_e32 v15, v15, v16
	v_ldexp_f32 v51, v49, 1
	v_mul_f32_e32 v49, v49, v50
	v_mov_b32_e32 v16, 0x3f317218
	s_mov_b32 s7, 0x3f317218
	v_pk_mul_f32 v[16:17], v[48:49], v[16:17]
	v_fma_f32 v50, v48, s7, -v16
	v_fmac_f32_e32 v50, 0xb102e308, v48
	v_pk_add_f32 v[48:49], v[16:17], v[50:51]
	v_sub_f32_e32 v51, v49, v51
	v_ldexp_f32 v15, v15, 1
	v_sub_f32_e32 v51, v17, v51
	v_add_f32_e32 v53, v15, v51
	v_mov_b32_e32 v52, v16
	v_pk_add_f32 v[16:17], v[48:49], v[16:17] neg_lo:[0,1] neg_hi:[0,1]
	v_pk_add_f32 v[54:55], v[48:49], v[52:53]
	v_mov_b32_e32 v17, v55
	v_mov_b32_e32 v51, v48
	v_pk_add_f32 v[56:57], v[50:51], v[16:17] neg_lo:[0,1] neg_hi:[0,1]
	v_pk_add_f32 v[16:17], v[50:51], v[16:17]
	v_mov_b32_e32 v50, v17
	v_pk_add_f32 v[58:59], v[50:51], v[48:49] neg_lo:[0,1] neg_hi:[0,1]
	v_mov_b32_e32 v15, v58
	v_pk_add_f32 v[60:61], v[54:55], v[14:15] neg_lo:[0,1] neg_hi:[0,1]
	v_mov_b32_e32 v16, v55
	v_mov_b32_e32 v54, v49
	;; [unrolled: 1-line block ×4, first 2 shown]
	v_pk_add_f32 v[16:17], v[16:17], v[54:55] neg_lo:[0,1] neg_hi:[0,1]
	v_mov_b32_e32 v52, v53
	v_mov_b32_e32 v53, v48
	v_pk_add_f32 v[16:17], v[52:53], v[16:17] neg_lo:[0,1] neg_hi:[0,1]
	v_mov_b32_e32 v60, v56
	v_pk_add_f32 v[48:49], v[60:61], v[16:17]
	v_mov_b32_e32 v52, v49
	v_pk_add_f32 v[52:53], v[48:49], v[52:53]
	v_pk_add_f32 v[50:51], v[50:51], v[52:53]
	v_mov_b32_e32 v49, v50
	v_pk_add_f32 v[54:55], v[48:49], v[56:57] neg_lo:[0,1] neg_hi:[0,1]
	v_mov_b32_e32 v17, v52
	v_sub_f32_e32 v15, v48, v54
	v_pk_add_f32 v[16:17], v[16:17], v[54:55] neg_lo:[0,1] neg_hi:[0,1]
	v_sub_f32_e32 v15, v56, v15
	s_mov_b32 s57, 0x7f800000
	v_add_f32_e32 v15, v16, v15
	s_mov_b32 s7, 0x33800000
	v_add_f32_e32 v15, v15, v17
	v_cmp_eq_f32_e32 vcc, s57, v62
	v_cmp_lt_f32_e64 s[58:59], |v62|, s7
	v_add_f32_e32 v15, v50, v15
	s_or_b64 vcc, vcc, s[58:59]
	v_cndmask_b32_e32 v15, v15, v62, vcc
	v_add_f32_e32 v16, v12, v15
.LBB136_109:
	s_or_b64 exec, exec, s[40:41]
	v_mov_b32_e32 v12, v16
	v_mov_b32_e32 v15, v16
.LBB136_110:
	s_or_b64 exec, exec, s[54:55]
	v_cmp_gt_u32_e32 vcc, 60, v7
	s_waitcnt lgkmcnt(0)
	v_cndmask_b32_e64 v16, 0, 1, vcc
	v_lshlrev_b32_e32 v16, 2, v16
	v_add_lshl_u32 v48, v16, v9, 2
	ds_bpermute_b32 v16, v48, v12
	v_add_u32_e32 v49, 4, v7
	v_cmp_le_u32_e32 vcc, v49, v14
	s_and_saveexec_b64 s[54:55], vcc
	s_cbranch_execz .LBB136_114
; %bb.111:
	v_max_f32_e32 v12, v15, v15
	s_waitcnt lgkmcnt(0)
	v_max_f32_e32 v50, v16, v16
	v_min_f32_e32 v17, v50, v12
	v_cmp_u_f32_e32 vcc, v16, v16
	v_max_f32_e32 v12, v50, v12
	v_cndmask_b32_e32 v17, v17, v16, vcc
	v_cmp_u_f32_e64 s[40:41], v15, v15
	v_cndmask_b32_e32 v12, v12, v16, vcc
	v_cndmask_b32_e64 v17, v17, v15, s[40:41]
	v_cndmask_b32_e64 v12, v12, v15, s[40:41]
	s_movk_i32 s7, 0x1f8
	v_cmp_neq_f32_e32 vcc, v17, v12
	v_cmp_class_f32_e64 s[40:41], v17, s7
	s_or_b64 s[58:59], vcc, s[40:41]
	s_and_saveexec_b64 s[40:41], s[58:59]
	s_cbranch_execz .LBB136_113
; %bb.112:
	v_sub_f32_e32 v15, v17, v12
	s_mov_b32 s7, 0x3fb8aa3b
	v_mul_f32_e32 v16, 0x3fb8aa3b, v15
	v_fma_f32 v17, v15, s7, -v16
	v_rndne_f32_e32 v50, v16
	v_fmac_f32_e32 v17, 0x32a5705f, v15
	v_sub_f32_e32 v16, v16, v50
	v_add_f32_e32 v16, v16, v17
	v_exp_f32_e32 v16, v16
	v_cvt_i32_f32_e32 v17, v50
	s_mov_b32 s7, 0xc2ce8ed0
	v_cmp_ngt_f32_e32 vcc, s7, v15
	s_mov_b32 s7, 0x42b17218
	v_ldexp_f32 v16, v16, v17
	v_cndmask_b32_e32 v16, 0, v16, vcc
	v_mov_b32_e32 v17, 0x7f800000
	v_cmp_nlt_f32_e32 vcc, s7, v15
	v_cndmask_b32_e32 v64, v17, v16, vcc
	v_add_f32_e32 v15, 1.0, v64
	v_add_f32_e32 v16, -1.0, v15
	v_sub_f32_e32 v17, v16, v15
	v_add_f32_e32 v17, 1.0, v17
	v_sub_f32_e32 v16, v64, v16
	v_add_f32_e32 v50, v16, v17
	v_frexp_mant_f32_e32 v51, v15
	s_mov_b32 s7, 0x3f2aaaab
	v_cvt_f64_f32_e32 v[16:17], v15
	v_frexp_exp_i32_f64_e32 v16, v[16:17]
	v_cmp_gt_f32_e32 vcc, s7, v51
	v_subbrev_co_u32_e32 v56, vcc, 0, v16, vcc
	v_sub_u32_e32 v16, 0, v56
	v_ldexp_f32 v15, v15, v16
	v_ldexp_f32 v16, v50, v16
	v_add_f32_e32 v50, -1.0, v15
	v_add_f32_e32 v17, 1.0, v50
	v_sub_f32_e32 v17, v15, v17
	v_add_f32_e32 v51, v16, v17
	v_add_f32_e32 v17, 1.0, v15
	v_add_f32_e32 v52, -1.0, v17
	v_sub_f32_e32 v15, v15, v52
	v_add_f32_e32 v15, v16, v15
	v_add_f32_e32 v57, v17, v15
	v_rcp_f32_e32 v58, v57
	v_sub_f32_e32 v16, v17, v57
	v_add_f32_e32 v17, v50, v51
	v_add_f32_e32 v15, v15, v16
	v_mul_f32_e32 v60, v17, v58
	v_sub_f32_e32 v16, v50, v17
	v_mul_f32_e32 v50, v57, v60
	v_fma_f32 v52, v60, v57, -v50
	v_fmac_f32_e32 v52, v60, v15
	v_add_f32_e32 v59, v51, v16
	v_add_f32_e32 v16, v50, v52
	v_sub_f32_e32 v51, v17, v16
	v_pk_add_f32 v[54:55], v[16:17], v[50:51] neg_lo:[0,1] neg_hi:[0,1]
	v_mov_b32_e32 v53, v16
	v_pk_add_f32 v[16:17], v[54:55], v[52:53] neg_lo:[0,1] neg_hi:[0,1]
	v_add_f32_e32 v17, v59, v17
	v_add_f32_e32 v16, v16, v17
	;; [unrolled: 1-line block ×3, first 2 shown]
	v_mul_f32_e32 v59, v58, v17
	v_mul_f32_e32 v50, v57, v59
	v_fma_f32 v52, v59, v57, -v50
	v_fmac_f32_e32 v52, v59, v15
	v_sub_f32_e32 v15, v51, v17
	v_add_f32_e32 v15, v16, v15
	v_add_f32_e32 v16, v50, v52
	v_sub_f32_e32 v51, v17, v16
	v_pk_add_f32 v[54:55], v[16:17], v[50:51] neg_lo:[0,1] neg_hi:[0,1]
	v_mov_b32_e32 v53, v16
	v_pk_add_f32 v[16:17], v[54:55], v[52:53] neg_lo:[0,1] neg_hi:[0,1]
	v_add_f32_e32 v15, v15, v17
	v_add_f32_e32 v15, v16, v15
	;; [unrolled: 1-line block ×4, first 2 shown]
	v_sub_f32_e32 v17, v16, v60
	v_mul_f32_e32 v15, v58, v15
	v_sub_f32_e32 v17, v59, v17
	v_add_f32_e32 v15, v17, v15
	v_add_f32_e32 v51, v16, v15
	v_mul_f32_e32 v52, v51, v51
	v_mov_b32_e32 v50, 0x3ecc95a3
	v_fmac_f32_e32 v50, 0x3e9b6dac, v52
	v_mov_b32_e32 v17, 0x3f2aaada
	v_fmac_f32_e32 v17, v52, v50
	v_cvt_f32_i32_e32 v50, v56
	v_sub_f32_e32 v16, v51, v16
	v_sub_f32_e32 v15, v15, v16
	v_ldexp_f32 v53, v51, 1
	v_mul_f32_e32 v51, v51, v52
	v_mov_b32_e32 v16, 0x3f317218
	s_mov_b32 s7, 0x3f317218
	v_pk_mul_f32 v[16:17], v[50:51], v[16:17]
	v_fma_f32 v52, v50, s7, -v16
	v_fmac_f32_e32 v52, 0xb102e308, v50
	v_pk_add_f32 v[50:51], v[16:17], v[52:53]
	v_sub_f32_e32 v53, v51, v53
	v_ldexp_f32 v15, v15, 1
	v_sub_f32_e32 v53, v17, v53
	v_add_f32_e32 v55, v15, v53
	v_mov_b32_e32 v54, v16
	v_pk_add_f32 v[16:17], v[50:51], v[16:17] neg_lo:[0,1] neg_hi:[0,1]
	v_pk_add_f32 v[56:57], v[50:51], v[54:55]
	v_mov_b32_e32 v17, v57
	v_mov_b32_e32 v53, v50
	v_pk_add_f32 v[58:59], v[52:53], v[16:17] neg_lo:[0,1] neg_hi:[0,1]
	v_pk_add_f32 v[16:17], v[52:53], v[16:17]
	v_mov_b32_e32 v52, v17
	v_pk_add_f32 v[60:61], v[52:53], v[50:51] neg_lo:[0,1] neg_hi:[0,1]
	v_mov_b32_e32 v15, v60
	v_pk_add_f32 v[62:63], v[56:57], v[14:15] neg_lo:[0,1] neg_hi:[0,1]
	v_mov_b32_e32 v16, v57
	v_mov_b32_e32 v56, v51
	;; [unrolled: 1-line block ×4, first 2 shown]
	v_pk_add_f32 v[16:17], v[16:17], v[56:57] neg_lo:[0,1] neg_hi:[0,1]
	v_mov_b32_e32 v54, v55
	v_mov_b32_e32 v55, v50
	v_pk_add_f32 v[16:17], v[54:55], v[16:17] neg_lo:[0,1] neg_hi:[0,1]
	v_mov_b32_e32 v62, v58
	v_pk_add_f32 v[50:51], v[62:63], v[16:17]
	v_mov_b32_e32 v54, v51
	v_pk_add_f32 v[54:55], v[50:51], v[54:55]
	v_pk_add_f32 v[52:53], v[52:53], v[54:55]
	v_mov_b32_e32 v51, v52
	v_pk_add_f32 v[56:57], v[50:51], v[58:59] neg_lo:[0,1] neg_hi:[0,1]
	v_mov_b32_e32 v17, v54
	v_sub_f32_e32 v15, v50, v56
	v_pk_add_f32 v[16:17], v[16:17], v[56:57] neg_lo:[0,1] neg_hi:[0,1]
	v_sub_f32_e32 v15, v58, v15
	s_mov_b32 s57, 0x7f800000
	v_add_f32_e32 v15, v16, v15
	s_mov_b32 s7, 0x33800000
	v_add_f32_e32 v15, v15, v17
	v_cmp_eq_f32_e32 vcc, s57, v64
	v_cmp_lt_f32_e64 s[58:59], |v64|, s7
	v_add_f32_e32 v15, v52, v15
	s_or_b64 vcc, vcc, s[58:59]
	v_cndmask_b32_e32 v15, v15, v64, vcc
	v_add_f32_e32 v16, v12, v15
.LBB136_113:
	s_or_b64 exec, exec, s[40:41]
	v_mov_b32_e32 v12, v16
	v_mov_b32_e32 v15, v16
.LBB136_114:
	s_or_b64 exec, exec, s[54:55]
	v_cmp_gt_u32_e32 vcc, 56, v7
	s_waitcnt lgkmcnt(0)
	v_cndmask_b32_e64 v16, 0, 1, vcc
	v_lshlrev_b32_e32 v16, 3, v16
	v_add_lshl_u32 v50, v16, v9, 2
	ds_bpermute_b32 v16, v50, v12
	v_add_u32_e32 v51, 8, v7
	v_cmp_le_u32_e32 vcc, v51, v14
	s_and_saveexec_b64 s[54:55], vcc
	s_cbranch_execz .LBB136_118
; %bb.115:
	v_max_f32_e32 v12, v15, v15
	s_waitcnt lgkmcnt(0)
	v_max_f32_e32 v52, v16, v16
	v_min_f32_e32 v17, v52, v12
	v_cmp_u_f32_e32 vcc, v16, v16
	v_max_f32_e32 v12, v52, v12
	v_cndmask_b32_e32 v17, v17, v16, vcc
	v_cmp_u_f32_e64 s[40:41], v15, v15
	v_cndmask_b32_e32 v12, v12, v16, vcc
	v_cndmask_b32_e64 v17, v17, v15, s[40:41]
	v_cndmask_b32_e64 v12, v12, v15, s[40:41]
	s_movk_i32 s7, 0x1f8
	v_cmp_neq_f32_e32 vcc, v17, v12
	v_cmp_class_f32_e64 s[40:41], v17, s7
	s_or_b64 s[58:59], vcc, s[40:41]
	s_and_saveexec_b64 s[40:41], s[58:59]
	s_cbranch_execz .LBB136_117
; %bb.116:
	v_sub_f32_e32 v15, v17, v12
	s_mov_b32 s7, 0x3fb8aa3b
	v_mul_f32_e32 v16, 0x3fb8aa3b, v15
	v_fma_f32 v17, v15, s7, -v16
	v_rndne_f32_e32 v52, v16
	v_fmac_f32_e32 v17, 0x32a5705f, v15
	v_sub_f32_e32 v16, v16, v52
	v_add_f32_e32 v16, v16, v17
	v_exp_f32_e32 v16, v16
	v_cvt_i32_f32_e32 v17, v52
	s_mov_b32 s7, 0xc2ce8ed0
	v_cmp_ngt_f32_e32 vcc, s7, v15
	s_mov_b32 s7, 0x42b17218
	v_ldexp_f32 v16, v16, v17
	v_cndmask_b32_e32 v16, 0, v16, vcc
	v_mov_b32_e32 v17, 0x7f800000
	v_cmp_nlt_f32_e32 vcc, s7, v15
	v_cndmask_b32_e32 v66, v17, v16, vcc
	v_add_f32_e32 v15, 1.0, v66
	v_add_f32_e32 v16, -1.0, v15
	v_sub_f32_e32 v17, v16, v15
	v_add_f32_e32 v17, 1.0, v17
	v_sub_f32_e32 v16, v66, v16
	v_add_f32_e32 v52, v16, v17
	v_frexp_mant_f32_e32 v53, v15
	s_mov_b32 s7, 0x3f2aaaab
	v_cvt_f64_f32_e32 v[16:17], v15
	v_frexp_exp_i32_f64_e32 v16, v[16:17]
	v_cmp_gt_f32_e32 vcc, s7, v53
	v_subbrev_co_u32_e32 v58, vcc, 0, v16, vcc
	v_sub_u32_e32 v16, 0, v58
	v_ldexp_f32 v15, v15, v16
	v_ldexp_f32 v16, v52, v16
	v_add_f32_e32 v52, -1.0, v15
	v_add_f32_e32 v17, 1.0, v52
	v_sub_f32_e32 v17, v15, v17
	v_add_f32_e32 v53, v16, v17
	v_add_f32_e32 v17, 1.0, v15
	v_add_f32_e32 v54, -1.0, v17
	v_sub_f32_e32 v15, v15, v54
	v_add_f32_e32 v15, v16, v15
	v_add_f32_e32 v59, v17, v15
	v_rcp_f32_e32 v60, v59
	v_sub_f32_e32 v16, v17, v59
	v_add_f32_e32 v17, v52, v53
	v_add_f32_e32 v15, v15, v16
	v_mul_f32_e32 v62, v17, v60
	v_sub_f32_e32 v16, v52, v17
	v_mul_f32_e32 v52, v59, v62
	v_fma_f32 v54, v62, v59, -v52
	v_fmac_f32_e32 v54, v62, v15
	v_add_f32_e32 v61, v53, v16
	v_add_f32_e32 v16, v52, v54
	v_sub_f32_e32 v53, v17, v16
	v_pk_add_f32 v[56:57], v[16:17], v[52:53] neg_lo:[0,1] neg_hi:[0,1]
	v_mov_b32_e32 v55, v16
	v_pk_add_f32 v[16:17], v[56:57], v[54:55] neg_lo:[0,1] neg_hi:[0,1]
	v_add_f32_e32 v17, v61, v17
	v_add_f32_e32 v16, v16, v17
	;; [unrolled: 1-line block ×3, first 2 shown]
	v_mul_f32_e32 v61, v60, v17
	v_mul_f32_e32 v52, v59, v61
	v_fma_f32 v54, v61, v59, -v52
	v_fmac_f32_e32 v54, v61, v15
	v_sub_f32_e32 v15, v53, v17
	v_add_f32_e32 v15, v16, v15
	v_add_f32_e32 v16, v52, v54
	v_sub_f32_e32 v53, v17, v16
	v_pk_add_f32 v[56:57], v[16:17], v[52:53] neg_lo:[0,1] neg_hi:[0,1]
	v_mov_b32_e32 v55, v16
	v_pk_add_f32 v[16:17], v[56:57], v[54:55] neg_lo:[0,1] neg_hi:[0,1]
	v_add_f32_e32 v15, v15, v17
	v_add_f32_e32 v15, v16, v15
	v_add_f32_e32 v16, v62, v61
	v_add_f32_e32 v15, v53, v15
	v_sub_f32_e32 v17, v16, v62
	v_mul_f32_e32 v15, v60, v15
	v_sub_f32_e32 v17, v61, v17
	v_add_f32_e32 v15, v17, v15
	v_add_f32_e32 v53, v16, v15
	v_mul_f32_e32 v54, v53, v53
	v_mov_b32_e32 v52, 0x3ecc95a3
	v_fmac_f32_e32 v52, 0x3e9b6dac, v54
	v_mov_b32_e32 v17, 0x3f2aaada
	v_fmac_f32_e32 v17, v54, v52
	v_cvt_f32_i32_e32 v52, v58
	v_sub_f32_e32 v16, v53, v16
	v_sub_f32_e32 v15, v15, v16
	v_ldexp_f32 v55, v53, 1
	v_mul_f32_e32 v53, v53, v54
	v_mov_b32_e32 v16, 0x3f317218
	s_mov_b32 s7, 0x3f317218
	v_pk_mul_f32 v[16:17], v[52:53], v[16:17]
	v_fma_f32 v54, v52, s7, -v16
	v_fmac_f32_e32 v54, 0xb102e308, v52
	v_pk_add_f32 v[52:53], v[16:17], v[54:55]
	v_sub_f32_e32 v55, v53, v55
	v_ldexp_f32 v15, v15, 1
	v_sub_f32_e32 v55, v17, v55
	v_add_f32_e32 v57, v15, v55
	v_mov_b32_e32 v56, v16
	v_pk_add_f32 v[16:17], v[52:53], v[16:17] neg_lo:[0,1] neg_hi:[0,1]
	v_pk_add_f32 v[58:59], v[52:53], v[56:57]
	v_mov_b32_e32 v17, v59
	v_mov_b32_e32 v55, v52
	v_pk_add_f32 v[60:61], v[54:55], v[16:17] neg_lo:[0,1] neg_hi:[0,1]
	v_pk_add_f32 v[16:17], v[54:55], v[16:17]
	v_mov_b32_e32 v54, v17
	v_pk_add_f32 v[62:63], v[54:55], v[52:53] neg_lo:[0,1] neg_hi:[0,1]
	v_mov_b32_e32 v15, v62
	v_pk_add_f32 v[64:65], v[58:59], v[14:15] neg_lo:[0,1] neg_hi:[0,1]
	v_mov_b32_e32 v16, v59
	v_mov_b32_e32 v58, v53
	;; [unrolled: 1-line block ×4, first 2 shown]
	v_pk_add_f32 v[16:17], v[16:17], v[58:59] neg_lo:[0,1] neg_hi:[0,1]
	v_mov_b32_e32 v56, v57
	v_mov_b32_e32 v57, v52
	v_pk_add_f32 v[16:17], v[56:57], v[16:17] neg_lo:[0,1] neg_hi:[0,1]
	v_mov_b32_e32 v64, v60
	v_pk_add_f32 v[52:53], v[64:65], v[16:17]
	v_mov_b32_e32 v56, v53
	v_pk_add_f32 v[56:57], v[52:53], v[56:57]
	v_pk_add_f32 v[54:55], v[54:55], v[56:57]
	v_mov_b32_e32 v53, v54
	v_pk_add_f32 v[58:59], v[52:53], v[60:61] neg_lo:[0,1] neg_hi:[0,1]
	v_mov_b32_e32 v17, v56
	v_sub_f32_e32 v15, v52, v58
	v_pk_add_f32 v[16:17], v[16:17], v[58:59] neg_lo:[0,1] neg_hi:[0,1]
	v_sub_f32_e32 v15, v60, v15
	s_mov_b32 s57, 0x7f800000
	v_add_f32_e32 v15, v16, v15
	s_mov_b32 s7, 0x33800000
	v_add_f32_e32 v15, v15, v17
	v_cmp_eq_f32_e32 vcc, s57, v66
	v_cmp_lt_f32_e64 s[58:59], |v66|, s7
	v_add_f32_e32 v15, v54, v15
	s_or_b64 vcc, vcc, s[58:59]
	v_cndmask_b32_e32 v15, v15, v66, vcc
	v_add_f32_e32 v16, v12, v15
.LBB136_117:
	s_or_b64 exec, exec, s[40:41]
	v_mov_b32_e32 v12, v16
	v_mov_b32_e32 v15, v16
.LBB136_118:
	s_or_b64 exec, exec, s[54:55]
	v_cmp_gt_u32_e32 vcc, 48, v7
	s_waitcnt lgkmcnt(0)
	v_cndmask_b32_e64 v16, 0, 1, vcc
	v_lshlrev_b32_e32 v16, 4, v16
	v_add_lshl_u32 v52, v16, v9, 2
	ds_bpermute_b32 v16, v52, v12
	v_add_u32_e32 v53, 16, v7
	v_cmp_le_u32_e32 vcc, v53, v14
	s_and_saveexec_b64 s[54:55], vcc
	s_cbranch_execz .LBB136_122
; %bb.119:
	v_max_f32_e32 v12, v15, v15
	s_waitcnt lgkmcnt(0)
	v_max_f32_e32 v54, v16, v16
	v_min_f32_e32 v17, v54, v12
	v_cmp_u_f32_e32 vcc, v16, v16
	v_max_f32_e32 v12, v54, v12
	v_cndmask_b32_e32 v17, v17, v16, vcc
	v_cmp_u_f32_e64 s[40:41], v15, v15
	v_cndmask_b32_e32 v12, v12, v16, vcc
	v_cndmask_b32_e64 v17, v17, v15, s[40:41]
	v_cndmask_b32_e64 v12, v12, v15, s[40:41]
	s_movk_i32 s7, 0x1f8
	v_cmp_neq_f32_e32 vcc, v17, v12
	v_cmp_class_f32_e64 s[40:41], v17, s7
	s_or_b64 s[58:59], vcc, s[40:41]
	s_and_saveexec_b64 s[40:41], s[58:59]
	s_cbranch_execz .LBB136_121
; %bb.120:
	v_sub_f32_e32 v15, v17, v12
	s_mov_b32 s7, 0x3fb8aa3b
	v_mul_f32_e32 v16, 0x3fb8aa3b, v15
	v_fma_f32 v17, v15, s7, -v16
	v_rndne_f32_e32 v54, v16
	v_fmac_f32_e32 v17, 0x32a5705f, v15
	v_sub_f32_e32 v16, v16, v54
	v_add_f32_e32 v16, v16, v17
	v_exp_f32_e32 v16, v16
	v_cvt_i32_f32_e32 v17, v54
	s_mov_b32 s7, 0xc2ce8ed0
	v_cmp_ngt_f32_e32 vcc, s7, v15
	s_mov_b32 s7, 0x42b17218
	v_ldexp_f32 v16, v16, v17
	v_cndmask_b32_e32 v16, 0, v16, vcc
	v_mov_b32_e32 v17, 0x7f800000
	v_cmp_nlt_f32_e32 vcc, s7, v15
	v_cndmask_b32_e32 v68, v17, v16, vcc
	v_add_f32_e32 v15, 1.0, v68
	v_add_f32_e32 v16, -1.0, v15
	v_sub_f32_e32 v17, v16, v15
	v_add_f32_e32 v17, 1.0, v17
	v_sub_f32_e32 v16, v68, v16
	v_add_f32_e32 v54, v16, v17
	v_frexp_mant_f32_e32 v55, v15
	s_mov_b32 s7, 0x3f2aaaab
	v_cvt_f64_f32_e32 v[16:17], v15
	v_frexp_exp_i32_f64_e32 v16, v[16:17]
	v_cmp_gt_f32_e32 vcc, s7, v55
	v_subbrev_co_u32_e32 v60, vcc, 0, v16, vcc
	v_sub_u32_e32 v16, 0, v60
	v_ldexp_f32 v15, v15, v16
	v_ldexp_f32 v16, v54, v16
	v_add_f32_e32 v54, -1.0, v15
	v_add_f32_e32 v17, 1.0, v54
	v_sub_f32_e32 v17, v15, v17
	v_add_f32_e32 v55, v16, v17
	v_add_f32_e32 v17, 1.0, v15
	v_add_f32_e32 v56, -1.0, v17
	v_sub_f32_e32 v15, v15, v56
	v_add_f32_e32 v15, v16, v15
	v_add_f32_e32 v61, v17, v15
	v_rcp_f32_e32 v62, v61
	v_sub_f32_e32 v16, v17, v61
	v_add_f32_e32 v17, v54, v55
	v_add_f32_e32 v15, v15, v16
	v_mul_f32_e32 v64, v17, v62
	v_sub_f32_e32 v16, v54, v17
	v_mul_f32_e32 v54, v61, v64
	v_fma_f32 v56, v64, v61, -v54
	v_fmac_f32_e32 v56, v64, v15
	v_add_f32_e32 v63, v55, v16
	v_add_f32_e32 v16, v54, v56
	v_sub_f32_e32 v55, v17, v16
	v_pk_add_f32 v[58:59], v[16:17], v[54:55] neg_lo:[0,1] neg_hi:[0,1]
	v_mov_b32_e32 v57, v16
	v_pk_add_f32 v[16:17], v[58:59], v[56:57] neg_lo:[0,1] neg_hi:[0,1]
	v_add_f32_e32 v17, v63, v17
	v_add_f32_e32 v16, v16, v17
	;; [unrolled: 1-line block ×3, first 2 shown]
	v_mul_f32_e32 v63, v62, v17
	v_mul_f32_e32 v54, v61, v63
	v_fma_f32 v56, v63, v61, -v54
	v_fmac_f32_e32 v56, v63, v15
	v_sub_f32_e32 v15, v55, v17
	v_add_f32_e32 v15, v16, v15
	v_add_f32_e32 v16, v54, v56
	v_sub_f32_e32 v55, v17, v16
	v_pk_add_f32 v[58:59], v[16:17], v[54:55] neg_lo:[0,1] neg_hi:[0,1]
	v_mov_b32_e32 v57, v16
	v_pk_add_f32 v[16:17], v[58:59], v[56:57] neg_lo:[0,1] neg_hi:[0,1]
	v_add_f32_e32 v15, v15, v17
	v_add_f32_e32 v15, v16, v15
	;; [unrolled: 1-line block ×4, first 2 shown]
	v_sub_f32_e32 v17, v16, v64
	v_mul_f32_e32 v15, v62, v15
	v_sub_f32_e32 v17, v63, v17
	v_add_f32_e32 v15, v17, v15
	v_add_f32_e32 v55, v16, v15
	v_mul_f32_e32 v56, v55, v55
	v_mov_b32_e32 v54, 0x3ecc95a3
	v_fmac_f32_e32 v54, 0x3e9b6dac, v56
	v_mov_b32_e32 v17, 0x3f2aaada
	v_fmac_f32_e32 v17, v56, v54
	v_cvt_f32_i32_e32 v54, v60
	v_sub_f32_e32 v16, v55, v16
	v_sub_f32_e32 v15, v15, v16
	v_ldexp_f32 v57, v55, 1
	v_mul_f32_e32 v55, v55, v56
	v_mov_b32_e32 v16, 0x3f317218
	s_mov_b32 s7, 0x3f317218
	v_pk_mul_f32 v[16:17], v[54:55], v[16:17]
	v_fma_f32 v56, v54, s7, -v16
	v_fmac_f32_e32 v56, 0xb102e308, v54
	v_pk_add_f32 v[54:55], v[16:17], v[56:57]
	v_sub_f32_e32 v57, v55, v57
	v_ldexp_f32 v15, v15, 1
	v_sub_f32_e32 v57, v17, v57
	v_add_f32_e32 v59, v15, v57
	v_mov_b32_e32 v58, v16
	v_pk_add_f32 v[16:17], v[54:55], v[16:17] neg_lo:[0,1] neg_hi:[0,1]
	v_pk_add_f32 v[60:61], v[54:55], v[58:59]
	v_mov_b32_e32 v17, v61
	v_mov_b32_e32 v57, v54
	v_pk_add_f32 v[62:63], v[56:57], v[16:17] neg_lo:[0,1] neg_hi:[0,1]
	v_pk_add_f32 v[16:17], v[56:57], v[16:17]
	v_mov_b32_e32 v56, v17
	v_pk_add_f32 v[64:65], v[56:57], v[54:55] neg_lo:[0,1] neg_hi:[0,1]
	v_mov_b32_e32 v15, v64
	v_pk_add_f32 v[66:67], v[60:61], v[14:15] neg_lo:[0,1] neg_hi:[0,1]
	v_mov_b32_e32 v16, v61
	v_mov_b32_e32 v60, v55
	;; [unrolled: 1-line block ×4, first 2 shown]
	v_pk_add_f32 v[16:17], v[16:17], v[60:61] neg_lo:[0,1] neg_hi:[0,1]
	v_mov_b32_e32 v58, v59
	v_mov_b32_e32 v59, v54
	v_pk_add_f32 v[16:17], v[58:59], v[16:17] neg_lo:[0,1] neg_hi:[0,1]
	v_mov_b32_e32 v66, v62
	v_pk_add_f32 v[54:55], v[66:67], v[16:17]
	v_mov_b32_e32 v58, v55
	v_pk_add_f32 v[58:59], v[54:55], v[58:59]
	v_pk_add_f32 v[56:57], v[56:57], v[58:59]
	v_mov_b32_e32 v55, v56
	v_pk_add_f32 v[60:61], v[54:55], v[62:63] neg_lo:[0,1] neg_hi:[0,1]
	v_mov_b32_e32 v17, v58
	v_sub_f32_e32 v15, v54, v60
	v_pk_add_f32 v[16:17], v[16:17], v[60:61] neg_lo:[0,1] neg_hi:[0,1]
	v_sub_f32_e32 v15, v62, v15
	s_mov_b32 s57, 0x7f800000
	v_add_f32_e32 v15, v16, v15
	s_mov_b32 s7, 0x33800000
	v_add_f32_e32 v15, v15, v17
	v_cmp_eq_f32_e32 vcc, s57, v68
	v_cmp_lt_f32_e64 s[58:59], |v68|, s7
	v_add_f32_e32 v15, v56, v15
	s_or_b64 vcc, vcc, s[58:59]
	v_cndmask_b32_e32 v15, v15, v68, vcc
	v_add_f32_e32 v16, v12, v15
.LBB136_121:
	s_or_b64 exec, exec, s[40:41]
	v_mov_b32_e32 v12, v16
	v_mov_b32_e32 v15, v16
.LBB136_122:
	s_or_b64 exec, exec, s[54:55]
	v_cmp_gt_u32_e32 vcc, 32, v7
	s_waitcnt lgkmcnt(0)
	v_cndmask_b32_e64 v16, 0, 1, vcc
	v_lshlrev_b32_e32 v16, 5, v16
	v_add_lshl_u32 v54, v16, v9, 2
	ds_bpermute_b32 v12, v54, v12
	v_add_u32_e32 v55, 32, v7
	v_cmp_le_u32_e32 vcc, v55, v14
	s_and_saveexec_b64 s[54:55], vcc
	s_cbranch_execz .LBB136_126
; %bb.123:
	v_max_f32_e32 v9, v15, v15
	s_waitcnt lgkmcnt(0)
	v_max_f32_e32 v16, v12, v12
	v_min_f32_e32 v14, v16, v9
	v_cmp_u_f32_e32 vcc, v12, v12
	v_max_f32_e32 v9, v16, v9
	v_cndmask_b32_e32 v14, v14, v12, vcc
	v_cmp_u_f32_e64 s[40:41], v15, v15
	v_cndmask_b32_e32 v9, v9, v12, vcc
	v_cndmask_b32_e64 v14, v14, v15, s[40:41]
	v_cndmask_b32_e64 v9, v9, v15, s[40:41]
	s_movk_i32 s7, 0x1f8
	v_cmp_neq_f32_e32 vcc, v14, v9
	v_cmp_class_f32_e64 s[40:41], v14, s7
	s_or_b64 s[58:59], vcc, s[40:41]
	s_and_saveexec_b64 s[40:41], s[58:59]
	s_cbranch_execz .LBB136_125
; %bb.124:
	v_sub_f32_e32 v12, v14, v9
	s_mov_b32 s7, 0x3fb8aa3b
	v_mul_f32_e32 v14, 0x3fb8aa3b, v12
	v_fma_f32 v15, v12, s7, -v14
	v_rndne_f32_e32 v16, v14
	v_fmac_f32_e32 v15, 0x32a5705f, v12
	v_sub_f32_e32 v14, v14, v16
	v_add_f32_e32 v14, v14, v15
	v_exp_f32_e32 v14, v14
	v_cvt_i32_f32_e32 v15, v16
	s_mov_b32 s7, 0xc2ce8ed0
	v_cmp_ngt_f32_e32 vcc, s7, v12
	s_mov_b32 s7, 0x42b17218
	v_ldexp_f32 v14, v14, v15
	v_cndmask_b32_e32 v14, 0, v14, vcc
	v_mov_b32_e32 v15, 0x7f800000
	v_cmp_nlt_f32_e32 vcc, s7, v12
	v_cndmask_b32_e32 v66, v15, v14, vcc
	v_add_f32_e32 v12, 1.0, v66
	v_add_f32_e32 v14, -1.0, v12
	v_sub_f32_e32 v15, v14, v12
	v_add_f32_e32 v15, 1.0, v15
	v_sub_f32_e32 v14, v66, v14
	v_add_f32_e32 v16, v14, v15
	v_frexp_mant_f32_e32 v17, v12
	s_mov_b32 s7, 0x3f2aaaab
	v_cvt_f64_f32_e32 v[14:15], v12
	v_frexp_exp_i32_f64_e32 v14, v[14:15]
	v_cmp_gt_f32_e32 vcc, s7, v17
	v_subbrev_co_u32_e32 v60, vcc, 0, v14, vcc
	v_sub_u32_e32 v14, 0, v60
	v_ldexp_f32 v12, v12, v14
	v_ldexp_f32 v14, v16, v14
	v_add_f32_e32 v16, -1.0, v12
	v_add_f32_e32 v15, 1.0, v16
	v_sub_f32_e32 v15, v12, v15
	v_add_f32_e32 v17, v14, v15
	v_add_f32_e32 v15, 1.0, v12
	v_add_f32_e32 v56, -1.0, v15
	v_sub_f32_e32 v12, v12, v56
	v_add_f32_e32 v12, v14, v12
	v_add_f32_e32 v61, v15, v12
	v_rcp_f32_e32 v62, v61
	v_sub_f32_e32 v14, v15, v61
	v_add_f32_e32 v15, v16, v17
	v_add_f32_e32 v12, v12, v14
	v_mul_f32_e32 v64, v15, v62
	v_sub_f32_e32 v14, v16, v15
	v_mul_f32_e32 v16, v61, v64
	v_fma_f32 v56, v64, v61, -v16
	v_fmac_f32_e32 v56, v64, v12
	v_add_f32_e32 v63, v17, v14
	v_add_f32_e32 v14, v16, v56
	v_sub_f32_e32 v17, v15, v14
	v_pk_add_f32 v[58:59], v[14:15], v[16:17] neg_lo:[0,1] neg_hi:[0,1]
	v_mov_b32_e32 v57, v14
	v_pk_add_f32 v[14:15], v[58:59], v[56:57] neg_lo:[0,1] neg_hi:[0,1]
	v_add_f32_e32 v15, v63, v15
	v_add_f32_e32 v14, v14, v15
	;; [unrolled: 1-line block ×3, first 2 shown]
	v_mul_f32_e32 v63, v62, v15
	v_mul_f32_e32 v16, v61, v63
	v_fma_f32 v56, v63, v61, -v16
	v_fmac_f32_e32 v56, v63, v12
	v_sub_f32_e32 v12, v17, v15
	v_add_f32_e32 v12, v14, v12
	v_add_f32_e32 v14, v16, v56
	v_sub_f32_e32 v17, v15, v14
	v_pk_add_f32 v[58:59], v[14:15], v[16:17] neg_lo:[0,1] neg_hi:[0,1]
	v_mov_b32_e32 v57, v14
	v_pk_add_f32 v[14:15], v[58:59], v[56:57] neg_lo:[0,1] neg_hi:[0,1]
	v_add_f32_e32 v12, v12, v15
	v_add_f32_e32 v12, v14, v12
	;; [unrolled: 1-line block ×4, first 2 shown]
	v_sub_f32_e32 v15, v14, v64
	v_mul_f32_e32 v12, v62, v12
	v_sub_f32_e32 v15, v63, v15
	v_add_f32_e32 v12, v15, v12
	v_add_f32_e32 v17, v14, v12
	v_mul_f32_e32 v56, v17, v17
	v_mov_b32_e32 v16, 0x3ecc95a3
	v_fmac_f32_e32 v16, 0x3e9b6dac, v56
	v_mov_b32_e32 v15, 0x3f2aaada
	v_fmac_f32_e32 v15, v56, v16
	v_cvt_f32_i32_e32 v16, v60
	v_sub_f32_e32 v14, v17, v14
	v_sub_f32_e32 v12, v12, v14
	v_ldexp_f32 v57, v17, 1
	v_mul_f32_e32 v17, v17, v56
	v_mov_b32_e32 v14, 0x3f317218
	s_mov_b32 s7, 0x3f317218
	v_pk_mul_f32 v[14:15], v[16:17], v[14:15]
	v_fma_f32 v56, v16, s7, -v14
	v_fmac_f32_e32 v56, 0xb102e308, v16
	v_pk_add_f32 v[16:17], v[14:15], v[56:57]
	v_sub_f32_e32 v57, v17, v57
	v_ldexp_f32 v12, v12, 1
	v_sub_f32_e32 v57, v15, v57
	v_add_f32_e32 v59, v12, v57
	v_mov_b32_e32 v58, v14
	v_pk_add_f32 v[14:15], v[16:17], v[14:15] neg_lo:[0,1] neg_hi:[0,1]
	v_pk_add_f32 v[60:61], v[16:17], v[58:59]
	v_mov_b32_e32 v15, v61
	v_mov_b32_e32 v57, v16
	v_pk_add_f32 v[62:63], v[56:57], v[14:15] neg_lo:[0,1] neg_hi:[0,1]
	v_pk_add_f32 v[14:15], v[56:57], v[14:15]
	v_mov_b32_e32 v12, v15
	v_pk_add_f32 v[56:57], v[12:13], v[16:17] neg_lo:[0,1] neg_hi:[0,1]
	v_mov_b32_e32 v57, v56
	v_pk_add_f32 v[64:65], v[60:61], v[56:57] neg_lo:[0,1] neg_hi:[0,1]
	v_mov_b32_e32 v14, v61
	v_mov_b32_e32 v60, v17
	;; [unrolled: 1-line block ×4, first 2 shown]
	v_pk_add_f32 v[14:15], v[14:15], v[60:61] neg_lo:[0,1] neg_hi:[0,1]
	v_mov_b32_e32 v56, v59
	v_mov_b32_e32 v57, v16
	v_pk_add_f32 v[14:15], v[56:57], v[14:15] neg_lo:[0,1] neg_hi:[0,1]
	v_mov_b32_e32 v64, v62
	v_pk_add_f32 v[16:17], v[64:65], v[14:15]
	v_mov_b32_e32 v56, v17
	v_pk_add_f32 v[56:57], v[16:17], v[56:57]
	v_pk_add_f32 v[58:59], v[12:13], v[56:57]
	v_mov_b32_e32 v17, v58
	v_pk_add_f32 v[60:61], v[16:17], v[62:63] neg_lo:[0,1] neg_hi:[0,1]
	v_mov_b32_e32 v15, v56
	v_sub_f32_e32 v12, v16, v60
	v_pk_add_f32 v[14:15], v[14:15], v[60:61] neg_lo:[0,1] neg_hi:[0,1]
	v_sub_f32_e32 v12, v62, v12
	s_mov_b32 s57, 0x7f800000
	v_add_f32_e32 v12, v14, v12
	s_mov_b32 s7, 0x33800000
	v_add_f32_e32 v12, v12, v15
	v_cmp_eq_f32_e32 vcc, s57, v66
	v_cmp_lt_f32_e64 s[58:59], |v66|, s7
	v_add_f32_e32 v12, v58, v12
	s_or_b64 vcc, vcc, s[58:59]
	v_cndmask_b32_e32 v12, v12, v66, vcc
	v_add_f32_e32 v12, v9, v12
.LBB136_125:
	s_or_b64 exec, exec, s[40:41]
	v_mov_b32_e32 v15, v12
.LBB136_126:
	s_or_b64 exec, exec, s[54:55]
	v_mov_b32_e32 v9, 0
	s_movk_i32 s7, 0x1f8
	s_mov_b32 s57, 0x3fb8aa3b
	s_mov_b32 s58, 0xc2ce8ed0
	;; [unrolled: 1-line block ×5, first 2 shown]
	v_mov_b32_e32 v57, 0x3f2aaada
	s_mov_b32 s62, 0x3f317218
	s_mov_b32 s63, 0x33800000
	v_mov_b32_e32 v58, 2
	v_mov_b32_e32 v59, 0x7f800000
	;; [unrolled: 1-line block ×3, first 2 shown]
	s_branch .LBB136_128
.LBB136_127:                            ;   in Loop: Header=BB136_128 Depth=1
	s_or_b64 exec, exec, s[40:41]
	v_subrev_u32_e32 v8, 64, v8
.LBB136_128:                            ; =>This Loop Header: Depth=1
                                        ;     Child Loop BB136_131 Depth 2
                                        ;       Child Loop BB136_132 Depth 3
	v_cmp_ne_u16_sdwa s[40:41], v13, v58 src0_sel:BYTE_0 src1_sel:DWORD
	s_waitcnt lgkmcnt(0)
	v_cndmask_b32_e64 v12, 0, 1, s[40:41]
	;;#ASMSTART
	;;#ASMEND
	v_cmp_ne_u32_e32 vcc, 0, v12
	s_cmp_lg_u64 vcc, exec
	v_mov_b32_e32 v56, v15
	s_cbranch_scc1 .LBB136_161
; %bb.129:                              ;   in Loop: Header=BB136_128 Depth=1
	v_lshlrev_b64 v[12:13], 3, v[8:9]
	v_mov_b32_e32 v15, s53
	v_add_co_u32_e32 v16, vcc, s52, v12
	v_addc_co_u32_e32 v17, vcc, v15, v13, vcc
	global_load_dwordx2 v[12:13], v[16:17], off glc
	s_waitcnt vmcnt(0)
	v_cmp_eq_u16_sdwa s[54:55], v13, v9 src0_sel:BYTE_0 src1_sel:DWORD
	s_and_saveexec_b64 s[40:41], s[54:55]
	s_cbranch_execz .LBB136_135
; %bb.130:                              ;   in Loop: Header=BB136_128 Depth=1
	s_mov_b32 s64, 1
	s_mov_b64 s[54:55], 0
.LBB136_131:                            ;   Parent Loop BB136_128 Depth=1
                                        ; =>  This Loop Header: Depth=2
                                        ;       Child Loop BB136_132 Depth 3
	s_max_u32 s65, s64, 1
.LBB136_132:                            ;   Parent Loop BB136_128 Depth=1
                                        ;     Parent Loop BB136_131 Depth=2
                                        ; =>    This Inner Loop Header: Depth=3
	s_add_i32 s65, s65, -1
	s_cmp_eq_u32 s65, 0
	s_sleep 1
	s_cbranch_scc0 .LBB136_132
; %bb.133:                              ;   in Loop: Header=BB136_131 Depth=2
	global_load_dwordx2 v[12:13], v[16:17], off glc
	s_cmp_lt_u32 s64, 32
	s_cselect_b64 s[66:67], -1, 0
	s_cmp_lg_u64 s[66:67], 0
	s_addc_u32 s64, s64, 0
	s_waitcnt vmcnt(0)
	v_cmp_ne_u16_sdwa s[66:67], v13, v9 src0_sel:BYTE_0 src1_sel:DWORD
	s_or_b64 s[54:55], s[66:67], s[54:55]
	s_andn2_b64 exec, exec, s[54:55]
	s_cbranch_execnz .LBB136_131
; %bb.134:                              ;   in Loop: Header=BB136_128 Depth=1
	s_or_b64 exec, exec, s[54:55]
.LBB136_135:                            ;   in Loop: Header=BB136_128 Depth=1
	s_or_b64 exec, exec, s[40:41]
	v_cmp_eq_u16_sdwa s[40:41], v13, v58 src0_sel:BYTE_0 src1_sel:DWORD
	v_and_b32_e32 v15, s41, v11
	v_or_b32_e32 v15, 0x80000000, v15
	ds_bpermute_b32 v17, v45, v12
	v_and_b32_e32 v16, s40, v10
	v_ffbl_b32_e32 v15, v15
	v_add_u32_e32 v15, 32, v15
	v_ffbl_b32_e32 v16, v16
	v_min_u32_e32 v16, v16, v15
	v_cmp_lt_u32_e32 vcc, v7, v16
	v_mov_b32_e32 v15, v12
	s_and_saveexec_b64 s[54:55], vcc
	s_cbranch_execz .LBB136_139
; %bb.136:                              ;   in Loop: Header=BB136_128 Depth=1
	v_max_f32_e32 v60, v12, v12
	s_waitcnt lgkmcnt(0)
	v_max_f32_e32 v61, v17, v17
	v_min_f32_e32 v15, v61, v60
	v_cmp_u_f32_e32 vcc, v17, v17
	v_max_f32_e32 v60, v61, v60
	v_cndmask_b32_e32 v15, v15, v17, vcc
	v_cmp_u_f32_e64 s[40:41], v12, v12
	v_cndmask_b32_e32 v60, v60, v17, vcc
	v_cndmask_b32_e64 v15, v15, v12, s[40:41]
	v_cndmask_b32_e64 v12, v60, v12, s[40:41]
	v_cmp_neq_f32_e32 vcc, v15, v12
	v_cmp_class_f32_e64 s[40:41], v15, s7
	s_or_b64 s[64:65], vcc, s[40:41]
	s_and_saveexec_b64 s[40:41], s[64:65]
	s_cbranch_execz .LBB136_138
; %bb.137:                              ;   in Loop: Header=BB136_128 Depth=1
	v_sub_f32_e32 v15, v15, v12
	v_mul_f32_e32 v17, 0x3fb8aa3b, v15
	v_fma_f32 v60, v15, s57, -v17
	v_rndne_f32_e32 v61, v17
	v_fmac_f32_e32 v60, 0x32a5705f, v15
	v_sub_f32_e32 v17, v17, v61
	v_add_f32_e32 v17, v17, v60
	v_cvt_i32_f32_e32 v60, v61
	v_exp_f32_e32 v17, v17
	v_cmp_ngt_f32_e32 vcc, s58, v15
	v_ldexp_f32 v17, v17, v60
	v_cndmask_b32_e32 v17, 0, v17, vcc
	v_cmp_nlt_f32_e32 vcc, s59, v15
	v_cndmask_b32_e32 v17, v59, v17, vcc
	v_add_f32_e32 v15, 1.0, v17
	v_add_f32_e32 v60, -1.0, v15
	v_sub_f32_e32 v61, v60, v15
	v_add_f32_e32 v61, 1.0, v61
	v_sub_f32_e32 v60, v17, v60
	v_add_f32_e32 v62, v60, v61
	v_frexp_mant_f32_e32 v63, v15
	v_cvt_f64_f32_e32 v[60:61], v15
	v_frexp_exp_i32_f64_e32 v60, v[60:61]
	v_cmp_gt_f32_e32 vcc, s61, v63
	v_subbrev_co_u32_e32 v68, vcc, 0, v60, vcc
	v_sub_u32_e32 v60, 0, v68
	v_ldexp_f32 v15, v15, v60
	v_ldexp_f32 v60, v62, v60
	v_add_f32_e32 v62, -1.0, v15
	v_add_f32_e32 v61, 1.0, v62
	v_sub_f32_e32 v61, v15, v61
	v_add_f32_e32 v63, v60, v61
	v_add_f32_e32 v61, 1.0, v15
	v_add_f32_e32 v64, -1.0, v61
	v_sub_f32_e32 v15, v15, v64
	v_add_f32_e32 v15, v60, v15
	v_add_f32_e32 v69, v61, v15
	v_rcp_f32_e32 v70, v69
	v_sub_f32_e32 v60, v61, v69
	v_add_f32_e32 v61, v62, v63
	v_add_f32_e32 v15, v15, v60
	v_mul_f32_e32 v72, v61, v70
	v_sub_f32_e32 v60, v62, v61
	v_mul_f32_e32 v62, v69, v72
	v_fma_f32 v64, v72, v69, -v62
	v_fmac_f32_e32 v64, v72, v15
	v_add_f32_e32 v71, v63, v60
	v_add_f32_e32 v60, v62, v64
	v_sub_f32_e32 v63, v61, v60
	v_pk_add_f32 v[66:67], v[60:61], v[62:63] neg_lo:[0,1] neg_hi:[0,1]
	v_mov_b32_e32 v65, v60
	v_pk_add_f32 v[60:61], v[66:67], v[64:65] neg_lo:[0,1] neg_hi:[0,1]
	v_add_f32_e32 v61, v71, v61
	v_add_f32_e32 v60, v60, v61
	;; [unrolled: 1-line block ×3, first 2 shown]
	v_mul_f32_e32 v71, v70, v61
	v_mul_f32_e32 v62, v69, v71
	v_fma_f32 v64, v71, v69, -v62
	v_fmac_f32_e32 v64, v71, v15
	v_sub_f32_e32 v15, v63, v61
	v_add_f32_e32 v15, v60, v15
	v_add_f32_e32 v60, v62, v64
	v_sub_f32_e32 v63, v61, v60
	v_pk_add_f32 v[66:67], v[60:61], v[62:63] neg_lo:[0,1] neg_hi:[0,1]
	v_mov_b32_e32 v65, v60
	v_pk_add_f32 v[60:61], v[66:67], v[64:65] neg_lo:[0,1] neg_hi:[0,1]
	v_add_f32_e32 v15, v15, v61
	v_add_f32_e32 v15, v60, v15
	v_add_f32_e32 v61, v72, v71
	v_add_f32_e32 v15, v63, v15
	v_sub_f32_e32 v60, v61, v72
	v_mul_f32_e32 v15, v70, v15
	v_sub_f32_e32 v60, v71, v60
	v_add_f32_e32 v62, v60, v15
	v_add_f32_e32 v64, v61, v62
	v_cvt_f32_i32_e32 v60, v68
	v_mul_f32_e32 v65, v64, v64
	v_mov_b32_e32 v15, 0x3ecc95a3
	v_sub_f32_e32 v61, v64, v61
	v_fmac_f32_e32 v15, 0x3e9b6dac, v65
	v_sub_f32_e32 v61, v62, v61
	v_fma_f32 v15, v65, v15, v57
	v_ldexp_f32 v66, v61, 1
	v_mul_f32_e32 v61, v64, v65
	v_ldexp_f32 v63, v64, 1
	v_pk_mul_f32 v[64:65], v[60:61], v[14:15]
	v_fma_f32 v62, v60, s62, -v64
	v_fmac_f32_e32 v62, 0xb102e308, v60
	v_pk_add_f32 v[60:61], v[64:65], v[62:63]
	v_sub_f32_e32 v15, v61, v63
	v_sub_f32_e32 v15, v65, v15
	v_add_f32_e32 v67, v66, v15
	v_mov_b32_e32 v66, v64
	v_pk_add_f32 v[64:65], v[60:61], v[64:65] neg_lo:[0,1] neg_hi:[0,1]
	v_pk_add_f32 v[68:69], v[60:61], v[66:67]
	v_mov_b32_e32 v65, v69
	v_mov_b32_e32 v63, v60
	v_pk_add_f32 v[70:71], v[62:63], v[64:65] neg_lo:[0,1] neg_hi:[0,1]
	v_pk_add_f32 v[62:63], v[62:63], v[64:65]
	v_mov_b32_e32 v64, v63
	v_pk_add_f32 v[72:73], v[64:65], v[60:61] neg_lo:[0,1] neg_hi:[0,1]
	v_mov_b32_e32 v15, v72
	v_pk_add_f32 v[74:75], v[68:69], v[14:15] neg_lo:[0,1] neg_hi:[0,1]
	v_mov_b32_e32 v62, v69
	v_mov_b32_e32 v68, v61
	;; [unrolled: 1-line block ×4, first 2 shown]
	v_pk_add_f32 v[62:63], v[62:63], v[68:69] neg_lo:[0,1] neg_hi:[0,1]
	v_mov_b32_e32 v66, v67
	v_mov_b32_e32 v67, v60
	v_pk_add_f32 v[60:61], v[66:67], v[62:63] neg_lo:[0,1] neg_hi:[0,1]
	v_mov_b32_e32 v74, v70
	v_pk_add_f32 v[62:63], v[74:75], v[60:61]
	v_mov_b32_e32 v66, v63
	v_pk_add_f32 v[66:67], v[62:63], v[66:67]
	v_pk_add_f32 v[64:65], v[64:65], v[66:67]
	v_mov_b32_e32 v63, v64
	v_pk_add_f32 v[68:69], v[62:63], v[70:71] neg_lo:[0,1] neg_hi:[0,1]
	v_mov_b32_e32 v61, v66
	v_sub_f32_e32 v15, v62, v68
	v_pk_add_f32 v[60:61], v[60:61], v[68:69] neg_lo:[0,1] neg_hi:[0,1]
	v_sub_f32_e32 v15, v70, v15
	v_add_f32_e32 v15, v60, v15
	v_add_f32_e32 v15, v15, v61
	v_cmp_eq_f32_e32 vcc, s60, v17
	v_cmp_lt_f32_e64 s[64:65], |v17|, s63
	v_add_f32_e32 v15, v64, v15
	s_or_b64 vcc, vcc, s[64:65]
	v_cndmask_b32_e32 v15, v15, v17, vcc
	v_add_f32_e32 v17, v12, v15
.LBB136_138:                            ;   in Loop: Header=BB136_128 Depth=1
	s_or_b64 exec, exec, s[40:41]
	v_mov_b32_e32 v12, v17
	v_mov_b32_e32 v15, v17
.LBB136_139:                            ;   in Loop: Header=BB136_128 Depth=1
	s_or_b64 exec, exec, s[54:55]
	s_waitcnt lgkmcnt(0)
	ds_bpermute_b32 v17, v46, v12
	v_cmp_le_u32_e32 vcc, v47, v16
	s_and_saveexec_b64 s[54:55], vcc
	s_cbranch_execz .LBB136_143
; %bb.140:                              ;   in Loop: Header=BB136_128 Depth=1
	v_max_f32_e32 v12, v15, v15
	s_waitcnt lgkmcnt(0)
	v_max_f32_e32 v61, v17, v17
	v_min_f32_e32 v60, v61, v12
	v_cmp_u_f32_e32 vcc, v17, v17
	v_max_f32_e32 v12, v61, v12
	v_cndmask_b32_e32 v60, v60, v17, vcc
	v_cmp_u_f32_e64 s[40:41], v15, v15
	v_cndmask_b32_e32 v12, v12, v17, vcc
	v_cndmask_b32_e64 v60, v60, v15, s[40:41]
	v_cndmask_b32_e64 v12, v12, v15, s[40:41]
	v_cmp_neq_f32_e32 vcc, v60, v12
	v_cmp_class_f32_e64 s[40:41], v60, s7
	s_or_b64 s[64:65], vcc, s[40:41]
	s_and_saveexec_b64 s[40:41], s[64:65]
	s_cbranch_execz .LBB136_142
; %bb.141:                              ;   in Loop: Header=BB136_128 Depth=1
	v_sub_f32_e32 v15, v60, v12
	v_mul_f32_e32 v17, 0x3fb8aa3b, v15
	v_fma_f32 v60, v15, s57, -v17
	v_rndne_f32_e32 v61, v17
	v_fmac_f32_e32 v60, 0x32a5705f, v15
	v_sub_f32_e32 v17, v17, v61
	v_add_f32_e32 v17, v17, v60
	v_cvt_i32_f32_e32 v60, v61
	v_exp_f32_e32 v17, v17
	v_cmp_ngt_f32_e32 vcc, s58, v15
	v_ldexp_f32 v17, v17, v60
	v_cndmask_b32_e32 v17, 0, v17, vcc
	v_cmp_nlt_f32_e32 vcc, s59, v15
	v_cndmask_b32_e32 v17, v59, v17, vcc
	v_add_f32_e32 v15, 1.0, v17
	v_add_f32_e32 v60, -1.0, v15
	v_sub_f32_e32 v61, v60, v15
	v_add_f32_e32 v61, 1.0, v61
	v_sub_f32_e32 v60, v17, v60
	v_add_f32_e32 v62, v60, v61
	v_frexp_mant_f32_e32 v63, v15
	v_cvt_f64_f32_e32 v[60:61], v15
	v_frexp_exp_i32_f64_e32 v60, v[60:61]
	v_cmp_gt_f32_e32 vcc, s61, v63
	v_subbrev_co_u32_e32 v68, vcc, 0, v60, vcc
	v_sub_u32_e32 v60, 0, v68
	v_ldexp_f32 v15, v15, v60
	v_ldexp_f32 v60, v62, v60
	v_add_f32_e32 v62, -1.0, v15
	v_add_f32_e32 v61, 1.0, v62
	v_sub_f32_e32 v61, v15, v61
	v_add_f32_e32 v63, v60, v61
	v_add_f32_e32 v61, 1.0, v15
	v_add_f32_e32 v64, -1.0, v61
	v_sub_f32_e32 v15, v15, v64
	v_add_f32_e32 v15, v60, v15
	v_add_f32_e32 v69, v61, v15
	v_rcp_f32_e32 v70, v69
	v_sub_f32_e32 v60, v61, v69
	v_add_f32_e32 v61, v62, v63
	v_add_f32_e32 v15, v15, v60
	v_mul_f32_e32 v72, v61, v70
	v_sub_f32_e32 v60, v62, v61
	v_mul_f32_e32 v62, v69, v72
	v_fma_f32 v64, v72, v69, -v62
	v_fmac_f32_e32 v64, v72, v15
	v_add_f32_e32 v71, v63, v60
	v_add_f32_e32 v60, v62, v64
	v_sub_f32_e32 v63, v61, v60
	v_pk_add_f32 v[66:67], v[60:61], v[62:63] neg_lo:[0,1] neg_hi:[0,1]
	v_mov_b32_e32 v65, v60
	v_pk_add_f32 v[60:61], v[66:67], v[64:65] neg_lo:[0,1] neg_hi:[0,1]
	v_add_f32_e32 v61, v71, v61
	v_add_f32_e32 v60, v60, v61
	;; [unrolled: 1-line block ×3, first 2 shown]
	v_mul_f32_e32 v71, v70, v61
	v_mul_f32_e32 v62, v69, v71
	v_fma_f32 v64, v71, v69, -v62
	v_fmac_f32_e32 v64, v71, v15
	v_sub_f32_e32 v15, v63, v61
	v_add_f32_e32 v15, v60, v15
	v_add_f32_e32 v60, v62, v64
	v_sub_f32_e32 v63, v61, v60
	v_pk_add_f32 v[66:67], v[60:61], v[62:63] neg_lo:[0,1] neg_hi:[0,1]
	v_mov_b32_e32 v65, v60
	v_pk_add_f32 v[60:61], v[66:67], v[64:65] neg_lo:[0,1] neg_hi:[0,1]
	v_add_f32_e32 v15, v15, v61
	v_add_f32_e32 v15, v60, v15
	;; [unrolled: 1-line block ×4, first 2 shown]
	v_sub_f32_e32 v60, v61, v72
	v_mul_f32_e32 v15, v70, v15
	v_sub_f32_e32 v60, v71, v60
	v_add_f32_e32 v62, v60, v15
	v_add_f32_e32 v64, v61, v62
	v_cvt_f32_i32_e32 v60, v68
	v_mul_f32_e32 v65, v64, v64
	v_mov_b32_e32 v15, 0x3ecc95a3
	v_sub_f32_e32 v61, v64, v61
	v_fmac_f32_e32 v15, 0x3e9b6dac, v65
	v_sub_f32_e32 v61, v62, v61
	v_fma_f32 v15, v65, v15, v57
	v_ldexp_f32 v66, v61, 1
	v_mul_f32_e32 v61, v64, v65
	v_ldexp_f32 v63, v64, 1
	v_pk_mul_f32 v[64:65], v[60:61], v[14:15]
	v_fma_f32 v62, v60, s62, -v64
	v_fmac_f32_e32 v62, 0xb102e308, v60
	v_pk_add_f32 v[60:61], v[64:65], v[62:63]
	v_sub_f32_e32 v15, v61, v63
	v_sub_f32_e32 v15, v65, v15
	v_add_f32_e32 v67, v66, v15
	v_mov_b32_e32 v66, v64
	v_pk_add_f32 v[64:65], v[60:61], v[64:65] neg_lo:[0,1] neg_hi:[0,1]
	v_pk_add_f32 v[68:69], v[60:61], v[66:67]
	v_mov_b32_e32 v65, v69
	v_mov_b32_e32 v63, v60
	v_pk_add_f32 v[70:71], v[62:63], v[64:65] neg_lo:[0,1] neg_hi:[0,1]
	v_pk_add_f32 v[62:63], v[62:63], v[64:65]
	v_mov_b32_e32 v64, v63
	v_pk_add_f32 v[72:73], v[64:65], v[60:61] neg_lo:[0,1] neg_hi:[0,1]
	v_mov_b32_e32 v15, v72
	v_pk_add_f32 v[74:75], v[68:69], v[14:15] neg_lo:[0,1] neg_hi:[0,1]
	v_mov_b32_e32 v62, v69
	v_mov_b32_e32 v68, v61
	;; [unrolled: 1-line block ×4, first 2 shown]
	v_pk_add_f32 v[62:63], v[62:63], v[68:69] neg_lo:[0,1] neg_hi:[0,1]
	v_mov_b32_e32 v66, v67
	v_mov_b32_e32 v67, v60
	v_pk_add_f32 v[60:61], v[66:67], v[62:63] neg_lo:[0,1] neg_hi:[0,1]
	v_mov_b32_e32 v74, v70
	v_pk_add_f32 v[62:63], v[74:75], v[60:61]
	v_mov_b32_e32 v66, v63
	v_pk_add_f32 v[66:67], v[62:63], v[66:67]
	v_pk_add_f32 v[64:65], v[64:65], v[66:67]
	v_mov_b32_e32 v63, v64
	v_pk_add_f32 v[68:69], v[62:63], v[70:71] neg_lo:[0,1] neg_hi:[0,1]
	v_mov_b32_e32 v61, v66
	v_sub_f32_e32 v15, v62, v68
	v_pk_add_f32 v[60:61], v[60:61], v[68:69] neg_lo:[0,1] neg_hi:[0,1]
	v_sub_f32_e32 v15, v70, v15
	v_add_f32_e32 v15, v60, v15
	v_add_f32_e32 v15, v15, v61
	v_cmp_eq_f32_e32 vcc, s60, v17
	v_cmp_lt_f32_e64 s[64:65], |v17|, s63
	v_add_f32_e32 v15, v64, v15
	s_or_b64 vcc, vcc, s[64:65]
	v_cndmask_b32_e32 v15, v15, v17, vcc
	v_add_f32_e32 v17, v12, v15
.LBB136_142:                            ;   in Loop: Header=BB136_128 Depth=1
	s_or_b64 exec, exec, s[40:41]
	v_mov_b32_e32 v12, v17
	v_mov_b32_e32 v15, v17
.LBB136_143:                            ;   in Loop: Header=BB136_128 Depth=1
	s_or_b64 exec, exec, s[54:55]
	s_waitcnt lgkmcnt(0)
	ds_bpermute_b32 v17, v48, v12
	v_cmp_le_u32_e32 vcc, v49, v16
	s_and_saveexec_b64 s[54:55], vcc
	s_cbranch_execz .LBB136_147
; %bb.144:                              ;   in Loop: Header=BB136_128 Depth=1
	v_max_f32_e32 v12, v15, v15
	s_waitcnt lgkmcnt(0)
	v_max_f32_e32 v61, v17, v17
	v_min_f32_e32 v60, v61, v12
	v_cmp_u_f32_e32 vcc, v17, v17
	v_max_f32_e32 v12, v61, v12
	v_cndmask_b32_e32 v60, v60, v17, vcc
	v_cmp_u_f32_e64 s[40:41], v15, v15
	v_cndmask_b32_e32 v12, v12, v17, vcc
	v_cndmask_b32_e64 v60, v60, v15, s[40:41]
	v_cndmask_b32_e64 v12, v12, v15, s[40:41]
	v_cmp_neq_f32_e32 vcc, v60, v12
	v_cmp_class_f32_e64 s[40:41], v60, s7
	s_or_b64 s[64:65], vcc, s[40:41]
	s_and_saveexec_b64 s[40:41], s[64:65]
	s_cbranch_execz .LBB136_146
; %bb.145:                              ;   in Loop: Header=BB136_128 Depth=1
	v_sub_f32_e32 v15, v60, v12
	v_mul_f32_e32 v17, 0x3fb8aa3b, v15
	v_fma_f32 v60, v15, s57, -v17
	v_rndne_f32_e32 v61, v17
	v_fmac_f32_e32 v60, 0x32a5705f, v15
	v_sub_f32_e32 v17, v17, v61
	v_add_f32_e32 v17, v17, v60
	v_cvt_i32_f32_e32 v60, v61
	v_exp_f32_e32 v17, v17
	v_cmp_ngt_f32_e32 vcc, s58, v15
	v_ldexp_f32 v17, v17, v60
	v_cndmask_b32_e32 v17, 0, v17, vcc
	v_cmp_nlt_f32_e32 vcc, s59, v15
	v_cndmask_b32_e32 v17, v59, v17, vcc
	v_add_f32_e32 v15, 1.0, v17
	v_add_f32_e32 v60, -1.0, v15
	v_sub_f32_e32 v61, v60, v15
	v_add_f32_e32 v61, 1.0, v61
	v_sub_f32_e32 v60, v17, v60
	v_add_f32_e32 v62, v60, v61
	v_frexp_mant_f32_e32 v63, v15
	v_cvt_f64_f32_e32 v[60:61], v15
	v_frexp_exp_i32_f64_e32 v60, v[60:61]
	v_cmp_gt_f32_e32 vcc, s61, v63
	v_subbrev_co_u32_e32 v68, vcc, 0, v60, vcc
	v_sub_u32_e32 v60, 0, v68
	v_ldexp_f32 v15, v15, v60
	v_ldexp_f32 v60, v62, v60
	v_add_f32_e32 v62, -1.0, v15
	v_add_f32_e32 v61, 1.0, v62
	v_sub_f32_e32 v61, v15, v61
	v_add_f32_e32 v63, v60, v61
	v_add_f32_e32 v61, 1.0, v15
	v_add_f32_e32 v64, -1.0, v61
	v_sub_f32_e32 v15, v15, v64
	v_add_f32_e32 v15, v60, v15
	v_add_f32_e32 v69, v61, v15
	v_rcp_f32_e32 v70, v69
	v_sub_f32_e32 v60, v61, v69
	v_add_f32_e32 v61, v62, v63
	v_add_f32_e32 v15, v15, v60
	v_mul_f32_e32 v72, v61, v70
	v_sub_f32_e32 v60, v62, v61
	v_mul_f32_e32 v62, v69, v72
	v_fma_f32 v64, v72, v69, -v62
	v_fmac_f32_e32 v64, v72, v15
	v_add_f32_e32 v71, v63, v60
	v_add_f32_e32 v60, v62, v64
	v_sub_f32_e32 v63, v61, v60
	v_pk_add_f32 v[66:67], v[60:61], v[62:63] neg_lo:[0,1] neg_hi:[0,1]
	v_mov_b32_e32 v65, v60
	v_pk_add_f32 v[60:61], v[66:67], v[64:65] neg_lo:[0,1] neg_hi:[0,1]
	v_add_f32_e32 v61, v71, v61
	v_add_f32_e32 v60, v60, v61
	;; [unrolled: 1-line block ×3, first 2 shown]
	v_mul_f32_e32 v71, v70, v61
	v_mul_f32_e32 v62, v69, v71
	v_fma_f32 v64, v71, v69, -v62
	v_fmac_f32_e32 v64, v71, v15
	v_sub_f32_e32 v15, v63, v61
	v_add_f32_e32 v15, v60, v15
	v_add_f32_e32 v60, v62, v64
	v_sub_f32_e32 v63, v61, v60
	v_pk_add_f32 v[66:67], v[60:61], v[62:63] neg_lo:[0,1] neg_hi:[0,1]
	v_mov_b32_e32 v65, v60
	v_pk_add_f32 v[60:61], v[66:67], v[64:65] neg_lo:[0,1] neg_hi:[0,1]
	v_add_f32_e32 v15, v15, v61
	v_add_f32_e32 v15, v60, v15
	;; [unrolled: 1-line block ×4, first 2 shown]
	v_sub_f32_e32 v60, v61, v72
	v_mul_f32_e32 v15, v70, v15
	v_sub_f32_e32 v60, v71, v60
	v_add_f32_e32 v62, v60, v15
	v_add_f32_e32 v64, v61, v62
	v_cvt_f32_i32_e32 v60, v68
	v_mul_f32_e32 v65, v64, v64
	v_mov_b32_e32 v15, 0x3ecc95a3
	v_sub_f32_e32 v61, v64, v61
	v_fmac_f32_e32 v15, 0x3e9b6dac, v65
	v_sub_f32_e32 v61, v62, v61
	v_fma_f32 v15, v65, v15, v57
	v_ldexp_f32 v66, v61, 1
	v_mul_f32_e32 v61, v64, v65
	v_ldexp_f32 v63, v64, 1
	v_pk_mul_f32 v[64:65], v[60:61], v[14:15]
	v_fma_f32 v62, v60, s62, -v64
	v_fmac_f32_e32 v62, 0xb102e308, v60
	v_pk_add_f32 v[60:61], v[64:65], v[62:63]
	v_sub_f32_e32 v15, v61, v63
	v_sub_f32_e32 v15, v65, v15
	v_add_f32_e32 v67, v66, v15
	v_mov_b32_e32 v66, v64
	v_pk_add_f32 v[64:65], v[60:61], v[64:65] neg_lo:[0,1] neg_hi:[0,1]
	v_pk_add_f32 v[68:69], v[60:61], v[66:67]
	v_mov_b32_e32 v65, v69
	v_mov_b32_e32 v63, v60
	v_pk_add_f32 v[70:71], v[62:63], v[64:65] neg_lo:[0,1] neg_hi:[0,1]
	v_pk_add_f32 v[62:63], v[62:63], v[64:65]
	v_mov_b32_e32 v64, v63
	v_pk_add_f32 v[72:73], v[64:65], v[60:61] neg_lo:[0,1] neg_hi:[0,1]
	v_mov_b32_e32 v15, v72
	v_pk_add_f32 v[74:75], v[68:69], v[14:15] neg_lo:[0,1] neg_hi:[0,1]
	v_mov_b32_e32 v62, v69
	v_mov_b32_e32 v68, v61
	;; [unrolled: 1-line block ×4, first 2 shown]
	v_pk_add_f32 v[62:63], v[62:63], v[68:69] neg_lo:[0,1] neg_hi:[0,1]
	v_mov_b32_e32 v66, v67
	v_mov_b32_e32 v67, v60
	v_pk_add_f32 v[60:61], v[66:67], v[62:63] neg_lo:[0,1] neg_hi:[0,1]
	v_mov_b32_e32 v74, v70
	v_pk_add_f32 v[62:63], v[74:75], v[60:61]
	v_mov_b32_e32 v66, v63
	v_pk_add_f32 v[66:67], v[62:63], v[66:67]
	v_pk_add_f32 v[64:65], v[64:65], v[66:67]
	v_mov_b32_e32 v63, v64
	v_pk_add_f32 v[68:69], v[62:63], v[70:71] neg_lo:[0,1] neg_hi:[0,1]
	v_mov_b32_e32 v61, v66
	v_sub_f32_e32 v15, v62, v68
	v_pk_add_f32 v[60:61], v[60:61], v[68:69] neg_lo:[0,1] neg_hi:[0,1]
	v_sub_f32_e32 v15, v70, v15
	v_add_f32_e32 v15, v60, v15
	v_add_f32_e32 v15, v15, v61
	v_cmp_eq_f32_e32 vcc, s60, v17
	v_cmp_lt_f32_e64 s[64:65], |v17|, s63
	v_add_f32_e32 v15, v64, v15
	s_or_b64 vcc, vcc, s[64:65]
	v_cndmask_b32_e32 v15, v15, v17, vcc
	v_add_f32_e32 v17, v12, v15
.LBB136_146:                            ;   in Loop: Header=BB136_128 Depth=1
	s_or_b64 exec, exec, s[40:41]
	v_mov_b32_e32 v12, v17
	v_mov_b32_e32 v15, v17
.LBB136_147:                            ;   in Loop: Header=BB136_128 Depth=1
	s_or_b64 exec, exec, s[54:55]
	s_waitcnt lgkmcnt(0)
	ds_bpermute_b32 v17, v50, v12
	v_cmp_le_u32_e32 vcc, v51, v16
	s_and_saveexec_b64 s[54:55], vcc
	s_cbranch_execz .LBB136_151
; %bb.148:                              ;   in Loop: Header=BB136_128 Depth=1
	v_max_f32_e32 v12, v15, v15
	s_waitcnt lgkmcnt(0)
	v_max_f32_e32 v61, v17, v17
	v_min_f32_e32 v60, v61, v12
	v_cmp_u_f32_e32 vcc, v17, v17
	v_max_f32_e32 v12, v61, v12
	v_cndmask_b32_e32 v60, v60, v17, vcc
	v_cmp_u_f32_e64 s[40:41], v15, v15
	v_cndmask_b32_e32 v12, v12, v17, vcc
	v_cndmask_b32_e64 v60, v60, v15, s[40:41]
	v_cndmask_b32_e64 v12, v12, v15, s[40:41]
	v_cmp_neq_f32_e32 vcc, v60, v12
	v_cmp_class_f32_e64 s[40:41], v60, s7
	s_or_b64 s[64:65], vcc, s[40:41]
	s_and_saveexec_b64 s[40:41], s[64:65]
	s_cbranch_execz .LBB136_150
; %bb.149:                              ;   in Loop: Header=BB136_128 Depth=1
	v_sub_f32_e32 v15, v60, v12
	v_mul_f32_e32 v17, 0x3fb8aa3b, v15
	v_fma_f32 v60, v15, s57, -v17
	v_rndne_f32_e32 v61, v17
	v_fmac_f32_e32 v60, 0x32a5705f, v15
	v_sub_f32_e32 v17, v17, v61
	v_add_f32_e32 v17, v17, v60
	v_cvt_i32_f32_e32 v60, v61
	v_exp_f32_e32 v17, v17
	v_cmp_ngt_f32_e32 vcc, s58, v15
	v_ldexp_f32 v17, v17, v60
	v_cndmask_b32_e32 v17, 0, v17, vcc
	v_cmp_nlt_f32_e32 vcc, s59, v15
	v_cndmask_b32_e32 v17, v59, v17, vcc
	v_add_f32_e32 v15, 1.0, v17
	v_add_f32_e32 v60, -1.0, v15
	v_sub_f32_e32 v61, v60, v15
	v_add_f32_e32 v61, 1.0, v61
	v_sub_f32_e32 v60, v17, v60
	v_add_f32_e32 v62, v60, v61
	v_frexp_mant_f32_e32 v63, v15
	v_cvt_f64_f32_e32 v[60:61], v15
	v_frexp_exp_i32_f64_e32 v60, v[60:61]
	v_cmp_gt_f32_e32 vcc, s61, v63
	v_subbrev_co_u32_e32 v68, vcc, 0, v60, vcc
	v_sub_u32_e32 v60, 0, v68
	v_ldexp_f32 v15, v15, v60
	v_ldexp_f32 v60, v62, v60
	v_add_f32_e32 v62, -1.0, v15
	v_add_f32_e32 v61, 1.0, v62
	v_sub_f32_e32 v61, v15, v61
	v_add_f32_e32 v63, v60, v61
	v_add_f32_e32 v61, 1.0, v15
	v_add_f32_e32 v64, -1.0, v61
	v_sub_f32_e32 v15, v15, v64
	v_add_f32_e32 v15, v60, v15
	v_add_f32_e32 v69, v61, v15
	v_rcp_f32_e32 v70, v69
	v_sub_f32_e32 v60, v61, v69
	v_add_f32_e32 v61, v62, v63
	v_add_f32_e32 v15, v15, v60
	v_mul_f32_e32 v72, v61, v70
	v_sub_f32_e32 v60, v62, v61
	v_mul_f32_e32 v62, v69, v72
	v_fma_f32 v64, v72, v69, -v62
	v_fmac_f32_e32 v64, v72, v15
	v_add_f32_e32 v71, v63, v60
	v_add_f32_e32 v60, v62, v64
	v_sub_f32_e32 v63, v61, v60
	v_pk_add_f32 v[66:67], v[60:61], v[62:63] neg_lo:[0,1] neg_hi:[0,1]
	v_mov_b32_e32 v65, v60
	v_pk_add_f32 v[60:61], v[66:67], v[64:65] neg_lo:[0,1] neg_hi:[0,1]
	v_add_f32_e32 v61, v71, v61
	v_add_f32_e32 v60, v60, v61
	;; [unrolled: 1-line block ×3, first 2 shown]
	v_mul_f32_e32 v71, v70, v61
	v_mul_f32_e32 v62, v69, v71
	v_fma_f32 v64, v71, v69, -v62
	v_fmac_f32_e32 v64, v71, v15
	v_sub_f32_e32 v15, v63, v61
	v_add_f32_e32 v15, v60, v15
	v_add_f32_e32 v60, v62, v64
	v_sub_f32_e32 v63, v61, v60
	v_pk_add_f32 v[66:67], v[60:61], v[62:63] neg_lo:[0,1] neg_hi:[0,1]
	v_mov_b32_e32 v65, v60
	v_pk_add_f32 v[60:61], v[66:67], v[64:65] neg_lo:[0,1] neg_hi:[0,1]
	v_add_f32_e32 v15, v15, v61
	v_add_f32_e32 v15, v60, v15
	v_add_f32_e32 v61, v72, v71
	v_add_f32_e32 v15, v63, v15
	v_sub_f32_e32 v60, v61, v72
	v_mul_f32_e32 v15, v70, v15
	v_sub_f32_e32 v60, v71, v60
	v_add_f32_e32 v62, v60, v15
	v_add_f32_e32 v64, v61, v62
	v_cvt_f32_i32_e32 v60, v68
	v_mul_f32_e32 v65, v64, v64
	v_mov_b32_e32 v15, 0x3ecc95a3
	v_sub_f32_e32 v61, v64, v61
	v_fmac_f32_e32 v15, 0x3e9b6dac, v65
	v_sub_f32_e32 v61, v62, v61
	v_fma_f32 v15, v65, v15, v57
	v_ldexp_f32 v66, v61, 1
	v_mul_f32_e32 v61, v64, v65
	v_ldexp_f32 v63, v64, 1
	v_pk_mul_f32 v[64:65], v[60:61], v[14:15]
	v_fma_f32 v62, v60, s62, -v64
	v_fmac_f32_e32 v62, 0xb102e308, v60
	v_pk_add_f32 v[60:61], v[64:65], v[62:63]
	v_sub_f32_e32 v15, v61, v63
	v_sub_f32_e32 v15, v65, v15
	v_add_f32_e32 v67, v66, v15
	v_mov_b32_e32 v66, v64
	v_pk_add_f32 v[64:65], v[60:61], v[64:65] neg_lo:[0,1] neg_hi:[0,1]
	v_pk_add_f32 v[68:69], v[60:61], v[66:67]
	v_mov_b32_e32 v65, v69
	v_mov_b32_e32 v63, v60
	v_pk_add_f32 v[70:71], v[62:63], v[64:65] neg_lo:[0,1] neg_hi:[0,1]
	v_pk_add_f32 v[62:63], v[62:63], v[64:65]
	v_mov_b32_e32 v64, v63
	v_pk_add_f32 v[72:73], v[64:65], v[60:61] neg_lo:[0,1] neg_hi:[0,1]
	v_mov_b32_e32 v15, v72
	v_pk_add_f32 v[74:75], v[68:69], v[14:15] neg_lo:[0,1] neg_hi:[0,1]
	v_mov_b32_e32 v62, v69
	v_mov_b32_e32 v68, v61
	;; [unrolled: 1-line block ×4, first 2 shown]
	v_pk_add_f32 v[62:63], v[62:63], v[68:69] neg_lo:[0,1] neg_hi:[0,1]
	v_mov_b32_e32 v66, v67
	v_mov_b32_e32 v67, v60
	v_pk_add_f32 v[60:61], v[66:67], v[62:63] neg_lo:[0,1] neg_hi:[0,1]
	v_mov_b32_e32 v74, v70
	v_pk_add_f32 v[62:63], v[74:75], v[60:61]
	v_mov_b32_e32 v66, v63
	v_pk_add_f32 v[66:67], v[62:63], v[66:67]
	v_pk_add_f32 v[64:65], v[64:65], v[66:67]
	v_mov_b32_e32 v63, v64
	v_pk_add_f32 v[68:69], v[62:63], v[70:71] neg_lo:[0,1] neg_hi:[0,1]
	v_mov_b32_e32 v61, v66
	v_sub_f32_e32 v15, v62, v68
	v_pk_add_f32 v[60:61], v[60:61], v[68:69] neg_lo:[0,1] neg_hi:[0,1]
	v_sub_f32_e32 v15, v70, v15
	v_add_f32_e32 v15, v60, v15
	v_add_f32_e32 v15, v15, v61
	v_cmp_eq_f32_e32 vcc, s60, v17
	v_cmp_lt_f32_e64 s[64:65], |v17|, s63
	v_add_f32_e32 v15, v64, v15
	s_or_b64 vcc, vcc, s[64:65]
	v_cndmask_b32_e32 v15, v15, v17, vcc
	v_add_f32_e32 v17, v12, v15
.LBB136_150:                            ;   in Loop: Header=BB136_128 Depth=1
	s_or_b64 exec, exec, s[40:41]
	v_mov_b32_e32 v12, v17
	v_mov_b32_e32 v15, v17
.LBB136_151:                            ;   in Loop: Header=BB136_128 Depth=1
	s_or_b64 exec, exec, s[54:55]
	s_waitcnt lgkmcnt(0)
	ds_bpermute_b32 v17, v52, v12
	v_cmp_le_u32_e32 vcc, v53, v16
	s_and_saveexec_b64 s[54:55], vcc
	s_cbranch_execz .LBB136_155
; %bb.152:                              ;   in Loop: Header=BB136_128 Depth=1
	v_max_f32_e32 v12, v15, v15
	s_waitcnt lgkmcnt(0)
	v_max_f32_e32 v61, v17, v17
	v_min_f32_e32 v60, v61, v12
	v_cmp_u_f32_e32 vcc, v17, v17
	v_max_f32_e32 v12, v61, v12
	v_cndmask_b32_e32 v60, v60, v17, vcc
	v_cmp_u_f32_e64 s[40:41], v15, v15
	v_cndmask_b32_e32 v12, v12, v17, vcc
	v_cndmask_b32_e64 v60, v60, v15, s[40:41]
	v_cndmask_b32_e64 v12, v12, v15, s[40:41]
	v_cmp_neq_f32_e32 vcc, v60, v12
	v_cmp_class_f32_e64 s[40:41], v60, s7
	s_or_b64 s[64:65], vcc, s[40:41]
	s_and_saveexec_b64 s[40:41], s[64:65]
	s_cbranch_execz .LBB136_154
; %bb.153:                              ;   in Loop: Header=BB136_128 Depth=1
	v_sub_f32_e32 v15, v60, v12
	v_mul_f32_e32 v17, 0x3fb8aa3b, v15
	v_fma_f32 v60, v15, s57, -v17
	v_rndne_f32_e32 v61, v17
	v_fmac_f32_e32 v60, 0x32a5705f, v15
	v_sub_f32_e32 v17, v17, v61
	v_add_f32_e32 v17, v17, v60
	v_cvt_i32_f32_e32 v60, v61
	v_exp_f32_e32 v17, v17
	v_cmp_ngt_f32_e32 vcc, s58, v15
	v_ldexp_f32 v17, v17, v60
	v_cndmask_b32_e32 v17, 0, v17, vcc
	v_cmp_nlt_f32_e32 vcc, s59, v15
	v_cndmask_b32_e32 v17, v59, v17, vcc
	v_add_f32_e32 v15, 1.0, v17
	v_add_f32_e32 v60, -1.0, v15
	v_sub_f32_e32 v61, v60, v15
	v_add_f32_e32 v61, 1.0, v61
	v_sub_f32_e32 v60, v17, v60
	v_add_f32_e32 v62, v60, v61
	v_frexp_mant_f32_e32 v63, v15
	v_cvt_f64_f32_e32 v[60:61], v15
	v_frexp_exp_i32_f64_e32 v60, v[60:61]
	v_cmp_gt_f32_e32 vcc, s61, v63
	v_subbrev_co_u32_e32 v68, vcc, 0, v60, vcc
	v_sub_u32_e32 v60, 0, v68
	v_ldexp_f32 v15, v15, v60
	v_ldexp_f32 v60, v62, v60
	v_add_f32_e32 v62, -1.0, v15
	v_add_f32_e32 v61, 1.0, v62
	v_sub_f32_e32 v61, v15, v61
	v_add_f32_e32 v63, v60, v61
	v_add_f32_e32 v61, 1.0, v15
	v_add_f32_e32 v64, -1.0, v61
	v_sub_f32_e32 v15, v15, v64
	v_add_f32_e32 v15, v60, v15
	v_add_f32_e32 v69, v61, v15
	v_rcp_f32_e32 v70, v69
	v_sub_f32_e32 v60, v61, v69
	v_add_f32_e32 v61, v62, v63
	v_add_f32_e32 v15, v15, v60
	v_mul_f32_e32 v72, v61, v70
	v_sub_f32_e32 v60, v62, v61
	v_mul_f32_e32 v62, v69, v72
	v_fma_f32 v64, v72, v69, -v62
	v_fmac_f32_e32 v64, v72, v15
	v_add_f32_e32 v71, v63, v60
	v_add_f32_e32 v60, v62, v64
	v_sub_f32_e32 v63, v61, v60
	v_pk_add_f32 v[66:67], v[60:61], v[62:63] neg_lo:[0,1] neg_hi:[0,1]
	v_mov_b32_e32 v65, v60
	v_pk_add_f32 v[60:61], v[66:67], v[64:65] neg_lo:[0,1] neg_hi:[0,1]
	v_add_f32_e32 v61, v71, v61
	v_add_f32_e32 v60, v60, v61
	;; [unrolled: 1-line block ×3, first 2 shown]
	v_mul_f32_e32 v71, v70, v61
	v_mul_f32_e32 v62, v69, v71
	v_fma_f32 v64, v71, v69, -v62
	v_fmac_f32_e32 v64, v71, v15
	v_sub_f32_e32 v15, v63, v61
	v_add_f32_e32 v15, v60, v15
	v_add_f32_e32 v60, v62, v64
	v_sub_f32_e32 v63, v61, v60
	v_pk_add_f32 v[66:67], v[60:61], v[62:63] neg_lo:[0,1] neg_hi:[0,1]
	v_mov_b32_e32 v65, v60
	v_pk_add_f32 v[60:61], v[66:67], v[64:65] neg_lo:[0,1] neg_hi:[0,1]
	v_add_f32_e32 v15, v15, v61
	v_add_f32_e32 v15, v60, v15
	;; [unrolled: 1-line block ×4, first 2 shown]
	v_sub_f32_e32 v60, v61, v72
	v_mul_f32_e32 v15, v70, v15
	v_sub_f32_e32 v60, v71, v60
	v_add_f32_e32 v62, v60, v15
	v_add_f32_e32 v64, v61, v62
	v_cvt_f32_i32_e32 v60, v68
	v_mul_f32_e32 v65, v64, v64
	v_mov_b32_e32 v15, 0x3ecc95a3
	v_sub_f32_e32 v61, v64, v61
	v_fmac_f32_e32 v15, 0x3e9b6dac, v65
	v_sub_f32_e32 v61, v62, v61
	v_fma_f32 v15, v65, v15, v57
	v_ldexp_f32 v66, v61, 1
	v_mul_f32_e32 v61, v64, v65
	v_ldexp_f32 v63, v64, 1
	v_pk_mul_f32 v[64:65], v[60:61], v[14:15]
	v_fma_f32 v62, v60, s62, -v64
	v_fmac_f32_e32 v62, 0xb102e308, v60
	v_pk_add_f32 v[60:61], v[64:65], v[62:63]
	v_sub_f32_e32 v15, v61, v63
	v_sub_f32_e32 v15, v65, v15
	v_add_f32_e32 v67, v66, v15
	v_mov_b32_e32 v66, v64
	v_pk_add_f32 v[64:65], v[60:61], v[64:65] neg_lo:[0,1] neg_hi:[0,1]
	v_pk_add_f32 v[68:69], v[60:61], v[66:67]
	v_mov_b32_e32 v65, v69
	v_mov_b32_e32 v63, v60
	v_pk_add_f32 v[70:71], v[62:63], v[64:65] neg_lo:[0,1] neg_hi:[0,1]
	v_pk_add_f32 v[62:63], v[62:63], v[64:65]
	v_mov_b32_e32 v64, v63
	v_pk_add_f32 v[72:73], v[64:65], v[60:61] neg_lo:[0,1] neg_hi:[0,1]
	v_mov_b32_e32 v15, v72
	v_pk_add_f32 v[74:75], v[68:69], v[14:15] neg_lo:[0,1] neg_hi:[0,1]
	v_mov_b32_e32 v62, v69
	v_mov_b32_e32 v68, v61
	;; [unrolled: 1-line block ×4, first 2 shown]
	v_pk_add_f32 v[62:63], v[62:63], v[68:69] neg_lo:[0,1] neg_hi:[0,1]
	v_mov_b32_e32 v66, v67
	v_mov_b32_e32 v67, v60
	v_pk_add_f32 v[60:61], v[66:67], v[62:63] neg_lo:[0,1] neg_hi:[0,1]
	v_mov_b32_e32 v74, v70
	v_pk_add_f32 v[62:63], v[74:75], v[60:61]
	v_mov_b32_e32 v66, v63
	v_pk_add_f32 v[66:67], v[62:63], v[66:67]
	v_pk_add_f32 v[64:65], v[64:65], v[66:67]
	v_mov_b32_e32 v63, v64
	v_pk_add_f32 v[68:69], v[62:63], v[70:71] neg_lo:[0,1] neg_hi:[0,1]
	v_mov_b32_e32 v61, v66
	v_sub_f32_e32 v15, v62, v68
	v_pk_add_f32 v[60:61], v[60:61], v[68:69] neg_lo:[0,1] neg_hi:[0,1]
	v_sub_f32_e32 v15, v70, v15
	v_add_f32_e32 v15, v60, v15
	v_add_f32_e32 v15, v15, v61
	v_cmp_eq_f32_e32 vcc, s60, v17
	v_cmp_lt_f32_e64 s[64:65], |v17|, s63
	v_add_f32_e32 v15, v64, v15
	s_or_b64 vcc, vcc, s[64:65]
	v_cndmask_b32_e32 v15, v15, v17, vcc
	v_add_f32_e32 v17, v12, v15
.LBB136_154:                            ;   in Loop: Header=BB136_128 Depth=1
	s_or_b64 exec, exec, s[40:41]
	v_mov_b32_e32 v12, v17
	v_mov_b32_e32 v15, v17
.LBB136_155:                            ;   in Loop: Header=BB136_128 Depth=1
	s_or_b64 exec, exec, s[54:55]
	s_waitcnt lgkmcnt(0)
	ds_bpermute_b32 v17, v54, v12
	v_cmp_le_u32_e32 vcc, v55, v16
	s_and_saveexec_b64 s[54:55], vcc
	s_cbranch_execz .LBB136_159
; %bb.156:                              ;   in Loop: Header=BB136_128 Depth=1
	v_max_f32_e32 v12, v15, v15
	s_waitcnt lgkmcnt(0)
	v_max_f32_e32 v60, v17, v17
	v_min_f32_e32 v16, v60, v12
	v_cmp_u_f32_e32 vcc, v17, v17
	v_max_f32_e32 v12, v60, v12
	v_cndmask_b32_e32 v16, v16, v17, vcc
	v_cmp_u_f32_e64 s[40:41], v15, v15
	v_cndmask_b32_e32 v12, v12, v17, vcc
	v_cndmask_b32_e64 v16, v16, v15, s[40:41]
	v_cndmask_b32_e64 v12, v12, v15, s[40:41]
	v_cmp_neq_f32_e32 vcc, v16, v12
	v_cmp_class_f32_e64 s[40:41], v16, s7
	s_or_b64 s[64:65], vcc, s[40:41]
	s_and_saveexec_b64 s[40:41], s[64:65]
	s_cbranch_execz .LBB136_158
; %bb.157:                              ;   in Loop: Header=BB136_128 Depth=1
	v_sub_f32_e32 v15, v16, v12
	v_mul_f32_e32 v16, 0x3fb8aa3b, v15
	v_fma_f32 v17, v15, s57, -v16
	v_rndne_f32_e32 v60, v16
	v_fmac_f32_e32 v17, 0x32a5705f, v15
	v_sub_f32_e32 v16, v16, v60
	v_add_f32_e32 v16, v16, v17
	v_cvt_i32_f32_e32 v17, v60
	v_exp_f32_e32 v16, v16
	v_cmp_ngt_f32_e32 vcc, s58, v15
	v_ldexp_f32 v16, v16, v17
	v_cndmask_b32_e32 v16, 0, v16, vcc
	v_cmp_nlt_f32_e32 vcc, s59, v15
	v_cndmask_b32_e32 v74, v59, v16, vcc
	v_add_f32_e32 v15, 1.0, v74
	v_add_f32_e32 v16, -1.0, v15
	v_sub_f32_e32 v17, v16, v15
	v_add_f32_e32 v17, 1.0, v17
	v_sub_f32_e32 v16, v74, v16
	v_add_f32_e32 v60, v16, v17
	v_frexp_mant_f32_e32 v61, v15
	v_cvt_f64_f32_e32 v[16:17], v15
	v_frexp_exp_i32_f64_e32 v16, v[16:17]
	v_cmp_gt_f32_e32 vcc, s61, v61
	v_subbrev_co_u32_e32 v66, vcc, 0, v16, vcc
	v_sub_u32_e32 v16, 0, v66
	v_ldexp_f32 v15, v15, v16
	v_ldexp_f32 v16, v60, v16
	v_add_f32_e32 v60, -1.0, v15
	v_add_f32_e32 v17, 1.0, v60
	v_sub_f32_e32 v17, v15, v17
	v_add_f32_e32 v61, v16, v17
	v_add_f32_e32 v17, 1.0, v15
	v_add_f32_e32 v62, -1.0, v17
	v_sub_f32_e32 v15, v15, v62
	v_add_f32_e32 v15, v16, v15
	v_add_f32_e32 v67, v17, v15
	v_rcp_f32_e32 v68, v67
	v_sub_f32_e32 v16, v17, v67
	v_add_f32_e32 v17, v60, v61
	v_add_f32_e32 v15, v15, v16
	v_mul_f32_e32 v70, v17, v68
	v_sub_f32_e32 v16, v60, v17
	v_mul_f32_e32 v60, v67, v70
	v_fma_f32 v62, v70, v67, -v60
	v_fmac_f32_e32 v62, v70, v15
	v_add_f32_e32 v69, v61, v16
	v_add_f32_e32 v16, v60, v62
	v_sub_f32_e32 v61, v17, v16
	v_pk_add_f32 v[64:65], v[16:17], v[60:61] neg_lo:[0,1] neg_hi:[0,1]
	v_mov_b32_e32 v63, v16
	v_pk_add_f32 v[16:17], v[64:65], v[62:63] neg_lo:[0,1] neg_hi:[0,1]
	v_add_f32_e32 v17, v69, v17
	v_add_f32_e32 v16, v16, v17
	;; [unrolled: 1-line block ×3, first 2 shown]
	v_mul_f32_e32 v69, v68, v17
	v_mul_f32_e32 v60, v67, v69
	v_fma_f32 v62, v69, v67, -v60
	v_fmac_f32_e32 v62, v69, v15
	v_sub_f32_e32 v15, v61, v17
	v_add_f32_e32 v15, v16, v15
	v_add_f32_e32 v16, v60, v62
	v_sub_f32_e32 v61, v17, v16
	v_pk_add_f32 v[64:65], v[16:17], v[60:61] neg_lo:[0,1] neg_hi:[0,1]
	v_mov_b32_e32 v63, v16
	v_pk_add_f32 v[16:17], v[64:65], v[62:63] neg_lo:[0,1] neg_hi:[0,1]
	v_add_f32_e32 v15, v15, v17
	v_add_f32_e32 v15, v16, v15
	;; [unrolled: 1-line block ×4, first 2 shown]
	v_sub_f32_e32 v16, v17, v70
	v_mul_f32_e32 v15, v68, v15
	v_sub_f32_e32 v16, v69, v16
	v_add_f32_e32 v60, v16, v15
	v_add_f32_e32 v62, v17, v60
	v_cvt_f32_i32_e32 v16, v66
	v_mul_f32_e32 v63, v62, v62
	v_mov_b32_e32 v15, 0x3ecc95a3
	v_sub_f32_e32 v17, v62, v17
	v_fmac_f32_e32 v15, 0x3e9b6dac, v63
	v_sub_f32_e32 v17, v60, v17
	v_fma_f32 v15, v63, v15, v57
	v_ldexp_f32 v64, v17, 1
	v_mul_f32_e32 v17, v62, v63
	v_ldexp_f32 v61, v62, 1
	v_pk_mul_f32 v[62:63], v[16:17], v[14:15]
	v_fma_f32 v60, v16, s62, -v62
	v_fmac_f32_e32 v60, 0xb102e308, v16
	v_pk_add_f32 v[16:17], v[62:63], v[60:61]
	v_sub_f32_e32 v15, v17, v61
	v_sub_f32_e32 v15, v63, v15
	v_add_f32_e32 v65, v64, v15
	v_mov_b32_e32 v64, v62
	v_pk_add_f32 v[62:63], v[16:17], v[62:63] neg_lo:[0,1] neg_hi:[0,1]
	v_pk_add_f32 v[66:67], v[16:17], v[64:65]
	v_mov_b32_e32 v63, v67
	v_mov_b32_e32 v61, v16
	v_pk_add_f32 v[68:69], v[60:61], v[62:63] neg_lo:[0,1] neg_hi:[0,1]
	v_pk_add_f32 v[60:61], v[60:61], v[62:63]
	v_mov_b32_e32 v62, v61
	v_pk_add_f32 v[70:71], v[62:63], v[16:17] neg_lo:[0,1] neg_hi:[0,1]
	v_mov_b32_e32 v15, v70
	v_pk_add_f32 v[72:73], v[66:67], v[14:15] neg_lo:[0,1] neg_hi:[0,1]
	v_mov_b32_e32 v60, v67
	v_mov_b32_e32 v66, v17
	;; [unrolled: 1-line block ×4, first 2 shown]
	v_pk_add_f32 v[60:61], v[60:61], v[66:67] neg_lo:[0,1] neg_hi:[0,1]
	v_mov_b32_e32 v64, v65
	v_mov_b32_e32 v65, v16
	v_pk_add_f32 v[16:17], v[64:65], v[60:61] neg_lo:[0,1] neg_hi:[0,1]
	v_mov_b32_e32 v72, v68
	v_pk_add_f32 v[60:61], v[72:73], v[16:17]
	v_mov_b32_e32 v64, v61
	v_pk_add_f32 v[64:65], v[60:61], v[64:65]
	v_pk_add_f32 v[62:63], v[62:63], v[64:65]
	v_mov_b32_e32 v61, v62
	v_pk_add_f32 v[66:67], v[60:61], v[68:69] neg_lo:[0,1] neg_hi:[0,1]
	v_mov_b32_e32 v17, v64
	v_sub_f32_e32 v15, v60, v66
	v_pk_add_f32 v[16:17], v[16:17], v[66:67] neg_lo:[0,1] neg_hi:[0,1]
	v_sub_f32_e32 v15, v68, v15
	v_add_f32_e32 v15, v16, v15
	v_add_f32_e32 v15, v15, v17
	v_cmp_eq_f32_e32 vcc, s60, v74
	v_cmp_lt_f32_e64 s[64:65], |v74|, s63
	v_add_f32_e32 v15, v62, v15
	s_or_b64 vcc, vcc, s[64:65]
	v_cndmask_b32_e32 v15, v15, v74, vcc
	v_add_f32_e32 v17, v12, v15
.LBB136_158:                            ;   in Loop: Header=BB136_128 Depth=1
	s_or_b64 exec, exec, s[40:41]
	v_mov_b32_e32 v15, v17
.LBB136_159:                            ;   in Loop: Header=BB136_128 Depth=1
	s_or_b64 exec, exec, s[54:55]
	v_max_f32_e32 v12, v56, v56
	s_waitcnt lgkmcnt(0)
	v_max_f32_e32 v17, v15, v15
	v_min_f32_e32 v16, v17, v12
	v_cmp_u_f32_e32 vcc, v15, v15
	v_max_f32_e32 v12, v17, v12
	v_cndmask_b32_e32 v16, v16, v15, vcc
	v_cmp_u_f32_e64 s[40:41], v56, v56
	v_cndmask_b32_e32 v12, v12, v15, vcc
	v_cndmask_b32_e64 v16, v16, v56, s[40:41]
	v_cndmask_b32_e64 v12, v12, v56, s[40:41]
	v_cmp_neq_f32_e32 vcc, v16, v12
	v_cmp_class_f32_e64 s[40:41], v16, s7
	s_or_b64 s[40:41], vcc, s[40:41]
	s_and_saveexec_b64 s[54:55], s[40:41]
	s_xor_b64 s[40:41], exec, s[54:55]
	s_cbranch_execz .LBB136_127
; %bb.160:                              ;   in Loop: Header=BB136_128 Depth=1
	v_sub_f32_e32 v15, v16, v12
	v_mul_f32_e32 v16, 0x3fb8aa3b, v15
	v_fma_f32 v17, v15, s57, -v16
	v_rndne_f32_e32 v60, v16
	v_fmac_f32_e32 v17, 0x32a5705f, v15
	v_sub_f32_e32 v16, v16, v60
	v_add_f32_e32 v16, v16, v17
	v_cvt_i32_f32_e32 v17, v60
	v_exp_f32_e32 v16, v16
	v_cmp_ngt_f32_e32 vcc, s58, v15
	v_ldexp_f32 v16, v16, v17
	v_cndmask_b32_e32 v16, 0, v16, vcc
	v_cmp_nlt_f32_e32 vcc, s59, v15
	v_cndmask_b32_e32 v74, v59, v16, vcc
	v_add_f32_e32 v15, 1.0, v74
	v_add_f32_e32 v16, -1.0, v15
	v_sub_f32_e32 v17, v16, v15
	v_add_f32_e32 v17, 1.0, v17
	v_sub_f32_e32 v16, v74, v16
	v_add_f32_e32 v60, v16, v17
	v_frexp_mant_f32_e32 v61, v15
	v_cvt_f64_f32_e32 v[16:17], v15
	v_frexp_exp_i32_f64_e32 v16, v[16:17]
	v_cmp_gt_f32_e32 vcc, s61, v61
	v_subbrev_co_u32_e32 v16, vcc, 0, v16, vcc
	v_sub_u32_e32 v17, 0, v16
	v_ldexp_f32 v15, v15, v17
	v_ldexp_f32 v17, v60, v17
	v_add_f32_e32 v60, -1.0, v15
	v_add_f32_e32 v63, 1.0, v15
	v_add_f32_e32 v61, 1.0, v60
	v_add_f32_e32 v64, -1.0, v63
	v_sub_f32_e32 v61, v15, v61
	v_sub_f32_e32 v15, v15, v64
	v_add_f32_e32 v15, v17, v15
	v_add_f32_e32 v61, v17, v61
	;; [unrolled: 1-line block ×3, first 2 shown]
	v_rcp_f32_e32 v64, v17
	v_add_f32_e32 v62, v60, v61
	v_sub_f32_e32 v60, v60, v62
	v_add_f32_e32 v60, v61, v60
	v_sub_f32_e32 v61, v63, v17
	v_add_f32_e32 v15, v15, v61
	v_mul_f32_e32 v61, v62, v64
	v_mul_f32_e32 v63, v17, v61
	v_fma_f32 v65, v61, v17, -v63
	v_fmac_f32_e32 v65, v61, v15
	v_add_f32_e32 v66, v63, v65
	v_sub_f32_e32 v67, v62, v66
	v_sub_f32_e32 v62, v62, v67
	;; [unrolled: 1-line block ×4, first 2 shown]
	v_add_f32_e32 v60, v60, v62
	v_sub_f32_e32 v62, v63, v65
	v_add_f32_e32 v60, v62, v60
	v_add_f32_e32 v62, v67, v60
	v_mul_f32_e32 v63, v64, v62
	v_mul_f32_e32 v65, v17, v63
	v_fma_f32 v17, v63, v17, -v65
	v_fmac_f32_e32 v17, v63, v15
	v_sub_f32_e32 v15, v67, v62
	v_add_f32_e32 v15, v60, v15
	v_add_f32_e32 v60, v65, v17
	v_sub_f32_e32 v66, v62, v60
	v_sub_f32_e32 v62, v62, v66
	;; [unrolled: 1-line block ×4, first 2 shown]
	v_add_f32_e32 v15, v15, v60
	v_sub_f32_e32 v17, v65, v17
	v_add_f32_e32 v15, v17, v15
	v_add_f32_e32 v17, v61, v63
	v_add_f32_e32 v15, v66, v15
	v_sub_f32_e32 v60, v17, v61
	v_mul_f32_e32 v15, v64, v15
	v_sub_f32_e32 v60, v63, v60
	v_add_f32_e32 v60, v60, v15
	v_add_f32_e32 v62, v17, v60
	v_cvt_f32_i32_e32 v16, v16
	v_mul_f32_e32 v63, v62, v62
	v_mov_b32_e32 v15, 0x3ecc95a3
	v_sub_f32_e32 v17, v62, v17
	v_fmac_f32_e32 v15, 0x3e9b6dac, v63
	v_sub_f32_e32 v17, v60, v17
	v_fma_f32 v15, v63, v15, v57
	v_ldexp_f32 v64, v17, 1
	v_mul_f32_e32 v17, v62, v63
	v_ldexp_f32 v61, v62, 1
	v_pk_mul_f32 v[62:63], v[16:17], v[14:15]
	v_fma_f32 v60, v16, s62, -v62
	v_fmac_f32_e32 v60, 0xb102e308, v16
	v_pk_add_f32 v[16:17], v[62:63], v[60:61]
	v_sub_f32_e32 v15, v17, v61
	v_sub_f32_e32 v15, v63, v15
	v_add_f32_e32 v65, v64, v15
	v_mov_b32_e32 v64, v62
	v_pk_add_f32 v[62:63], v[16:17], v[62:63] neg_lo:[0,1] neg_hi:[0,1]
	v_pk_add_f32 v[66:67], v[16:17], v[64:65]
	v_mov_b32_e32 v63, v67
	v_mov_b32_e32 v61, v16
	v_pk_add_f32 v[68:69], v[60:61], v[62:63] neg_lo:[0,1] neg_hi:[0,1]
	v_pk_add_f32 v[60:61], v[60:61], v[62:63]
	v_mov_b32_e32 v62, v61
	v_pk_add_f32 v[70:71], v[62:63], v[16:17] neg_lo:[0,1] neg_hi:[0,1]
	v_mov_b32_e32 v15, v70
	v_pk_add_f32 v[72:73], v[66:67], v[14:15] neg_lo:[0,1] neg_hi:[0,1]
	v_mov_b32_e32 v60, v67
	v_mov_b32_e32 v66, v17
	;; [unrolled: 1-line block ×4, first 2 shown]
	v_pk_add_f32 v[60:61], v[60:61], v[66:67] neg_lo:[0,1] neg_hi:[0,1]
	v_mov_b32_e32 v64, v65
	v_mov_b32_e32 v65, v16
	v_pk_add_f32 v[16:17], v[64:65], v[60:61] neg_lo:[0,1] neg_hi:[0,1]
	v_mov_b32_e32 v72, v68
	v_pk_add_f32 v[60:61], v[72:73], v[16:17]
	v_mov_b32_e32 v64, v61
	v_pk_add_f32 v[64:65], v[60:61], v[64:65]
	v_pk_add_f32 v[62:63], v[62:63], v[64:65]
	v_mov_b32_e32 v61, v62
	v_pk_add_f32 v[66:67], v[60:61], v[68:69] neg_lo:[0,1] neg_hi:[0,1]
	v_mov_b32_e32 v17, v64
	v_sub_f32_e32 v15, v60, v66
	v_pk_add_f32 v[16:17], v[16:17], v[66:67] neg_lo:[0,1] neg_hi:[0,1]
	v_sub_f32_e32 v15, v68, v15
	v_add_f32_e32 v15, v16, v15
	v_add_f32_e32 v15, v15, v17
	v_cmp_eq_f32_e32 vcc, s60, v74
	v_cmp_lt_f32_e64 s[54:55], |v74|, s63
	v_add_f32_e32 v15, v62, v15
	s_or_b64 vcc, vcc, s[54:55]
	v_cndmask_b32_e32 v15, v15, v74, vcc
	v_add_f32_e32 v15, v12, v15
	s_branch .LBB136_127
.LBB136_161:                            ;   in Loop: Header=BB136_128 Depth=1
                                        ; implicit-def: $vgpr15
                                        ; implicit-def: $vgpr13
	s_cbranch_execz .LBB136_128
; %bb.162:
	s_and_saveexec_b64 s[40:41], s[36:37]
	s_cbranch_execz .LBB136_166
; %bb.163:
	v_max_f32_e32 v7, v6, v6
	v_max_f32_e32 v9, v56, v56
	v_min_f32_e32 v8, v9, v7
	v_cmp_u_f32_e32 vcc, v56, v56
	v_max_f32_e32 v7, v9, v7
	v_cndmask_b32_e32 v8, v8, v56, vcc
	v_cmp_u_f32_e64 s[36:37], v6, v6
	v_cndmask_b32_e32 v7, v7, v56, vcc
	v_cndmask_b32_e64 v8, v8, v6, s[36:37]
	v_cndmask_b32_e64 v7, v7, v6, s[36:37]
	s_movk_i32 s7, 0x1f8
	v_cmp_neq_f32_e32 vcc, v8, v7
	v_cmp_class_f32_e64 s[36:37], v8, s7
	s_or_b64 s[54:55], vcc, s[36:37]
	v_mov_b32_e32 v6, v56
	s_and_saveexec_b64 s[36:37], s[54:55]
	s_cbranch_execz .LBB136_165
; %bb.164:
	v_sub_f32_e32 v6, v8, v7
	s_mov_b32 s7, 0x3fb8aa3b
	v_mul_f32_e32 v8, 0x3fb8aa3b, v6
	v_fma_f32 v9, v6, s7, -v8
	v_rndne_f32_e32 v10, v8
	v_fmac_f32_e32 v9, 0x32a5705f, v6
	v_sub_f32_e32 v8, v8, v10
	v_add_f32_e32 v8, v8, v9
	v_exp_f32_e32 v8, v8
	v_cvt_i32_f32_e32 v9, v10
	s_mov_b32 s7, 0xc2ce8ed0
	v_cmp_ngt_f32_e32 vcc, s7, v6
	s_mov_b32 s7, 0x42b17218
	v_ldexp_f32 v8, v8, v9
	v_cndmask_b32_e32 v8, 0, v8, vcc
	v_mov_b32_e32 v9, 0x7f800000
	v_cmp_nlt_f32_e32 vcc, s7, v6
	v_cndmask_b32_e32 v45, v9, v8, vcc
	v_add_f32_e32 v6, 1.0, v45
	v_add_f32_e32 v8, -1.0, v6
	v_sub_f32_e32 v9, v8, v6
	v_add_f32_e32 v9, 1.0, v9
	v_sub_f32_e32 v8, v45, v8
	v_add_f32_e32 v10, v8, v9
	v_frexp_mant_f32_e32 v11, v6
	s_mov_b32 s7, 0x3f2aaaab
	v_cvt_f64_f32_e32 v[8:9], v6
	v_frexp_exp_i32_f64_e32 v8, v[8:9]
	v_cmp_gt_f32_e32 vcc, s7, v11
	v_subbrev_co_u32_e32 v16, vcc, 0, v8, vcc
	v_sub_u32_e32 v8, 0, v16
	v_ldexp_f32 v6, v6, v8
	v_ldexp_f32 v8, v10, v8
	v_add_f32_e32 v10, -1.0, v6
	v_add_f32_e32 v9, 1.0, v10
	v_sub_f32_e32 v9, v6, v9
	v_add_f32_e32 v11, v8, v9
	v_add_f32_e32 v9, 1.0, v6
	v_add_f32_e32 v12, -1.0, v9
	v_sub_f32_e32 v6, v6, v12
	v_add_f32_e32 v6, v8, v6
	v_add_f32_e32 v17, v9, v6
	v_rcp_f32_e32 v46, v17
	v_sub_f32_e32 v8, v9, v17
	v_add_f32_e32 v9, v10, v11
	v_add_f32_e32 v6, v6, v8
	v_mul_f32_e32 v48, v9, v46
	v_sub_f32_e32 v8, v10, v9
	v_mul_f32_e32 v10, v17, v48
	v_fma_f32 v12, v48, v17, -v10
	v_fmac_f32_e32 v12, v48, v6
	v_add_f32_e32 v47, v11, v8
	v_add_f32_e32 v8, v10, v12
	v_sub_f32_e32 v11, v9, v8
	v_pk_add_f32 v[14:15], v[8:9], v[10:11] neg_lo:[0,1] neg_hi:[0,1]
	v_mov_b32_e32 v13, v8
	v_pk_add_f32 v[8:9], v[14:15], v[12:13] neg_lo:[0,1] neg_hi:[0,1]
	v_add_f32_e32 v9, v47, v9
	v_add_f32_e32 v8, v8, v9
	;; [unrolled: 1-line block ×3, first 2 shown]
	v_mul_f32_e32 v47, v46, v9
	v_mul_f32_e32 v10, v17, v47
	v_fma_f32 v12, v47, v17, -v10
	v_fmac_f32_e32 v12, v47, v6
	v_sub_f32_e32 v6, v11, v9
	v_add_f32_e32 v6, v8, v6
	v_add_f32_e32 v8, v10, v12
	v_sub_f32_e32 v11, v9, v8
	v_pk_add_f32 v[14:15], v[8:9], v[10:11] neg_lo:[0,1] neg_hi:[0,1]
	v_mov_b32_e32 v13, v8
	v_pk_add_f32 v[8:9], v[14:15], v[12:13] neg_lo:[0,1] neg_hi:[0,1]
	v_add_f32_e32 v6, v6, v9
	v_add_f32_e32 v6, v8, v6
	;; [unrolled: 1-line block ×4, first 2 shown]
	v_sub_f32_e32 v9, v8, v48
	v_mul_f32_e32 v6, v46, v6
	v_sub_f32_e32 v9, v47, v9
	v_add_f32_e32 v6, v9, v6
	v_add_f32_e32 v11, v8, v6
	v_mul_f32_e32 v12, v11, v11
	v_mov_b32_e32 v10, 0x3ecc95a3
	v_fmac_f32_e32 v10, 0x3e9b6dac, v12
	v_mov_b32_e32 v9, 0x3f2aaada
	v_fmac_f32_e32 v9, v12, v10
	v_cvt_f32_i32_e32 v10, v16
	v_sub_f32_e32 v8, v11, v8
	v_sub_f32_e32 v6, v6, v8
	v_ldexp_f32 v13, v11, 1
	v_mul_f32_e32 v11, v11, v12
	v_mov_b32_e32 v8, 0x3f317218
	s_mov_b32 s7, 0x3f317218
	v_pk_mul_f32 v[8:9], v[10:11], v[8:9]
	v_fma_f32 v12, v10, s7, -v8
	v_fmac_f32_e32 v12, 0xb102e308, v10
	v_pk_add_f32 v[10:11], v[8:9], v[12:13]
	v_sub_f32_e32 v13, v11, v13
	v_ldexp_f32 v6, v6, 1
	v_sub_f32_e32 v13, v9, v13
	v_add_f32_e32 v15, v6, v13
	v_mov_b32_e32 v14, v8
	v_pk_add_f32 v[8:9], v[10:11], v[8:9] neg_lo:[0,1] neg_hi:[0,1]
	v_pk_add_f32 v[16:17], v[10:11], v[14:15]
	v_mov_b32_e32 v9, v17
	v_mov_b32_e32 v13, v10
	v_pk_add_f32 v[46:47], v[12:13], v[8:9] neg_lo:[0,1] neg_hi:[0,1]
	v_pk_add_f32 v[8:9], v[12:13], v[8:9]
	v_mov_b32_e32 v6, v9
	v_pk_add_f32 v[12:13], v[6:7], v[10:11] neg_lo:[0,1] neg_hi:[0,1]
	v_mov_b32_e32 v13, v12
	v_pk_add_f32 v[48:49], v[16:17], v[12:13] neg_lo:[0,1] neg_hi:[0,1]
	v_mov_b32_e32 v8, v17
	v_mov_b32_e32 v16, v11
	;; [unrolled: 1-line block ×4, first 2 shown]
	v_pk_add_f32 v[8:9], v[8:9], v[16:17] neg_lo:[0,1] neg_hi:[0,1]
	v_mov_b32_e32 v12, v15
	v_mov_b32_e32 v13, v10
	v_pk_add_f32 v[8:9], v[12:13], v[8:9] neg_lo:[0,1] neg_hi:[0,1]
	v_mov_b32_e32 v48, v46
	v_pk_add_f32 v[10:11], v[48:49], v[8:9]
	v_mov_b32_e32 v12, v11
	v_pk_add_f32 v[12:13], v[10:11], v[12:13]
	v_pk_add_f32 v[14:15], v[6:7], v[12:13]
	v_mov_b32_e32 v11, v14
	v_pk_add_f32 v[16:17], v[10:11], v[46:47] neg_lo:[0,1] neg_hi:[0,1]
	v_mov_b32_e32 v9, v12
	v_sub_f32_e32 v6, v10, v16
	v_pk_add_f32 v[8:9], v[8:9], v[16:17] neg_lo:[0,1] neg_hi:[0,1]
	v_sub_f32_e32 v6, v46, v6
	s_mov_b32 s54, 0x7f800000
	v_add_f32_e32 v6, v8, v6
	s_mov_b32 s7, 0x33800000
	v_add_f32_e32 v6, v6, v9
	v_cmp_eq_f32_e32 vcc, s54, v45
	v_cmp_lt_f32_e64 s[54:55], |v45|, s7
	v_add_f32_e32 v6, v14, v6
	s_or_b64 vcc, vcc, s[54:55]
	v_cndmask_b32_e32 v6, v6, v45, vcc
	v_add_f32_e32 v6, v7, v6
.LBB136_165:
	s_or_b64 exec, exec, s[36:37]
	s_add_i32 s6, s6, 64
	s_mov_b32 s7, 0
	s_lshl_b64 s[6:7], s[6:7], 3
	s_add_u32 s6, s52, s6
	s_addc_u32 s7, s53, s7
	v_mov_b32_e32 v8, 0
	v_mov_b32_e32 v7, 2
	global_store_dwordx2 v8, v[6:7], s[6:7]
.LBB136_166:
	s_or_b64 exec, exec, s[40:41]
	s_and_b64 exec, exec, s[34:35]
	s_cbranch_execz .LBB136_168
; %bb.167:
	v_mov_b32_e32 v6, 0
	ds_write_b32 v6, v56
.LBB136_168:
	s_or_b64 exec, exec, s[42:43]
	v_mov_b32_e32 v6, 0
	s_waitcnt lgkmcnt(0)
	s_barrier
	ds_read_b32 v6, v6
	v_mov_b32_e32 v7, v2
	s_and_saveexec_b64 s[6:7], s[30:31]
	s_cbranch_execz .LBB136_172
; %bb.169:
	v_max_f32_e32 v7, v44, v44
	v_min_f32_e32 v8, v7, v43
	v_cmp_u_f32_e32 vcc, v44, v44
	v_max_f32_e32 v7, v7, v43
	v_cndmask_b32_e32 v8, v8, v44, vcc
	v_cndmask_b32_e32 v7, v7, v44, vcc
	v_cndmask_b32_e64 v8, v8, v2, s[28:29]
	v_cndmask_b32_e64 v7, v7, v2, s[28:29]
	s_movk_i32 s28, 0x1f8
	v_cmp_neq_f32_e32 vcc, v8, v7
	v_cmp_class_f32_e64 s[28:29], v8, s28
	s_or_b64 s[30:31], vcc, s[28:29]
	s_and_saveexec_b64 s[28:29], s[30:31]
	s_cbranch_execz .LBB136_171
; %bb.170:
	v_sub_f32_e32 v8, v8, v7
	s_mov_b32 s30, 0x3fb8aa3b
	v_mul_f32_e32 v9, 0x3fb8aa3b, v8
	v_fma_f32 v10, v8, s30, -v9
	v_rndne_f32_e32 v11, v9
	v_fmac_f32_e32 v10, 0x32a5705f, v8
	v_sub_f32_e32 v9, v9, v11
	v_add_f32_e32 v9, v9, v10
	v_exp_f32_e32 v9, v9
	v_cvt_i32_f32_e32 v10, v11
	s_mov_b32 s30, 0xc2ce8ed0
	v_cmp_ngt_f32_e32 vcc, s30, v8
	s_mov_b32 s30, 0x42b17218
	v_ldexp_f32 v9, v9, v10
	v_cndmask_b32_e32 v9, 0, v9, vcc
	v_mov_b32_e32 v10, 0x7f800000
	v_cmp_nlt_f32_e32 vcc, s30, v8
	v_cndmask_b32_e32 v43, v10, v9, vcc
	v_add_f32_e32 v10, 1.0, v43
	v_add_f32_e32 v8, -1.0, v10
	v_sub_f32_e32 v9, v8, v10
	v_add_f32_e32 v9, 1.0, v9
	v_sub_f32_e32 v8, v43, v8
	v_add_f32_e32 v11, v8, v9
	v_frexp_mant_f32_e32 v12, v10
	s_mov_b32 s30, 0x3f2aaaab
	v_cvt_f64_f32_e32 v[8:9], v10
	v_frexp_exp_i32_f64_e32 v8, v[8:9]
	v_cmp_gt_f32_e32 vcc, s30, v12
	v_subbrev_co_u32_e32 v16, vcc, 0, v8, vcc
	v_sub_u32_e32 v8, 0, v16
	v_ldexp_f32 v9, v10, v8
	v_add_f32_e32 v10, -1.0, v9
	v_add_f32_e32 v12, 1.0, v9
	v_ldexp_f32 v8, v11, v8
	v_add_f32_e32 v11, 1.0, v10
	v_add_f32_e32 v13, -1.0, v12
	v_sub_f32_e32 v11, v9, v11
	v_sub_f32_e32 v9, v9, v13
	v_add_f32_e32 v11, v8, v11
	v_add_f32_e32 v8, v8, v9
	;; [unrolled: 1-line block ×3, first 2 shown]
	v_rcp_f32_e32 v45, v17
	v_sub_f32_e32 v9, v12, v17
	v_add_f32_e32 v44, v8, v9
	v_add_f32_e32 v9, v10, v11
	v_mul_f32_e32 v47, v9, v45
	v_sub_f32_e32 v8, v10, v9
	v_mul_f32_e32 v10, v17, v47
	v_fma_f32 v12, v47, v17, -v10
	v_fmac_f32_e32 v12, v47, v44
	v_add_f32_e32 v46, v11, v8
	v_add_f32_e32 v8, v10, v12
	v_sub_f32_e32 v11, v9, v8
	v_pk_add_f32 v[14:15], v[8:9], v[10:11] neg_lo:[0,1] neg_hi:[0,1]
	v_mov_b32_e32 v13, v8
	v_pk_add_f32 v[8:9], v[14:15], v[12:13] neg_lo:[0,1] neg_hi:[0,1]
	v_add_f32_e32 v9, v46, v9
	v_add_f32_e32 v8, v8, v9
	;; [unrolled: 1-line block ×3, first 2 shown]
	v_mul_f32_e32 v46, v45, v9
	v_mul_f32_e32 v10, v17, v46
	v_fma_f32 v12, v46, v17, -v10
	v_fmac_f32_e32 v12, v46, v44
	v_sub_f32_e32 v11, v11, v9
	v_add_f32_e32 v17, v8, v11
	v_add_f32_e32 v8, v10, v12
	v_sub_f32_e32 v11, v9, v8
	v_pk_add_f32 v[14:15], v[8:9], v[10:11] neg_lo:[0,1] neg_hi:[0,1]
	v_mov_b32_e32 v13, v8
	v_pk_add_f32 v[8:9], v[14:15], v[12:13] neg_lo:[0,1] neg_hi:[0,1]
	v_add_f32_e32 v9, v17, v9
	v_add_f32_e32 v8, v8, v9
	v_add_f32_e32 v8, v11, v8
	v_add_f32_e32 v11, v47, v46
	v_sub_f32_e32 v9, v11, v47
	v_mul_f32_e32 v8, v45, v8
	v_sub_f32_e32 v9, v46, v9
	v_add_f32_e32 v8, v9, v8
	v_add_f32_e32 v12, v11, v8
	v_mul_f32_e32 v14, v12, v12
	v_mov_b32_e32 v10, 0x3ecc95a3
	v_fmac_f32_e32 v10, 0x3e9b6dac, v14
	v_mov_b32_e32 v9, 0x3f2aaada
	v_fmac_f32_e32 v9, v14, v10
	v_cvt_f32_i32_e32 v10, v16
	v_sub_f32_e32 v11, v12, v11
	v_sub_f32_e32 v8, v8, v11
	v_ldexp_f32 v15, v8, 1
	v_mul_f32_e32 v11, v12, v14
	v_mov_b32_e32 v8, 0x3f317218
	s_mov_b32 s30, 0x3f317218
	v_pk_mul_f32 v[8:9], v[10:11], v[8:9]
	v_ldexp_f32 v13, v12, 1
	v_fma_f32 v12, v10, s30, -v8
	v_fmac_f32_e32 v12, 0xb102e308, v10
	v_pk_add_f32 v[10:11], v[8:9], v[12:13]
	v_sub_f32_e32 v13, v11, v13
	v_sub_f32_e32 v13, v9, v13
	v_add_f32_e32 v15, v15, v13
	v_mov_b32_e32 v14, v8
	v_pk_add_f32 v[8:9], v[10:11], v[8:9] neg_lo:[0,1] neg_hi:[0,1]
	v_pk_add_f32 v[16:17], v[10:11], v[14:15]
	v_mov_b32_e32 v9, v17
	v_mov_b32_e32 v13, v10
	v_pk_add_f32 v[44:45], v[12:13], v[8:9] neg_lo:[0,1] neg_hi:[0,1]
	v_pk_add_f32 v[8:9], v[12:13], v[8:9]
	v_mov_b32_e32 v12, v9
	v_pk_add_f32 v[46:47], v[12:13], v[10:11] neg_lo:[0,1] neg_hi:[0,1]
	v_mov_b32_e32 v13, v46
	v_pk_add_f32 v[48:49], v[16:17], v[12:13] neg_lo:[0,1] neg_hi:[0,1]
	v_mov_b32_e32 v8, v17
	v_mov_b32_e32 v16, v11
	;; [unrolled: 1-line block ×4, first 2 shown]
	v_pk_add_f32 v[8:9], v[8:9], v[16:17] neg_lo:[0,1] neg_hi:[0,1]
	v_mov_b32_e32 v14, v15
	v_mov_b32_e32 v15, v10
	v_pk_add_f32 v[8:9], v[14:15], v[8:9] neg_lo:[0,1] neg_hi:[0,1]
	v_mov_b32_e32 v48, v44
	v_pk_add_f32 v[10:11], v[48:49], v[8:9]
	v_mov_b32_e32 v14, v11
	v_pk_add_f32 v[14:15], v[10:11], v[14:15]
	v_pk_add_f32 v[12:13], v[12:13], v[14:15]
	v_mov_b32_e32 v11, v12
	v_pk_add_f32 v[16:17], v[10:11], v[44:45] neg_lo:[0,1] neg_hi:[0,1]
	v_mov_b32_e32 v9, v14
	v_sub_f32_e32 v10, v10, v16
	v_pk_add_f32 v[8:9], v[8:9], v[16:17] neg_lo:[0,1] neg_hi:[0,1]
	v_sub_f32_e32 v10, v44, v10
	s_mov_b32 s31, 0x7f800000
	v_add_f32_e32 v8, v8, v10
	s_mov_b32 s30, 0x33800000
	v_add_f32_e32 v8, v8, v9
	v_cmp_eq_f32_e32 vcc, s31, v43
	v_cmp_lt_f32_e64 s[30:31], |v43|, s30
	v_add_f32_e32 v8, v12, v8
	s_or_b64 vcc, vcc, s[30:31]
	v_cndmask_b32_e32 v8, v8, v43, vcc
	v_add_f32_e32 v44, v7, v8
.LBB136_171:
	s_or_b64 exec, exec, s[28:29]
	v_mov_b32_e32 v7, v44
.LBB136_172:
	s_or_b64 exec, exec, s[6:7]
	v_max_f32_e32 v9, v7, v7
	s_waitcnt lgkmcnt(0)
	v_max_f32_e32 v10, v6, v6
	v_min_f32_e32 v8, v10, v9
	v_cmp_u_f32_e32 vcc, v6, v6
	v_max_f32_e32 v9, v10, v9
	v_cndmask_b32_e32 v8, v8, v6, vcc
	v_cmp_u_f32_e64 s[6:7], v7, v7
	v_cndmask_b32_e32 v9, v9, v6, vcc
	v_cndmask_b32_e64 v8, v8, v7, s[6:7]
	v_cndmask_b32_e64 v7, v9, v7, s[6:7]
	s_movk_i32 s28, 0x1f8
	v_cmp_neq_f32_e32 vcc, v8, v7
	v_cmp_class_f32_e64 s[6:7], v8, s28
	s_or_b64 s[30:31], vcc, s[6:7]
	s_and_saveexec_b64 s[6:7], s[30:31]
	s_cbranch_execz .LBB136_174
; %bb.173:
	v_sub_f32_e32 v6, v8, v7
	s_mov_b32 s29, 0x3fb8aa3b
	v_mul_f32_e32 v8, 0x3fb8aa3b, v6
	v_fma_f32 v9, v6, s29, -v8
	v_rndne_f32_e32 v10, v8
	v_fmac_f32_e32 v9, 0x32a5705f, v6
	v_sub_f32_e32 v8, v8, v10
	v_add_f32_e32 v8, v8, v9
	v_exp_f32_e32 v8, v8
	v_cvt_i32_f32_e32 v9, v10
	s_mov_b32 s29, 0xc2ce8ed0
	v_cmp_ngt_f32_e32 vcc, s29, v6
	s_mov_b32 s29, 0x42b17218
	v_ldexp_f32 v8, v8, v9
	v_cndmask_b32_e32 v8, 0, v8, vcc
	v_mov_b32_e32 v9, 0x7f800000
	v_cmp_nlt_f32_e32 vcc, s29, v6
	v_cndmask_b32_e32 v43, v9, v8, vcc
	v_add_f32_e32 v6, 1.0, v43
	v_add_f32_e32 v8, -1.0, v6
	v_sub_f32_e32 v9, v8, v6
	v_add_f32_e32 v9, 1.0, v9
	v_sub_f32_e32 v8, v43, v8
	v_add_f32_e32 v10, v8, v9
	v_frexp_mant_f32_e32 v11, v6
	s_mov_b32 s29, 0x3f2aaaab
	v_cvt_f64_f32_e32 v[8:9], v6
	v_frexp_exp_i32_f64_e32 v8, v[8:9]
	v_cmp_gt_f32_e32 vcc, s29, v11
	v_subbrev_co_u32_e32 v16, vcc, 0, v8, vcc
	v_sub_u32_e32 v8, 0, v16
	v_ldexp_f32 v6, v6, v8
	v_ldexp_f32 v8, v10, v8
	v_add_f32_e32 v10, -1.0, v6
	v_add_f32_e32 v9, 1.0, v10
	v_sub_f32_e32 v9, v6, v9
	v_add_f32_e32 v11, v8, v9
	v_add_f32_e32 v9, 1.0, v6
	v_add_f32_e32 v12, -1.0, v9
	v_sub_f32_e32 v6, v6, v12
	v_add_f32_e32 v6, v8, v6
	v_add_f32_e32 v17, v9, v6
	v_rcp_f32_e32 v44, v17
	v_sub_f32_e32 v8, v9, v17
	v_add_f32_e32 v9, v10, v11
	v_add_f32_e32 v6, v6, v8
	v_mul_f32_e32 v46, v9, v44
	v_sub_f32_e32 v8, v10, v9
	v_mul_f32_e32 v10, v17, v46
	v_fma_f32 v12, v46, v17, -v10
	v_fmac_f32_e32 v12, v46, v6
	v_add_f32_e32 v45, v11, v8
	v_add_f32_e32 v8, v10, v12
	v_sub_f32_e32 v11, v9, v8
	v_pk_add_f32 v[14:15], v[8:9], v[10:11] neg_lo:[0,1] neg_hi:[0,1]
	v_mov_b32_e32 v13, v8
	v_pk_add_f32 v[8:9], v[14:15], v[12:13] neg_lo:[0,1] neg_hi:[0,1]
	v_add_f32_e32 v9, v45, v9
	v_add_f32_e32 v8, v8, v9
	;; [unrolled: 1-line block ×3, first 2 shown]
	v_mul_f32_e32 v45, v44, v9
	v_mul_f32_e32 v10, v17, v45
	v_fma_f32 v12, v45, v17, -v10
	v_fmac_f32_e32 v12, v45, v6
	v_sub_f32_e32 v6, v11, v9
	v_add_f32_e32 v6, v8, v6
	v_add_f32_e32 v8, v10, v12
	v_sub_f32_e32 v11, v9, v8
	v_pk_add_f32 v[14:15], v[8:9], v[10:11] neg_lo:[0,1] neg_hi:[0,1]
	v_mov_b32_e32 v13, v8
	v_pk_add_f32 v[8:9], v[14:15], v[12:13] neg_lo:[0,1] neg_hi:[0,1]
	v_add_f32_e32 v6, v6, v9
	v_add_f32_e32 v6, v8, v6
	;; [unrolled: 1-line block ×4, first 2 shown]
	v_sub_f32_e32 v9, v8, v46
	v_mul_f32_e32 v6, v44, v6
	v_sub_f32_e32 v9, v45, v9
	v_add_f32_e32 v6, v9, v6
	v_add_f32_e32 v11, v8, v6
	v_mul_f32_e32 v12, v11, v11
	v_mov_b32_e32 v10, 0x3ecc95a3
	v_fmac_f32_e32 v10, 0x3e9b6dac, v12
	v_mov_b32_e32 v9, 0x3f2aaada
	v_fmac_f32_e32 v9, v12, v10
	v_cvt_f32_i32_e32 v10, v16
	v_sub_f32_e32 v8, v11, v8
	v_sub_f32_e32 v6, v6, v8
	v_ldexp_f32 v13, v11, 1
	v_mul_f32_e32 v11, v11, v12
	v_mov_b32_e32 v8, 0x3f317218
	s_mov_b32 s29, 0x3f317218
	v_pk_mul_f32 v[8:9], v[10:11], v[8:9]
	v_fma_f32 v12, v10, s29, -v8
	v_fmac_f32_e32 v12, 0xb102e308, v10
	v_pk_add_f32 v[10:11], v[8:9], v[12:13]
	v_sub_f32_e32 v13, v11, v13
	v_ldexp_f32 v6, v6, 1
	v_sub_f32_e32 v13, v9, v13
	v_add_f32_e32 v15, v6, v13
	v_mov_b32_e32 v14, v8
	v_pk_add_f32 v[8:9], v[10:11], v[8:9] neg_lo:[0,1] neg_hi:[0,1]
	v_pk_add_f32 v[16:17], v[10:11], v[14:15]
	v_mov_b32_e32 v9, v17
	v_mov_b32_e32 v13, v10
	v_pk_add_f32 v[44:45], v[12:13], v[8:9] neg_lo:[0,1] neg_hi:[0,1]
	v_pk_add_f32 v[8:9], v[12:13], v[8:9]
	v_mov_b32_e32 v6, v9
	v_pk_add_f32 v[12:13], v[6:7], v[10:11] neg_lo:[0,1] neg_hi:[0,1]
	v_mov_b32_e32 v13, v12
	v_pk_add_f32 v[46:47], v[16:17], v[12:13] neg_lo:[0,1] neg_hi:[0,1]
	v_mov_b32_e32 v8, v17
	v_mov_b32_e32 v16, v11
	;; [unrolled: 1-line block ×4, first 2 shown]
	v_pk_add_f32 v[8:9], v[8:9], v[16:17] neg_lo:[0,1] neg_hi:[0,1]
	v_mov_b32_e32 v12, v15
	v_mov_b32_e32 v13, v10
	v_pk_add_f32 v[8:9], v[12:13], v[8:9] neg_lo:[0,1] neg_hi:[0,1]
	v_mov_b32_e32 v46, v44
	v_pk_add_f32 v[10:11], v[46:47], v[8:9]
	v_mov_b32_e32 v12, v11
	v_pk_add_f32 v[12:13], v[10:11], v[12:13]
	v_pk_add_f32 v[14:15], v[6:7], v[12:13]
	v_mov_b32_e32 v11, v14
	v_pk_add_f32 v[16:17], v[10:11], v[44:45] neg_lo:[0,1] neg_hi:[0,1]
	v_mov_b32_e32 v9, v12
	v_sub_f32_e32 v6, v10, v16
	v_pk_add_f32 v[8:9], v[8:9], v[16:17] neg_lo:[0,1] neg_hi:[0,1]
	v_sub_f32_e32 v6, v44, v6
	s_mov_b32 s30, 0x7f800000
	v_add_f32_e32 v6, v8, v6
	s_mov_b32 s29, 0x33800000
	v_add_f32_e32 v6, v6, v9
	v_cmp_eq_f32_e32 vcc, s30, v43
	v_cmp_lt_f32_e64 s[30:31], |v43|, s29
	v_add_f32_e32 v6, v14, v6
	s_or_b64 vcc, vcc, s[30:31]
	v_cndmask_b32_e32 v6, v6, v43, vcc
	v_add_f32_e32 v6, v7, v6
.LBB136_174:
	s_or_b64 exec, exec, s[6:7]
	v_max_f32_e32 v7, v6, v6
	v_min_f32_e32 v8, v7, v18
	v_cmp_u_f32_e32 vcc, v6, v6
	v_max_f32_e32 v7, v7, v18
	v_cndmask_b32_e32 v8, v8, v6, vcc
	v_cndmask_b32_e32 v7, v7, v6, vcc
	v_cndmask_b32_e64 v9, v8, v3, s[0:1]
	v_cndmask_b32_e64 v8, v7, v3, s[0:1]
	v_cmp_neq_f32_e32 vcc, v9, v8
	v_cmp_class_f32_e64 s[0:1], v9, s28
	s_or_b64 s[6:7], vcc, s[0:1]
	v_mov_b32_e32 v7, v6
	s_and_saveexec_b64 s[0:1], s[6:7]
	s_cbranch_execz .LBB136_176
; %bb.175:
	v_sub_f32_e32 v7, v9, v8
	s_mov_b32 s6, 0x3fb8aa3b
	v_mul_f32_e32 v9, 0x3fb8aa3b, v7
	v_fma_f32 v10, v7, s6, -v9
	v_rndne_f32_e32 v11, v9
	v_fmac_f32_e32 v10, 0x32a5705f, v7
	v_sub_f32_e32 v9, v9, v11
	v_add_f32_e32 v9, v9, v10
	v_exp_f32_e32 v9, v9
	v_cvt_i32_f32_e32 v10, v11
	s_mov_b32 s6, 0xc2ce8ed0
	v_cmp_ngt_f32_e32 vcc, s6, v7
	s_mov_b32 s6, 0x42b17218
	v_ldexp_f32 v9, v9, v10
	v_cndmask_b32_e32 v9, 0, v9, vcc
	v_mov_b32_e32 v10, 0x7f800000
	v_cmp_nlt_f32_e32 vcc, s6, v7
	v_cndmask_b32_e32 v9, v10, v9, vcc
	v_add_f32_e32 v7, 1.0, v9
	v_add_f32_e32 v10, -1.0, v7
	v_sub_f32_e32 v11, v10, v7
	v_add_f32_e32 v11, 1.0, v11
	v_sub_f32_e32 v10, v9, v10
	v_add_f32_e32 v12, v10, v11
	v_frexp_mant_f32_e32 v13, v7
	s_mov_b32 s6, 0x3f2aaaab
	v_cvt_f64_f32_e32 v[10:11], v7
	v_frexp_exp_i32_f64_e32 v10, v[10:11]
	v_cmp_gt_f32_e32 vcc, s6, v13
	v_subbrev_co_u32_e32 v18, vcc, 0, v10, vcc
	v_sub_u32_e32 v10, 0, v18
	v_ldexp_f32 v7, v7, v10
	v_ldexp_f32 v10, v12, v10
	v_add_f32_e32 v12, -1.0, v7
	v_add_f32_e32 v11, 1.0, v12
	v_sub_f32_e32 v11, v7, v11
	v_add_f32_e32 v13, v10, v11
	v_add_f32_e32 v11, 1.0, v7
	v_add_f32_e32 v14, -1.0, v11
	v_sub_f32_e32 v7, v7, v14
	v_add_f32_e32 v7, v10, v7
	v_add_f32_e32 v43, v11, v7
	v_rcp_f32_e32 v44, v43
	v_sub_f32_e32 v10, v11, v43
	v_add_f32_e32 v11, v12, v13
	v_add_f32_e32 v7, v7, v10
	v_mul_f32_e32 v46, v11, v44
	v_sub_f32_e32 v10, v12, v11
	v_mul_f32_e32 v12, v43, v46
	v_fma_f32 v14, v46, v43, -v12
	v_fmac_f32_e32 v14, v46, v7
	v_add_f32_e32 v45, v13, v10
	v_add_f32_e32 v10, v12, v14
	v_sub_f32_e32 v13, v11, v10
	v_pk_add_f32 v[16:17], v[10:11], v[12:13] neg_lo:[0,1] neg_hi:[0,1]
	v_mov_b32_e32 v15, v10
	v_pk_add_f32 v[10:11], v[16:17], v[14:15] neg_lo:[0,1] neg_hi:[0,1]
	v_add_f32_e32 v11, v45, v11
	v_add_f32_e32 v10, v10, v11
	;; [unrolled: 1-line block ×3, first 2 shown]
	v_mul_f32_e32 v45, v44, v11
	v_mul_f32_e32 v12, v43, v45
	v_fma_f32 v14, v45, v43, -v12
	v_fmac_f32_e32 v14, v45, v7
	v_sub_f32_e32 v7, v13, v11
	v_add_f32_e32 v7, v10, v7
	v_add_f32_e32 v10, v12, v14
	v_sub_f32_e32 v13, v11, v10
	v_pk_add_f32 v[16:17], v[10:11], v[12:13] neg_lo:[0,1] neg_hi:[0,1]
	v_mov_b32_e32 v15, v10
	v_pk_add_f32 v[10:11], v[16:17], v[14:15] neg_lo:[0,1] neg_hi:[0,1]
	v_add_f32_e32 v7, v7, v11
	v_add_f32_e32 v7, v10, v7
	v_add_f32_e32 v10, v46, v45
	v_add_f32_e32 v7, v13, v7
	v_sub_f32_e32 v11, v10, v46
	v_mul_f32_e32 v7, v44, v7
	v_sub_f32_e32 v11, v45, v11
	v_add_f32_e32 v7, v11, v7
	v_add_f32_e32 v13, v10, v7
	v_mul_f32_e32 v14, v13, v13
	v_mov_b32_e32 v12, 0x3ecc95a3
	v_fmac_f32_e32 v12, 0x3e9b6dac, v14
	v_mov_b32_e32 v11, 0x3f2aaada
	v_fmac_f32_e32 v11, v14, v12
	v_cvt_f32_i32_e32 v12, v18
	v_sub_f32_e32 v10, v13, v10
	v_sub_f32_e32 v7, v7, v10
	v_ldexp_f32 v15, v13, 1
	v_mul_f32_e32 v13, v13, v14
	v_mov_b32_e32 v10, 0x3f317218
	s_mov_b32 s6, 0x3f317218
	v_pk_mul_f32 v[10:11], v[12:13], v[10:11]
	v_fma_f32 v14, v12, s6, -v10
	v_fmac_f32_e32 v14, 0xb102e308, v12
	v_pk_add_f32 v[12:13], v[10:11], v[14:15]
	v_sub_f32_e32 v15, v13, v15
	v_ldexp_f32 v7, v7, 1
	v_sub_f32_e32 v15, v11, v15
	v_add_f32_e32 v17, v7, v15
	v_mov_b32_e32 v16, v10
	v_pk_add_f32 v[10:11], v[12:13], v[10:11] neg_lo:[0,1] neg_hi:[0,1]
	v_pk_add_f32 v[44:45], v[12:13], v[16:17]
	v_mov_b32_e32 v11, v45
	v_mov_b32_e32 v15, v12
	v_pk_add_f32 v[46:47], v[14:15], v[10:11] neg_lo:[0,1] neg_hi:[0,1]
	v_pk_add_f32 v[10:11], v[14:15], v[10:11]
	v_mov_b32_e32 v14, v11
	v_pk_add_f32 v[48:49], v[14:15], v[12:13] neg_lo:[0,1] neg_hi:[0,1]
	v_mov_b32_e32 v7, v48
	v_pk_add_f32 v[50:51], v[44:45], v[6:7] neg_lo:[0,1] neg_hi:[0,1]
	v_mov_b32_e32 v10, v45
	v_mov_b32_e32 v44, v13
	;; [unrolled: 1-line block ×4, first 2 shown]
	v_pk_add_f32 v[10:11], v[10:11], v[44:45] neg_lo:[0,1] neg_hi:[0,1]
	v_mov_b32_e32 v16, v17
	v_mov_b32_e32 v17, v12
	v_pk_add_f32 v[10:11], v[16:17], v[10:11] neg_lo:[0,1] neg_hi:[0,1]
	v_mov_b32_e32 v50, v46
	v_pk_add_f32 v[12:13], v[50:51], v[10:11]
	v_mov_b32_e32 v16, v13
	v_pk_add_f32 v[16:17], v[12:13], v[16:17]
	v_pk_add_f32 v[14:15], v[14:15], v[16:17]
	v_mov_b32_e32 v13, v14
	v_pk_add_f32 v[44:45], v[12:13], v[46:47] neg_lo:[0,1] neg_hi:[0,1]
	v_mov_b32_e32 v11, v16
	v_sub_f32_e32 v7, v12, v44
	v_pk_add_f32 v[10:11], v[10:11], v[44:45] neg_lo:[0,1] neg_hi:[0,1]
	v_sub_f32_e32 v7, v46, v7
	s_mov_b32 s7, 0x7f800000
	v_add_f32_e32 v7, v10, v7
	s_mov_b32 s6, 0x33800000
	v_add_f32_e32 v7, v7, v11
	v_cmp_eq_f32_e32 vcc, s7, v9
	v_cmp_lt_f32_e64 s[6:7], |v9|, s6
	v_add_f32_e32 v7, v14, v7
	s_or_b64 vcc, vcc, s[6:7]
	v_cndmask_b32_e32 v7, v7, v9, vcc
	v_add_f32_e32 v7, v8, v7
.LBB136_176:
	s_or_b64 exec, exec, s[0:1]
	v_max_f32_e32 v8, v7, v7
	v_min_f32_e32 v9, v8, v19
	v_cmp_u_f32_e32 vcc, v7, v7
	v_max_f32_e32 v8, v8, v19
	v_cndmask_b32_e32 v9, v9, v7, vcc
	v_cndmask_b32_e32 v8, v8, v7, vcc
	v_cndmask_b32_e64 v10, v9, v4, s[2:3]
	v_cndmask_b32_e64 v9, v8, v4, s[2:3]
	s_movk_i32 s2, 0x1f8
	v_cmp_neq_f32_e32 vcc, v10, v9
	v_cmp_class_f32_e64 s[0:1], v10, s2
	s_or_b64 s[6:7], vcc, s[0:1]
	v_mov_b32_e32 v8, v7
	s_and_saveexec_b64 s[0:1], s[6:7]
	s_cbranch_execz .LBB136_178
; %bb.177:
	v_sub_f32_e32 v8, v10, v9
	s_mov_b32 s3, 0x3fb8aa3b
	v_mul_f32_e32 v10, 0x3fb8aa3b, v8
	v_fma_f32 v11, v8, s3, -v10
	v_rndne_f32_e32 v12, v10
	v_fmac_f32_e32 v11, 0x32a5705f, v8
	v_sub_f32_e32 v10, v10, v12
	v_add_f32_e32 v10, v10, v11
	v_exp_f32_e32 v10, v10
	v_cvt_i32_f32_e32 v11, v12
	s_mov_b32 s3, 0xc2ce8ed0
	v_cmp_ngt_f32_e32 vcc, s3, v8
	s_mov_b32 s3, 0x42b17218
	v_ldexp_f32 v10, v10, v11
	v_cndmask_b32_e32 v10, 0, v10, vcc
	v_mov_b32_e32 v11, 0x7f800000
	v_cmp_nlt_f32_e32 vcc, s3, v8
	v_cndmask_b32_e32 v43, v11, v10, vcc
	v_add_f32_e32 v8, 1.0, v43
	v_add_f32_e32 v10, -1.0, v8
	v_sub_f32_e32 v11, v10, v8
	v_add_f32_e32 v11, 1.0, v11
	v_sub_f32_e32 v10, v43, v10
	v_add_f32_e32 v12, v10, v11
	v_frexp_mant_f32_e32 v13, v8
	s_mov_b32 s3, 0x3f2aaaab
	v_cvt_f64_f32_e32 v[10:11], v8
	v_frexp_exp_i32_f64_e32 v10, v[10:11]
	v_cmp_gt_f32_e32 vcc, s3, v13
	v_subbrev_co_u32_e32 v18, vcc, 0, v10, vcc
	v_sub_u32_e32 v10, 0, v18
	v_ldexp_f32 v8, v8, v10
	v_ldexp_f32 v10, v12, v10
	v_add_f32_e32 v12, -1.0, v8
	v_add_f32_e32 v11, 1.0, v12
	v_sub_f32_e32 v11, v8, v11
	v_add_f32_e32 v13, v10, v11
	v_add_f32_e32 v11, 1.0, v8
	v_add_f32_e32 v14, -1.0, v11
	v_sub_f32_e32 v8, v8, v14
	v_add_f32_e32 v8, v10, v8
	v_add_f32_e32 v19, v11, v8
	v_rcp_f32_e32 v44, v19
	v_sub_f32_e32 v10, v11, v19
	v_add_f32_e32 v11, v12, v13
	v_add_f32_e32 v8, v8, v10
	v_mul_f32_e32 v46, v11, v44
	v_sub_f32_e32 v10, v12, v11
	v_mul_f32_e32 v12, v19, v46
	v_fma_f32 v14, v46, v19, -v12
	v_fmac_f32_e32 v14, v46, v8
	v_add_f32_e32 v45, v13, v10
	v_add_f32_e32 v10, v12, v14
	v_sub_f32_e32 v13, v11, v10
	v_pk_add_f32 v[16:17], v[10:11], v[12:13] neg_lo:[0,1] neg_hi:[0,1]
	v_mov_b32_e32 v15, v10
	v_pk_add_f32 v[10:11], v[16:17], v[14:15] neg_lo:[0,1] neg_hi:[0,1]
	v_add_f32_e32 v11, v45, v11
	v_add_f32_e32 v10, v10, v11
	;; [unrolled: 1-line block ×3, first 2 shown]
	v_mul_f32_e32 v45, v44, v11
	v_mul_f32_e32 v12, v19, v45
	v_fma_f32 v14, v45, v19, -v12
	v_fmac_f32_e32 v14, v45, v8
	v_sub_f32_e32 v8, v13, v11
	v_add_f32_e32 v8, v10, v8
	v_add_f32_e32 v10, v12, v14
	v_sub_f32_e32 v13, v11, v10
	v_pk_add_f32 v[16:17], v[10:11], v[12:13] neg_lo:[0,1] neg_hi:[0,1]
	v_mov_b32_e32 v15, v10
	v_pk_add_f32 v[10:11], v[16:17], v[14:15] neg_lo:[0,1] neg_hi:[0,1]
	v_add_f32_e32 v8, v8, v11
	v_add_f32_e32 v8, v10, v8
	;; [unrolled: 1-line block ×4, first 2 shown]
	v_sub_f32_e32 v11, v10, v46
	v_mul_f32_e32 v8, v44, v8
	v_sub_f32_e32 v11, v45, v11
	v_add_f32_e32 v8, v11, v8
	v_add_f32_e32 v13, v10, v8
	v_mul_f32_e32 v14, v13, v13
	v_mov_b32_e32 v12, 0x3ecc95a3
	v_fmac_f32_e32 v12, 0x3e9b6dac, v14
	v_mov_b32_e32 v11, 0x3f2aaada
	v_fmac_f32_e32 v11, v14, v12
	v_cvt_f32_i32_e32 v12, v18
	v_sub_f32_e32 v10, v13, v10
	v_sub_f32_e32 v8, v8, v10
	v_ldexp_f32 v15, v13, 1
	v_mul_f32_e32 v13, v13, v14
	v_mov_b32_e32 v10, 0x3f317218
	s_mov_b32 s3, 0x3f317218
	v_pk_mul_f32 v[10:11], v[12:13], v[10:11]
	v_fma_f32 v14, v12, s3, -v10
	v_fmac_f32_e32 v14, 0xb102e308, v12
	v_pk_add_f32 v[12:13], v[10:11], v[14:15]
	v_sub_f32_e32 v15, v13, v15
	v_ldexp_f32 v8, v8, 1
	v_sub_f32_e32 v15, v11, v15
	v_add_f32_e32 v17, v8, v15
	v_mov_b32_e32 v16, v10
	v_pk_add_f32 v[10:11], v[12:13], v[10:11] neg_lo:[0,1] neg_hi:[0,1]
	v_pk_add_f32 v[18:19], v[12:13], v[16:17]
	v_mov_b32_e32 v11, v19
	v_mov_b32_e32 v15, v12
	v_pk_add_f32 v[44:45], v[14:15], v[10:11] neg_lo:[0,1] neg_hi:[0,1]
	v_pk_add_f32 v[10:11], v[14:15], v[10:11]
	v_mov_b32_e32 v8, v11
	v_pk_add_f32 v[14:15], v[8:9], v[12:13] neg_lo:[0,1] neg_hi:[0,1]
	v_mov_b32_e32 v15, v14
	v_pk_add_f32 v[46:47], v[18:19], v[14:15] neg_lo:[0,1] neg_hi:[0,1]
	v_mov_b32_e32 v10, v19
	v_mov_b32_e32 v18, v13
	;; [unrolled: 1-line block ×4, first 2 shown]
	v_pk_add_f32 v[10:11], v[10:11], v[18:19] neg_lo:[0,1] neg_hi:[0,1]
	v_mov_b32_e32 v14, v17
	v_mov_b32_e32 v15, v12
	v_pk_add_f32 v[10:11], v[14:15], v[10:11] neg_lo:[0,1] neg_hi:[0,1]
	v_mov_b32_e32 v46, v44
	v_pk_add_f32 v[12:13], v[46:47], v[10:11]
	v_mov_b32_e32 v14, v13
	v_pk_add_f32 v[14:15], v[12:13], v[14:15]
	v_pk_add_f32 v[16:17], v[8:9], v[14:15]
	v_mov_b32_e32 v13, v16
	v_pk_add_f32 v[18:19], v[12:13], v[44:45] neg_lo:[0,1] neg_hi:[0,1]
	v_mov_b32_e32 v11, v14
	v_sub_f32_e32 v8, v12, v18
	v_pk_add_f32 v[10:11], v[10:11], v[18:19] neg_lo:[0,1] neg_hi:[0,1]
	v_sub_f32_e32 v8, v44, v8
	s_mov_b32 s6, 0x7f800000
	v_add_f32_e32 v8, v10, v8
	s_mov_b32 s3, 0x33800000
	v_add_f32_e32 v8, v8, v11
	v_cmp_eq_f32_e32 vcc, s6, v43
	v_cmp_lt_f32_e64 s[6:7], |v43|, s3
	v_add_f32_e32 v8, v16, v8
	s_or_b64 vcc, vcc, s[6:7]
	v_cndmask_b32_e32 v8, v8, v43, vcc
	v_add_f32_e32 v8, v9, v8
.LBB136_178:
	s_or_b64 exec, exec, s[0:1]
	v_max_f32_e32 v9, v8, v8
	v_min_f32_e32 v10, v9, v20
	v_cmp_u_f32_e32 vcc, v8, v8
	v_max_f32_e32 v9, v9, v20
	v_cndmask_b32_e32 v10, v10, v8, vcc
	v_cndmask_b32_e32 v9, v9, v8, vcc
	v_cndmask_b32_e64 v11, v10, v5, s[38:39]
	v_cndmask_b32_e64 v10, v9, v5, s[38:39]
	v_cmp_neq_f32_e32 vcc, v11, v10
	v_cmp_class_f32_e64 s[0:1], v11, s2
	s_or_b64 s[2:3], vcc, s[0:1]
	v_mov_b32_e32 v9, v8
	s_and_saveexec_b64 s[0:1], s[2:3]
	s_cbranch_execz .LBB136_180
; %bb.179:
	v_sub_f32_e32 v9, v11, v10
	s_mov_b32 s2, 0x3fb8aa3b
	v_mul_f32_e32 v11, 0x3fb8aa3b, v9
	v_fma_f32 v12, v9, s2, -v11
	v_rndne_f32_e32 v13, v11
	v_fmac_f32_e32 v12, 0x32a5705f, v9
	v_sub_f32_e32 v11, v11, v13
	v_add_f32_e32 v11, v11, v12
	v_exp_f32_e32 v11, v11
	v_cvt_i32_f32_e32 v12, v13
	s_mov_b32 s2, 0xc2ce8ed0
	v_cmp_ngt_f32_e32 vcc, s2, v9
	s_mov_b32 s2, 0x42b17218
	v_ldexp_f32 v11, v11, v12
	v_cndmask_b32_e32 v11, 0, v11, vcc
	v_mov_b32_e32 v12, 0x7f800000
	v_cmp_nlt_f32_e32 vcc, s2, v9
	v_cndmask_b32_e32 v11, v12, v11, vcc
	v_add_f32_e32 v9, 1.0, v11
	v_add_f32_e32 v12, -1.0, v9
	v_sub_f32_e32 v13, v12, v9
	v_add_f32_e32 v13, 1.0, v13
	v_sub_f32_e32 v12, v11, v12
	v_add_f32_e32 v14, v12, v13
	v_frexp_mant_f32_e32 v15, v9
	s_mov_b32 s2, 0x3f2aaaab
	v_cvt_f64_f32_e32 v[12:13], v9
	v_frexp_exp_i32_f64_e32 v12, v[12:13]
	v_cmp_gt_f32_e32 vcc, s2, v15
	v_subbrev_co_u32_e32 v20, vcc, 0, v12, vcc
	v_sub_u32_e32 v12, 0, v20
	v_ldexp_f32 v9, v9, v12
	v_ldexp_f32 v12, v14, v12
	v_add_f32_e32 v14, -1.0, v9
	v_add_f32_e32 v13, 1.0, v14
	v_sub_f32_e32 v13, v9, v13
	v_add_f32_e32 v15, v12, v13
	v_add_f32_e32 v13, 1.0, v9
	v_add_f32_e32 v16, -1.0, v13
	v_sub_f32_e32 v9, v9, v16
	v_add_f32_e32 v9, v12, v9
	v_add_f32_e32 v43, v13, v9
	v_rcp_f32_e32 v44, v43
	v_sub_f32_e32 v12, v13, v43
	v_add_f32_e32 v13, v14, v15
	v_add_f32_e32 v9, v9, v12
	v_mul_f32_e32 v46, v13, v44
	v_sub_f32_e32 v12, v14, v13
	v_mul_f32_e32 v14, v43, v46
	v_fma_f32 v16, v46, v43, -v14
	v_fmac_f32_e32 v16, v46, v9
	v_add_f32_e32 v45, v15, v12
	v_add_f32_e32 v12, v14, v16
	v_sub_f32_e32 v15, v13, v12
	v_pk_add_f32 v[18:19], v[12:13], v[14:15] neg_lo:[0,1] neg_hi:[0,1]
	v_mov_b32_e32 v17, v12
	v_pk_add_f32 v[12:13], v[18:19], v[16:17] neg_lo:[0,1] neg_hi:[0,1]
	v_add_f32_e32 v13, v45, v13
	v_add_f32_e32 v12, v12, v13
	;; [unrolled: 1-line block ×3, first 2 shown]
	v_mul_f32_e32 v45, v44, v13
	v_mul_f32_e32 v14, v43, v45
	v_fma_f32 v16, v45, v43, -v14
	v_fmac_f32_e32 v16, v45, v9
	v_sub_f32_e32 v9, v15, v13
	v_add_f32_e32 v9, v12, v9
	v_add_f32_e32 v12, v14, v16
	v_sub_f32_e32 v15, v13, v12
	v_pk_add_f32 v[18:19], v[12:13], v[14:15] neg_lo:[0,1] neg_hi:[0,1]
	v_mov_b32_e32 v17, v12
	v_pk_add_f32 v[12:13], v[18:19], v[16:17] neg_lo:[0,1] neg_hi:[0,1]
	v_add_f32_e32 v9, v9, v13
	v_add_f32_e32 v9, v12, v9
	;; [unrolled: 1-line block ×4, first 2 shown]
	v_sub_f32_e32 v13, v12, v46
	v_mul_f32_e32 v9, v44, v9
	v_sub_f32_e32 v13, v45, v13
	v_add_f32_e32 v9, v13, v9
	v_add_f32_e32 v15, v12, v9
	v_mul_f32_e32 v16, v15, v15
	v_mov_b32_e32 v14, 0x3ecc95a3
	v_fmac_f32_e32 v14, 0x3e9b6dac, v16
	v_mov_b32_e32 v13, 0x3f2aaada
	v_fmac_f32_e32 v13, v16, v14
	v_cvt_f32_i32_e32 v14, v20
	v_sub_f32_e32 v12, v15, v12
	v_sub_f32_e32 v9, v9, v12
	v_ldexp_f32 v17, v15, 1
	v_mul_f32_e32 v15, v15, v16
	v_mov_b32_e32 v12, 0x3f317218
	s_mov_b32 s2, 0x3f317218
	v_pk_mul_f32 v[12:13], v[14:15], v[12:13]
	v_fma_f32 v16, v14, s2, -v12
	v_fmac_f32_e32 v16, 0xb102e308, v14
	v_pk_add_f32 v[14:15], v[12:13], v[16:17]
	v_sub_f32_e32 v17, v15, v17
	v_ldexp_f32 v9, v9, 1
	v_sub_f32_e32 v17, v13, v17
	v_add_f32_e32 v19, v9, v17
	v_mov_b32_e32 v18, v12
	v_pk_add_f32 v[12:13], v[14:15], v[12:13] neg_lo:[0,1] neg_hi:[0,1]
	v_pk_add_f32 v[44:45], v[14:15], v[18:19]
	v_mov_b32_e32 v13, v45
	v_mov_b32_e32 v17, v14
	v_pk_add_f32 v[46:47], v[16:17], v[12:13] neg_lo:[0,1] neg_hi:[0,1]
	v_pk_add_f32 v[12:13], v[16:17], v[12:13]
	v_mov_b32_e32 v16, v13
	v_pk_add_f32 v[48:49], v[16:17], v[14:15] neg_lo:[0,1] neg_hi:[0,1]
	v_mov_b32_e32 v9, v48
	v_pk_add_f32 v[50:51], v[44:45], v[8:9] neg_lo:[0,1] neg_hi:[0,1]
	v_mov_b32_e32 v12, v45
	v_mov_b32_e32 v44, v15
	v_mov_b32_e32 v45, v48
	v_mov_b32_e32 v47, v13
	v_pk_add_f32 v[12:13], v[12:13], v[44:45] neg_lo:[0,1] neg_hi:[0,1]
	v_mov_b32_e32 v18, v19
	v_mov_b32_e32 v19, v14
	v_pk_add_f32 v[12:13], v[18:19], v[12:13] neg_lo:[0,1] neg_hi:[0,1]
	v_mov_b32_e32 v50, v46
	v_pk_add_f32 v[14:15], v[50:51], v[12:13]
	v_mov_b32_e32 v18, v15
	v_pk_add_f32 v[18:19], v[14:15], v[18:19]
	v_pk_add_f32 v[16:17], v[16:17], v[18:19]
	v_mov_b32_e32 v15, v16
	v_pk_add_f32 v[44:45], v[14:15], v[46:47] neg_lo:[0,1] neg_hi:[0,1]
	v_mov_b32_e32 v13, v18
	v_sub_f32_e32 v9, v14, v44
	v_pk_add_f32 v[12:13], v[12:13], v[44:45] neg_lo:[0,1] neg_hi:[0,1]
	v_sub_f32_e32 v9, v46, v9
	s_mov_b32 s3, 0x7f800000
	v_add_f32_e32 v9, v12, v9
	s_mov_b32 s2, 0x33800000
	v_add_f32_e32 v9, v9, v13
	v_cmp_eq_f32_e32 vcc, s3, v11
	v_cmp_lt_f32_e64 s[2:3], |v11|, s2
	v_add_f32_e32 v9, v16, v9
	s_or_b64 vcc, vcc, s[2:3]
	v_cndmask_b32_e32 v9, v9, v11, vcc
	v_add_f32_e32 v9, v10, v9
.LBB136_180:
	s_or_b64 exec, exec, s[0:1]
	v_max_f32_e32 v10, v9, v9
	v_min_f32_e32 v11, v10, v21
	v_cmp_u_f32_e32 vcc, v9, v9
	v_max_f32_e32 v10, v10, v21
	v_cndmask_b32_e32 v11, v11, v9, vcc
	v_cndmask_b32_e32 v10, v10, v9, vcc
	v_cndmask_b32_e64 v12, v11, v26, s[8:9]
	v_cndmask_b32_e64 v11, v10, v26, s[8:9]
	s_movk_i32 s2, 0x1f8
	v_cmp_neq_f32_e32 vcc, v12, v11
	v_cmp_class_f32_e64 s[0:1], v12, s2
	s_or_b64 s[6:7], vcc, s[0:1]
	v_mov_b32_e32 v10, v9
	s_and_saveexec_b64 s[0:1], s[6:7]
	s_cbranch_execz .LBB136_182
; %bb.181:
	v_sub_f32_e32 v10, v12, v11
	s_mov_b32 s3, 0x3fb8aa3b
	v_mul_f32_e32 v12, 0x3fb8aa3b, v10
	v_fma_f32 v13, v10, s3, -v12
	v_rndne_f32_e32 v14, v12
	v_fmac_f32_e32 v13, 0x32a5705f, v10
	v_sub_f32_e32 v12, v12, v14
	v_add_f32_e32 v12, v12, v13
	v_exp_f32_e32 v12, v12
	v_cvt_i32_f32_e32 v13, v14
	s_mov_b32 s3, 0xc2ce8ed0
	v_cmp_ngt_f32_e32 vcc, s3, v10
	s_mov_b32 s3, 0x42b17218
	v_ldexp_f32 v12, v12, v13
	v_cndmask_b32_e32 v12, 0, v12, vcc
	v_mov_b32_e32 v13, 0x7f800000
	v_cmp_nlt_f32_e32 vcc, s3, v10
	v_cndmask_b32_e32 v43, v13, v12, vcc
	v_add_f32_e32 v10, 1.0, v43
	v_add_f32_e32 v12, -1.0, v10
	v_sub_f32_e32 v13, v12, v10
	v_add_f32_e32 v13, 1.0, v13
	v_sub_f32_e32 v12, v43, v12
	v_add_f32_e32 v14, v12, v13
	v_frexp_mant_f32_e32 v15, v10
	s_mov_b32 s3, 0x3f2aaaab
	v_cvt_f64_f32_e32 v[12:13], v10
	v_frexp_exp_i32_f64_e32 v12, v[12:13]
	v_cmp_gt_f32_e32 vcc, s3, v15
	v_subbrev_co_u32_e32 v20, vcc, 0, v12, vcc
	v_sub_u32_e32 v12, 0, v20
	v_ldexp_f32 v10, v10, v12
	v_ldexp_f32 v12, v14, v12
	v_add_f32_e32 v14, -1.0, v10
	v_add_f32_e32 v13, 1.0, v14
	v_sub_f32_e32 v13, v10, v13
	v_add_f32_e32 v15, v12, v13
	v_add_f32_e32 v13, 1.0, v10
	v_add_f32_e32 v16, -1.0, v13
	v_sub_f32_e32 v10, v10, v16
	v_add_f32_e32 v10, v12, v10
	v_add_f32_e32 v21, v13, v10
	v_rcp_f32_e32 v44, v21
	v_sub_f32_e32 v12, v13, v21
	v_add_f32_e32 v13, v14, v15
	v_add_f32_e32 v10, v10, v12
	v_mul_f32_e32 v46, v13, v44
	v_sub_f32_e32 v12, v14, v13
	v_mul_f32_e32 v14, v21, v46
	v_fma_f32 v16, v46, v21, -v14
	v_fmac_f32_e32 v16, v46, v10
	v_add_f32_e32 v45, v15, v12
	v_add_f32_e32 v12, v14, v16
	v_sub_f32_e32 v15, v13, v12
	v_pk_add_f32 v[18:19], v[12:13], v[14:15] neg_lo:[0,1] neg_hi:[0,1]
	v_mov_b32_e32 v17, v12
	v_pk_add_f32 v[12:13], v[18:19], v[16:17] neg_lo:[0,1] neg_hi:[0,1]
	v_add_f32_e32 v13, v45, v13
	v_add_f32_e32 v12, v12, v13
	;; [unrolled: 1-line block ×3, first 2 shown]
	v_mul_f32_e32 v45, v44, v13
	v_mul_f32_e32 v14, v21, v45
	v_fma_f32 v16, v45, v21, -v14
	v_fmac_f32_e32 v16, v45, v10
	v_sub_f32_e32 v10, v15, v13
	v_add_f32_e32 v10, v12, v10
	v_add_f32_e32 v12, v14, v16
	v_sub_f32_e32 v15, v13, v12
	v_pk_add_f32 v[18:19], v[12:13], v[14:15] neg_lo:[0,1] neg_hi:[0,1]
	v_mov_b32_e32 v17, v12
	v_pk_add_f32 v[12:13], v[18:19], v[16:17] neg_lo:[0,1] neg_hi:[0,1]
	v_add_f32_e32 v10, v10, v13
	v_add_f32_e32 v10, v12, v10
	;; [unrolled: 1-line block ×4, first 2 shown]
	v_sub_f32_e32 v13, v12, v46
	v_mul_f32_e32 v10, v44, v10
	v_sub_f32_e32 v13, v45, v13
	v_add_f32_e32 v10, v13, v10
	v_add_f32_e32 v15, v12, v10
	v_mul_f32_e32 v16, v15, v15
	v_mov_b32_e32 v14, 0x3ecc95a3
	v_fmac_f32_e32 v14, 0x3e9b6dac, v16
	v_mov_b32_e32 v13, 0x3f2aaada
	v_fmac_f32_e32 v13, v16, v14
	v_cvt_f32_i32_e32 v14, v20
	v_sub_f32_e32 v12, v15, v12
	v_sub_f32_e32 v10, v10, v12
	v_ldexp_f32 v17, v15, 1
	v_mul_f32_e32 v15, v15, v16
	v_mov_b32_e32 v12, 0x3f317218
	s_mov_b32 s3, 0x3f317218
	v_pk_mul_f32 v[12:13], v[14:15], v[12:13]
	v_fma_f32 v16, v14, s3, -v12
	v_fmac_f32_e32 v16, 0xb102e308, v14
	v_pk_add_f32 v[14:15], v[12:13], v[16:17]
	v_sub_f32_e32 v17, v15, v17
	v_ldexp_f32 v10, v10, 1
	v_sub_f32_e32 v17, v13, v17
	v_add_f32_e32 v19, v10, v17
	v_mov_b32_e32 v18, v12
	v_pk_add_f32 v[12:13], v[14:15], v[12:13] neg_lo:[0,1] neg_hi:[0,1]
	v_pk_add_f32 v[20:21], v[14:15], v[18:19]
	v_mov_b32_e32 v13, v21
	v_mov_b32_e32 v17, v14
	v_pk_add_f32 v[44:45], v[16:17], v[12:13] neg_lo:[0,1] neg_hi:[0,1]
	v_pk_add_f32 v[12:13], v[16:17], v[12:13]
	v_mov_b32_e32 v10, v13
	v_pk_add_f32 v[16:17], v[10:11], v[14:15] neg_lo:[0,1] neg_hi:[0,1]
	v_mov_b32_e32 v17, v16
	v_pk_add_f32 v[46:47], v[20:21], v[16:17] neg_lo:[0,1] neg_hi:[0,1]
	v_mov_b32_e32 v12, v21
	v_mov_b32_e32 v20, v15
	;; [unrolled: 1-line block ×4, first 2 shown]
	v_pk_add_f32 v[12:13], v[12:13], v[20:21] neg_lo:[0,1] neg_hi:[0,1]
	v_mov_b32_e32 v16, v19
	v_mov_b32_e32 v17, v14
	v_pk_add_f32 v[12:13], v[16:17], v[12:13] neg_lo:[0,1] neg_hi:[0,1]
	v_mov_b32_e32 v46, v44
	v_pk_add_f32 v[14:15], v[46:47], v[12:13]
	v_mov_b32_e32 v16, v15
	v_pk_add_f32 v[16:17], v[14:15], v[16:17]
	v_pk_add_f32 v[18:19], v[10:11], v[16:17]
	v_mov_b32_e32 v15, v18
	v_pk_add_f32 v[20:21], v[14:15], v[44:45] neg_lo:[0,1] neg_hi:[0,1]
	v_mov_b32_e32 v13, v16
	v_sub_f32_e32 v10, v14, v20
	v_pk_add_f32 v[12:13], v[12:13], v[20:21] neg_lo:[0,1] neg_hi:[0,1]
	v_sub_f32_e32 v10, v44, v10
	s_mov_b32 s6, 0x7f800000
	v_add_f32_e32 v10, v12, v10
	s_mov_b32 s3, 0x33800000
	v_add_f32_e32 v10, v10, v13
	v_cmp_eq_f32_e32 vcc, s6, v43
	v_cmp_lt_f32_e64 s[6:7], |v43|, s3
	v_add_f32_e32 v10, v18, v10
	s_or_b64 vcc, vcc, s[6:7]
	v_cndmask_b32_e32 v10, v10, v43, vcc
	v_add_f32_e32 v10, v11, v10
.LBB136_182:
	s_or_b64 exec, exec, s[0:1]
	v_max_f32_e32 v11, v10, v10
	v_min_f32_e32 v12, v11, v34
	v_cmp_u_f32_e32 vcc, v10, v10
	v_max_f32_e32 v11, v11, v34
	v_cndmask_b32_e32 v12, v12, v10, vcc
	v_cndmask_b32_e32 v11, v11, v10, vcc
	v_cndmask_b32_e64 v13, v12, v27, s[10:11]
	v_cndmask_b32_e64 v12, v11, v27, s[10:11]
	v_cmp_neq_f32_e32 vcc, v13, v12
	v_cmp_class_f32_e64 s[0:1], v13, s2
	s_or_b64 s[2:3], vcc, s[0:1]
	v_mov_b32_e32 v11, v10
	s_and_saveexec_b64 s[0:1], s[2:3]
	s_cbranch_execz .LBB136_184
; %bb.183:
	v_sub_f32_e32 v11, v13, v12
	s_mov_b32 s2, 0x3fb8aa3b
	v_mul_f32_e32 v13, 0x3fb8aa3b, v11
	v_fma_f32 v14, v11, s2, -v13
	v_rndne_f32_e32 v15, v13
	v_fmac_f32_e32 v14, 0x32a5705f, v11
	v_sub_f32_e32 v13, v13, v15
	v_add_f32_e32 v13, v13, v14
	v_exp_f32_e32 v13, v13
	v_cvt_i32_f32_e32 v14, v15
	s_mov_b32 s2, 0xc2ce8ed0
	v_cmp_ngt_f32_e32 vcc, s2, v11
	s_mov_b32 s2, 0x42b17218
	v_ldexp_f32 v13, v13, v14
	v_cndmask_b32_e32 v13, 0, v13, vcc
	v_mov_b32_e32 v14, 0x7f800000
	v_cmp_nlt_f32_e32 vcc, s2, v11
	v_cndmask_b32_e32 v13, v14, v13, vcc
	v_add_f32_e32 v11, 1.0, v13
	v_add_f32_e32 v14, -1.0, v11
	v_sub_f32_e32 v15, v14, v11
	v_add_f32_e32 v15, 1.0, v15
	v_sub_f32_e32 v14, v13, v14
	v_add_f32_e32 v16, v14, v15
	v_frexp_mant_f32_e32 v17, v11
	s_mov_b32 s2, 0x3f2aaaab
	v_cvt_f64_f32_e32 v[14:15], v11
	v_frexp_exp_i32_f64_e32 v14, v[14:15]
	v_cmp_gt_f32_e32 vcc, s2, v17
	v_subbrev_co_u32_e32 v34, vcc, 0, v14, vcc
	v_sub_u32_e32 v14, 0, v34
	v_ldexp_f32 v11, v11, v14
	v_ldexp_f32 v14, v16, v14
	v_add_f32_e32 v16, -1.0, v11
	v_add_f32_e32 v15, 1.0, v16
	v_sub_f32_e32 v15, v11, v15
	v_add_f32_e32 v17, v14, v15
	v_add_f32_e32 v15, 1.0, v11
	v_add_f32_e32 v18, -1.0, v15
	v_sub_f32_e32 v11, v11, v18
	v_add_f32_e32 v11, v14, v11
	v_add_f32_e32 v43, v15, v11
	v_rcp_f32_e32 v44, v43
	v_sub_f32_e32 v14, v15, v43
	v_add_f32_e32 v15, v16, v17
	v_add_f32_e32 v11, v11, v14
	v_mul_f32_e32 v46, v15, v44
	v_sub_f32_e32 v14, v16, v15
	v_mul_f32_e32 v16, v43, v46
	v_fma_f32 v18, v46, v43, -v16
	v_fmac_f32_e32 v18, v46, v11
	v_add_f32_e32 v45, v17, v14
	v_add_f32_e32 v14, v16, v18
	v_sub_f32_e32 v17, v15, v14
	v_pk_add_f32 v[20:21], v[14:15], v[16:17] neg_lo:[0,1] neg_hi:[0,1]
	v_mov_b32_e32 v19, v14
	v_pk_add_f32 v[14:15], v[20:21], v[18:19] neg_lo:[0,1] neg_hi:[0,1]
	v_add_f32_e32 v15, v45, v15
	v_add_f32_e32 v14, v14, v15
	;; [unrolled: 1-line block ×3, first 2 shown]
	v_mul_f32_e32 v45, v44, v15
	v_mul_f32_e32 v16, v43, v45
	v_fma_f32 v18, v45, v43, -v16
	v_fmac_f32_e32 v18, v45, v11
	v_sub_f32_e32 v11, v17, v15
	v_add_f32_e32 v11, v14, v11
	v_add_f32_e32 v14, v16, v18
	v_sub_f32_e32 v17, v15, v14
	v_pk_add_f32 v[20:21], v[14:15], v[16:17] neg_lo:[0,1] neg_hi:[0,1]
	v_mov_b32_e32 v19, v14
	v_pk_add_f32 v[14:15], v[20:21], v[18:19] neg_lo:[0,1] neg_hi:[0,1]
	v_add_f32_e32 v11, v11, v15
	v_add_f32_e32 v11, v14, v11
	;; [unrolled: 1-line block ×4, first 2 shown]
	v_sub_f32_e32 v15, v14, v46
	v_mul_f32_e32 v11, v44, v11
	v_sub_f32_e32 v15, v45, v15
	v_add_f32_e32 v11, v15, v11
	v_add_f32_e32 v17, v14, v11
	v_mul_f32_e32 v18, v17, v17
	v_mov_b32_e32 v16, 0x3ecc95a3
	v_fmac_f32_e32 v16, 0x3e9b6dac, v18
	v_mov_b32_e32 v15, 0x3f2aaada
	v_fmac_f32_e32 v15, v18, v16
	v_cvt_f32_i32_e32 v16, v34
	v_sub_f32_e32 v14, v17, v14
	v_sub_f32_e32 v11, v11, v14
	v_ldexp_f32 v19, v17, 1
	v_mul_f32_e32 v17, v17, v18
	v_mov_b32_e32 v14, 0x3f317218
	s_mov_b32 s2, 0x3f317218
	v_pk_mul_f32 v[14:15], v[16:17], v[14:15]
	v_fma_f32 v18, v16, s2, -v14
	v_fmac_f32_e32 v18, 0xb102e308, v16
	v_pk_add_f32 v[16:17], v[14:15], v[18:19]
	v_sub_f32_e32 v19, v17, v19
	v_ldexp_f32 v11, v11, 1
	v_sub_f32_e32 v19, v15, v19
	v_add_f32_e32 v21, v11, v19
	v_mov_b32_e32 v20, v14
	v_pk_add_f32 v[14:15], v[16:17], v[14:15] neg_lo:[0,1] neg_hi:[0,1]
	v_pk_add_f32 v[44:45], v[16:17], v[20:21]
	v_mov_b32_e32 v15, v45
	v_mov_b32_e32 v19, v16
	v_pk_add_f32 v[46:47], v[18:19], v[14:15] neg_lo:[0,1] neg_hi:[0,1]
	v_pk_add_f32 v[14:15], v[18:19], v[14:15]
	v_mov_b32_e32 v18, v15
	v_pk_add_f32 v[48:49], v[18:19], v[16:17] neg_lo:[0,1] neg_hi:[0,1]
	v_mov_b32_e32 v11, v48
	v_pk_add_f32 v[50:51], v[44:45], v[10:11] neg_lo:[0,1] neg_hi:[0,1]
	v_mov_b32_e32 v14, v45
	v_mov_b32_e32 v44, v17
	;; [unrolled: 1-line block ×4, first 2 shown]
	v_pk_add_f32 v[14:15], v[14:15], v[44:45] neg_lo:[0,1] neg_hi:[0,1]
	v_mov_b32_e32 v20, v21
	v_mov_b32_e32 v21, v16
	v_pk_add_f32 v[14:15], v[20:21], v[14:15] neg_lo:[0,1] neg_hi:[0,1]
	v_mov_b32_e32 v50, v46
	v_pk_add_f32 v[16:17], v[50:51], v[14:15]
	v_mov_b32_e32 v20, v17
	v_pk_add_f32 v[20:21], v[16:17], v[20:21]
	v_pk_add_f32 v[18:19], v[18:19], v[20:21]
	v_mov_b32_e32 v17, v18
	v_pk_add_f32 v[44:45], v[16:17], v[46:47] neg_lo:[0,1] neg_hi:[0,1]
	v_mov_b32_e32 v15, v20
	v_sub_f32_e32 v11, v16, v44
	v_pk_add_f32 v[14:15], v[14:15], v[44:45] neg_lo:[0,1] neg_hi:[0,1]
	v_sub_f32_e32 v11, v46, v11
	s_mov_b32 s3, 0x7f800000
	v_add_f32_e32 v11, v14, v11
	s_mov_b32 s2, 0x33800000
	v_add_f32_e32 v11, v11, v15
	v_cmp_eq_f32_e32 vcc, s3, v13
	v_cmp_lt_f32_e64 s[2:3], |v13|, s2
	v_add_f32_e32 v11, v18, v11
	s_or_b64 vcc, vcc, s[2:3]
	v_cndmask_b32_e32 v11, v11, v13, vcc
	v_add_f32_e32 v11, v12, v11
.LBB136_184:
	s_or_b64 exec, exec, s[0:1]
	v_max_f32_e32 v12, v11, v11
	v_min_f32_e32 v13, v12, v35
	v_cmp_u_f32_e32 vcc, v11, v11
	v_max_f32_e32 v12, v12, v35
	v_cndmask_b32_e32 v13, v13, v11, vcc
	v_cndmask_b32_e32 v12, v12, v11, vcc
	v_cndmask_b32_e64 v14, v13, v28, s[12:13]
	v_cndmask_b32_e64 v13, v12, v28, s[12:13]
	s_movk_i32 s2, 0x1f8
	v_cmp_neq_f32_e32 vcc, v14, v13
	v_cmp_class_f32_e64 s[0:1], v14, s2
	s_or_b64 s[6:7], vcc, s[0:1]
	v_mov_b32_e32 v12, v11
	s_and_saveexec_b64 s[0:1], s[6:7]
	s_cbranch_execz .LBB136_186
; %bb.185:
	v_sub_f32_e32 v12, v14, v13
	s_mov_b32 s3, 0x3fb8aa3b
	v_mul_f32_e32 v14, 0x3fb8aa3b, v12
	v_fma_f32 v15, v12, s3, -v14
	v_rndne_f32_e32 v16, v14
	v_fmac_f32_e32 v15, 0x32a5705f, v12
	v_sub_f32_e32 v14, v14, v16
	v_add_f32_e32 v14, v14, v15
	v_exp_f32_e32 v14, v14
	v_cvt_i32_f32_e32 v15, v16
	s_mov_b32 s3, 0xc2ce8ed0
	v_cmp_ngt_f32_e32 vcc, s3, v12
	s_mov_b32 s3, 0x42b17218
	v_ldexp_f32 v14, v14, v15
	v_cndmask_b32_e32 v14, 0, v14, vcc
	v_mov_b32_e32 v15, 0x7f800000
	v_cmp_nlt_f32_e32 vcc, s3, v12
	v_cndmask_b32_e32 v43, v15, v14, vcc
	v_add_f32_e32 v12, 1.0, v43
	v_add_f32_e32 v14, -1.0, v12
	v_sub_f32_e32 v15, v14, v12
	v_add_f32_e32 v15, 1.0, v15
	v_sub_f32_e32 v14, v43, v14
	v_add_f32_e32 v16, v14, v15
	v_frexp_mant_f32_e32 v17, v12
	s_mov_b32 s3, 0x3f2aaaab
	v_cvt_f64_f32_e32 v[14:15], v12
	v_frexp_exp_i32_f64_e32 v14, v[14:15]
	v_cmp_gt_f32_e32 vcc, s3, v17
	v_subbrev_co_u32_e32 v34, vcc, 0, v14, vcc
	v_sub_u32_e32 v14, 0, v34
	v_ldexp_f32 v12, v12, v14
	v_ldexp_f32 v14, v16, v14
	v_add_f32_e32 v16, -1.0, v12
	v_add_f32_e32 v15, 1.0, v16
	v_sub_f32_e32 v15, v12, v15
	v_add_f32_e32 v17, v14, v15
	v_add_f32_e32 v15, 1.0, v12
	v_add_f32_e32 v18, -1.0, v15
	v_sub_f32_e32 v12, v12, v18
	v_add_f32_e32 v12, v14, v12
	v_add_f32_e32 v35, v15, v12
	v_rcp_f32_e32 v44, v35
	v_sub_f32_e32 v14, v15, v35
	v_add_f32_e32 v15, v16, v17
	v_add_f32_e32 v12, v12, v14
	v_mul_f32_e32 v46, v15, v44
	v_sub_f32_e32 v14, v16, v15
	v_mul_f32_e32 v16, v35, v46
	v_fma_f32 v18, v46, v35, -v16
	v_fmac_f32_e32 v18, v46, v12
	v_add_f32_e32 v45, v17, v14
	v_add_f32_e32 v14, v16, v18
	v_sub_f32_e32 v17, v15, v14
	v_pk_add_f32 v[20:21], v[14:15], v[16:17] neg_lo:[0,1] neg_hi:[0,1]
	v_mov_b32_e32 v19, v14
	v_pk_add_f32 v[14:15], v[20:21], v[18:19] neg_lo:[0,1] neg_hi:[0,1]
	v_add_f32_e32 v15, v45, v15
	v_add_f32_e32 v14, v14, v15
	;; [unrolled: 1-line block ×3, first 2 shown]
	v_mul_f32_e32 v45, v44, v15
	v_mul_f32_e32 v16, v35, v45
	v_fma_f32 v18, v45, v35, -v16
	v_fmac_f32_e32 v18, v45, v12
	v_sub_f32_e32 v12, v17, v15
	v_add_f32_e32 v12, v14, v12
	v_add_f32_e32 v14, v16, v18
	v_sub_f32_e32 v17, v15, v14
	v_pk_add_f32 v[20:21], v[14:15], v[16:17] neg_lo:[0,1] neg_hi:[0,1]
	v_mov_b32_e32 v19, v14
	v_pk_add_f32 v[14:15], v[20:21], v[18:19] neg_lo:[0,1] neg_hi:[0,1]
	v_add_f32_e32 v12, v12, v15
	v_add_f32_e32 v12, v14, v12
	;; [unrolled: 1-line block ×4, first 2 shown]
	v_sub_f32_e32 v15, v14, v46
	v_mul_f32_e32 v12, v44, v12
	v_sub_f32_e32 v15, v45, v15
	v_add_f32_e32 v12, v15, v12
	v_add_f32_e32 v17, v14, v12
	v_mul_f32_e32 v18, v17, v17
	v_mov_b32_e32 v16, 0x3ecc95a3
	v_fmac_f32_e32 v16, 0x3e9b6dac, v18
	v_mov_b32_e32 v15, 0x3f2aaada
	v_fmac_f32_e32 v15, v18, v16
	v_cvt_f32_i32_e32 v16, v34
	v_sub_f32_e32 v14, v17, v14
	v_sub_f32_e32 v12, v12, v14
	v_ldexp_f32 v19, v17, 1
	v_mul_f32_e32 v17, v17, v18
	v_mov_b32_e32 v14, 0x3f317218
	s_mov_b32 s3, 0x3f317218
	v_pk_mul_f32 v[14:15], v[16:17], v[14:15]
	v_fma_f32 v18, v16, s3, -v14
	v_fmac_f32_e32 v18, 0xb102e308, v16
	v_pk_add_f32 v[16:17], v[14:15], v[18:19]
	v_sub_f32_e32 v19, v17, v19
	v_ldexp_f32 v12, v12, 1
	v_sub_f32_e32 v19, v15, v19
	v_add_f32_e32 v21, v12, v19
	v_mov_b32_e32 v20, v14
	v_pk_add_f32 v[14:15], v[16:17], v[14:15] neg_lo:[0,1] neg_hi:[0,1]
	v_pk_add_f32 v[34:35], v[16:17], v[20:21]
	v_mov_b32_e32 v15, v35
	v_mov_b32_e32 v19, v16
	v_pk_add_f32 v[44:45], v[18:19], v[14:15] neg_lo:[0,1] neg_hi:[0,1]
	v_pk_add_f32 v[14:15], v[18:19], v[14:15]
	v_mov_b32_e32 v12, v15
	v_pk_add_f32 v[18:19], v[12:13], v[16:17] neg_lo:[0,1] neg_hi:[0,1]
	v_mov_b32_e32 v19, v18
	v_pk_add_f32 v[46:47], v[34:35], v[18:19] neg_lo:[0,1] neg_hi:[0,1]
	v_mov_b32_e32 v14, v35
	v_mov_b32_e32 v34, v17
	;; [unrolled: 1-line block ×4, first 2 shown]
	v_pk_add_f32 v[14:15], v[14:15], v[34:35] neg_lo:[0,1] neg_hi:[0,1]
	v_mov_b32_e32 v18, v21
	v_mov_b32_e32 v19, v16
	v_pk_add_f32 v[14:15], v[18:19], v[14:15] neg_lo:[0,1] neg_hi:[0,1]
	v_mov_b32_e32 v46, v44
	v_pk_add_f32 v[16:17], v[46:47], v[14:15]
	v_mov_b32_e32 v18, v17
	v_pk_add_f32 v[18:19], v[16:17], v[18:19]
	v_pk_add_f32 v[20:21], v[12:13], v[18:19]
	v_mov_b32_e32 v17, v20
	v_pk_add_f32 v[34:35], v[16:17], v[44:45] neg_lo:[0,1] neg_hi:[0,1]
	v_mov_b32_e32 v15, v18
	v_sub_f32_e32 v12, v16, v34
	v_pk_add_f32 v[14:15], v[14:15], v[34:35] neg_lo:[0,1] neg_hi:[0,1]
	v_sub_f32_e32 v12, v44, v12
	s_mov_b32 s6, 0x7f800000
	v_add_f32_e32 v12, v14, v12
	s_mov_b32 s3, 0x33800000
	v_add_f32_e32 v12, v12, v15
	v_cmp_eq_f32_e32 vcc, s6, v43
	v_cmp_lt_f32_e64 s[6:7], |v43|, s3
	v_add_f32_e32 v12, v20, v12
	s_or_b64 vcc, vcc, s[6:7]
	v_cndmask_b32_e32 v12, v12, v43, vcc
	v_add_f32_e32 v12, v13, v12
.LBB136_186:
	s_or_b64 exec, exec, s[0:1]
	v_max_f32_e32 v13, v12, v12
	v_min_f32_e32 v14, v13, v36
	v_cmp_u_f32_e32 vcc, v12, v12
	v_max_f32_e32 v13, v13, v36
	v_cndmask_b32_e32 v14, v14, v12, vcc
	v_cndmask_b32_e32 v13, v13, v12, vcc
	v_cndmask_b32_e64 v15, v14, v29, s[14:15]
	v_cndmask_b32_e64 v14, v13, v29, s[14:15]
	v_cmp_neq_f32_e32 vcc, v15, v14
	v_cmp_class_f32_e64 s[0:1], v15, s2
	s_or_b64 s[2:3], vcc, s[0:1]
	v_mov_b32_e32 v13, v12
	s_and_saveexec_b64 s[0:1], s[2:3]
	s_cbranch_execz .LBB136_188
; %bb.187:
	v_sub_f32_e32 v13, v15, v14
	s_mov_b32 s2, 0x3fb8aa3b
	v_mul_f32_e32 v15, 0x3fb8aa3b, v13
	v_fma_f32 v16, v13, s2, -v15
	v_rndne_f32_e32 v17, v15
	v_fmac_f32_e32 v16, 0x32a5705f, v13
	v_sub_f32_e32 v15, v15, v17
	v_add_f32_e32 v15, v15, v16
	v_exp_f32_e32 v15, v15
	v_cvt_i32_f32_e32 v16, v17
	s_mov_b32 s2, 0xc2ce8ed0
	v_cmp_ngt_f32_e32 vcc, s2, v13
	s_mov_b32 s2, 0x42b17218
	v_ldexp_f32 v15, v15, v16
	v_cndmask_b32_e32 v15, 0, v15, vcc
	v_mov_b32_e32 v16, 0x7f800000
	v_cmp_nlt_f32_e32 vcc, s2, v13
	v_cndmask_b32_e32 v15, v16, v15, vcc
	v_add_f32_e32 v13, 1.0, v15
	v_add_f32_e32 v16, -1.0, v13
	v_sub_f32_e32 v17, v16, v13
	v_add_f32_e32 v17, 1.0, v17
	v_sub_f32_e32 v16, v15, v16
	v_add_f32_e32 v18, v16, v17
	v_frexp_mant_f32_e32 v19, v13
	s_mov_b32 s2, 0x3f2aaaab
	v_cvt_f64_f32_e32 v[16:17], v13
	v_frexp_exp_i32_f64_e32 v16, v[16:17]
	v_cmp_gt_f32_e32 vcc, s2, v19
	v_subbrev_co_u32_e32 v36, vcc, 0, v16, vcc
	v_sub_u32_e32 v16, 0, v36
	v_ldexp_f32 v13, v13, v16
	v_ldexp_f32 v16, v18, v16
	v_add_f32_e32 v18, -1.0, v13
	v_add_f32_e32 v17, 1.0, v18
	v_sub_f32_e32 v17, v13, v17
	v_add_f32_e32 v19, v16, v17
	v_add_f32_e32 v17, 1.0, v13
	v_add_f32_e32 v20, -1.0, v17
	v_sub_f32_e32 v13, v13, v20
	v_add_f32_e32 v13, v16, v13
	v_add_f32_e32 v43, v17, v13
	v_rcp_f32_e32 v44, v43
	v_sub_f32_e32 v16, v17, v43
	v_add_f32_e32 v17, v18, v19
	v_add_f32_e32 v13, v13, v16
	v_mul_f32_e32 v46, v17, v44
	v_sub_f32_e32 v16, v18, v17
	v_mul_f32_e32 v18, v43, v46
	v_fma_f32 v20, v46, v43, -v18
	v_fmac_f32_e32 v20, v46, v13
	v_add_f32_e32 v45, v19, v16
	v_add_f32_e32 v16, v18, v20
	v_sub_f32_e32 v19, v17, v16
	v_pk_add_f32 v[34:35], v[16:17], v[18:19] neg_lo:[0,1] neg_hi:[0,1]
	v_mov_b32_e32 v21, v16
	v_pk_add_f32 v[16:17], v[34:35], v[20:21] neg_lo:[0,1] neg_hi:[0,1]
	v_add_f32_e32 v17, v45, v17
	v_add_f32_e32 v16, v16, v17
	;; [unrolled: 1-line block ×3, first 2 shown]
	v_mul_f32_e32 v45, v44, v17
	v_mul_f32_e32 v18, v43, v45
	v_fma_f32 v20, v45, v43, -v18
	v_fmac_f32_e32 v20, v45, v13
	v_sub_f32_e32 v13, v19, v17
	v_add_f32_e32 v13, v16, v13
	v_add_f32_e32 v16, v18, v20
	v_sub_f32_e32 v19, v17, v16
	v_pk_add_f32 v[34:35], v[16:17], v[18:19] neg_lo:[0,1] neg_hi:[0,1]
	v_mov_b32_e32 v21, v16
	v_pk_add_f32 v[16:17], v[34:35], v[20:21] neg_lo:[0,1] neg_hi:[0,1]
	v_add_f32_e32 v13, v13, v17
	v_add_f32_e32 v13, v16, v13
	;; [unrolled: 1-line block ×4, first 2 shown]
	v_sub_f32_e32 v17, v16, v46
	v_mul_f32_e32 v13, v44, v13
	v_sub_f32_e32 v17, v45, v17
	v_add_f32_e32 v13, v17, v13
	v_add_f32_e32 v19, v16, v13
	v_mul_f32_e32 v20, v19, v19
	v_mov_b32_e32 v18, 0x3ecc95a3
	v_fmac_f32_e32 v18, 0x3e9b6dac, v20
	v_mov_b32_e32 v17, 0x3f2aaada
	v_fmac_f32_e32 v17, v20, v18
	v_cvt_f32_i32_e32 v18, v36
	v_sub_f32_e32 v16, v19, v16
	v_sub_f32_e32 v13, v13, v16
	v_ldexp_f32 v21, v19, 1
	v_mul_f32_e32 v19, v19, v20
	v_mov_b32_e32 v16, 0x3f317218
	s_mov_b32 s2, 0x3f317218
	v_pk_mul_f32 v[16:17], v[18:19], v[16:17]
	v_fma_f32 v20, v18, s2, -v16
	v_fmac_f32_e32 v20, 0xb102e308, v18
	v_pk_add_f32 v[18:19], v[16:17], v[20:21]
	v_sub_f32_e32 v21, v19, v21
	v_ldexp_f32 v13, v13, 1
	v_sub_f32_e32 v21, v17, v21
	v_add_f32_e32 v35, v13, v21
	v_mov_b32_e32 v34, v16
	v_pk_add_f32 v[16:17], v[18:19], v[16:17] neg_lo:[0,1] neg_hi:[0,1]
	v_pk_add_f32 v[44:45], v[18:19], v[34:35]
	v_mov_b32_e32 v17, v45
	v_mov_b32_e32 v21, v18
	v_pk_add_f32 v[46:47], v[20:21], v[16:17] neg_lo:[0,1] neg_hi:[0,1]
	v_pk_add_f32 v[16:17], v[20:21], v[16:17]
	v_mov_b32_e32 v20, v17
	v_pk_add_f32 v[48:49], v[20:21], v[18:19] neg_lo:[0,1] neg_hi:[0,1]
	v_mov_b32_e32 v13, v48
	v_pk_add_f32 v[50:51], v[44:45], v[12:13] neg_lo:[0,1] neg_hi:[0,1]
	v_mov_b32_e32 v16, v45
	v_mov_b32_e32 v44, v19
	;; [unrolled: 1-line block ×4, first 2 shown]
	v_pk_add_f32 v[16:17], v[16:17], v[44:45] neg_lo:[0,1] neg_hi:[0,1]
	v_mov_b32_e32 v34, v35
	v_mov_b32_e32 v35, v18
	v_pk_add_f32 v[16:17], v[34:35], v[16:17] neg_lo:[0,1] neg_hi:[0,1]
	v_mov_b32_e32 v50, v46
	v_pk_add_f32 v[18:19], v[50:51], v[16:17]
	v_mov_b32_e32 v34, v19
	v_pk_add_f32 v[34:35], v[18:19], v[34:35]
	v_pk_add_f32 v[20:21], v[20:21], v[34:35]
	v_mov_b32_e32 v19, v20
	v_pk_add_f32 v[44:45], v[18:19], v[46:47] neg_lo:[0,1] neg_hi:[0,1]
	v_mov_b32_e32 v17, v34
	v_sub_f32_e32 v13, v18, v44
	v_pk_add_f32 v[16:17], v[16:17], v[44:45] neg_lo:[0,1] neg_hi:[0,1]
	v_sub_f32_e32 v13, v46, v13
	s_mov_b32 s3, 0x7f800000
	v_add_f32_e32 v13, v16, v13
	s_mov_b32 s2, 0x33800000
	v_add_f32_e32 v13, v13, v17
	v_cmp_eq_f32_e32 vcc, s3, v15
	v_cmp_lt_f32_e64 s[2:3], |v15|, s2
	v_add_f32_e32 v13, v20, v13
	s_or_b64 vcc, vcc, s[2:3]
	v_cndmask_b32_e32 v13, v13, v15, vcc
	v_add_f32_e32 v13, v14, v13
.LBB136_188:
	s_or_b64 exec, exec, s[0:1]
	v_max_f32_e32 v14, v13, v13
	v_min_f32_e32 v15, v14, v37
	v_cmp_u_f32_e32 vcc, v13, v13
	v_max_f32_e32 v14, v14, v37
	v_cndmask_b32_e32 v15, v15, v13, vcc
	v_cndmask_b32_e32 v14, v14, v13, vcc
	v_cndmask_b32_e64 v16, v15, v22, s[16:17]
	v_cndmask_b32_e64 v15, v14, v22, s[16:17]
	s_movk_i32 s2, 0x1f8
	v_cmp_neq_f32_e32 vcc, v16, v15
	v_cmp_class_f32_e64 s[0:1], v16, s2
	s_or_b64 s[6:7], vcc, s[0:1]
	v_mov_b32_e32 v14, v13
	s_and_saveexec_b64 s[0:1], s[6:7]
	s_cbranch_execz .LBB136_190
; %bb.189:
	v_sub_f32_e32 v14, v16, v15
	s_mov_b32 s3, 0x3fb8aa3b
	v_mul_f32_e32 v16, 0x3fb8aa3b, v14
	v_fma_f32 v17, v14, s3, -v16
	v_rndne_f32_e32 v18, v16
	v_fmac_f32_e32 v17, 0x32a5705f, v14
	v_sub_f32_e32 v16, v16, v18
	v_add_f32_e32 v16, v16, v17
	v_exp_f32_e32 v16, v16
	v_cvt_i32_f32_e32 v17, v18
	s_mov_b32 s3, 0xc2ce8ed0
	v_cmp_ngt_f32_e32 vcc, s3, v14
	s_mov_b32 s3, 0x42b17218
	v_ldexp_f32 v16, v16, v17
	v_cndmask_b32_e32 v16, 0, v16, vcc
	v_mov_b32_e32 v17, 0x7f800000
	v_cmp_nlt_f32_e32 vcc, s3, v14
	v_cndmask_b32_e32 v43, v17, v16, vcc
	v_add_f32_e32 v14, 1.0, v43
	v_add_f32_e32 v16, -1.0, v14
	v_sub_f32_e32 v17, v16, v14
	v_add_f32_e32 v17, 1.0, v17
	v_sub_f32_e32 v16, v43, v16
	v_add_f32_e32 v18, v16, v17
	v_frexp_mant_f32_e32 v19, v14
	s_mov_b32 s3, 0x3f2aaaab
	v_cvt_f64_f32_e32 v[16:17], v14
	v_frexp_exp_i32_f64_e32 v16, v[16:17]
	v_cmp_gt_f32_e32 vcc, s3, v19
	v_subbrev_co_u32_e32 v36, vcc, 0, v16, vcc
	v_sub_u32_e32 v16, 0, v36
	v_ldexp_f32 v14, v14, v16
	v_ldexp_f32 v16, v18, v16
	v_add_f32_e32 v18, -1.0, v14
	v_add_f32_e32 v17, 1.0, v18
	v_sub_f32_e32 v17, v14, v17
	v_add_f32_e32 v19, v16, v17
	v_add_f32_e32 v17, 1.0, v14
	v_add_f32_e32 v20, -1.0, v17
	v_sub_f32_e32 v14, v14, v20
	v_add_f32_e32 v14, v16, v14
	v_add_f32_e32 v37, v17, v14
	v_rcp_f32_e32 v44, v37
	v_sub_f32_e32 v16, v17, v37
	v_add_f32_e32 v17, v18, v19
	v_add_f32_e32 v14, v14, v16
	v_mul_f32_e32 v46, v17, v44
	v_sub_f32_e32 v16, v18, v17
	v_mul_f32_e32 v18, v37, v46
	v_fma_f32 v20, v46, v37, -v18
	v_fmac_f32_e32 v20, v46, v14
	v_add_f32_e32 v45, v19, v16
	v_add_f32_e32 v16, v18, v20
	v_sub_f32_e32 v19, v17, v16
	v_pk_add_f32 v[34:35], v[16:17], v[18:19] neg_lo:[0,1] neg_hi:[0,1]
	v_mov_b32_e32 v21, v16
	v_pk_add_f32 v[16:17], v[34:35], v[20:21] neg_lo:[0,1] neg_hi:[0,1]
	v_add_f32_e32 v17, v45, v17
	v_add_f32_e32 v16, v16, v17
	;; [unrolled: 1-line block ×3, first 2 shown]
	v_mul_f32_e32 v45, v44, v17
	v_mul_f32_e32 v18, v37, v45
	v_fma_f32 v20, v45, v37, -v18
	v_fmac_f32_e32 v20, v45, v14
	v_sub_f32_e32 v14, v19, v17
	v_add_f32_e32 v14, v16, v14
	v_add_f32_e32 v16, v18, v20
	v_sub_f32_e32 v19, v17, v16
	v_pk_add_f32 v[34:35], v[16:17], v[18:19] neg_lo:[0,1] neg_hi:[0,1]
	v_mov_b32_e32 v21, v16
	v_pk_add_f32 v[16:17], v[34:35], v[20:21] neg_lo:[0,1] neg_hi:[0,1]
	v_add_f32_e32 v14, v14, v17
	v_add_f32_e32 v14, v16, v14
	v_add_f32_e32 v16, v46, v45
	v_add_f32_e32 v14, v19, v14
	v_sub_f32_e32 v17, v16, v46
	v_mul_f32_e32 v14, v44, v14
	v_sub_f32_e32 v17, v45, v17
	v_add_f32_e32 v14, v17, v14
	v_add_f32_e32 v19, v16, v14
	v_mul_f32_e32 v20, v19, v19
	v_mov_b32_e32 v18, 0x3ecc95a3
	v_fmac_f32_e32 v18, 0x3e9b6dac, v20
	v_mov_b32_e32 v17, 0x3f2aaada
	v_fmac_f32_e32 v17, v20, v18
	v_cvt_f32_i32_e32 v18, v36
	v_sub_f32_e32 v16, v19, v16
	v_sub_f32_e32 v14, v14, v16
	v_ldexp_f32 v21, v19, 1
	v_mul_f32_e32 v19, v19, v20
	v_mov_b32_e32 v16, 0x3f317218
	s_mov_b32 s3, 0x3f317218
	v_pk_mul_f32 v[16:17], v[18:19], v[16:17]
	v_fma_f32 v20, v18, s3, -v16
	v_fmac_f32_e32 v20, 0xb102e308, v18
	v_pk_add_f32 v[18:19], v[16:17], v[20:21]
	v_sub_f32_e32 v21, v19, v21
	v_ldexp_f32 v14, v14, 1
	v_sub_f32_e32 v21, v17, v21
	v_add_f32_e32 v35, v14, v21
	v_mov_b32_e32 v34, v16
	v_pk_add_f32 v[16:17], v[18:19], v[16:17] neg_lo:[0,1] neg_hi:[0,1]
	v_pk_add_f32 v[36:37], v[18:19], v[34:35]
	v_mov_b32_e32 v17, v37
	v_mov_b32_e32 v21, v18
	v_pk_add_f32 v[44:45], v[20:21], v[16:17] neg_lo:[0,1] neg_hi:[0,1]
	v_pk_add_f32 v[16:17], v[20:21], v[16:17]
	v_mov_b32_e32 v14, v17
	v_pk_add_f32 v[20:21], v[14:15], v[18:19] neg_lo:[0,1] neg_hi:[0,1]
	v_mov_b32_e32 v21, v20
	v_pk_add_f32 v[46:47], v[36:37], v[20:21] neg_lo:[0,1] neg_hi:[0,1]
	v_mov_b32_e32 v16, v37
	v_mov_b32_e32 v36, v19
	;; [unrolled: 1-line block ×4, first 2 shown]
	v_pk_add_f32 v[16:17], v[16:17], v[36:37] neg_lo:[0,1] neg_hi:[0,1]
	v_mov_b32_e32 v20, v35
	v_mov_b32_e32 v21, v18
	v_pk_add_f32 v[16:17], v[20:21], v[16:17] neg_lo:[0,1] neg_hi:[0,1]
	v_mov_b32_e32 v46, v44
	v_pk_add_f32 v[18:19], v[46:47], v[16:17]
	v_mov_b32_e32 v20, v19
	v_pk_add_f32 v[20:21], v[18:19], v[20:21]
	v_pk_add_f32 v[34:35], v[14:15], v[20:21]
	v_mov_b32_e32 v19, v34
	v_pk_add_f32 v[36:37], v[18:19], v[44:45] neg_lo:[0,1] neg_hi:[0,1]
	v_mov_b32_e32 v17, v20
	v_sub_f32_e32 v14, v18, v36
	v_pk_add_f32 v[16:17], v[16:17], v[36:37] neg_lo:[0,1] neg_hi:[0,1]
	v_sub_f32_e32 v14, v44, v14
	s_mov_b32 s6, 0x7f800000
	v_add_f32_e32 v14, v16, v14
	s_mov_b32 s3, 0x33800000
	v_add_f32_e32 v14, v14, v17
	v_cmp_eq_f32_e32 vcc, s6, v43
	v_cmp_lt_f32_e64 s[6:7], |v43|, s3
	v_add_f32_e32 v14, v34, v14
	s_or_b64 vcc, vcc, s[6:7]
	v_cndmask_b32_e32 v14, v14, v43, vcc
	v_add_f32_e32 v14, v15, v14
.LBB136_190:
	s_or_b64 exec, exec, s[0:1]
	v_max_f32_e32 v15, v14, v14
	v_min_f32_e32 v16, v15, v38
	v_cmp_u_f32_e32 vcc, v14, v14
	v_max_f32_e32 v15, v15, v38
	v_cndmask_b32_e32 v16, v16, v14, vcc
	v_cndmask_b32_e32 v15, v15, v14, vcc
	v_cndmask_b32_e64 v17, v16, v23, s[18:19]
	v_cndmask_b32_e64 v16, v15, v23, s[18:19]
	v_cmp_neq_f32_e32 vcc, v17, v16
	v_cmp_class_f32_e64 s[0:1], v17, s2
	s_or_b64 s[2:3], vcc, s[0:1]
	v_mov_b32_e32 v15, v14
	s_and_saveexec_b64 s[0:1], s[2:3]
	s_cbranch_execz .LBB136_192
; %bb.191:
	v_sub_f32_e32 v15, v17, v16
	s_mov_b32 s2, 0x3fb8aa3b
	v_mul_f32_e32 v17, 0x3fb8aa3b, v15
	v_fma_f32 v18, v15, s2, -v17
	v_rndne_f32_e32 v19, v17
	v_fmac_f32_e32 v18, 0x32a5705f, v15
	v_sub_f32_e32 v17, v17, v19
	v_add_f32_e32 v17, v17, v18
	v_exp_f32_e32 v17, v17
	v_cvt_i32_f32_e32 v18, v19
	s_mov_b32 s2, 0xc2ce8ed0
	v_cmp_ngt_f32_e32 vcc, s2, v15
	s_mov_b32 s2, 0x42b17218
	v_ldexp_f32 v17, v17, v18
	v_cndmask_b32_e32 v17, 0, v17, vcc
	v_mov_b32_e32 v18, 0x7f800000
	v_cmp_nlt_f32_e32 vcc, s2, v15
	v_cndmask_b32_e32 v17, v18, v17, vcc
	v_add_f32_e32 v15, 1.0, v17
	v_add_f32_e32 v18, -1.0, v15
	v_sub_f32_e32 v19, v18, v15
	v_add_f32_e32 v19, 1.0, v19
	v_sub_f32_e32 v18, v17, v18
	v_add_f32_e32 v20, v18, v19
	v_frexp_mant_f32_e32 v21, v15
	s_mov_b32 s2, 0x3f2aaaab
	v_cvt_f64_f32_e32 v[18:19], v15
	v_frexp_exp_i32_f64_e32 v18, v[18:19]
	v_cmp_gt_f32_e32 vcc, s2, v21
	v_subbrev_co_u32_e32 v38, vcc, 0, v18, vcc
	v_sub_u32_e32 v18, 0, v38
	v_ldexp_f32 v15, v15, v18
	v_ldexp_f32 v18, v20, v18
	v_add_f32_e32 v20, -1.0, v15
	v_add_f32_e32 v19, 1.0, v20
	v_sub_f32_e32 v19, v15, v19
	v_add_f32_e32 v21, v18, v19
	v_add_f32_e32 v19, 1.0, v15
	v_add_f32_e32 v34, -1.0, v19
	v_sub_f32_e32 v15, v15, v34
	v_add_f32_e32 v15, v18, v15
	v_add_f32_e32 v43, v19, v15
	v_rcp_f32_e32 v44, v43
	v_sub_f32_e32 v18, v19, v43
	v_add_f32_e32 v19, v20, v21
	v_add_f32_e32 v15, v15, v18
	v_mul_f32_e32 v46, v19, v44
	v_sub_f32_e32 v18, v20, v19
	v_mul_f32_e32 v20, v43, v46
	v_fma_f32 v34, v46, v43, -v20
	v_fmac_f32_e32 v34, v46, v15
	v_add_f32_e32 v45, v21, v18
	v_add_f32_e32 v18, v20, v34
	v_sub_f32_e32 v21, v19, v18
	v_pk_add_f32 v[36:37], v[18:19], v[20:21] neg_lo:[0,1] neg_hi:[0,1]
	v_mov_b32_e32 v35, v18
	v_pk_add_f32 v[18:19], v[36:37], v[34:35] neg_lo:[0,1] neg_hi:[0,1]
	v_add_f32_e32 v19, v45, v19
	v_add_f32_e32 v18, v18, v19
	;; [unrolled: 1-line block ×3, first 2 shown]
	v_mul_f32_e32 v45, v44, v19
	v_mul_f32_e32 v20, v43, v45
	v_fma_f32 v34, v45, v43, -v20
	v_fmac_f32_e32 v34, v45, v15
	v_sub_f32_e32 v15, v21, v19
	v_add_f32_e32 v15, v18, v15
	v_add_f32_e32 v18, v20, v34
	v_sub_f32_e32 v21, v19, v18
	v_pk_add_f32 v[36:37], v[18:19], v[20:21] neg_lo:[0,1] neg_hi:[0,1]
	v_mov_b32_e32 v35, v18
	v_pk_add_f32 v[18:19], v[36:37], v[34:35] neg_lo:[0,1] neg_hi:[0,1]
	v_add_f32_e32 v15, v15, v19
	v_add_f32_e32 v15, v18, v15
	v_add_f32_e32 v18, v46, v45
	v_add_f32_e32 v15, v21, v15
	v_sub_f32_e32 v19, v18, v46
	v_mul_f32_e32 v15, v44, v15
	v_sub_f32_e32 v19, v45, v19
	v_add_f32_e32 v15, v19, v15
	v_add_f32_e32 v21, v18, v15
	v_mul_f32_e32 v34, v21, v21
	v_mov_b32_e32 v20, 0x3ecc95a3
	v_fmac_f32_e32 v20, 0x3e9b6dac, v34
	v_mov_b32_e32 v19, 0x3f2aaada
	v_fmac_f32_e32 v19, v34, v20
	v_cvt_f32_i32_e32 v20, v38
	v_sub_f32_e32 v18, v21, v18
	v_sub_f32_e32 v15, v15, v18
	v_ldexp_f32 v35, v21, 1
	v_mul_f32_e32 v21, v21, v34
	v_mov_b32_e32 v18, 0x3f317218
	s_mov_b32 s2, 0x3f317218
	v_pk_mul_f32 v[18:19], v[20:21], v[18:19]
	v_fma_f32 v34, v20, s2, -v18
	v_fmac_f32_e32 v34, 0xb102e308, v20
	v_pk_add_f32 v[20:21], v[18:19], v[34:35]
	v_sub_f32_e32 v35, v21, v35
	v_ldexp_f32 v15, v15, 1
	v_sub_f32_e32 v35, v19, v35
	v_add_f32_e32 v37, v15, v35
	v_mov_b32_e32 v36, v18
	v_pk_add_f32 v[18:19], v[20:21], v[18:19] neg_lo:[0,1] neg_hi:[0,1]
	v_pk_add_f32 v[44:45], v[20:21], v[36:37]
	v_mov_b32_e32 v19, v45
	v_mov_b32_e32 v35, v20
	v_pk_add_f32 v[46:47], v[34:35], v[18:19] neg_lo:[0,1] neg_hi:[0,1]
	v_pk_add_f32 v[18:19], v[34:35], v[18:19]
	v_mov_b32_e32 v34, v19
	v_pk_add_f32 v[48:49], v[34:35], v[20:21] neg_lo:[0,1] neg_hi:[0,1]
	v_mov_b32_e32 v15, v48
	v_pk_add_f32 v[50:51], v[44:45], v[14:15] neg_lo:[0,1] neg_hi:[0,1]
	v_mov_b32_e32 v18, v45
	v_mov_b32_e32 v44, v21
	;; [unrolled: 1-line block ×4, first 2 shown]
	v_pk_add_f32 v[18:19], v[18:19], v[44:45] neg_lo:[0,1] neg_hi:[0,1]
	v_mov_b32_e32 v36, v37
	v_mov_b32_e32 v37, v20
	v_pk_add_f32 v[18:19], v[36:37], v[18:19] neg_lo:[0,1] neg_hi:[0,1]
	v_mov_b32_e32 v50, v46
	v_pk_add_f32 v[20:21], v[50:51], v[18:19]
	v_mov_b32_e32 v36, v21
	v_pk_add_f32 v[36:37], v[20:21], v[36:37]
	v_pk_add_f32 v[34:35], v[34:35], v[36:37]
	v_mov_b32_e32 v21, v34
	v_pk_add_f32 v[44:45], v[20:21], v[46:47] neg_lo:[0,1] neg_hi:[0,1]
	v_mov_b32_e32 v19, v36
	v_sub_f32_e32 v15, v20, v44
	v_pk_add_f32 v[18:19], v[18:19], v[44:45] neg_lo:[0,1] neg_hi:[0,1]
	v_sub_f32_e32 v15, v46, v15
	s_mov_b32 s3, 0x7f800000
	v_add_f32_e32 v15, v18, v15
	s_mov_b32 s2, 0x33800000
	v_add_f32_e32 v15, v15, v19
	v_cmp_eq_f32_e32 vcc, s3, v17
	v_cmp_lt_f32_e64 s[2:3], |v17|, s2
	v_add_f32_e32 v15, v34, v15
	s_or_b64 vcc, vcc, s[2:3]
	v_cndmask_b32_e32 v15, v15, v17, vcc
	v_add_f32_e32 v15, v16, v15
.LBB136_192:
	s_or_b64 exec, exec, s[0:1]
	v_max_f32_e32 v16, v15, v15
	v_min_f32_e32 v17, v16, v39
	v_cmp_u_f32_e32 vcc, v15, v15
	v_max_f32_e32 v16, v16, v39
	v_cndmask_b32_e32 v17, v17, v15, vcc
	v_cndmask_b32_e32 v16, v16, v15, vcc
	v_cndmask_b32_e64 v18, v17, v24, s[20:21]
	v_cndmask_b32_e64 v17, v16, v24, s[20:21]
	s_movk_i32 s2, 0x1f8
	v_cmp_neq_f32_e32 vcc, v18, v17
	v_cmp_class_f32_e64 s[0:1], v18, s2
	s_or_b64 s[6:7], vcc, s[0:1]
	v_mov_b32_e32 v16, v15
	s_and_saveexec_b64 s[0:1], s[6:7]
	s_cbranch_execz .LBB136_194
; %bb.193:
	v_sub_f32_e32 v16, v18, v17
	s_mov_b32 s3, 0x3fb8aa3b
	v_mul_f32_e32 v18, 0x3fb8aa3b, v16
	v_fma_f32 v19, v16, s3, -v18
	v_rndne_f32_e32 v20, v18
	v_fmac_f32_e32 v19, 0x32a5705f, v16
	v_sub_f32_e32 v18, v18, v20
	v_add_f32_e32 v18, v18, v19
	v_exp_f32_e32 v18, v18
	v_cvt_i32_f32_e32 v19, v20
	s_mov_b32 s3, 0xc2ce8ed0
	v_cmp_ngt_f32_e32 vcc, s3, v16
	s_mov_b32 s3, 0x42b17218
	v_ldexp_f32 v18, v18, v19
	v_cndmask_b32_e32 v18, 0, v18, vcc
	v_mov_b32_e32 v19, 0x7f800000
	v_cmp_nlt_f32_e32 vcc, s3, v16
	v_cndmask_b32_e32 v43, v19, v18, vcc
	v_add_f32_e32 v16, 1.0, v43
	v_add_f32_e32 v18, -1.0, v16
	v_sub_f32_e32 v19, v18, v16
	v_add_f32_e32 v19, 1.0, v19
	v_sub_f32_e32 v18, v43, v18
	v_add_f32_e32 v20, v18, v19
	v_frexp_mant_f32_e32 v21, v16
	s_mov_b32 s3, 0x3f2aaaab
	v_cvt_f64_f32_e32 v[18:19], v16
	v_frexp_exp_i32_f64_e32 v18, v[18:19]
	v_cmp_gt_f32_e32 vcc, s3, v21
	v_subbrev_co_u32_e32 v38, vcc, 0, v18, vcc
	v_sub_u32_e32 v18, 0, v38
	v_ldexp_f32 v16, v16, v18
	v_ldexp_f32 v18, v20, v18
	v_add_f32_e32 v20, -1.0, v16
	v_add_f32_e32 v19, 1.0, v20
	v_sub_f32_e32 v19, v16, v19
	v_add_f32_e32 v21, v18, v19
	v_add_f32_e32 v19, 1.0, v16
	v_add_f32_e32 v34, -1.0, v19
	v_sub_f32_e32 v16, v16, v34
	v_add_f32_e32 v16, v18, v16
	v_add_f32_e32 v39, v19, v16
	v_rcp_f32_e32 v44, v39
	v_sub_f32_e32 v18, v19, v39
	v_add_f32_e32 v19, v20, v21
	v_add_f32_e32 v16, v16, v18
	v_mul_f32_e32 v46, v19, v44
	v_sub_f32_e32 v18, v20, v19
	v_mul_f32_e32 v20, v39, v46
	v_fma_f32 v34, v46, v39, -v20
	v_fmac_f32_e32 v34, v46, v16
	v_add_f32_e32 v45, v21, v18
	v_add_f32_e32 v18, v20, v34
	v_sub_f32_e32 v21, v19, v18
	v_pk_add_f32 v[36:37], v[18:19], v[20:21] neg_lo:[0,1] neg_hi:[0,1]
	v_mov_b32_e32 v35, v18
	v_pk_add_f32 v[18:19], v[36:37], v[34:35] neg_lo:[0,1] neg_hi:[0,1]
	v_add_f32_e32 v19, v45, v19
	v_add_f32_e32 v18, v18, v19
	;; [unrolled: 1-line block ×3, first 2 shown]
	v_mul_f32_e32 v45, v44, v19
	v_mul_f32_e32 v20, v39, v45
	v_fma_f32 v34, v45, v39, -v20
	v_fmac_f32_e32 v34, v45, v16
	v_sub_f32_e32 v16, v21, v19
	v_add_f32_e32 v16, v18, v16
	v_add_f32_e32 v18, v20, v34
	v_sub_f32_e32 v21, v19, v18
	v_pk_add_f32 v[36:37], v[18:19], v[20:21] neg_lo:[0,1] neg_hi:[0,1]
	v_mov_b32_e32 v35, v18
	v_pk_add_f32 v[18:19], v[36:37], v[34:35] neg_lo:[0,1] neg_hi:[0,1]
	v_add_f32_e32 v16, v16, v19
	v_add_f32_e32 v16, v18, v16
	;; [unrolled: 1-line block ×4, first 2 shown]
	v_sub_f32_e32 v19, v18, v46
	v_mul_f32_e32 v16, v44, v16
	v_sub_f32_e32 v19, v45, v19
	v_add_f32_e32 v16, v19, v16
	v_add_f32_e32 v21, v18, v16
	v_mul_f32_e32 v34, v21, v21
	v_mov_b32_e32 v20, 0x3ecc95a3
	v_fmac_f32_e32 v20, 0x3e9b6dac, v34
	v_mov_b32_e32 v19, 0x3f2aaada
	v_fmac_f32_e32 v19, v34, v20
	v_cvt_f32_i32_e32 v20, v38
	v_sub_f32_e32 v18, v21, v18
	v_sub_f32_e32 v16, v16, v18
	v_ldexp_f32 v35, v21, 1
	v_mul_f32_e32 v21, v21, v34
	v_mov_b32_e32 v18, 0x3f317218
	s_mov_b32 s3, 0x3f317218
	v_pk_mul_f32 v[18:19], v[20:21], v[18:19]
	v_fma_f32 v34, v20, s3, -v18
	v_fmac_f32_e32 v34, 0xb102e308, v20
	v_pk_add_f32 v[20:21], v[18:19], v[34:35]
	v_sub_f32_e32 v35, v21, v35
	v_ldexp_f32 v16, v16, 1
	v_sub_f32_e32 v35, v19, v35
	v_add_f32_e32 v37, v16, v35
	v_mov_b32_e32 v36, v18
	v_pk_add_f32 v[18:19], v[20:21], v[18:19] neg_lo:[0,1] neg_hi:[0,1]
	v_pk_add_f32 v[38:39], v[20:21], v[36:37]
	v_mov_b32_e32 v19, v39
	v_mov_b32_e32 v35, v20
	v_pk_add_f32 v[44:45], v[34:35], v[18:19] neg_lo:[0,1] neg_hi:[0,1]
	v_pk_add_f32 v[18:19], v[34:35], v[18:19]
	v_mov_b32_e32 v16, v19
	v_pk_add_f32 v[34:35], v[16:17], v[20:21] neg_lo:[0,1] neg_hi:[0,1]
	v_mov_b32_e32 v35, v34
	v_pk_add_f32 v[46:47], v[38:39], v[34:35] neg_lo:[0,1] neg_hi:[0,1]
	v_mov_b32_e32 v18, v39
	v_mov_b32_e32 v38, v21
	v_mov_b32_e32 v39, v34
	v_mov_b32_e32 v45, v19
	v_pk_add_f32 v[18:19], v[18:19], v[38:39] neg_lo:[0,1] neg_hi:[0,1]
	v_mov_b32_e32 v34, v37
	v_mov_b32_e32 v35, v20
	v_pk_add_f32 v[18:19], v[34:35], v[18:19] neg_lo:[0,1] neg_hi:[0,1]
	v_mov_b32_e32 v46, v44
	v_pk_add_f32 v[20:21], v[46:47], v[18:19]
	v_mov_b32_e32 v34, v21
	v_pk_add_f32 v[34:35], v[20:21], v[34:35]
	v_pk_add_f32 v[36:37], v[16:17], v[34:35]
	v_mov_b32_e32 v21, v36
	v_pk_add_f32 v[38:39], v[20:21], v[44:45] neg_lo:[0,1] neg_hi:[0,1]
	v_mov_b32_e32 v19, v34
	v_sub_f32_e32 v16, v20, v38
	v_pk_add_f32 v[18:19], v[18:19], v[38:39] neg_lo:[0,1] neg_hi:[0,1]
	v_sub_f32_e32 v16, v44, v16
	s_mov_b32 s6, 0x7f800000
	v_add_f32_e32 v16, v18, v16
	s_mov_b32 s3, 0x33800000
	v_add_f32_e32 v16, v16, v19
	v_cmp_eq_f32_e32 vcc, s6, v43
	v_cmp_lt_f32_e64 s[6:7], |v43|, s3
	v_add_f32_e32 v16, v36, v16
	s_or_b64 vcc, vcc, s[6:7]
	v_cndmask_b32_e32 v16, v16, v43, vcc
	v_add_f32_e32 v16, v17, v16
.LBB136_194:
	s_or_b64 exec, exec, s[0:1]
	v_max_f32_e32 v17, v16, v16
	v_min_f32_e32 v18, v17, v40
	v_cmp_u_f32_e32 vcc, v16, v16
	v_max_f32_e32 v17, v17, v40
	v_cndmask_b32_e32 v18, v18, v16, vcc
	v_cndmask_b32_e32 v17, v17, v16, vcc
	v_cndmask_b32_e64 v19, v18, v25, s[22:23]
	v_cndmask_b32_e64 v18, v17, v25, s[22:23]
	v_cmp_neq_f32_e32 vcc, v19, v18
	v_cmp_class_f32_e64 s[0:1], v19, s2
	s_or_b64 s[2:3], vcc, s[0:1]
	v_mov_b32_e32 v17, v16
	s_and_saveexec_b64 s[0:1], s[2:3]
	s_cbranch_execz .LBB136_196
; %bb.195:
	v_sub_f32_e32 v17, v19, v18
	s_mov_b32 s2, 0x3fb8aa3b
	v_mul_f32_e32 v19, 0x3fb8aa3b, v17
	v_fma_f32 v20, v17, s2, -v19
	v_rndne_f32_e32 v21, v19
	v_fmac_f32_e32 v20, 0x32a5705f, v17
	v_sub_f32_e32 v19, v19, v21
	v_add_f32_e32 v19, v19, v20
	v_exp_f32_e32 v19, v19
	v_cvt_i32_f32_e32 v20, v21
	s_mov_b32 s2, 0xc2ce8ed0
	v_cmp_ngt_f32_e32 vcc, s2, v17
	s_mov_b32 s2, 0x42b17218
	v_ldexp_f32 v19, v19, v20
	v_cndmask_b32_e32 v19, 0, v19, vcc
	v_mov_b32_e32 v20, 0x7f800000
	v_cmp_nlt_f32_e32 vcc, s2, v17
	v_cndmask_b32_e32 v19, v20, v19, vcc
	v_add_f32_e32 v17, 1.0, v19
	v_add_f32_e32 v20, -1.0, v17
	v_sub_f32_e32 v21, v20, v17
	v_add_f32_e32 v21, 1.0, v21
	v_sub_f32_e32 v20, v19, v20
	v_add_f32_e32 v34, v20, v21
	v_frexp_mant_f32_e32 v35, v17
	s_mov_b32 s2, 0x3f2aaaab
	v_cvt_f64_f32_e32 v[20:21], v17
	v_frexp_exp_i32_f64_e32 v20, v[20:21]
	v_cmp_gt_f32_e32 vcc, s2, v35
	v_subbrev_co_u32_e32 v40, vcc, 0, v20, vcc
	v_sub_u32_e32 v20, 0, v40
	v_ldexp_f32 v17, v17, v20
	v_ldexp_f32 v20, v34, v20
	v_add_f32_e32 v34, -1.0, v17
	v_add_f32_e32 v21, 1.0, v34
	v_sub_f32_e32 v21, v17, v21
	v_add_f32_e32 v35, v20, v21
	v_add_f32_e32 v21, 1.0, v17
	v_add_f32_e32 v36, -1.0, v21
	v_sub_f32_e32 v17, v17, v36
	v_add_f32_e32 v17, v20, v17
	v_add_f32_e32 v43, v21, v17
	v_rcp_f32_e32 v44, v43
	v_sub_f32_e32 v20, v21, v43
	v_add_f32_e32 v21, v34, v35
	v_add_f32_e32 v17, v17, v20
	v_mul_f32_e32 v46, v21, v44
	v_sub_f32_e32 v20, v34, v21
	v_mul_f32_e32 v34, v43, v46
	v_fma_f32 v36, v46, v43, -v34
	v_fmac_f32_e32 v36, v46, v17
	v_add_f32_e32 v45, v35, v20
	v_add_f32_e32 v20, v34, v36
	v_sub_f32_e32 v35, v21, v20
	v_pk_add_f32 v[38:39], v[20:21], v[34:35] neg_lo:[0,1] neg_hi:[0,1]
	v_mov_b32_e32 v37, v20
	v_pk_add_f32 v[20:21], v[38:39], v[36:37] neg_lo:[0,1] neg_hi:[0,1]
	v_add_f32_e32 v21, v45, v21
	v_add_f32_e32 v20, v20, v21
	;; [unrolled: 1-line block ×3, first 2 shown]
	v_mul_f32_e32 v45, v44, v21
	v_mul_f32_e32 v34, v43, v45
	v_fma_f32 v36, v45, v43, -v34
	v_fmac_f32_e32 v36, v45, v17
	v_sub_f32_e32 v17, v35, v21
	v_add_f32_e32 v17, v20, v17
	v_add_f32_e32 v20, v34, v36
	v_sub_f32_e32 v35, v21, v20
	v_pk_add_f32 v[38:39], v[20:21], v[34:35] neg_lo:[0,1] neg_hi:[0,1]
	v_mov_b32_e32 v37, v20
	v_pk_add_f32 v[20:21], v[38:39], v[36:37] neg_lo:[0,1] neg_hi:[0,1]
	v_add_f32_e32 v17, v17, v21
	v_add_f32_e32 v17, v20, v17
	;; [unrolled: 1-line block ×4, first 2 shown]
	v_sub_f32_e32 v21, v20, v46
	v_mul_f32_e32 v17, v44, v17
	v_sub_f32_e32 v21, v45, v21
	v_add_f32_e32 v17, v21, v17
	v_add_f32_e32 v35, v20, v17
	v_mul_f32_e32 v36, v35, v35
	v_mov_b32_e32 v34, 0x3ecc95a3
	v_fmac_f32_e32 v34, 0x3e9b6dac, v36
	v_mov_b32_e32 v21, 0x3f2aaada
	v_fmac_f32_e32 v21, v36, v34
	v_cvt_f32_i32_e32 v34, v40
	v_sub_f32_e32 v20, v35, v20
	v_sub_f32_e32 v17, v17, v20
	v_ldexp_f32 v37, v35, 1
	v_mul_f32_e32 v35, v35, v36
	v_mov_b32_e32 v20, 0x3f317218
	s_mov_b32 s2, 0x3f317218
	v_pk_mul_f32 v[20:21], v[34:35], v[20:21]
	v_fma_f32 v36, v34, s2, -v20
	v_fmac_f32_e32 v36, 0xb102e308, v34
	v_pk_add_f32 v[34:35], v[20:21], v[36:37]
	v_sub_f32_e32 v37, v35, v37
	v_ldexp_f32 v17, v17, 1
	v_sub_f32_e32 v37, v21, v37
	v_add_f32_e32 v39, v17, v37
	v_mov_b32_e32 v38, v20
	v_pk_add_f32 v[20:21], v[34:35], v[20:21] neg_lo:[0,1] neg_hi:[0,1]
	v_pk_add_f32 v[44:45], v[34:35], v[38:39]
	v_mov_b32_e32 v21, v45
	v_mov_b32_e32 v37, v34
	v_pk_add_f32 v[46:47], v[36:37], v[20:21] neg_lo:[0,1] neg_hi:[0,1]
	v_pk_add_f32 v[20:21], v[36:37], v[20:21]
	v_mov_b32_e32 v36, v21
	v_pk_add_f32 v[48:49], v[36:37], v[34:35] neg_lo:[0,1] neg_hi:[0,1]
	v_mov_b32_e32 v17, v48
	v_pk_add_f32 v[50:51], v[44:45], v[16:17] neg_lo:[0,1] neg_hi:[0,1]
	v_mov_b32_e32 v20, v45
	v_mov_b32_e32 v44, v35
	;; [unrolled: 1-line block ×4, first 2 shown]
	v_pk_add_f32 v[20:21], v[20:21], v[44:45] neg_lo:[0,1] neg_hi:[0,1]
	v_mov_b32_e32 v38, v39
	v_mov_b32_e32 v39, v34
	v_pk_add_f32 v[20:21], v[38:39], v[20:21] neg_lo:[0,1] neg_hi:[0,1]
	v_mov_b32_e32 v50, v46
	v_pk_add_f32 v[34:35], v[50:51], v[20:21]
	v_mov_b32_e32 v38, v35
	v_pk_add_f32 v[38:39], v[34:35], v[38:39]
	v_pk_add_f32 v[36:37], v[36:37], v[38:39]
	v_mov_b32_e32 v35, v36
	v_pk_add_f32 v[44:45], v[34:35], v[46:47] neg_lo:[0,1] neg_hi:[0,1]
	v_mov_b32_e32 v21, v38
	v_sub_f32_e32 v17, v34, v44
	v_pk_add_f32 v[20:21], v[20:21], v[44:45] neg_lo:[0,1] neg_hi:[0,1]
	v_sub_f32_e32 v17, v46, v17
	s_mov_b32 s3, 0x7f800000
	v_add_f32_e32 v17, v20, v17
	s_mov_b32 s2, 0x33800000
	v_add_f32_e32 v17, v17, v21
	v_cmp_eq_f32_e32 vcc, s3, v19
	v_cmp_lt_f32_e64 s[2:3], |v19|, s2
	v_add_f32_e32 v17, v36, v17
	s_or_b64 vcc, vcc, s[2:3]
	v_cndmask_b32_e32 v17, v17, v19, vcc
	v_add_f32_e32 v17, v18, v17
.LBB136_196:
	s_or_b64 exec, exec, s[0:1]
	v_max_f32_e32 v18, v17, v17
	v_min_f32_e32 v19, v18, v41
	v_cmp_u_f32_e32 vcc, v17, v17
	v_max_f32_e32 v18, v18, v41
	v_cndmask_b32_e32 v19, v19, v17, vcc
	v_cndmask_b32_e32 v18, v18, v17, vcc
	v_cndmask_b32_e64 v20, v19, v30, s[24:25]
	v_cndmask_b32_e64 v19, v18, v30, s[24:25]
	s_movk_i32 s2, 0x1f8
	v_cmp_neq_f32_e32 vcc, v20, v19
	v_cmp_class_f32_e64 s[0:1], v20, s2
	s_or_b64 s[6:7], vcc, s[0:1]
	v_mov_b32_e32 v18, v17
	s_and_saveexec_b64 s[0:1], s[6:7]
	s_cbranch_execz .LBB136_198
; %bb.197:
	v_sub_f32_e32 v18, v20, v19
	s_mov_b32 s3, 0x3fb8aa3b
	v_mul_f32_e32 v20, 0x3fb8aa3b, v18
	v_fma_f32 v21, v18, s3, -v20
	v_rndne_f32_e32 v34, v20
	v_fmac_f32_e32 v21, 0x32a5705f, v18
	v_sub_f32_e32 v20, v20, v34
	v_add_f32_e32 v20, v20, v21
	v_exp_f32_e32 v20, v20
	v_cvt_i32_f32_e32 v21, v34
	s_mov_b32 s3, 0xc2ce8ed0
	v_cmp_ngt_f32_e32 vcc, s3, v18
	s_mov_b32 s3, 0x42b17218
	v_ldexp_f32 v20, v20, v21
	v_cndmask_b32_e32 v20, 0, v20, vcc
	v_mov_b32_e32 v21, 0x7f800000
	v_cmp_nlt_f32_e32 vcc, s3, v18
	v_cndmask_b32_e32 v43, v21, v20, vcc
	v_add_f32_e32 v18, 1.0, v43
	v_add_f32_e32 v20, -1.0, v18
	v_sub_f32_e32 v21, v20, v18
	v_add_f32_e32 v21, 1.0, v21
	v_sub_f32_e32 v20, v43, v20
	v_add_f32_e32 v34, v20, v21
	v_frexp_mant_f32_e32 v35, v18
	s_mov_b32 s3, 0x3f2aaaab
	v_cvt_f64_f32_e32 v[20:21], v18
	v_frexp_exp_i32_f64_e32 v20, v[20:21]
	v_cmp_gt_f32_e32 vcc, s3, v35
	v_subbrev_co_u32_e32 v40, vcc, 0, v20, vcc
	v_sub_u32_e32 v20, 0, v40
	v_ldexp_f32 v18, v18, v20
	v_ldexp_f32 v20, v34, v20
	v_add_f32_e32 v34, -1.0, v18
	v_add_f32_e32 v21, 1.0, v34
	v_sub_f32_e32 v21, v18, v21
	v_add_f32_e32 v35, v20, v21
	v_add_f32_e32 v21, 1.0, v18
	v_add_f32_e32 v36, -1.0, v21
	v_sub_f32_e32 v18, v18, v36
	v_add_f32_e32 v18, v20, v18
	v_add_f32_e32 v41, v21, v18
	v_rcp_f32_e32 v44, v41
	v_sub_f32_e32 v20, v21, v41
	v_add_f32_e32 v21, v34, v35
	v_add_f32_e32 v18, v18, v20
	v_mul_f32_e32 v46, v21, v44
	v_sub_f32_e32 v20, v34, v21
	v_mul_f32_e32 v34, v41, v46
	v_fma_f32 v36, v46, v41, -v34
	v_fmac_f32_e32 v36, v46, v18
	v_add_f32_e32 v45, v35, v20
	v_add_f32_e32 v20, v34, v36
	v_sub_f32_e32 v35, v21, v20
	v_pk_add_f32 v[38:39], v[20:21], v[34:35] neg_lo:[0,1] neg_hi:[0,1]
	v_mov_b32_e32 v37, v20
	v_pk_add_f32 v[20:21], v[38:39], v[36:37] neg_lo:[0,1] neg_hi:[0,1]
	v_add_f32_e32 v21, v45, v21
	v_add_f32_e32 v20, v20, v21
	;; [unrolled: 1-line block ×3, first 2 shown]
	v_mul_f32_e32 v45, v44, v21
	v_mul_f32_e32 v34, v41, v45
	v_fma_f32 v36, v45, v41, -v34
	v_fmac_f32_e32 v36, v45, v18
	v_sub_f32_e32 v18, v35, v21
	v_add_f32_e32 v18, v20, v18
	v_add_f32_e32 v20, v34, v36
	v_sub_f32_e32 v35, v21, v20
	v_pk_add_f32 v[38:39], v[20:21], v[34:35] neg_lo:[0,1] neg_hi:[0,1]
	v_mov_b32_e32 v37, v20
	v_pk_add_f32 v[20:21], v[38:39], v[36:37] neg_lo:[0,1] neg_hi:[0,1]
	v_add_f32_e32 v18, v18, v21
	v_add_f32_e32 v18, v20, v18
	;; [unrolled: 1-line block ×4, first 2 shown]
	v_sub_f32_e32 v21, v20, v46
	v_mul_f32_e32 v18, v44, v18
	v_sub_f32_e32 v21, v45, v21
	v_add_f32_e32 v18, v21, v18
	v_add_f32_e32 v35, v20, v18
	v_mul_f32_e32 v36, v35, v35
	v_mov_b32_e32 v34, 0x3ecc95a3
	v_fmac_f32_e32 v34, 0x3e9b6dac, v36
	v_mov_b32_e32 v21, 0x3f2aaada
	v_fmac_f32_e32 v21, v36, v34
	v_cvt_f32_i32_e32 v34, v40
	v_sub_f32_e32 v20, v35, v20
	v_sub_f32_e32 v18, v18, v20
	v_ldexp_f32 v37, v35, 1
	v_mul_f32_e32 v35, v35, v36
	v_mov_b32_e32 v20, 0x3f317218
	s_mov_b32 s3, 0x3f317218
	v_pk_mul_f32 v[20:21], v[34:35], v[20:21]
	v_fma_f32 v36, v34, s3, -v20
	v_fmac_f32_e32 v36, 0xb102e308, v34
	v_pk_add_f32 v[34:35], v[20:21], v[36:37]
	v_sub_f32_e32 v37, v35, v37
	v_ldexp_f32 v18, v18, 1
	v_sub_f32_e32 v37, v21, v37
	v_add_f32_e32 v39, v18, v37
	v_mov_b32_e32 v38, v20
	v_pk_add_f32 v[20:21], v[34:35], v[20:21] neg_lo:[0,1] neg_hi:[0,1]
	v_pk_add_f32 v[40:41], v[34:35], v[38:39]
	v_mov_b32_e32 v21, v41
	v_mov_b32_e32 v37, v34
	v_pk_add_f32 v[44:45], v[36:37], v[20:21] neg_lo:[0,1] neg_hi:[0,1]
	v_pk_add_f32 v[20:21], v[36:37], v[20:21]
	v_mov_b32_e32 v18, v21
	v_pk_add_f32 v[36:37], v[18:19], v[34:35] neg_lo:[0,1] neg_hi:[0,1]
	v_mov_b32_e32 v37, v36
	v_pk_add_f32 v[46:47], v[40:41], v[36:37] neg_lo:[0,1] neg_hi:[0,1]
	v_mov_b32_e32 v20, v41
	v_mov_b32_e32 v40, v35
	;; [unrolled: 1-line block ×4, first 2 shown]
	v_pk_add_f32 v[20:21], v[20:21], v[40:41] neg_lo:[0,1] neg_hi:[0,1]
	v_mov_b32_e32 v36, v39
	v_mov_b32_e32 v37, v34
	v_pk_add_f32 v[20:21], v[36:37], v[20:21] neg_lo:[0,1] neg_hi:[0,1]
	v_mov_b32_e32 v46, v44
	v_pk_add_f32 v[34:35], v[46:47], v[20:21]
	v_mov_b32_e32 v36, v35
	v_pk_add_f32 v[36:37], v[34:35], v[36:37]
	v_pk_add_f32 v[38:39], v[18:19], v[36:37]
	v_mov_b32_e32 v35, v38
	v_pk_add_f32 v[40:41], v[34:35], v[44:45] neg_lo:[0,1] neg_hi:[0,1]
	v_mov_b32_e32 v21, v36
	v_sub_f32_e32 v18, v34, v40
	v_pk_add_f32 v[20:21], v[20:21], v[40:41] neg_lo:[0,1] neg_hi:[0,1]
	v_sub_f32_e32 v18, v44, v18
	s_mov_b32 s6, 0x7f800000
	v_add_f32_e32 v18, v20, v18
	s_mov_b32 s3, 0x33800000
	v_add_f32_e32 v18, v18, v21
	v_cmp_eq_f32_e32 vcc, s6, v43
	v_cmp_lt_f32_e64 s[6:7], |v43|, s3
	v_add_f32_e32 v18, v38, v18
	s_or_b64 vcc, vcc, s[6:7]
	v_cndmask_b32_e32 v18, v18, v43, vcc
	v_add_f32_e32 v18, v19, v18
.LBB136_198:
	s_or_b64 exec, exec, s[0:1]
	v_max_f32_e32 v19, v18, v18
	v_min_f32_e32 v20, v19, v42
	v_cmp_u_f32_e32 vcc, v18, v18
	v_max_f32_e32 v19, v19, v42
	v_cndmask_b32_e32 v20, v20, v18, vcc
	v_cndmask_b32_e32 v19, v19, v18, vcc
	v_cndmask_b32_e64 v21, v20, v31, s[26:27]
	v_cndmask_b32_e64 v20, v19, v31, s[26:27]
	v_cmp_neq_f32_e32 vcc, v21, v20
	v_cmp_class_f32_e64 s[0:1], v21, s2
	s_or_b64 s[2:3], vcc, s[0:1]
	v_mov_b32_e32 v19, v18
	s_and_saveexec_b64 s[0:1], s[2:3]
	s_cbranch_execz .LBB136_200
; %bb.199:
	v_sub_f32_e32 v19, v21, v20
	s_mov_b32 s2, 0x3fb8aa3b
	v_mul_f32_e32 v21, 0x3fb8aa3b, v19
	v_fma_f32 v34, v19, s2, -v21
	v_rndne_f32_e32 v35, v21
	v_fmac_f32_e32 v34, 0x32a5705f, v19
	v_sub_f32_e32 v21, v21, v35
	v_add_f32_e32 v21, v21, v34
	v_exp_f32_e32 v21, v21
	v_cvt_i32_f32_e32 v34, v35
	s_mov_b32 s2, 0xc2ce8ed0
	v_cmp_ngt_f32_e32 vcc, s2, v19
	s_mov_b32 s2, 0x42b17218
	v_ldexp_f32 v21, v21, v34
	v_cndmask_b32_e32 v21, 0, v21, vcc
	v_mov_b32_e32 v34, 0x7f800000
	v_cmp_nlt_f32_e32 vcc, s2, v19
	v_cndmask_b32_e32 v21, v34, v21, vcc
	v_add_f32_e32 v19, 1.0, v21
	v_add_f32_e32 v34, -1.0, v19
	v_sub_f32_e32 v35, v34, v19
	v_add_f32_e32 v35, 1.0, v35
	v_sub_f32_e32 v34, v21, v34
	v_add_f32_e32 v36, v34, v35
	v_frexp_mant_f32_e32 v37, v19
	s_mov_b32 s2, 0x3f2aaaab
	v_cvt_f64_f32_e32 v[34:35], v19
	v_frexp_exp_i32_f64_e32 v34, v[34:35]
	v_cmp_gt_f32_e32 vcc, s2, v37
	v_subbrev_co_u32_e32 v42, vcc, 0, v34, vcc
	v_sub_u32_e32 v34, 0, v42
	v_ldexp_f32 v19, v19, v34
	v_ldexp_f32 v34, v36, v34
	v_add_f32_e32 v36, -1.0, v19
	v_add_f32_e32 v35, 1.0, v36
	v_sub_f32_e32 v35, v19, v35
	v_add_f32_e32 v37, v34, v35
	v_add_f32_e32 v35, 1.0, v19
	v_add_f32_e32 v38, -1.0, v35
	v_sub_f32_e32 v19, v19, v38
	v_add_f32_e32 v19, v34, v19
	v_add_f32_e32 v43, v35, v19
	v_rcp_f32_e32 v44, v43
	v_sub_f32_e32 v34, v35, v43
	v_add_f32_e32 v35, v36, v37
	v_add_f32_e32 v19, v19, v34
	v_mul_f32_e32 v46, v35, v44
	v_sub_f32_e32 v34, v36, v35
	v_mul_f32_e32 v36, v43, v46
	v_fma_f32 v38, v46, v43, -v36
	v_fmac_f32_e32 v38, v46, v19
	v_add_f32_e32 v45, v37, v34
	v_add_f32_e32 v34, v36, v38
	v_sub_f32_e32 v37, v35, v34
	v_pk_add_f32 v[40:41], v[34:35], v[36:37] neg_lo:[0,1] neg_hi:[0,1]
	v_mov_b32_e32 v39, v34
	v_pk_add_f32 v[34:35], v[40:41], v[38:39] neg_lo:[0,1] neg_hi:[0,1]
	v_add_f32_e32 v35, v45, v35
	v_add_f32_e32 v34, v34, v35
	;; [unrolled: 1-line block ×3, first 2 shown]
	v_mul_f32_e32 v45, v44, v35
	v_mul_f32_e32 v36, v43, v45
	v_fma_f32 v38, v45, v43, -v36
	v_fmac_f32_e32 v38, v45, v19
	v_sub_f32_e32 v19, v37, v35
	v_add_f32_e32 v19, v34, v19
	v_add_f32_e32 v34, v36, v38
	v_sub_f32_e32 v37, v35, v34
	v_pk_add_f32 v[40:41], v[34:35], v[36:37] neg_lo:[0,1] neg_hi:[0,1]
	v_mov_b32_e32 v39, v34
	v_pk_add_f32 v[34:35], v[40:41], v[38:39] neg_lo:[0,1] neg_hi:[0,1]
	v_add_f32_e32 v19, v19, v35
	v_add_f32_e32 v19, v34, v19
	;; [unrolled: 1-line block ×4, first 2 shown]
	v_sub_f32_e32 v35, v34, v46
	v_mul_f32_e32 v19, v44, v19
	v_sub_f32_e32 v35, v45, v35
	v_add_f32_e32 v19, v35, v19
	v_add_f32_e32 v37, v34, v19
	v_mul_f32_e32 v38, v37, v37
	v_mov_b32_e32 v36, 0x3ecc95a3
	v_fmac_f32_e32 v36, 0x3e9b6dac, v38
	v_mov_b32_e32 v35, 0x3f2aaada
	v_fmac_f32_e32 v35, v38, v36
	v_cvt_f32_i32_e32 v36, v42
	v_sub_f32_e32 v34, v37, v34
	v_sub_f32_e32 v19, v19, v34
	v_ldexp_f32 v39, v37, 1
	v_mul_f32_e32 v37, v37, v38
	v_mov_b32_e32 v34, 0x3f317218
	s_mov_b32 s2, 0x3f317218
	v_pk_mul_f32 v[34:35], v[36:37], v[34:35]
	v_fma_f32 v38, v36, s2, -v34
	v_fmac_f32_e32 v38, 0xb102e308, v36
	v_pk_add_f32 v[36:37], v[34:35], v[38:39]
	v_sub_f32_e32 v39, v37, v39
	v_ldexp_f32 v19, v19, 1
	v_sub_f32_e32 v39, v35, v39
	v_add_f32_e32 v41, v19, v39
	v_mov_b32_e32 v40, v34
	v_pk_add_f32 v[34:35], v[36:37], v[34:35] neg_lo:[0,1] neg_hi:[0,1]
	v_pk_add_f32 v[42:43], v[36:37], v[40:41]
	v_mov_b32_e32 v35, v43
	v_mov_b32_e32 v39, v36
	v_pk_add_f32 v[44:45], v[38:39], v[34:35] neg_lo:[0,1] neg_hi:[0,1]
	v_pk_add_f32 v[34:35], v[38:39], v[34:35]
	v_mov_b32_e32 v38, v35
	v_pk_add_f32 v[46:47], v[38:39], v[36:37] neg_lo:[0,1] neg_hi:[0,1]
	v_mov_b32_e32 v19, v46
	v_pk_add_f32 v[48:49], v[42:43], v[18:19] neg_lo:[0,1] neg_hi:[0,1]
	v_mov_b32_e32 v34, v43
	v_mov_b32_e32 v42, v37
	;; [unrolled: 1-line block ×4, first 2 shown]
	v_pk_add_f32 v[34:35], v[34:35], v[42:43] neg_lo:[0,1] neg_hi:[0,1]
	v_mov_b32_e32 v40, v41
	v_mov_b32_e32 v41, v36
	v_pk_add_f32 v[34:35], v[40:41], v[34:35] neg_lo:[0,1] neg_hi:[0,1]
	v_mov_b32_e32 v48, v44
	v_pk_add_f32 v[36:37], v[48:49], v[34:35]
	v_mov_b32_e32 v40, v37
	v_pk_add_f32 v[40:41], v[36:37], v[40:41]
	v_pk_add_f32 v[38:39], v[38:39], v[40:41]
	v_mov_b32_e32 v37, v38
	v_pk_add_f32 v[42:43], v[36:37], v[44:45] neg_lo:[0,1] neg_hi:[0,1]
	v_mov_b32_e32 v35, v40
	v_sub_f32_e32 v19, v36, v42
	v_pk_add_f32 v[34:35], v[34:35], v[42:43] neg_lo:[0,1] neg_hi:[0,1]
	v_sub_f32_e32 v19, v44, v19
	s_mov_b32 s3, 0x7f800000
	v_add_f32_e32 v19, v34, v19
	s_mov_b32 s2, 0x33800000
	v_add_f32_e32 v19, v19, v35
	v_cmp_eq_f32_e32 vcc, s3, v21
	v_cmp_lt_f32_e64 s[2:3], |v21|, s2
	v_add_f32_e32 v19, v38, v19
	s_or_b64 vcc, vcc, s[2:3]
	v_cndmask_b32_e32 v19, v19, v21, vcc
	v_add_f32_e32 v19, v20, v19
.LBB136_200:
	s_or_b64 exec, exec, s[0:1]
	s_load_dwordx8 s[36:43], s[4:5], 0x38
	s_branch .LBB136_299
.LBB136_201:
                                        ; implicit-def: $vgpr6_vgpr7_vgpr8_vgpr9_vgpr10_vgpr11_vgpr12_vgpr13_vgpr14_vgpr15_vgpr16_vgpr17_vgpr18_vgpr19_vgpr20_vgpr21
	s_load_dwordx8 s[36:43], s[4:5], 0x38
	s_cbranch_execz .LBB136_299
; %bb.202:
	s_waitcnt lgkmcnt(0)
	s_cmp_lg_u64 s[40:41], 0
	s_cselect_b64 s[0:1], -1, 0
	v_cmp_eq_u32_e64 s[26:27], 0, v0
	v_cmp_ne_u32_e32 vcc, 0, v0
	s_and_b64 s[0:1], s[26:27], s[0:1]
	s_and_saveexec_b64 s[2:3], s[0:1]
	s_cbranch_execz .LBB136_206
; %bb.203:
	v_mov_b32_e32 v6, 0
	global_load_dword v6, v6, s[36:37]
	v_max_f32_e32 v7, v2, v2
	s_movk_i32 s4, 0x1f8
	s_waitcnt vmcnt(0)
	v_max_f32_e32 v8, v6, v6
	v_min_f32_e32 v9, v8, v7
	v_max_f32_e32 v7, v8, v7
	v_cmp_u_f32_e64 s[0:1], v6, v6
	v_cndmask_b32_e64 v8, v9, v6, s[0:1]
	v_cndmask_b32_e64 v9, v7, v6, s[0:1]
	v_cmp_u_f32_e64 s[0:1], v2, v2
	v_cndmask_b32_e64 v7, v8, v2, s[0:1]
	v_cndmask_b32_e64 v2, v9, v2, s[0:1]
	v_cmp_neq_f32_e64 s[0:1], v7, v2
	v_cmp_class_f32_e64 s[4:5], v7, s4
	s_or_b64 s[0:1], s[0:1], s[4:5]
	s_and_saveexec_b64 s[4:5], s[0:1]
	s_cbranch_execz .LBB136_205
; %bb.204:
	v_sub_f32_e32 v6, v7, v2
	s_mov_b32 s0, 0x3fb8aa3b
	v_mul_f32_e32 v7, 0x3fb8aa3b, v6
	v_fma_f32 v8, v6, s0, -v7
	v_rndne_f32_e32 v9, v7
	v_fmac_f32_e32 v8, 0x32a5705f, v6
	v_sub_f32_e32 v7, v7, v9
	v_add_f32_e32 v7, v7, v8
	v_exp_f32_e32 v7, v7
	v_cvt_i32_f32_e32 v8, v9
	s_mov_b32 s0, 0xc2ce8ed0
	v_cmp_ngt_f32_e64 s[0:1], s0, v6
	s_mov_b32 s6, 0x7f800000
	v_ldexp_f32 v7, v7, v8
	v_cndmask_b32_e64 v7, 0, v7, s[0:1]
	s_mov_b32 s0, 0x42b17218
	v_mov_b32_e32 v8, 0x7f800000
	v_cmp_nlt_f32_e64 s[0:1], s0, v6
	v_cndmask_b32_e64 v34, v8, v7, s[0:1]
	v_add_f32_e32 v8, 1.0, v34
	v_add_f32_e32 v6, -1.0, v8
	v_sub_f32_e32 v7, v6, v8
	v_add_f32_e32 v7, 1.0, v7
	v_sub_f32_e32 v6, v34, v6
	v_add_f32_e32 v9, v6, v7
	v_frexp_mant_f32_e32 v10, v8
	s_mov_b32 s0, 0x3f2aaaab
	v_cvt_f64_f32_e32 v[6:7], v8
	v_frexp_exp_i32_f64_e32 v6, v[6:7]
	v_cmp_gt_f32_e64 s[0:1], s0, v10
	v_subbrev_co_u32_e64 v14, s[0:1], 0, v6, s[0:1]
	v_sub_u32_e32 v6, 0, v14
	v_ldexp_f32 v7, v8, v6
	v_add_f32_e32 v8, -1.0, v7
	v_add_f32_e32 v10, 1.0, v7
	v_ldexp_f32 v6, v9, v6
	v_add_f32_e32 v9, 1.0, v8
	v_add_f32_e32 v11, -1.0, v10
	v_sub_f32_e32 v9, v7, v9
	v_sub_f32_e32 v7, v7, v11
	v_add_f32_e32 v9, v6, v9
	v_add_f32_e32 v6, v6, v7
	;; [unrolled: 1-line block ×3, first 2 shown]
	v_rcp_f32_e32 v17, v15
	v_sub_f32_e32 v7, v10, v15
	v_add_f32_e32 v16, v6, v7
	v_add_f32_e32 v7, v8, v9
	v_mul_f32_e32 v19, v7, v17
	v_sub_f32_e32 v6, v8, v7
	v_mul_f32_e32 v8, v15, v19
	v_fma_f32 v10, v19, v15, -v8
	v_fmac_f32_e32 v10, v19, v16
	v_add_f32_e32 v18, v9, v6
	v_add_f32_e32 v6, v8, v10
	v_sub_f32_e32 v9, v7, v6
	v_pk_add_f32 v[12:13], v[6:7], v[8:9] neg_lo:[0,1] neg_hi:[0,1]
	v_mov_b32_e32 v11, v6
	v_pk_add_f32 v[6:7], v[12:13], v[10:11] neg_lo:[0,1] neg_hi:[0,1]
	v_add_f32_e32 v7, v18, v7
	v_add_f32_e32 v6, v6, v7
	;; [unrolled: 1-line block ×3, first 2 shown]
	v_mul_f32_e32 v18, v17, v7
	v_mul_f32_e32 v8, v15, v18
	v_fma_f32 v10, v18, v15, -v8
	v_fmac_f32_e32 v10, v18, v16
	v_sub_f32_e32 v9, v9, v7
	v_add_f32_e32 v15, v6, v9
	v_add_f32_e32 v6, v8, v10
	v_sub_f32_e32 v9, v7, v6
	v_pk_add_f32 v[12:13], v[6:7], v[8:9] neg_lo:[0,1] neg_hi:[0,1]
	v_mov_b32_e32 v11, v6
	v_pk_add_f32 v[6:7], v[12:13], v[10:11] neg_lo:[0,1] neg_hi:[0,1]
	v_add_f32_e32 v7, v15, v7
	v_add_f32_e32 v6, v6, v7
	;; [unrolled: 1-line block ×4, first 2 shown]
	v_sub_f32_e32 v7, v9, v19
	v_mul_f32_e32 v6, v17, v6
	v_sub_f32_e32 v7, v18, v7
	v_add_f32_e32 v6, v7, v6
	v_add_f32_e32 v10, v9, v6
	v_mul_f32_e32 v12, v10, v10
	v_mov_b32_e32 v8, 0x3ecc95a3
	v_fmac_f32_e32 v8, 0x3e9b6dac, v12
	v_mov_b32_e32 v7, 0x3f2aaada
	v_fmac_f32_e32 v7, v12, v8
	v_cvt_f32_i32_e32 v8, v14
	v_sub_f32_e32 v9, v10, v9
	v_sub_f32_e32 v6, v6, v9
	v_ldexp_f32 v13, v6, 1
	v_mul_f32_e32 v9, v10, v12
	v_mov_b32_e32 v6, 0x3f317218
	s_mov_b32 s0, 0x3f317218
	v_pk_mul_f32 v[6:7], v[8:9], v[6:7]
	v_ldexp_f32 v11, v10, 1
	v_fma_f32 v10, v8, s0, -v6
	v_fmac_f32_e32 v10, 0xb102e308, v8
	v_pk_add_f32 v[8:9], v[6:7], v[10:11]
	v_sub_f32_e32 v11, v9, v11
	v_sub_f32_e32 v11, v7, v11
	v_add_f32_e32 v13, v13, v11
	v_mov_b32_e32 v12, v6
	v_pk_add_f32 v[6:7], v[8:9], v[6:7] neg_lo:[0,1] neg_hi:[0,1]
	v_pk_add_f32 v[14:15], v[8:9], v[12:13]
	v_mov_b32_e32 v7, v15
	v_mov_b32_e32 v11, v8
	v_pk_add_f32 v[16:17], v[10:11], v[6:7] neg_lo:[0,1] neg_hi:[0,1]
	v_pk_add_f32 v[6:7], v[10:11], v[6:7]
	v_mov_b32_e32 v10, v7
	v_pk_add_f32 v[18:19], v[10:11], v[8:9] neg_lo:[0,1] neg_hi:[0,1]
	v_mov_b32_e32 v11, v18
	v_pk_add_f32 v[20:21], v[14:15], v[10:11] neg_lo:[0,1] neg_hi:[0,1]
	v_mov_b32_e32 v6, v15
	v_mov_b32_e32 v14, v9
	;; [unrolled: 1-line block ×4, first 2 shown]
	v_pk_add_f32 v[6:7], v[6:7], v[14:15] neg_lo:[0,1] neg_hi:[0,1]
	v_mov_b32_e32 v12, v13
	v_mov_b32_e32 v13, v8
	v_pk_add_f32 v[6:7], v[12:13], v[6:7] neg_lo:[0,1] neg_hi:[0,1]
	v_mov_b32_e32 v20, v16
	v_pk_add_f32 v[8:9], v[20:21], v[6:7]
	v_mov_b32_e32 v12, v9
	v_pk_add_f32 v[12:13], v[8:9], v[12:13]
	v_pk_add_f32 v[10:11], v[10:11], v[12:13]
	v_mov_b32_e32 v9, v10
	v_pk_add_f32 v[14:15], v[8:9], v[16:17] neg_lo:[0,1] neg_hi:[0,1]
	v_mov_b32_e32 v7, v12
	v_sub_f32_e32 v8, v8, v14
	v_pk_add_f32 v[6:7], v[6:7], v[14:15] neg_lo:[0,1] neg_hi:[0,1]
	v_sub_f32_e32 v8, v16, v8
	v_add_f32_e32 v6, v6, v8
	v_cmp_eq_f32_e64 s[0:1], s6, v34
	s_mov_b32 s6, 0x33800000
	v_add_f32_e32 v6, v6, v7
	v_cmp_lt_f32_e64 s[6:7], |v34|, s6
	v_add_f32_e32 v6, v10, v6
	s_or_b64 s[0:1], s[0:1], s[6:7]
	v_cndmask_b32_e64 v6, v6, v34, s[0:1]
	v_add_f32_e32 v6, v2, v6
.LBB136_205:
	s_or_b64 exec, exec, s[4:5]
	v_mov_b32_e32 v2, v6
.LBB136_206:
	s_or_b64 exec, exec, s[2:3]
	v_max_f32_e32 v14, v3, v3
	v_max_f32_e32 v35, v2, v2
	v_min_f32_e32 v21, v35, v14
	v_cmp_u_f32_e64 s[28:29], v2, v2
	v_cndmask_b32_e64 v6, v21, v2, s[28:29]
	v_cmp_u_f32_e64 s[0:1], v3, v3
	v_max_f32_e32 v34, v35, v14
	v_cndmask_b32_e64 v7, v6, v3, s[0:1]
	v_cndmask_b32_e64 v6, v34, v2, s[28:29]
	;; [unrolled: 1-line block ×3, first 2 shown]
	s_movk_i32 s6, 0x1f8
	v_cmp_neq_f32_e64 s[2:3], v7, v6
	v_cmp_class_f32_e64 s[4:5], v7, s6
	s_or_b64 s[2:3], s[2:3], s[4:5]
	v_mov_b32_e32 v36, v2
	s_and_saveexec_b64 s[4:5], s[2:3]
	s_cbranch_execz .LBB136_208
; %bb.207:
	v_sub_f32_e32 v7, v7, v6
	s_mov_b32 s2, 0x3fb8aa3b
	v_mul_f32_e32 v8, 0x3fb8aa3b, v7
	v_fma_f32 v9, v7, s2, -v8
	v_rndne_f32_e32 v10, v8
	v_fmac_f32_e32 v9, 0x32a5705f, v7
	v_sub_f32_e32 v8, v8, v10
	v_add_f32_e32 v8, v8, v9
	v_exp_f32_e32 v8, v8
	v_cvt_i32_f32_e32 v9, v10
	s_mov_b32 s2, 0xc2ce8ed0
	v_cmp_ngt_f32_e64 s[2:3], s2, v7
	s_mov_b32 s7, 0x7f800000
	v_ldexp_f32 v8, v8, v9
	v_cndmask_b32_e64 v8, 0, v8, s[2:3]
	s_mov_b32 s2, 0x42b17218
	v_mov_b32_e32 v9, 0x7f800000
	v_cmp_nlt_f32_e64 s[2:3], s2, v7
	v_cndmask_b32_e64 v15, v9, v8, s[2:3]
	v_add_f32_e32 v7, 1.0, v15
	v_add_f32_e32 v8, -1.0, v7
	v_sub_f32_e32 v9, v8, v7
	v_add_f32_e32 v9, 1.0, v9
	v_sub_f32_e32 v8, v15, v8
	v_add_f32_e32 v10, v8, v9
	v_frexp_mant_f32_e32 v11, v7
	s_mov_b32 s2, 0x3f2aaaab
	v_cvt_f64_f32_e32 v[8:9], v7
	v_frexp_exp_i32_f64_e32 v8, v[8:9]
	v_cmp_gt_f32_e64 s[2:3], s2, v11
	v_subbrev_co_u32_e64 v18, s[2:3], 0, v8, s[2:3]
	v_sub_u32_e32 v8, 0, v18
	v_ldexp_f32 v7, v7, v8
	v_ldexp_f32 v8, v10, v8
	v_add_f32_e32 v10, -1.0, v7
	v_add_f32_e32 v9, 1.0, v10
	v_sub_f32_e32 v9, v7, v9
	v_add_f32_e32 v11, v8, v9
	v_add_f32_e32 v9, 1.0, v7
	v_add_f32_e32 v12, -1.0, v9
	v_sub_f32_e32 v7, v7, v12
	v_add_f32_e32 v7, v8, v7
	v_add_f32_e32 v19, v9, v7
	v_rcp_f32_e32 v20, v19
	v_sub_f32_e32 v8, v9, v19
	v_add_f32_e32 v9, v10, v11
	v_add_f32_e32 v7, v7, v8
	v_mul_f32_e32 v37, v9, v20
	v_sub_f32_e32 v8, v10, v9
	v_mul_f32_e32 v10, v19, v37
	v_fma_f32 v12, v37, v19, -v10
	v_fmac_f32_e32 v12, v37, v7
	v_add_f32_e32 v36, v11, v8
	v_add_f32_e32 v8, v10, v12
	v_sub_f32_e32 v11, v9, v8
	v_pk_add_f32 v[16:17], v[8:9], v[10:11] neg_lo:[0,1] neg_hi:[0,1]
	v_mov_b32_e32 v13, v8
	v_pk_add_f32 v[8:9], v[16:17], v[12:13] neg_lo:[0,1] neg_hi:[0,1]
	v_add_f32_e32 v9, v36, v9
	v_add_f32_e32 v8, v8, v9
	;; [unrolled: 1-line block ×3, first 2 shown]
	v_mul_f32_e32 v36, v20, v9
	v_mul_f32_e32 v10, v19, v36
	v_fma_f32 v12, v36, v19, -v10
	v_fmac_f32_e32 v12, v36, v7
	v_sub_f32_e32 v7, v11, v9
	v_add_f32_e32 v7, v8, v7
	v_add_f32_e32 v8, v10, v12
	v_sub_f32_e32 v11, v9, v8
	v_pk_add_f32 v[16:17], v[8:9], v[10:11] neg_lo:[0,1] neg_hi:[0,1]
	v_mov_b32_e32 v13, v8
	v_pk_add_f32 v[8:9], v[16:17], v[12:13] neg_lo:[0,1] neg_hi:[0,1]
	v_add_f32_e32 v7, v7, v9
	v_add_f32_e32 v7, v8, v7
	;; [unrolled: 1-line block ×4, first 2 shown]
	v_sub_f32_e32 v9, v8, v37
	v_mul_f32_e32 v7, v20, v7
	v_sub_f32_e32 v9, v36, v9
	v_add_f32_e32 v7, v9, v7
	v_add_f32_e32 v11, v8, v7
	v_mul_f32_e32 v12, v11, v11
	v_mov_b32_e32 v10, 0x3ecc95a3
	v_fmac_f32_e32 v10, 0x3e9b6dac, v12
	v_mov_b32_e32 v9, 0x3f2aaada
	v_fmac_f32_e32 v9, v12, v10
	v_cvt_f32_i32_e32 v10, v18
	v_sub_f32_e32 v8, v11, v8
	v_sub_f32_e32 v7, v7, v8
	v_ldexp_f32 v13, v11, 1
	v_mul_f32_e32 v11, v11, v12
	v_mov_b32_e32 v8, 0x3f317218
	s_mov_b32 s2, 0x3f317218
	v_pk_mul_f32 v[8:9], v[10:11], v[8:9]
	v_fma_f32 v12, v10, s2, -v8
	v_fmac_f32_e32 v12, 0xb102e308, v10
	v_pk_add_f32 v[10:11], v[8:9], v[12:13]
	v_sub_f32_e32 v13, v11, v13
	v_ldexp_f32 v7, v7, 1
	v_sub_f32_e32 v13, v9, v13
	v_add_f32_e32 v17, v7, v13
	v_mov_b32_e32 v16, v8
	v_pk_add_f32 v[8:9], v[10:11], v[8:9] neg_lo:[0,1] neg_hi:[0,1]
	v_pk_add_f32 v[18:19], v[10:11], v[16:17]
	v_mov_b32_e32 v9, v19
	v_mov_b32_e32 v13, v10
	v_pk_add_f32 v[36:37], v[12:13], v[8:9] neg_lo:[0,1] neg_hi:[0,1]
	v_pk_add_f32 v[8:9], v[12:13], v[8:9]
	v_mov_b32_e32 v12, v9
	v_pk_add_f32 v[38:39], v[12:13], v[10:11] neg_lo:[0,1] neg_hi:[0,1]
	v_mov_b32_e32 v7, v38
	v_pk_add_f32 v[40:41], v[18:19], v[6:7] neg_lo:[0,1] neg_hi:[0,1]
	v_mov_b32_e32 v8, v19
	v_mov_b32_e32 v18, v11
	;; [unrolled: 1-line block ×4, first 2 shown]
	v_pk_add_f32 v[8:9], v[8:9], v[18:19] neg_lo:[0,1] neg_hi:[0,1]
	v_mov_b32_e32 v16, v17
	v_mov_b32_e32 v17, v10
	v_pk_add_f32 v[8:9], v[16:17], v[8:9] neg_lo:[0,1] neg_hi:[0,1]
	v_mov_b32_e32 v40, v36
	v_pk_add_f32 v[10:11], v[40:41], v[8:9]
	v_mov_b32_e32 v16, v11
	v_pk_add_f32 v[16:17], v[10:11], v[16:17]
	v_pk_add_f32 v[12:13], v[12:13], v[16:17]
	v_mov_b32_e32 v11, v12
	v_pk_add_f32 v[18:19], v[10:11], v[36:37] neg_lo:[0,1] neg_hi:[0,1]
	v_mov_b32_e32 v9, v16
	v_sub_f32_e32 v7, v10, v18
	v_pk_add_f32 v[8:9], v[8:9], v[18:19] neg_lo:[0,1] neg_hi:[0,1]
	v_sub_f32_e32 v7, v36, v7
	v_add_f32_e32 v7, v8, v7
	v_cmp_eq_f32_e64 s[2:3], s7, v15
	s_mov_b32 s7, 0x33800000
	v_add_f32_e32 v7, v7, v9
	v_cmp_lt_f32_e64 s[8:9], |v15|, s7
	v_add_f32_e32 v7, v12, v7
	s_or_b64 s[2:3], s[2:3], s[8:9]
	v_cndmask_b32_e64 v7, v7, v15, s[2:3]
	v_add_f32_e32 v36, v6, v7
.LBB136_208:
	s_or_b64 exec, exec, s[4:5]
	v_max_f32_e32 v8, v4, v4
	v_max_f32_e32 v6, v36, v36
	v_min_f32_e32 v7, v6, v8
	v_cmp_u_f32_e64 s[4:5], v36, v36
	v_max_f32_e32 v6, v6, v8
	v_cndmask_b32_e64 v7, v7, v36, s[4:5]
	v_cmp_u_f32_e64 s[2:3], v4, v4
	v_cndmask_b32_e64 v6, v6, v36, s[4:5]
	v_cndmask_b32_e64 v7, v7, v4, s[2:3]
	;; [unrolled: 1-line block ×3, first 2 shown]
	v_cmp_neq_f32_e64 s[4:5], v7, v6
	v_cmp_class_f32_e64 s[6:7], v7, s6
	s_or_b64 s[4:5], s[4:5], s[6:7]
	s_and_saveexec_b64 s[6:7], s[4:5]
	s_cbranch_execz .LBB136_210
; %bb.209:
	v_sub_f32_e32 v7, v7, v6
	s_mov_b32 s4, 0x3fb8aa3b
	v_mul_f32_e32 v9, 0x3fb8aa3b, v7
	v_fma_f32 v10, v7, s4, -v9
	v_rndne_f32_e32 v11, v9
	v_fmac_f32_e32 v10, 0x32a5705f, v7
	v_sub_f32_e32 v9, v9, v11
	v_add_f32_e32 v9, v9, v10
	v_exp_f32_e32 v9, v9
	v_cvt_i32_f32_e32 v10, v11
	s_mov_b32 s4, 0xc2ce8ed0
	v_cmp_ngt_f32_e64 s[4:5], s4, v7
	s_mov_b32 s8, 0x7f800000
	v_ldexp_f32 v9, v9, v10
	v_cndmask_b32_e64 v9, 0, v9, s[4:5]
	s_mov_b32 s4, 0x42b17218
	v_mov_b32_e32 v10, 0x7f800000
	v_cmp_nlt_f32_e64 s[4:5], s4, v7
	v_cndmask_b32_e64 v9, v10, v9, s[4:5]
	v_add_f32_e32 v7, 1.0, v9
	v_add_f32_e32 v10, -1.0, v7
	v_sub_f32_e32 v11, v10, v7
	v_add_f32_e32 v11, 1.0, v11
	v_sub_f32_e32 v10, v9, v10
	v_add_f32_e32 v12, v10, v11
	v_frexp_mant_f32_e32 v13, v7
	s_mov_b32 s4, 0x3f2aaaab
	v_cvt_f64_f32_e32 v[10:11], v7
	v_frexp_exp_i32_f64_e32 v10, v[10:11]
	v_cmp_gt_f32_e64 s[4:5], s4, v13
	v_subbrev_co_u32_e64 v15, s[4:5], 0, v10, s[4:5]
	v_sub_u32_e32 v10, 0, v15
	v_ldexp_f32 v7, v7, v10
	v_ldexp_f32 v10, v12, v10
	v_add_f32_e32 v12, -1.0, v7
	v_add_f32_e32 v11, 1.0, v12
	v_sub_f32_e32 v11, v7, v11
	v_add_f32_e32 v13, v10, v11
	v_add_f32_e32 v11, 1.0, v7
	v_add_f32_e32 v16, -1.0, v11
	v_sub_f32_e32 v7, v7, v16
	v_add_f32_e32 v7, v10, v7
	v_add_f32_e32 v20, v11, v7
	v_rcp_f32_e32 v36, v20
	v_sub_f32_e32 v10, v11, v20
	v_add_f32_e32 v11, v12, v13
	v_add_f32_e32 v7, v7, v10
	v_mul_f32_e32 v38, v11, v36
	v_sub_f32_e32 v10, v12, v11
	v_mul_f32_e32 v12, v20, v38
	v_fma_f32 v16, v38, v20, -v12
	v_fmac_f32_e32 v16, v38, v7
	v_add_f32_e32 v37, v13, v10
	v_add_f32_e32 v10, v12, v16
	v_sub_f32_e32 v13, v11, v10
	v_pk_add_f32 v[18:19], v[10:11], v[12:13] neg_lo:[0,1] neg_hi:[0,1]
	v_mov_b32_e32 v17, v10
	v_pk_add_f32 v[10:11], v[18:19], v[16:17] neg_lo:[0,1] neg_hi:[0,1]
	v_add_f32_e32 v11, v37, v11
	v_add_f32_e32 v10, v10, v11
	;; [unrolled: 1-line block ×3, first 2 shown]
	v_mul_f32_e32 v37, v36, v11
	v_mul_f32_e32 v12, v20, v37
	v_fma_f32 v16, v37, v20, -v12
	v_fmac_f32_e32 v16, v37, v7
	v_sub_f32_e32 v7, v13, v11
	v_add_f32_e32 v7, v10, v7
	v_add_f32_e32 v10, v12, v16
	v_sub_f32_e32 v13, v11, v10
	v_pk_add_f32 v[18:19], v[10:11], v[12:13] neg_lo:[0,1] neg_hi:[0,1]
	v_mov_b32_e32 v17, v10
	v_pk_add_f32 v[10:11], v[18:19], v[16:17] neg_lo:[0,1] neg_hi:[0,1]
	v_add_f32_e32 v7, v7, v11
	v_add_f32_e32 v7, v10, v7
	;; [unrolled: 1-line block ×4, first 2 shown]
	v_sub_f32_e32 v11, v10, v38
	v_mul_f32_e32 v7, v36, v7
	v_sub_f32_e32 v11, v37, v11
	v_add_f32_e32 v7, v11, v7
	v_add_f32_e32 v13, v10, v7
	v_mul_f32_e32 v16, v13, v13
	v_mov_b32_e32 v12, 0x3ecc95a3
	v_fmac_f32_e32 v12, 0x3e9b6dac, v16
	v_mov_b32_e32 v11, 0x3f2aaada
	v_fmac_f32_e32 v11, v16, v12
	v_cvt_f32_i32_e32 v12, v15
	v_sub_f32_e32 v10, v13, v10
	v_sub_f32_e32 v7, v7, v10
	v_ldexp_f32 v17, v13, 1
	v_mul_f32_e32 v13, v13, v16
	v_mov_b32_e32 v10, 0x3f317218
	s_mov_b32 s4, 0x3f317218
	v_pk_mul_f32 v[10:11], v[12:13], v[10:11]
	v_fma_f32 v16, v12, s4, -v10
	v_fmac_f32_e32 v16, 0xb102e308, v12
	v_pk_add_f32 v[12:13], v[10:11], v[16:17]
	v_sub_f32_e32 v15, v13, v17
	v_ldexp_f32 v7, v7, 1
	v_sub_f32_e32 v15, v11, v15
	v_add_f32_e32 v19, v7, v15
	v_mov_b32_e32 v18, v10
	v_pk_add_f32 v[10:11], v[12:13], v[10:11] neg_lo:[0,1] neg_hi:[0,1]
	v_pk_add_f32 v[36:37], v[12:13], v[18:19]
	v_mov_b32_e32 v11, v37
	v_mov_b32_e32 v17, v12
	v_pk_add_f32 v[38:39], v[16:17], v[10:11] neg_lo:[0,1] neg_hi:[0,1]
	v_pk_add_f32 v[10:11], v[16:17], v[10:11]
	v_mov_b32_e32 v16, v11
	v_pk_add_f32 v[40:41], v[16:17], v[12:13] neg_lo:[0,1] neg_hi:[0,1]
	v_mov_b32_e32 v7, v40
	v_pk_add_f32 v[42:43], v[36:37], v[6:7] neg_lo:[0,1] neg_hi:[0,1]
	v_mov_b32_e32 v10, v37
	v_mov_b32_e32 v36, v13
	;; [unrolled: 1-line block ×4, first 2 shown]
	v_pk_add_f32 v[10:11], v[10:11], v[36:37] neg_lo:[0,1] neg_hi:[0,1]
	v_mov_b32_e32 v18, v19
	v_mov_b32_e32 v19, v12
	v_pk_add_f32 v[10:11], v[18:19], v[10:11] neg_lo:[0,1] neg_hi:[0,1]
	v_mov_b32_e32 v42, v38
	v_pk_add_f32 v[12:13], v[42:43], v[10:11]
	v_mov_b32_e32 v18, v13
	v_pk_add_f32 v[18:19], v[12:13], v[18:19]
	v_pk_add_f32 v[16:17], v[16:17], v[18:19]
	v_mov_b32_e32 v13, v16
	v_pk_add_f32 v[36:37], v[12:13], v[38:39] neg_lo:[0,1] neg_hi:[0,1]
	v_mov_b32_e32 v11, v18
	v_sub_f32_e32 v7, v12, v36
	v_pk_add_f32 v[10:11], v[10:11], v[36:37] neg_lo:[0,1] neg_hi:[0,1]
	v_sub_f32_e32 v7, v38, v7
	v_add_f32_e32 v7, v10, v7
	v_cmp_eq_f32_e64 s[4:5], s8, v9
	s_mov_b32 s8, 0x33800000
	v_add_f32_e32 v7, v7, v11
	v_cmp_lt_f32_e64 s[8:9], |v9|, s8
	v_add_f32_e32 v7, v16, v7
	s_or_b64 s[4:5], s[4:5], s[8:9]
	v_cndmask_b32_e64 v7, v7, v9, s[4:5]
	v_add_f32_e32 v36, v6, v7
.LBB136_210:
	s_or_b64 exec, exec, s[6:7]
	v_max_f32_e32 v9, v5, v5
	v_max_f32_e32 v6, v36, v36
	v_min_f32_e32 v7, v6, v9
	v_cmp_u_f32_e64 s[6:7], v36, v36
	v_max_f32_e32 v6, v6, v9
	v_cndmask_b32_e64 v7, v7, v36, s[6:7]
	v_cmp_u_f32_e64 s[4:5], v5, v5
	v_cndmask_b32_e64 v6, v6, v36, s[6:7]
	v_cndmask_b32_e64 v7, v7, v5, s[4:5]
	;; [unrolled: 1-line block ×3, first 2 shown]
	s_movk_i32 s10, 0x1f8
	v_cmp_neq_f32_e64 s[6:7], v7, v6
	v_cmp_class_f32_e64 s[8:9], v7, s10
	s_or_b64 s[6:7], s[6:7], s[8:9]
	s_and_saveexec_b64 s[8:9], s[6:7]
	s_cbranch_execz .LBB136_212
; %bb.211:
	v_sub_f32_e32 v7, v7, v6
	s_mov_b32 s6, 0x3fb8aa3b
	v_mul_f32_e32 v10, 0x3fb8aa3b, v7
	v_fma_f32 v11, v7, s6, -v10
	v_rndne_f32_e32 v12, v10
	v_fmac_f32_e32 v11, 0x32a5705f, v7
	v_sub_f32_e32 v10, v10, v12
	v_add_f32_e32 v10, v10, v11
	v_exp_f32_e32 v10, v10
	v_cvt_i32_f32_e32 v11, v12
	s_mov_b32 s6, 0xc2ce8ed0
	v_cmp_ngt_f32_e64 s[6:7], s6, v7
	s_mov_b32 s11, 0x7f800000
	v_ldexp_f32 v10, v10, v11
	v_cndmask_b32_e64 v10, 0, v10, s[6:7]
	s_mov_b32 s6, 0x42b17218
	v_mov_b32_e32 v11, 0x7f800000
	v_cmp_nlt_f32_e64 s[6:7], s6, v7
	v_cndmask_b32_e64 v15, v11, v10, s[6:7]
	v_add_f32_e32 v7, 1.0, v15
	v_add_f32_e32 v10, -1.0, v7
	v_sub_f32_e32 v11, v10, v7
	v_add_f32_e32 v11, 1.0, v11
	v_sub_f32_e32 v10, v15, v10
	v_add_f32_e32 v12, v10, v11
	v_frexp_mant_f32_e32 v13, v7
	s_mov_b32 s6, 0x3f2aaaab
	v_cvt_f64_f32_e32 v[10:11], v7
	v_frexp_exp_i32_f64_e32 v10, v[10:11]
	v_cmp_gt_f32_e64 s[6:7], s6, v13
	v_subbrev_co_u32_e64 v20, s[6:7], 0, v10, s[6:7]
	v_sub_u32_e32 v10, 0, v20
	v_ldexp_f32 v7, v7, v10
	v_ldexp_f32 v10, v12, v10
	v_add_f32_e32 v12, -1.0, v7
	v_add_f32_e32 v11, 1.0, v12
	v_sub_f32_e32 v11, v7, v11
	v_add_f32_e32 v13, v10, v11
	v_add_f32_e32 v11, 1.0, v7
	v_add_f32_e32 v16, -1.0, v11
	v_sub_f32_e32 v7, v7, v16
	v_add_f32_e32 v7, v10, v7
	v_add_f32_e32 v36, v11, v7
	v_rcp_f32_e32 v37, v36
	v_sub_f32_e32 v10, v11, v36
	v_add_f32_e32 v11, v12, v13
	v_add_f32_e32 v7, v7, v10
	v_mul_f32_e32 v39, v11, v37
	v_sub_f32_e32 v10, v12, v11
	v_mul_f32_e32 v12, v36, v39
	v_fma_f32 v16, v39, v36, -v12
	v_fmac_f32_e32 v16, v39, v7
	v_add_f32_e32 v38, v13, v10
	v_add_f32_e32 v10, v12, v16
	v_sub_f32_e32 v13, v11, v10
	v_pk_add_f32 v[18:19], v[10:11], v[12:13] neg_lo:[0,1] neg_hi:[0,1]
	v_mov_b32_e32 v17, v10
	v_pk_add_f32 v[10:11], v[18:19], v[16:17] neg_lo:[0,1] neg_hi:[0,1]
	v_add_f32_e32 v11, v38, v11
	v_add_f32_e32 v10, v10, v11
	;; [unrolled: 1-line block ×3, first 2 shown]
	v_mul_f32_e32 v38, v37, v11
	v_mul_f32_e32 v12, v36, v38
	v_fma_f32 v16, v38, v36, -v12
	v_fmac_f32_e32 v16, v38, v7
	v_sub_f32_e32 v7, v13, v11
	v_add_f32_e32 v7, v10, v7
	v_add_f32_e32 v10, v12, v16
	v_sub_f32_e32 v13, v11, v10
	v_pk_add_f32 v[18:19], v[10:11], v[12:13] neg_lo:[0,1] neg_hi:[0,1]
	v_mov_b32_e32 v17, v10
	v_pk_add_f32 v[10:11], v[18:19], v[16:17] neg_lo:[0,1] neg_hi:[0,1]
	v_add_f32_e32 v7, v7, v11
	v_add_f32_e32 v7, v10, v7
	;; [unrolled: 1-line block ×4, first 2 shown]
	v_sub_f32_e32 v11, v10, v39
	v_mul_f32_e32 v7, v37, v7
	v_sub_f32_e32 v11, v38, v11
	v_add_f32_e32 v7, v11, v7
	v_add_f32_e32 v13, v10, v7
	v_mul_f32_e32 v16, v13, v13
	v_mov_b32_e32 v12, 0x3ecc95a3
	v_fmac_f32_e32 v12, 0x3e9b6dac, v16
	v_mov_b32_e32 v11, 0x3f2aaada
	v_fmac_f32_e32 v11, v16, v12
	v_cvt_f32_i32_e32 v12, v20
	v_sub_f32_e32 v10, v13, v10
	v_sub_f32_e32 v7, v7, v10
	v_ldexp_f32 v17, v13, 1
	v_mul_f32_e32 v13, v13, v16
	v_mov_b32_e32 v10, 0x3f317218
	s_mov_b32 s6, 0x3f317218
	v_pk_mul_f32 v[10:11], v[12:13], v[10:11]
	v_fma_f32 v16, v12, s6, -v10
	v_fmac_f32_e32 v16, 0xb102e308, v12
	v_pk_add_f32 v[12:13], v[10:11], v[16:17]
	v_sub_f32_e32 v17, v13, v17
	v_ldexp_f32 v7, v7, 1
	v_sub_f32_e32 v17, v11, v17
	v_add_f32_e32 v19, v7, v17
	v_mov_b32_e32 v18, v10
	v_pk_add_f32 v[10:11], v[12:13], v[10:11] neg_lo:[0,1] neg_hi:[0,1]
	v_pk_add_f32 v[36:37], v[12:13], v[18:19]
	v_mov_b32_e32 v11, v37
	v_mov_b32_e32 v17, v12
	v_pk_add_f32 v[38:39], v[16:17], v[10:11] neg_lo:[0,1] neg_hi:[0,1]
	v_pk_add_f32 v[10:11], v[16:17], v[10:11]
	v_mov_b32_e32 v16, v11
	v_pk_add_f32 v[40:41], v[16:17], v[12:13] neg_lo:[0,1] neg_hi:[0,1]
	v_mov_b32_e32 v7, v40
	v_pk_add_f32 v[42:43], v[36:37], v[6:7] neg_lo:[0,1] neg_hi:[0,1]
	v_mov_b32_e32 v10, v37
	v_mov_b32_e32 v36, v13
	;; [unrolled: 1-line block ×4, first 2 shown]
	v_pk_add_f32 v[10:11], v[10:11], v[36:37] neg_lo:[0,1] neg_hi:[0,1]
	v_mov_b32_e32 v18, v19
	v_mov_b32_e32 v19, v12
	v_pk_add_f32 v[10:11], v[18:19], v[10:11] neg_lo:[0,1] neg_hi:[0,1]
	v_mov_b32_e32 v42, v38
	v_pk_add_f32 v[12:13], v[42:43], v[10:11]
	v_mov_b32_e32 v18, v13
	v_pk_add_f32 v[18:19], v[12:13], v[18:19]
	v_pk_add_f32 v[16:17], v[16:17], v[18:19]
	v_mov_b32_e32 v13, v16
	v_pk_add_f32 v[36:37], v[12:13], v[38:39] neg_lo:[0,1] neg_hi:[0,1]
	v_mov_b32_e32 v11, v18
	v_sub_f32_e32 v7, v12, v36
	v_pk_add_f32 v[10:11], v[10:11], v[36:37] neg_lo:[0,1] neg_hi:[0,1]
	v_sub_f32_e32 v7, v38, v7
	v_add_f32_e32 v7, v10, v7
	v_cmp_eq_f32_e64 s[6:7], s11, v15
	s_mov_b32 s11, 0x33800000
	v_add_f32_e32 v7, v7, v11
	v_cmp_lt_f32_e64 s[12:13], |v15|, s11
	v_add_f32_e32 v7, v16, v7
	s_or_b64 s[6:7], s[6:7], s[12:13]
	v_cndmask_b32_e64 v7, v7, v15, s[6:7]
	v_add_f32_e32 v36, v6, v7
.LBB136_212:
	s_or_b64 exec, exec, s[8:9]
	v_max_f32_e32 v10, v26, v26
	v_max_f32_e32 v6, v36, v36
	v_min_f32_e32 v7, v6, v10
	v_cmp_u_f32_e64 s[8:9], v36, v36
	v_max_f32_e32 v6, v6, v10
	v_cndmask_b32_e64 v7, v7, v36, s[8:9]
	v_cmp_u_f32_e64 s[6:7], v26, v26
	v_cndmask_b32_e64 v6, v6, v36, s[8:9]
	v_cndmask_b32_e64 v7, v7, v26, s[6:7]
	;; [unrolled: 1-line block ×3, first 2 shown]
	v_cmp_neq_f32_e64 s[8:9], v7, v6
	v_cmp_class_f32_e64 s[10:11], v7, s10
	s_or_b64 s[8:9], s[8:9], s[10:11]
	s_and_saveexec_b64 s[10:11], s[8:9]
	s_cbranch_execz .LBB136_214
; %bb.213:
	v_sub_f32_e32 v7, v7, v6
	s_mov_b32 s8, 0x3fb8aa3b
	v_mul_f32_e32 v11, 0x3fb8aa3b, v7
	v_fma_f32 v12, v7, s8, -v11
	v_rndne_f32_e32 v13, v11
	v_fmac_f32_e32 v12, 0x32a5705f, v7
	v_sub_f32_e32 v11, v11, v13
	v_add_f32_e32 v11, v11, v12
	v_exp_f32_e32 v11, v11
	v_cvt_i32_f32_e32 v12, v13
	s_mov_b32 s8, 0xc2ce8ed0
	v_cmp_ngt_f32_e64 s[8:9], s8, v7
	s_mov_b32 s12, 0x7f800000
	v_ldexp_f32 v11, v11, v12
	v_cndmask_b32_e64 v11, 0, v11, s[8:9]
	s_mov_b32 s8, 0x42b17218
	v_mov_b32_e32 v12, 0x7f800000
	v_cmp_nlt_f32_e64 s[8:9], s8, v7
	v_cndmask_b32_e64 v11, v12, v11, s[8:9]
	v_add_f32_e32 v7, 1.0, v11
	v_add_f32_e32 v12, -1.0, v7
	v_sub_f32_e32 v13, v12, v7
	v_add_f32_e32 v13, 1.0, v13
	v_sub_f32_e32 v12, v11, v12
	v_add_f32_e32 v15, v12, v13
	v_frexp_mant_f32_e32 v16, v7
	s_mov_b32 s8, 0x3f2aaaab
	v_cvt_f64_f32_e32 v[12:13], v7
	v_frexp_exp_i32_f64_e32 v12, v[12:13]
	v_cmp_gt_f32_e64 s[8:9], s8, v16
	v_subbrev_co_u32_e64 v20, s[8:9], 0, v12, s[8:9]
	v_sub_u32_e32 v12, 0, v20
	v_ldexp_f32 v7, v7, v12
	v_ldexp_f32 v12, v15, v12
	v_add_f32_e32 v15, -1.0, v7
	v_add_f32_e32 v13, 1.0, v15
	v_sub_f32_e32 v13, v7, v13
	v_add_f32_e32 v16, v12, v13
	v_add_f32_e32 v13, 1.0, v7
	v_add_f32_e32 v17, -1.0, v13
	v_sub_f32_e32 v7, v7, v17
	v_add_f32_e32 v7, v12, v7
	v_add_f32_e32 v38, v13, v7
	v_rcp_f32_e32 v39, v38
	v_sub_f32_e32 v12, v13, v38
	v_add_f32_e32 v13, v15, v16
	v_add_f32_e32 v7, v7, v12
	v_sub_f32_e32 v12, v15, v13
	v_mul_f32_e32 v40, v13, v39
	v_add_f32_e32 v15, v16, v12
	v_mul_f32_e32 v16, v38, v40
	v_fma_f32 v18, v40, v38, -v16
	v_fmac_f32_e32 v18, v40, v7
	v_add_f32_e32 v12, v16, v18
	v_sub_f32_e32 v17, v13, v12
	v_pk_add_f32 v[36:37], v[12:13], v[16:17] neg_lo:[0,1] neg_hi:[0,1]
	v_mov_b32_e32 v19, v12
	v_pk_add_f32 v[12:13], v[36:37], v[18:19] neg_lo:[0,1] neg_hi:[0,1]
	v_add_f32_e32 v13, v15, v13
	v_add_f32_e32 v12, v12, v13
	;; [unrolled: 1-line block ×3, first 2 shown]
	v_mul_f32_e32 v15, v39, v13
	v_mul_f32_e32 v16, v38, v15
	v_fma_f32 v18, v15, v38, -v16
	v_fmac_f32_e32 v18, v15, v7
	v_sub_f32_e32 v7, v17, v13
	v_add_f32_e32 v7, v12, v7
	v_add_f32_e32 v12, v16, v18
	v_sub_f32_e32 v17, v13, v12
	v_pk_add_f32 v[36:37], v[12:13], v[16:17] neg_lo:[0,1] neg_hi:[0,1]
	v_mov_b32_e32 v19, v12
	v_pk_add_f32 v[12:13], v[36:37], v[18:19] neg_lo:[0,1] neg_hi:[0,1]
	v_add_f32_e32 v7, v7, v13
	v_add_f32_e32 v7, v12, v7
	;; [unrolled: 1-line block ×4, first 2 shown]
	v_sub_f32_e32 v13, v12, v40
	v_mul_f32_e32 v7, v39, v7
	v_sub_f32_e32 v13, v15, v13
	v_add_f32_e32 v7, v13, v7
	v_add_f32_e32 v15, v12, v7
	v_mul_f32_e32 v17, v15, v15
	v_mov_b32_e32 v16, 0x3ecc95a3
	v_fmac_f32_e32 v16, 0x3e9b6dac, v17
	v_mov_b32_e32 v13, 0x3f2aaada
	v_fmac_f32_e32 v13, v17, v16
	v_cvt_f32_i32_e32 v16, v20
	v_sub_f32_e32 v12, v15, v12
	v_sub_f32_e32 v7, v7, v12
	v_mul_f32_e32 v17, v15, v17
	v_mov_b32_e32 v12, 0x3f317218
	s_mov_b32 s8, 0x3f317218
	v_pk_mul_f32 v[12:13], v[16:17], v[12:13]
	v_fma_f32 v18, v16, s8, -v12
	v_ldexp_f32 v19, v15, 1
	v_fmac_f32_e32 v18, 0xb102e308, v16
	v_pk_add_f32 v[16:17], v[12:13], v[18:19]
	v_sub_f32_e32 v15, v17, v19
	v_ldexp_f32 v7, v7, 1
	v_sub_f32_e32 v15, v13, v15
	v_add_f32_e32 v37, v7, v15
	v_mov_b32_e32 v36, v12
	v_pk_add_f32 v[12:13], v[16:17], v[12:13] neg_lo:[0,1] neg_hi:[0,1]
	v_pk_add_f32 v[38:39], v[16:17], v[36:37]
	v_mov_b32_e32 v13, v39
	v_mov_b32_e32 v19, v16
	v_pk_add_f32 v[40:41], v[18:19], v[12:13] neg_lo:[0,1] neg_hi:[0,1]
	v_pk_add_f32 v[12:13], v[18:19], v[12:13]
	v_mov_b32_e32 v18, v13
	v_pk_add_f32 v[42:43], v[18:19], v[16:17] neg_lo:[0,1] neg_hi:[0,1]
	v_mov_b32_e32 v7, v42
	v_pk_add_f32 v[44:45], v[38:39], v[6:7] neg_lo:[0,1] neg_hi:[0,1]
	v_mov_b32_e32 v12, v39
	v_mov_b32_e32 v38, v17
	;; [unrolled: 1-line block ×4, first 2 shown]
	v_pk_add_f32 v[12:13], v[12:13], v[38:39] neg_lo:[0,1] neg_hi:[0,1]
	v_mov_b32_e32 v36, v37
	v_mov_b32_e32 v37, v16
	v_pk_add_f32 v[12:13], v[36:37], v[12:13] neg_lo:[0,1] neg_hi:[0,1]
	v_mov_b32_e32 v44, v40
	v_pk_add_f32 v[16:17], v[44:45], v[12:13]
	v_mov_b32_e32 v20, v17
	v_pk_add_f32 v[36:37], v[16:17], v[20:21]
	v_pk_add_f32 v[18:19], v[18:19], v[36:37]
	v_mov_b32_e32 v17, v18
	v_pk_add_f32 v[38:39], v[16:17], v[40:41] neg_lo:[0,1] neg_hi:[0,1]
	v_mov_b32_e32 v13, v36
	v_sub_f32_e32 v7, v16, v38
	v_pk_add_f32 v[12:13], v[12:13], v[38:39] neg_lo:[0,1] neg_hi:[0,1]
	v_sub_f32_e32 v7, v40, v7
	v_add_f32_e32 v7, v12, v7
	v_cmp_eq_f32_e64 s[8:9], s12, v11
	s_mov_b32 s12, 0x33800000
	v_add_f32_e32 v7, v7, v13
	v_cmp_lt_f32_e64 s[12:13], |v11|, s12
	v_add_f32_e32 v7, v18, v7
	s_or_b64 s[8:9], s[8:9], s[12:13]
	v_cndmask_b32_e64 v7, v7, v11, s[8:9]
	v_add_f32_e32 v36, v6, v7
.LBB136_214:
	s_or_b64 exec, exec, s[10:11]
	v_max_f32_e32 v11, v27, v27
	v_max_f32_e32 v6, v36, v36
	v_min_f32_e32 v7, v6, v11
	v_cmp_u_f32_e64 s[10:11], v36, v36
	v_max_f32_e32 v6, v6, v11
	v_cndmask_b32_e64 v7, v7, v36, s[10:11]
	v_cmp_u_f32_e64 s[8:9], v27, v27
	v_cndmask_b32_e64 v6, v6, v36, s[10:11]
	v_cndmask_b32_e64 v7, v7, v27, s[8:9]
	;; [unrolled: 1-line block ×3, first 2 shown]
	s_movk_i32 s14, 0x1f8
	v_cmp_neq_f32_e64 s[10:11], v7, v6
	v_cmp_class_f32_e64 s[12:13], v7, s14
	s_or_b64 s[10:11], s[10:11], s[12:13]
	s_and_saveexec_b64 s[12:13], s[10:11]
	s_cbranch_execz .LBB136_216
; %bb.215:
	v_sub_f32_e32 v7, v7, v6
	s_mov_b32 s10, 0x3fb8aa3b
	v_mul_f32_e32 v12, 0x3fb8aa3b, v7
	v_fma_f32 v13, v7, s10, -v12
	v_rndne_f32_e32 v15, v12
	v_fmac_f32_e32 v13, 0x32a5705f, v7
	v_sub_f32_e32 v12, v12, v15
	v_add_f32_e32 v12, v12, v13
	v_exp_f32_e32 v12, v12
	v_cvt_i32_f32_e32 v13, v15
	s_mov_b32 s10, 0xc2ce8ed0
	v_cmp_ngt_f32_e64 s[10:11], s10, v7
	s_mov_b32 s15, 0x7f800000
	v_ldexp_f32 v12, v12, v13
	v_cndmask_b32_e64 v12, 0, v12, s[10:11]
	s_mov_b32 s10, 0x42b17218
	v_mov_b32_e32 v13, 0x7f800000
	v_cmp_nlt_f32_e64 s[10:11], s10, v7
	v_cndmask_b32_e64 v15, v13, v12, s[10:11]
	v_add_f32_e32 v7, 1.0, v15
	v_add_f32_e32 v12, -1.0, v7
	v_sub_f32_e32 v13, v12, v7
	v_add_f32_e32 v13, 1.0, v13
	v_sub_f32_e32 v12, v15, v12
	v_add_f32_e32 v16, v12, v13
	v_frexp_mant_f32_e32 v17, v7
	s_mov_b32 s10, 0x3f2aaaab
	v_cvt_f64_f32_e32 v[12:13], v7
	v_frexp_exp_i32_f64_e32 v12, v[12:13]
	v_cmp_gt_f32_e64 s[10:11], s10, v17
	v_subbrev_co_u32_e64 v20, s[10:11], 0, v12, s[10:11]
	v_sub_u32_e32 v12, 0, v20
	v_ldexp_f32 v7, v7, v12
	v_ldexp_f32 v12, v16, v12
	v_add_f32_e32 v16, -1.0, v7
	v_add_f32_e32 v13, 1.0, v16
	v_sub_f32_e32 v13, v7, v13
	v_add_f32_e32 v17, v12, v13
	v_add_f32_e32 v13, 1.0, v7
	v_add_f32_e32 v18, -1.0, v13
	v_sub_f32_e32 v7, v7, v18
	v_add_f32_e32 v7, v12, v7
	v_add_f32_e32 v38, v13, v7
	v_rcp_f32_e32 v39, v38
	v_sub_f32_e32 v12, v13, v38
	v_add_f32_e32 v13, v16, v17
	v_add_f32_e32 v7, v7, v12
	v_mul_f32_e32 v41, v13, v39
	v_sub_f32_e32 v12, v16, v13
	v_mul_f32_e32 v16, v38, v41
	v_fma_f32 v18, v41, v38, -v16
	v_fmac_f32_e32 v18, v41, v7
	v_add_f32_e32 v40, v17, v12
	v_add_f32_e32 v12, v16, v18
	v_sub_f32_e32 v17, v13, v12
	v_pk_add_f32 v[36:37], v[12:13], v[16:17] neg_lo:[0,1] neg_hi:[0,1]
	v_mov_b32_e32 v19, v12
	v_pk_add_f32 v[12:13], v[36:37], v[18:19] neg_lo:[0,1] neg_hi:[0,1]
	v_add_f32_e32 v13, v40, v13
	v_add_f32_e32 v12, v12, v13
	;; [unrolled: 1-line block ×3, first 2 shown]
	v_mul_f32_e32 v40, v39, v13
	v_mul_f32_e32 v16, v38, v40
	v_fma_f32 v18, v40, v38, -v16
	v_fmac_f32_e32 v18, v40, v7
	v_sub_f32_e32 v7, v17, v13
	v_add_f32_e32 v7, v12, v7
	v_add_f32_e32 v12, v16, v18
	v_sub_f32_e32 v17, v13, v12
	v_pk_add_f32 v[36:37], v[12:13], v[16:17] neg_lo:[0,1] neg_hi:[0,1]
	v_mov_b32_e32 v19, v12
	v_pk_add_f32 v[12:13], v[36:37], v[18:19] neg_lo:[0,1] neg_hi:[0,1]
	v_add_f32_e32 v7, v7, v13
	v_add_f32_e32 v7, v12, v7
	;; [unrolled: 1-line block ×4, first 2 shown]
	v_sub_f32_e32 v13, v12, v41
	v_mul_f32_e32 v7, v39, v7
	v_sub_f32_e32 v13, v40, v13
	v_add_f32_e32 v7, v13, v7
	v_add_f32_e32 v17, v12, v7
	v_mul_f32_e32 v18, v17, v17
	v_mov_b32_e32 v16, 0x3ecc95a3
	v_fmac_f32_e32 v16, 0x3e9b6dac, v18
	v_mov_b32_e32 v13, 0x3f2aaada
	v_fmac_f32_e32 v13, v18, v16
	v_cvt_f32_i32_e32 v16, v20
	v_sub_f32_e32 v12, v17, v12
	v_sub_f32_e32 v7, v7, v12
	v_ldexp_f32 v19, v17, 1
	v_mul_f32_e32 v17, v17, v18
	v_mov_b32_e32 v12, 0x3f317218
	s_mov_b32 s10, 0x3f317218
	v_pk_mul_f32 v[12:13], v[16:17], v[12:13]
	v_fma_f32 v18, v16, s10, -v12
	v_fmac_f32_e32 v18, 0xb102e308, v16
	v_pk_add_f32 v[16:17], v[12:13], v[18:19]
	v_sub_f32_e32 v19, v17, v19
	v_ldexp_f32 v7, v7, 1
	v_sub_f32_e32 v19, v13, v19
	v_add_f32_e32 v37, v7, v19
	v_mov_b32_e32 v36, v12
	v_pk_add_f32 v[12:13], v[16:17], v[12:13] neg_lo:[0,1] neg_hi:[0,1]
	v_pk_add_f32 v[38:39], v[16:17], v[36:37]
	v_mov_b32_e32 v13, v39
	v_mov_b32_e32 v19, v16
	v_pk_add_f32 v[40:41], v[18:19], v[12:13] neg_lo:[0,1] neg_hi:[0,1]
	v_pk_add_f32 v[12:13], v[18:19], v[12:13]
	v_mov_b32_e32 v18, v13
	v_pk_add_f32 v[42:43], v[18:19], v[16:17] neg_lo:[0,1] neg_hi:[0,1]
	v_mov_b32_e32 v7, v42
	v_pk_add_f32 v[44:45], v[38:39], v[6:7] neg_lo:[0,1] neg_hi:[0,1]
	v_mov_b32_e32 v12, v39
	v_mov_b32_e32 v38, v17
	;; [unrolled: 1-line block ×4, first 2 shown]
	v_pk_add_f32 v[12:13], v[12:13], v[38:39] neg_lo:[0,1] neg_hi:[0,1]
	v_mov_b32_e32 v36, v37
	v_mov_b32_e32 v37, v16
	v_pk_add_f32 v[12:13], v[36:37], v[12:13] neg_lo:[0,1] neg_hi:[0,1]
	v_mov_b32_e32 v44, v40
	v_pk_add_f32 v[16:17], v[44:45], v[12:13]
	v_mov_b32_e32 v20, v17
	v_pk_add_f32 v[36:37], v[16:17], v[20:21]
	v_pk_add_f32 v[18:19], v[18:19], v[36:37]
	v_mov_b32_e32 v17, v18
	v_pk_add_f32 v[38:39], v[16:17], v[40:41] neg_lo:[0,1] neg_hi:[0,1]
	v_mov_b32_e32 v13, v36
	v_sub_f32_e32 v7, v16, v38
	v_pk_add_f32 v[12:13], v[12:13], v[38:39] neg_lo:[0,1] neg_hi:[0,1]
	v_sub_f32_e32 v7, v40, v7
	v_add_f32_e32 v7, v12, v7
	v_cmp_eq_f32_e64 s[10:11], s15, v15
	s_mov_b32 s15, 0x33800000
	v_add_f32_e32 v7, v7, v13
	v_cmp_lt_f32_e64 s[16:17], |v15|, s15
	v_add_f32_e32 v7, v18, v7
	s_or_b64 s[10:11], s[10:11], s[16:17]
	v_cndmask_b32_e64 v7, v7, v15, s[10:11]
	v_add_f32_e32 v36, v6, v7
.LBB136_216:
	s_or_b64 exec, exec, s[12:13]
	v_max_f32_e32 v12, v28, v28
	v_max_f32_e32 v6, v36, v36
	v_min_f32_e32 v7, v6, v12
	v_cmp_u_f32_e64 s[12:13], v36, v36
	v_max_f32_e32 v6, v6, v12
	v_cndmask_b32_e64 v7, v7, v36, s[12:13]
	v_cmp_u_f32_e64 s[10:11], v28, v28
	v_cndmask_b32_e64 v6, v6, v36, s[12:13]
	v_cndmask_b32_e64 v7, v7, v28, s[10:11]
	;; [unrolled: 1-line block ×3, first 2 shown]
	v_cmp_neq_f32_e64 s[12:13], v7, v6
	v_cmp_class_f32_e64 s[14:15], v7, s14
	s_or_b64 s[12:13], s[12:13], s[14:15]
	s_and_saveexec_b64 s[14:15], s[12:13]
	s_cbranch_execz .LBB136_218
; %bb.217:
	v_sub_f32_e32 v7, v7, v6
	s_mov_b32 s12, 0x3fb8aa3b
	v_mul_f32_e32 v13, 0x3fb8aa3b, v7
	v_fma_f32 v15, v7, s12, -v13
	v_rndne_f32_e32 v16, v13
	v_fmac_f32_e32 v15, 0x32a5705f, v7
	v_sub_f32_e32 v13, v13, v16
	v_add_f32_e32 v13, v13, v15
	v_exp_f32_e32 v13, v13
	v_cvt_i32_f32_e32 v15, v16
	s_mov_b32 s12, 0xc2ce8ed0
	v_cmp_ngt_f32_e64 s[12:13], s12, v7
	s_mov_b32 s16, 0x7f800000
	v_ldexp_f32 v13, v13, v15
	v_cndmask_b32_e64 v13, 0, v13, s[12:13]
	s_mov_b32 s12, 0x42b17218
	v_mov_b32_e32 v15, 0x7f800000
	v_cmp_nlt_f32_e64 s[12:13], s12, v7
	v_cndmask_b32_e64 v13, v15, v13, s[12:13]
	v_add_f32_e32 v7, 1.0, v13
	v_add_f32_e32 v15, -1.0, v7
	v_sub_f32_e32 v16, v15, v7
	v_add_f32_e32 v16, 1.0, v16
	v_sub_f32_e32 v15, v13, v15
	v_add_f32_e32 v15, v15, v16
	v_frexp_mant_f32_e32 v18, v7
	s_mov_b32 s12, 0x3f2aaaab
	v_cvt_f64_f32_e32 v[16:17], v7
	v_frexp_exp_i32_f64_e32 v16, v[16:17]
	v_cmp_gt_f32_e64 s[12:13], s12, v18
	v_subbrev_co_u32_e64 v20, s[12:13], 0, v16, s[12:13]
	v_sub_u32_e32 v16, 0, v20
	v_ldexp_f32 v7, v7, v16
	v_ldexp_f32 v15, v15, v16
	v_add_f32_e32 v16, -1.0, v7
	v_add_f32_e32 v17, 1.0, v16
	v_sub_f32_e32 v17, v7, v17
	v_add_f32_e32 v18, v15, v17
	v_add_f32_e32 v17, 1.0, v7
	v_add_f32_e32 v19, -1.0, v17
	v_sub_f32_e32 v7, v7, v19
	v_add_f32_e32 v7, v15, v7
	v_add_f32_e32 v15, v17, v7
	v_rcp_f32_e32 v40, v15
	v_sub_f32_e32 v17, v17, v15
	v_add_f32_e32 v7, v7, v17
	v_add_f32_e32 v17, v16, v18
	v_sub_f32_e32 v16, v16, v17
	v_mul_f32_e32 v42, v17, v40
	v_add_f32_e32 v41, v18, v16
	v_mul_f32_e32 v18, v15, v42
	v_fma_f32 v36, v42, v15, -v18
	v_fmac_f32_e32 v36, v42, v7
	v_add_f32_e32 v16, v18, v36
	v_sub_f32_e32 v19, v17, v16
	v_pk_add_f32 v[38:39], v[16:17], v[18:19] neg_lo:[0,1] neg_hi:[0,1]
	v_mov_b32_e32 v37, v16
	v_pk_add_f32 v[16:17], v[38:39], v[36:37] neg_lo:[0,1] neg_hi:[0,1]
	v_add_f32_e32 v17, v41, v17
	v_add_f32_e32 v16, v16, v17
	v_add_f32_e32 v17, v19, v16
	v_mul_f32_e32 v41, v40, v17
	v_mul_f32_e32 v18, v15, v41
	v_fma_f32 v36, v41, v15, -v18
	v_fmac_f32_e32 v36, v41, v7
	v_sub_f32_e32 v7, v19, v17
	v_add_f32_e32 v7, v16, v7
	v_add_f32_e32 v16, v18, v36
	v_sub_f32_e32 v19, v17, v16
	v_pk_add_f32 v[38:39], v[16:17], v[18:19] neg_lo:[0,1] neg_hi:[0,1]
	v_mov_b32_e32 v37, v16
	v_pk_add_f32 v[16:17], v[38:39], v[36:37] neg_lo:[0,1] neg_hi:[0,1]
	v_add_f32_e32 v7, v7, v17
	v_add_f32_e32 v7, v16, v7
	;; [unrolled: 1-line block ×4, first 2 shown]
	v_sub_f32_e32 v16, v15, v42
	v_mul_f32_e32 v7, v40, v7
	v_sub_f32_e32 v16, v41, v16
	v_add_f32_e32 v7, v16, v7
	v_add_f32_e32 v16, v15, v7
	v_mul_f32_e32 v19, v16, v16
	v_mov_b32_e32 v18, 0x3ecc95a3
	v_fmac_f32_e32 v18, 0x3e9b6dac, v19
	v_mov_b32_e32 v17, 0x3f2aaada
	v_fmac_f32_e32 v17, v19, v18
	v_cvt_f32_i32_e32 v18, v20
	v_sub_f32_e32 v15, v16, v15
	v_ldexp_f32 v37, v16, 1
	v_mul_f32_e32 v19, v16, v19
	v_mov_b32_e32 v16, 0x3f317218
	s_mov_b32 s12, 0x3f317218
	v_pk_mul_f32 v[16:17], v[18:19], v[16:17]
	v_fma_f32 v36, v18, s12, -v16
	v_fmac_f32_e32 v36, 0xb102e308, v18
	v_pk_add_f32 v[18:19], v[16:17], v[36:37]
	v_sub_f32_e32 v7, v7, v15
	v_sub_f32_e32 v15, v19, v37
	v_ldexp_f32 v7, v7, 1
	v_sub_f32_e32 v15, v17, v15
	v_add_f32_e32 v39, v7, v15
	v_mov_b32_e32 v38, v16
	v_pk_add_f32 v[16:17], v[18:19], v[16:17] neg_lo:[0,1] neg_hi:[0,1]
	v_pk_add_f32 v[40:41], v[18:19], v[38:39]
	v_mov_b32_e32 v17, v41
	v_mov_b32_e32 v37, v18
	v_pk_add_f32 v[42:43], v[36:37], v[16:17] neg_lo:[0,1] neg_hi:[0,1]
	v_pk_add_f32 v[16:17], v[36:37], v[16:17]
	v_mov_b32_e32 v20, v17
	v_pk_add_f32 v[36:37], v[20:21], v[18:19] neg_lo:[0,1] neg_hi:[0,1]
	v_mov_b32_e32 v7, v36
	v_pk_add_f32 v[44:45], v[40:41], v[6:7] neg_lo:[0,1] neg_hi:[0,1]
	v_mov_b32_e32 v16, v41
	v_mov_b32_e32 v40, v19
	;; [unrolled: 1-line block ×4, first 2 shown]
	v_pk_add_f32 v[16:17], v[16:17], v[40:41] neg_lo:[0,1] neg_hi:[0,1]
	v_mov_b32_e32 v36, v39
	v_mov_b32_e32 v37, v18
	v_pk_add_f32 v[16:17], v[36:37], v[16:17] neg_lo:[0,1] neg_hi:[0,1]
	v_mov_b32_e32 v44, v42
	v_pk_add_f32 v[18:19], v[44:45], v[16:17]
	v_mov_b32_e32 v36, v19
	v_pk_add_f32 v[36:37], v[18:19], v[36:37]
	v_pk_add_f32 v[38:39], v[20:21], v[36:37]
	v_mov_b32_e32 v19, v38
	v_pk_add_f32 v[40:41], v[18:19], v[42:43] neg_lo:[0,1] neg_hi:[0,1]
	v_mov_b32_e32 v17, v36
	v_sub_f32_e32 v7, v18, v40
	v_pk_add_f32 v[16:17], v[16:17], v[40:41] neg_lo:[0,1] neg_hi:[0,1]
	v_sub_f32_e32 v7, v42, v7
	v_add_f32_e32 v7, v16, v7
	v_cmp_eq_f32_e64 s[12:13], s16, v13
	s_mov_b32 s16, 0x33800000
	v_add_f32_e32 v7, v7, v17
	v_cmp_lt_f32_e64 s[16:17], |v13|, s16
	v_add_f32_e32 v7, v38, v7
	s_or_b64 s[12:13], s[12:13], s[16:17]
	v_cndmask_b32_e64 v7, v7, v13, s[12:13]
	v_add_f32_e32 v36, v6, v7
.LBB136_218:
	s_or_b64 exec, exec, s[14:15]
	v_max_f32_e32 v13, v29, v29
	v_max_f32_e32 v6, v36, v36
	v_min_f32_e32 v7, v6, v13
	v_cmp_u_f32_e64 s[14:15], v36, v36
	v_max_f32_e32 v6, v6, v13
	v_cndmask_b32_e64 v7, v7, v36, s[14:15]
	v_cmp_u_f32_e64 s[12:13], v29, v29
	v_cndmask_b32_e64 v6, v6, v36, s[14:15]
	v_cndmask_b32_e64 v7, v7, v29, s[12:13]
	v_cndmask_b32_e64 v6, v6, v29, s[12:13]
	s_movk_i32 s18, 0x1f8
	v_cmp_neq_f32_e64 s[14:15], v7, v6
	v_cmp_class_f32_e64 s[16:17], v7, s18
	s_or_b64 s[14:15], s[14:15], s[16:17]
	s_and_saveexec_b64 s[16:17], s[14:15]
	s_cbranch_execz .LBB136_220
; %bb.219:
	v_sub_f32_e32 v7, v7, v6
	s_mov_b32 s14, 0x3fb8aa3b
	v_mul_f32_e32 v15, 0x3fb8aa3b, v7
	v_fma_f32 v16, v7, s14, -v15
	v_rndne_f32_e32 v17, v15
	v_fmac_f32_e32 v16, 0x32a5705f, v7
	v_sub_f32_e32 v15, v15, v17
	v_add_f32_e32 v15, v15, v16
	v_exp_f32_e32 v15, v15
	v_cvt_i32_f32_e32 v16, v17
	s_mov_b32 s14, 0xc2ce8ed0
	v_cmp_ngt_f32_e64 s[14:15], s14, v7
	s_mov_b32 s19, 0x7f800000
	v_ldexp_f32 v15, v15, v16
	v_cndmask_b32_e64 v15, 0, v15, s[14:15]
	s_mov_b32 s14, 0x42b17218
	v_mov_b32_e32 v16, 0x7f800000
	v_cmp_nlt_f32_e64 s[14:15], s14, v7
	v_cndmask_b32_e64 v15, v16, v15, s[14:15]
	v_add_f32_e32 v7, 1.0, v15
	v_add_f32_e32 v16, -1.0, v7
	v_sub_f32_e32 v17, v16, v7
	v_add_f32_e32 v17, 1.0, v17
	v_sub_f32_e32 v16, v15, v16
	v_add_f32_e32 v18, v16, v17
	v_frexp_mant_f32_e32 v19, v7
	s_mov_b32 s14, 0x3f2aaaab
	v_cvt_f64_f32_e32 v[16:17], v7
	v_frexp_exp_i32_f64_e32 v16, v[16:17]
	v_cmp_gt_f32_e64 s[14:15], s14, v19
	v_subbrev_co_u32_e64 v20, s[14:15], 0, v16, s[14:15]
	v_sub_u32_e32 v16, 0, v20
	v_ldexp_f32 v7, v7, v16
	v_ldexp_f32 v16, v18, v16
	v_add_f32_e32 v18, -1.0, v7
	v_add_f32_e32 v17, 1.0, v18
	v_sub_f32_e32 v17, v7, v17
	v_add_f32_e32 v19, v16, v17
	v_add_f32_e32 v17, 1.0, v7
	v_add_f32_e32 v36, -1.0, v17
	v_sub_f32_e32 v7, v7, v36
	v_add_f32_e32 v7, v16, v7
	v_add_f32_e32 v40, v17, v7
	v_rcp_f32_e32 v41, v40
	v_sub_f32_e32 v16, v17, v40
	v_add_f32_e32 v17, v18, v19
	v_add_f32_e32 v7, v7, v16
	v_mul_f32_e32 v43, v17, v41
	v_sub_f32_e32 v16, v18, v17
	v_mul_f32_e32 v18, v40, v43
	v_fma_f32 v36, v43, v40, -v18
	v_fmac_f32_e32 v36, v43, v7
	v_add_f32_e32 v42, v19, v16
	v_add_f32_e32 v16, v18, v36
	v_sub_f32_e32 v19, v17, v16
	v_pk_add_f32 v[38:39], v[16:17], v[18:19] neg_lo:[0,1] neg_hi:[0,1]
	v_mov_b32_e32 v37, v16
	v_pk_add_f32 v[16:17], v[38:39], v[36:37] neg_lo:[0,1] neg_hi:[0,1]
	v_add_f32_e32 v17, v42, v17
	v_add_f32_e32 v16, v16, v17
	;; [unrolled: 1-line block ×3, first 2 shown]
	v_mul_f32_e32 v42, v41, v17
	v_mul_f32_e32 v18, v40, v42
	v_fma_f32 v36, v42, v40, -v18
	v_fmac_f32_e32 v36, v42, v7
	v_sub_f32_e32 v7, v19, v17
	v_add_f32_e32 v7, v16, v7
	v_add_f32_e32 v16, v18, v36
	v_sub_f32_e32 v19, v17, v16
	v_pk_add_f32 v[38:39], v[16:17], v[18:19] neg_lo:[0,1] neg_hi:[0,1]
	v_mov_b32_e32 v37, v16
	v_pk_add_f32 v[16:17], v[38:39], v[36:37] neg_lo:[0,1] neg_hi:[0,1]
	v_add_f32_e32 v7, v7, v17
	v_add_f32_e32 v7, v16, v7
	;; [unrolled: 1-line block ×4, first 2 shown]
	v_sub_f32_e32 v17, v16, v43
	v_mul_f32_e32 v7, v41, v7
	v_sub_f32_e32 v17, v42, v17
	v_add_f32_e32 v7, v17, v7
	v_add_f32_e32 v19, v16, v7
	v_mul_f32_e32 v36, v19, v19
	v_mov_b32_e32 v18, 0x3ecc95a3
	v_fmac_f32_e32 v18, 0x3e9b6dac, v36
	v_mov_b32_e32 v17, 0x3f2aaada
	v_fmac_f32_e32 v17, v36, v18
	v_cvt_f32_i32_e32 v18, v20
	v_sub_f32_e32 v16, v19, v16
	v_sub_f32_e32 v7, v7, v16
	v_ldexp_f32 v37, v19, 1
	v_mul_f32_e32 v19, v19, v36
	v_mov_b32_e32 v16, 0x3f317218
	s_mov_b32 s14, 0x3f317218
	v_pk_mul_f32 v[16:17], v[18:19], v[16:17]
	v_fma_f32 v36, v18, s14, -v16
	v_fmac_f32_e32 v36, 0xb102e308, v18
	v_pk_add_f32 v[18:19], v[16:17], v[36:37]
	v_sub_f32_e32 v20, v19, v37
	v_ldexp_f32 v7, v7, 1
	v_sub_f32_e32 v20, v17, v20
	v_add_f32_e32 v39, v7, v20
	v_mov_b32_e32 v38, v16
	v_pk_add_f32 v[16:17], v[18:19], v[16:17] neg_lo:[0,1] neg_hi:[0,1]
	v_pk_add_f32 v[40:41], v[18:19], v[38:39]
	v_mov_b32_e32 v17, v41
	v_mov_b32_e32 v37, v18
	v_pk_add_f32 v[42:43], v[36:37], v[16:17] neg_lo:[0,1] neg_hi:[0,1]
	v_pk_add_f32 v[16:17], v[36:37], v[16:17]
	v_mov_b32_e32 v20, v17
	v_pk_add_f32 v[36:37], v[20:21], v[18:19] neg_lo:[0,1] neg_hi:[0,1]
	v_mov_b32_e32 v7, v36
	v_pk_add_f32 v[44:45], v[40:41], v[6:7] neg_lo:[0,1] neg_hi:[0,1]
	v_mov_b32_e32 v16, v41
	v_mov_b32_e32 v40, v19
	;; [unrolled: 1-line block ×4, first 2 shown]
	v_pk_add_f32 v[16:17], v[16:17], v[40:41] neg_lo:[0,1] neg_hi:[0,1]
	v_mov_b32_e32 v36, v39
	v_mov_b32_e32 v37, v18
	v_pk_add_f32 v[16:17], v[36:37], v[16:17] neg_lo:[0,1] neg_hi:[0,1]
	v_mov_b32_e32 v44, v42
	v_pk_add_f32 v[18:19], v[44:45], v[16:17]
	v_mov_b32_e32 v36, v19
	v_pk_add_f32 v[36:37], v[18:19], v[36:37]
	v_pk_add_f32 v[38:39], v[20:21], v[36:37]
	v_mov_b32_e32 v19, v38
	v_pk_add_f32 v[40:41], v[18:19], v[42:43] neg_lo:[0,1] neg_hi:[0,1]
	v_mov_b32_e32 v17, v36
	v_sub_f32_e32 v7, v18, v40
	v_pk_add_f32 v[16:17], v[16:17], v[40:41] neg_lo:[0,1] neg_hi:[0,1]
	v_sub_f32_e32 v7, v42, v7
	v_add_f32_e32 v7, v16, v7
	v_cmp_eq_f32_e64 s[14:15], s19, v15
	s_mov_b32 s19, 0x33800000
	v_add_f32_e32 v7, v7, v17
	v_cmp_lt_f32_e64 s[20:21], |v15|, s19
	v_add_f32_e32 v7, v38, v7
	s_or_b64 s[14:15], s[14:15], s[20:21]
	v_cndmask_b32_e64 v7, v7, v15, s[14:15]
	v_add_f32_e32 v36, v6, v7
.LBB136_220:
	s_or_b64 exec, exec, s[16:17]
	v_max_f32_e32 v15, v22, v22
	v_max_f32_e32 v6, v36, v36
	v_min_f32_e32 v7, v6, v15
	v_cmp_u_f32_e64 s[16:17], v36, v36
	v_max_f32_e32 v6, v6, v15
	v_cndmask_b32_e64 v7, v7, v36, s[16:17]
	v_cmp_u_f32_e64 s[14:15], v22, v22
	v_cndmask_b32_e64 v6, v6, v36, s[16:17]
	v_cndmask_b32_e64 v7, v7, v22, s[14:15]
	;; [unrolled: 1-line block ×3, first 2 shown]
	v_cmp_neq_f32_e64 s[16:17], v7, v6
	v_cmp_class_f32_e64 s[18:19], v7, s18
	s_or_b64 s[16:17], s[16:17], s[18:19]
	s_and_saveexec_b64 s[18:19], s[16:17]
	s_cbranch_execz .LBB136_222
; %bb.221:
	v_sub_f32_e32 v7, v7, v6
	s_mov_b32 s16, 0x3fb8aa3b
	v_mul_f32_e32 v16, 0x3fb8aa3b, v7
	v_fma_f32 v17, v7, s16, -v16
	v_rndne_f32_e32 v18, v16
	v_fmac_f32_e32 v17, 0x32a5705f, v7
	v_sub_f32_e32 v16, v16, v18
	v_add_f32_e32 v16, v16, v17
	v_exp_f32_e32 v16, v16
	v_cvt_i32_f32_e32 v17, v18
	s_mov_b32 s16, 0xc2ce8ed0
	v_cmp_ngt_f32_e64 s[16:17], s16, v7
	s_mov_b32 s20, 0x7f800000
	v_ldexp_f32 v16, v16, v17
	v_cndmask_b32_e64 v16, 0, v16, s[16:17]
	s_mov_b32 s16, 0x42b17218
	v_mov_b32_e32 v17, 0x7f800000
	v_cmp_nlt_f32_e64 s[16:17], s16, v7
	v_cndmask_b32_e64 v46, v17, v16, s[16:17]
	v_add_f32_e32 v7, 1.0, v46
	v_add_f32_e32 v16, -1.0, v7
	v_sub_f32_e32 v17, v16, v7
	v_add_f32_e32 v17, 1.0, v17
	v_sub_f32_e32 v16, v46, v16
	v_add_f32_e32 v18, v16, v17
	v_frexp_mant_f32_e32 v19, v7
	s_mov_b32 s16, 0x3f2aaaab
	v_cvt_f64_f32_e32 v[16:17], v7
	v_frexp_exp_i32_f64_e32 v16, v[16:17]
	v_cmp_gt_f32_e64 s[16:17], s16, v19
	v_subbrev_co_u32_e64 v20, s[16:17], 0, v16, s[16:17]
	v_sub_u32_e32 v16, 0, v20
	v_ldexp_f32 v7, v7, v16
	v_ldexp_f32 v16, v18, v16
	v_add_f32_e32 v18, -1.0, v7
	v_add_f32_e32 v17, 1.0, v18
	v_sub_f32_e32 v17, v7, v17
	v_add_f32_e32 v19, v16, v17
	v_add_f32_e32 v17, 1.0, v7
	v_add_f32_e32 v36, -1.0, v17
	v_sub_f32_e32 v7, v7, v36
	v_add_f32_e32 v7, v16, v7
	v_add_f32_e32 v40, v17, v7
	v_rcp_f32_e32 v41, v40
	v_sub_f32_e32 v16, v17, v40
	v_add_f32_e32 v17, v18, v19
	v_add_f32_e32 v7, v7, v16
	v_mul_f32_e32 v43, v17, v41
	v_sub_f32_e32 v16, v18, v17
	v_mul_f32_e32 v18, v40, v43
	v_fma_f32 v36, v43, v40, -v18
	v_fmac_f32_e32 v36, v43, v7
	v_add_f32_e32 v42, v19, v16
	v_add_f32_e32 v16, v18, v36
	v_sub_f32_e32 v19, v17, v16
	v_pk_add_f32 v[38:39], v[16:17], v[18:19] neg_lo:[0,1] neg_hi:[0,1]
	v_mov_b32_e32 v37, v16
	v_pk_add_f32 v[16:17], v[38:39], v[36:37] neg_lo:[0,1] neg_hi:[0,1]
	v_add_f32_e32 v17, v42, v17
	v_add_f32_e32 v16, v16, v17
	;; [unrolled: 1-line block ×3, first 2 shown]
	v_mul_f32_e32 v42, v41, v17
	v_mul_f32_e32 v18, v40, v42
	v_fma_f32 v36, v42, v40, -v18
	v_fmac_f32_e32 v36, v42, v7
	v_sub_f32_e32 v7, v19, v17
	v_add_f32_e32 v7, v16, v7
	v_add_f32_e32 v16, v18, v36
	v_sub_f32_e32 v19, v17, v16
	v_pk_add_f32 v[38:39], v[16:17], v[18:19] neg_lo:[0,1] neg_hi:[0,1]
	v_mov_b32_e32 v37, v16
	v_pk_add_f32 v[16:17], v[38:39], v[36:37] neg_lo:[0,1] neg_hi:[0,1]
	v_add_f32_e32 v7, v7, v17
	v_add_f32_e32 v7, v16, v7
	;; [unrolled: 1-line block ×4, first 2 shown]
	v_sub_f32_e32 v17, v16, v43
	v_mul_f32_e32 v7, v41, v7
	v_sub_f32_e32 v17, v42, v17
	v_add_f32_e32 v7, v17, v7
	v_add_f32_e32 v19, v16, v7
	v_mul_f32_e32 v36, v19, v19
	v_mov_b32_e32 v18, 0x3ecc95a3
	v_fmac_f32_e32 v18, 0x3e9b6dac, v36
	v_mov_b32_e32 v17, 0x3f2aaada
	v_fmac_f32_e32 v17, v36, v18
	v_cvt_f32_i32_e32 v18, v20
	v_sub_f32_e32 v16, v19, v16
	v_sub_f32_e32 v7, v7, v16
	v_ldexp_f32 v37, v19, 1
	v_mul_f32_e32 v19, v19, v36
	v_mov_b32_e32 v16, 0x3f317218
	s_mov_b32 s16, 0x3f317218
	v_pk_mul_f32 v[16:17], v[18:19], v[16:17]
	v_fma_f32 v36, v18, s16, -v16
	v_fmac_f32_e32 v36, 0xb102e308, v18
	v_pk_add_f32 v[18:19], v[16:17], v[36:37]
	v_sub_f32_e32 v20, v19, v37
	v_ldexp_f32 v7, v7, 1
	v_sub_f32_e32 v20, v17, v20
	v_add_f32_e32 v39, v7, v20
	v_mov_b32_e32 v38, v16
	v_pk_add_f32 v[16:17], v[18:19], v[16:17] neg_lo:[0,1] neg_hi:[0,1]
	v_pk_add_f32 v[40:41], v[18:19], v[38:39]
	v_mov_b32_e32 v17, v41
	v_mov_b32_e32 v37, v18
	v_pk_add_f32 v[42:43], v[36:37], v[16:17] neg_lo:[0,1] neg_hi:[0,1]
	v_pk_add_f32 v[16:17], v[36:37], v[16:17]
	v_mov_b32_e32 v20, v17
	v_pk_add_f32 v[36:37], v[20:21], v[18:19] neg_lo:[0,1] neg_hi:[0,1]
	v_mov_b32_e32 v7, v36
	v_pk_add_f32 v[44:45], v[40:41], v[6:7] neg_lo:[0,1] neg_hi:[0,1]
	v_mov_b32_e32 v16, v41
	v_mov_b32_e32 v40, v19
	;; [unrolled: 1-line block ×4, first 2 shown]
	v_pk_add_f32 v[16:17], v[16:17], v[40:41] neg_lo:[0,1] neg_hi:[0,1]
	v_mov_b32_e32 v36, v39
	v_mov_b32_e32 v37, v18
	v_pk_add_f32 v[16:17], v[36:37], v[16:17] neg_lo:[0,1] neg_hi:[0,1]
	v_mov_b32_e32 v44, v42
	v_pk_add_f32 v[18:19], v[44:45], v[16:17]
	v_mov_b32_e32 v36, v19
	v_pk_add_f32 v[36:37], v[18:19], v[36:37]
	v_pk_add_f32 v[38:39], v[20:21], v[36:37]
	v_mov_b32_e32 v19, v38
	v_pk_add_f32 v[40:41], v[18:19], v[42:43] neg_lo:[0,1] neg_hi:[0,1]
	v_mov_b32_e32 v17, v36
	v_sub_f32_e32 v7, v18, v40
	v_pk_add_f32 v[16:17], v[16:17], v[40:41] neg_lo:[0,1] neg_hi:[0,1]
	v_sub_f32_e32 v7, v42, v7
	v_add_f32_e32 v7, v16, v7
	v_cmp_eq_f32_e64 s[16:17], s20, v46
	s_mov_b32 s20, 0x33800000
	v_add_f32_e32 v7, v7, v17
	v_cmp_lt_f32_e64 s[20:21], |v46|, s20
	v_add_f32_e32 v7, v38, v7
	s_or_b64 s[16:17], s[16:17], s[20:21]
	v_cndmask_b32_e64 v7, v7, v46, s[16:17]
	v_add_f32_e32 v36, v6, v7
.LBB136_222:
	s_or_b64 exec, exec, s[18:19]
	v_max_f32_e32 v16, v23, v23
	v_max_f32_e32 v6, v36, v36
	v_min_f32_e32 v7, v6, v16
	v_cmp_u_f32_e64 s[18:19], v36, v36
	v_max_f32_e32 v6, v6, v16
	v_cndmask_b32_e64 v7, v7, v36, s[18:19]
	v_cmp_u_f32_e64 s[16:17], v23, v23
	v_cndmask_b32_e64 v6, v6, v36, s[18:19]
	v_cndmask_b32_e64 v7, v7, v23, s[16:17]
	;; [unrolled: 1-line block ×3, first 2 shown]
	s_movk_i32 s22, 0x1f8
	v_cmp_neq_f32_e64 s[18:19], v7, v6
	v_cmp_class_f32_e64 s[20:21], v7, s22
	s_or_b64 s[18:19], s[18:19], s[20:21]
	s_and_saveexec_b64 s[20:21], s[18:19]
	s_cbranch_execz .LBB136_224
; %bb.223:
	v_sub_f32_e32 v7, v7, v6
	s_mov_b32 s18, 0x3fb8aa3b
	v_mul_f32_e32 v17, 0x3fb8aa3b, v7
	v_fma_f32 v18, v7, s18, -v17
	v_rndne_f32_e32 v19, v17
	v_fmac_f32_e32 v18, 0x32a5705f, v7
	v_sub_f32_e32 v17, v17, v19
	v_add_f32_e32 v17, v17, v18
	v_exp_f32_e32 v17, v17
	v_cvt_i32_f32_e32 v18, v19
	s_mov_b32 s18, 0xc2ce8ed0
	v_cmp_ngt_f32_e64 s[18:19], s18, v7
	s_mov_b32 s23, 0x7f800000
	v_ldexp_f32 v17, v17, v18
	v_cndmask_b32_e64 v17, 0, v17, s[18:19]
	s_mov_b32 s18, 0x42b17218
	v_mov_b32_e32 v18, 0x7f800000
	v_cmp_nlt_f32_e64 s[18:19], s18, v7
	v_cndmask_b32_e64 v17, v18, v17, s[18:19]
	v_add_f32_e32 v7, 1.0, v17
	v_add_f32_e32 v18, -1.0, v7
	v_sub_f32_e32 v19, v18, v7
	v_add_f32_e32 v19, 1.0, v19
	v_sub_f32_e32 v18, v17, v18
	v_add_f32_e32 v20, v18, v19
	v_frexp_mant_f32_e32 v36, v7
	s_mov_b32 s18, 0x3f2aaaab
	v_cvt_f64_f32_e32 v[18:19], v7
	v_frexp_exp_i32_f64_e32 v18, v[18:19]
	v_cmp_gt_f32_e64 s[18:19], s18, v36
	v_subbrev_co_u32_e64 v42, s[18:19], 0, v18, s[18:19]
	v_sub_u32_e32 v18, 0, v42
	v_ldexp_f32 v7, v7, v18
	v_ldexp_f32 v18, v20, v18
	v_add_f32_e32 v20, -1.0, v7
	v_add_f32_e32 v19, 1.0, v20
	v_sub_f32_e32 v19, v7, v19
	v_add_f32_e32 v36, v18, v19
	v_add_f32_e32 v19, 1.0, v7
	v_add_f32_e32 v37, -1.0, v19
	v_sub_f32_e32 v7, v7, v37
	v_add_f32_e32 v7, v18, v7
	v_add_f32_e32 v43, v19, v7
	v_rcp_f32_e32 v44, v43
	v_sub_f32_e32 v18, v19, v43
	v_add_f32_e32 v19, v20, v36
	v_add_f32_e32 v7, v7, v18
	v_sub_f32_e32 v18, v20, v19
	v_mul_f32_e32 v45, v19, v44
	v_add_f32_e32 v20, v36, v18
	v_mul_f32_e32 v36, v43, v45
	v_fma_f32 v38, v45, v43, -v36
	v_fmac_f32_e32 v38, v45, v7
	v_add_f32_e32 v18, v36, v38
	v_sub_f32_e32 v37, v19, v18
	v_pk_add_f32 v[40:41], v[18:19], v[36:37] neg_lo:[0,1] neg_hi:[0,1]
	v_mov_b32_e32 v39, v18
	v_pk_add_f32 v[18:19], v[40:41], v[38:39] neg_lo:[0,1] neg_hi:[0,1]
	v_add_f32_e32 v19, v20, v19
	v_add_f32_e32 v18, v18, v19
	;; [unrolled: 1-line block ×3, first 2 shown]
	v_mul_f32_e32 v20, v44, v19
	v_mul_f32_e32 v36, v43, v20
	v_fma_f32 v38, v20, v43, -v36
	v_fmac_f32_e32 v38, v20, v7
	v_sub_f32_e32 v7, v37, v19
	v_add_f32_e32 v7, v18, v7
	v_add_f32_e32 v18, v36, v38
	v_sub_f32_e32 v37, v19, v18
	v_pk_add_f32 v[40:41], v[18:19], v[36:37] neg_lo:[0,1] neg_hi:[0,1]
	v_mov_b32_e32 v39, v18
	v_pk_add_f32 v[18:19], v[40:41], v[38:39] neg_lo:[0,1] neg_hi:[0,1]
	v_add_f32_e32 v7, v7, v19
	v_add_f32_e32 v7, v18, v7
	;; [unrolled: 1-line block ×4, first 2 shown]
	v_sub_f32_e32 v19, v18, v45
	v_mul_f32_e32 v7, v44, v7
	v_sub_f32_e32 v19, v20, v19
	v_add_f32_e32 v7, v19, v7
	v_add_f32_e32 v20, v18, v7
	v_mul_f32_e32 v37, v20, v20
	v_mov_b32_e32 v36, 0x3ecc95a3
	v_fmac_f32_e32 v36, 0x3e9b6dac, v37
	v_mov_b32_e32 v19, 0x3f2aaada
	v_fmac_f32_e32 v19, v37, v36
	v_cvt_f32_i32_e32 v36, v42
	v_sub_f32_e32 v18, v20, v18
	v_sub_f32_e32 v7, v7, v18
	v_mul_f32_e32 v37, v20, v37
	v_mov_b32_e32 v18, 0x3f317218
	s_mov_b32 s18, 0x3f317218
	v_pk_mul_f32 v[18:19], v[36:37], v[18:19]
	v_fma_f32 v38, v36, s18, -v18
	v_ldexp_f32 v39, v20, 1
	v_fmac_f32_e32 v38, 0xb102e308, v36
	v_pk_add_f32 v[36:37], v[18:19], v[38:39]
	v_sub_f32_e32 v20, v37, v39
	v_ldexp_f32 v7, v7, 1
	v_sub_f32_e32 v20, v19, v20
	v_add_f32_e32 v41, v7, v20
	v_mov_b32_e32 v40, v18
	v_pk_add_f32 v[18:19], v[36:37], v[18:19] neg_lo:[0,1] neg_hi:[0,1]
	v_pk_add_f32 v[42:43], v[36:37], v[40:41]
	v_mov_b32_e32 v19, v43
	v_mov_b32_e32 v39, v36
	v_pk_add_f32 v[44:45], v[38:39], v[18:19] neg_lo:[0,1] neg_hi:[0,1]
	v_pk_add_f32 v[18:19], v[38:39], v[18:19]
	v_mov_b32_e32 v20, v19
	v_pk_add_f32 v[38:39], v[20:21], v[36:37] neg_lo:[0,1] neg_hi:[0,1]
	v_mov_b32_e32 v7, v38
	v_pk_add_f32 v[46:47], v[42:43], v[6:7] neg_lo:[0,1] neg_hi:[0,1]
	v_mov_b32_e32 v18, v43
	v_mov_b32_e32 v42, v37
	v_mov_b32_e32 v43, v38
	v_mov_b32_e32 v45, v19
	v_pk_add_f32 v[18:19], v[18:19], v[42:43] neg_lo:[0,1] neg_hi:[0,1]
	v_mov_b32_e32 v38, v41
	v_mov_b32_e32 v39, v36
	v_pk_add_f32 v[18:19], v[38:39], v[18:19] neg_lo:[0,1] neg_hi:[0,1]
	v_mov_b32_e32 v46, v44
	v_pk_add_f32 v[36:37], v[46:47], v[18:19]
	v_mov_b32_e32 v38, v37
	v_pk_add_f32 v[38:39], v[36:37], v[38:39]
	v_pk_add_f32 v[40:41], v[20:21], v[38:39]
	v_mov_b32_e32 v37, v40
	v_pk_add_f32 v[42:43], v[36:37], v[44:45] neg_lo:[0,1] neg_hi:[0,1]
	v_mov_b32_e32 v19, v38
	v_sub_f32_e32 v7, v36, v42
	v_pk_add_f32 v[18:19], v[18:19], v[42:43] neg_lo:[0,1] neg_hi:[0,1]
	v_sub_f32_e32 v7, v44, v7
	v_add_f32_e32 v7, v18, v7
	v_cmp_eq_f32_e64 s[18:19], s23, v17
	s_mov_b32 s23, 0x33800000
	v_add_f32_e32 v7, v7, v19
	v_cmp_lt_f32_e64 s[24:25], |v17|, s23
	v_add_f32_e32 v7, v40, v7
	s_or_b64 s[18:19], s[18:19], s[24:25]
	v_cndmask_b32_e64 v7, v7, v17, s[18:19]
	v_add_f32_e32 v36, v6, v7
.LBB136_224:
	s_or_b64 exec, exec, s[20:21]
	v_max_f32_e32 v17, v24, v24
	v_max_f32_e32 v6, v36, v36
	v_min_f32_e32 v7, v6, v17
	v_cmp_u_f32_e64 s[20:21], v36, v36
	v_max_f32_e32 v6, v6, v17
	v_cndmask_b32_e64 v7, v7, v36, s[20:21]
	v_cmp_u_f32_e64 s[18:19], v24, v24
	v_cndmask_b32_e64 v6, v6, v36, s[20:21]
	v_cndmask_b32_e64 v7, v7, v24, s[18:19]
	;; [unrolled: 1-line block ×3, first 2 shown]
	v_cmp_neq_f32_e64 s[20:21], v7, v6
	v_cmp_class_f32_e64 s[22:23], v7, s22
	s_or_b64 s[20:21], s[20:21], s[22:23]
	s_and_saveexec_b64 s[22:23], s[20:21]
	s_cbranch_execz .LBB136_226
; %bb.225:
	v_sub_f32_e32 v7, v7, v6
	s_mov_b32 s20, 0x3fb8aa3b
	v_mul_f32_e32 v18, 0x3fb8aa3b, v7
	v_fma_f32 v19, v7, s20, -v18
	v_rndne_f32_e32 v20, v18
	v_fmac_f32_e32 v19, 0x32a5705f, v7
	v_sub_f32_e32 v18, v18, v20
	v_add_f32_e32 v18, v18, v19
	v_exp_f32_e32 v18, v18
	v_cvt_i32_f32_e32 v19, v20
	s_mov_b32 s20, 0xc2ce8ed0
	v_cmp_ngt_f32_e64 s[20:21], s20, v7
	s_mov_b32 s24, 0x7f800000
	v_ldexp_f32 v18, v18, v19
	v_cndmask_b32_e64 v18, 0, v18, s[20:21]
	s_mov_b32 s20, 0x42b17218
	v_mov_b32_e32 v19, 0x7f800000
	v_cmp_nlt_f32_e64 s[20:21], s20, v7
	v_cndmask_b32_e64 v48, v19, v18, s[20:21]
	v_add_f32_e32 v7, 1.0, v48
	v_add_f32_e32 v18, -1.0, v7
	v_sub_f32_e32 v19, v18, v7
	v_add_f32_e32 v19, 1.0, v19
	v_sub_f32_e32 v18, v48, v18
	v_add_f32_e32 v20, v18, v19
	v_frexp_mant_f32_e32 v36, v7
	s_mov_b32 s20, 0x3f2aaaab
	v_cvt_f64_f32_e32 v[18:19], v7
	v_frexp_exp_i32_f64_e32 v18, v[18:19]
	v_cmp_gt_f32_e64 s[20:21], s20, v36
	v_subbrev_co_u32_e64 v42, s[20:21], 0, v18, s[20:21]
	v_sub_u32_e32 v18, 0, v42
	v_ldexp_f32 v7, v7, v18
	v_ldexp_f32 v18, v20, v18
	v_add_f32_e32 v20, -1.0, v7
	v_add_f32_e32 v19, 1.0, v20
	v_sub_f32_e32 v19, v7, v19
	v_add_f32_e32 v36, v18, v19
	v_add_f32_e32 v19, 1.0, v7
	v_add_f32_e32 v37, -1.0, v19
	v_sub_f32_e32 v7, v7, v37
	v_add_f32_e32 v7, v18, v7
	v_add_f32_e32 v43, v19, v7
	v_rcp_f32_e32 v44, v43
	v_sub_f32_e32 v18, v19, v43
	v_add_f32_e32 v19, v20, v36
	v_add_f32_e32 v7, v7, v18
	v_sub_f32_e32 v18, v20, v19
	v_mul_f32_e32 v45, v19, v44
	v_add_f32_e32 v20, v36, v18
	v_mul_f32_e32 v36, v43, v45
	v_fma_f32 v38, v45, v43, -v36
	v_fmac_f32_e32 v38, v45, v7
	v_add_f32_e32 v18, v36, v38
	v_sub_f32_e32 v37, v19, v18
	v_pk_add_f32 v[40:41], v[18:19], v[36:37] neg_lo:[0,1] neg_hi:[0,1]
	v_mov_b32_e32 v39, v18
	v_pk_add_f32 v[18:19], v[40:41], v[38:39] neg_lo:[0,1] neg_hi:[0,1]
	v_add_f32_e32 v19, v20, v19
	v_add_f32_e32 v18, v18, v19
	;; [unrolled: 1-line block ×3, first 2 shown]
	v_mul_f32_e32 v20, v44, v19
	v_mul_f32_e32 v36, v43, v20
	v_fma_f32 v38, v20, v43, -v36
	v_fmac_f32_e32 v38, v20, v7
	v_sub_f32_e32 v7, v37, v19
	v_add_f32_e32 v7, v18, v7
	v_add_f32_e32 v18, v36, v38
	v_sub_f32_e32 v37, v19, v18
	v_pk_add_f32 v[40:41], v[18:19], v[36:37] neg_lo:[0,1] neg_hi:[0,1]
	v_mov_b32_e32 v39, v18
	v_pk_add_f32 v[18:19], v[40:41], v[38:39] neg_lo:[0,1] neg_hi:[0,1]
	v_add_f32_e32 v7, v7, v19
	v_add_f32_e32 v7, v18, v7
	;; [unrolled: 1-line block ×4, first 2 shown]
	v_sub_f32_e32 v19, v18, v45
	v_mul_f32_e32 v7, v44, v7
	v_sub_f32_e32 v19, v20, v19
	v_add_f32_e32 v7, v19, v7
	v_add_f32_e32 v20, v18, v7
	v_mul_f32_e32 v37, v20, v20
	v_mov_b32_e32 v36, 0x3ecc95a3
	v_fmac_f32_e32 v36, 0x3e9b6dac, v37
	v_mov_b32_e32 v19, 0x3f2aaada
	v_fmac_f32_e32 v19, v37, v36
	v_cvt_f32_i32_e32 v36, v42
	v_sub_f32_e32 v18, v20, v18
	v_sub_f32_e32 v7, v7, v18
	v_mul_f32_e32 v37, v20, v37
	v_mov_b32_e32 v18, 0x3f317218
	s_mov_b32 s20, 0x3f317218
	v_pk_mul_f32 v[18:19], v[36:37], v[18:19]
	v_fma_f32 v38, v36, s20, -v18
	v_ldexp_f32 v39, v20, 1
	v_fmac_f32_e32 v38, 0xb102e308, v36
	v_pk_add_f32 v[36:37], v[18:19], v[38:39]
	v_sub_f32_e32 v20, v37, v39
	v_ldexp_f32 v7, v7, 1
	v_sub_f32_e32 v20, v19, v20
	v_add_f32_e32 v41, v7, v20
	v_mov_b32_e32 v40, v18
	v_pk_add_f32 v[18:19], v[36:37], v[18:19] neg_lo:[0,1] neg_hi:[0,1]
	v_pk_add_f32 v[42:43], v[36:37], v[40:41]
	v_mov_b32_e32 v19, v43
	v_mov_b32_e32 v39, v36
	v_pk_add_f32 v[44:45], v[38:39], v[18:19] neg_lo:[0,1] neg_hi:[0,1]
	v_pk_add_f32 v[18:19], v[38:39], v[18:19]
	v_mov_b32_e32 v20, v19
	v_pk_add_f32 v[38:39], v[20:21], v[36:37] neg_lo:[0,1] neg_hi:[0,1]
	v_mov_b32_e32 v7, v38
	v_pk_add_f32 v[46:47], v[42:43], v[6:7] neg_lo:[0,1] neg_hi:[0,1]
	v_mov_b32_e32 v18, v43
	v_mov_b32_e32 v42, v37
	;; [unrolled: 1-line block ×4, first 2 shown]
	v_pk_add_f32 v[18:19], v[18:19], v[42:43] neg_lo:[0,1] neg_hi:[0,1]
	v_mov_b32_e32 v38, v41
	v_mov_b32_e32 v39, v36
	v_pk_add_f32 v[18:19], v[38:39], v[18:19] neg_lo:[0,1] neg_hi:[0,1]
	v_mov_b32_e32 v46, v44
	v_pk_add_f32 v[36:37], v[46:47], v[18:19]
	v_mov_b32_e32 v38, v37
	v_pk_add_f32 v[38:39], v[36:37], v[38:39]
	v_pk_add_f32 v[40:41], v[20:21], v[38:39]
	v_mov_b32_e32 v37, v40
	v_pk_add_f32 v[42:43], v[36:37], v[44:45] neg_lo:[0,1] neg_hi:[0,1]
	v_mov_b32_e32 v19, v38
	v_sub_f32_e32 v7, v36, v42
	v_pk_add_f32 v[18:19], v[18:19], v[42:43] neg_lo:[0,1] neg_hi:[0,1]
	v_sub_f32_e32 v7, v44, v7
	v_add_f32_e32 v7, v18, v7
	v_cmp_eq_f32_e64 s[20:21], s24, v48
	s_mov_b32 s24, 0x33800000
	v_add_f32_e32 v7, v7, v19
	v_cmp_lt_f32_e64 s[24:25], |v48|, s24
	v_add_f32_e32 v7, v40, v7
	s_or_b64 s[20:21], s[20:21], s[24:25]
	v_cndmask_b32_e64 v7, v7, v48, s[20:21]
	v_add_f32_e32 v36, v6, v7
.LBB136_226:
	s_or_b64 exec, exec, s[22:23]
	v_max_f32_e32 v18, v25, v25
	v_max_f32_e32 v6, v36, v36
	v_min_f32_e32 v7, v6, v18
	v_cmp_u_f32_e64 s[22:23], v36, v36
	v_max_f32_e32 v6, v6, v18
	v_cndmask_b32_e64 v7, v7, v36, s[22:23]
	v_cmp_u_f32_e64 s[20:21], v25, v25
	v_cndmask_b32_e64 v6, v6, v36, s[22:23]
	v_cndmask_b32_e64 v7, v7, v25, s[20:21]
	;; [unrolled: 1-line block ×3, first 2 shown]
	s_movk_i32 s30, 0x1f8
	v_cmp_neq_f32_e64 s[22:23], v7, v6
	v_cmp_class_f32_e64 s[24:25], v7, s30
	s_or_b64 s[22:23], s[22:23], s[24:25]
	s_and_saveexec_b64 s[24:25], s[22:23]
	s_cbranch_execz .LBB136_228
; %bb.227:
	v_sub_f32_e32 v7, v7, v6
	s_mov_b32 s22, 0x3fb8aa3b
	v_mul_f32_e32 v19, 0x3fb8aa3b, v7
	v_fma_f32 v20, v7, s22, -v19
	v_rndne_f32_e32 v36, v19
	v_fmac_f32_e32 v20, 0x32a5705f, v7
	v_sub_f32_e32 v19, v19, v36
	v_add_f32_e32 v19, v19, v20
	v_exp_f32_e32 v19, v19
	v_cvt_i32_f32_e32 v20, v36
	s_mov_b32 s22, 0xc2ce8ed0
	v_cmp_ngt_f32_e64 s[22:23], s22, v7
	s_mov_b32 s31, 0x7f800000
	v_ldexp_f32 v19, v19, v20
	v_cndmask_b32_e64 v19, 0, v19, s[22:23]
	s_mov_b32 s22, 0x42b17218
	v_mov_b32_e32 v20, 0x7f800000
	v_cmp_nlt_f32_e64 s[22:23], s22, v7
	v_cndmask_b32_e64 v19, v20, v19, s[22:23]
	v_add_f32_e32 v7, 1.0, v19
	v_add_f32_e32 v20, -1.0, v7
	v_sub_f32_e32 v36, v20, v7
	v_add_f32_e32 v36, 1.0, v36
	v_sub_f32_e32 v20, v19, v20
	v_add_f32_e32 v20, v20, v36
	v_frexp_mant_f32_e32 v38, v7
	s_mov_b32 s22, 0x3f2aaaab
	v_cvt_f64_f32_e32 v[36:37], v7
	v_frexp_exp_i32_f64_e32 v36, v[36:37]
	v_cmp_gt_f32_e64 s[22:23], s22, v38
	v_subbrev_co_u32_e64 v44, s[22:23], 0, v36, s[22:23]
	v_sub_u32_e32 v36, 0, v44
	v_ldexp_f32 v7, v7, v36
	v_ldexp_f32 v20, v20, v36
	v_add_f32_e32 v36, -1.0, v7
	v_add_f32_e32 v37, 1.0, v36
	v_sub_f32_e32 v37, v7, v37
	v_add_f32_e32 v38, v20, v37
	v_add_f32_e32 v37, 1.0, v7
	v_add_f32_e32 v39, -1.0, v37
	v_sub_f32_e32 v7, v7, v39
	v_add_f32_e32 v7, v20, v7
	v_add_f32_e32 v20, v37, v7
	v_rcp_f32_e32 v45, v20
	v_sub_f32_e32 v37, v37, v20
	v_add_f32_e32 v7, v7, v37
	v_add_f32_e32 v37, v36, v38
	v_sub_f32_e32 v36, v36, v37
	v_mul_f32_e32 v47, v37, v45
	v_add_f32_e32 v46, v38, v36
	v_mul_f32_e32 v38, v20, v47
	v_fma_f32 v40, v47, v20, -v38
	v_fmac_f32_e32 v40, v47, v7
	v_add_f32_e32 v36, v38, v40
	v_sub_f32_e32 v39, v37, v36
	v_pk_add_f32 v[42:43], v[36:37], v[38:39] neg_lo:[0,1] neg_hi:[0,1]
	v_mov_b32_e32 v41, v36
	v_pk_add_f32 v[36:37], v[42:43], v[40:41] neg_lo:[0,1] neg_hi:[0,1]
	v_add_f32_e32 v37, v46, v37
	v_add_f32_e32 v36, v36, v37
	;; [unrolled: 1-line block ×3, first 2 shown]
	v_mul_f32_e32 v46, v45, v37
	v_mul_f32_e32 v38, v20, v46
	v_fma_f32 v40, v46, v20, -v38
	v_fmac_f32_e32 v40, v46, v7
	v_sub_f32_e32 v7, v39, v37
	v_add_f32_e32 v7, v36, v7
	v_add_f32_e32 v36, v38, v40
	v_sub_f32_e32 v39, v37, v36
	v_pk_add_f32 v[42:43], v[36:37], v[38:39] neg_lo:[0,1] neg_hi:[0,1]
	v_mov_b32_e32 v41, v36
	v_pk_add_f32 v[36:37], v[42:43], v[40:41] neg_lo:[0,1] neg_hi:[0,1]
	v_add_f32_e32 v7, v7, v37
	v_add_f32_e32 v7, v36, v7
	v_add_f32_e32 v20, v47, v46
	v_add_f32_e32 v7, v39, v7
	v_sub_f32_e32 v36, v20, v47
	v_mul_f32_e32 v7, v45, v7
	v_sub_f32_e32 v36, v46, v36
	v_add_f32_e32 v7, v36, v7
	v_add_f32_e32 v36, v20, v7
	v_mul_f32_e32 v39, v36, v36
	v_mov_b32_e32 v38, 0x3ecc95a3
	v_fmac_f32_e32 v38, 0x3e9b6dac, v39
	v_mov_b32_e32 v37, 0x3f2aaada
	v_fmac_f32_e32 v37, v39, v38
	v_cvt_f32_i32_e32 v38, v44
	v_sub_f32_e32 v20, v36, v20
	v_ldexp_f32 v41, v36, 1
	v_mul_f32_e32 v39, v36, v39
	v_mov_b32_e32 v36, 0x3f317218
	s_mov_b32 s22, 0x3f317218
	v_pk_mul_f32 v[36:37], v[38:39], v[36:37]
	v_fma_f32 v40, v38, s22, -v36
	v_fmac_f32_e32 v40, 0xb102e308, v38
	v_pk_add_f32 v[38:39], v[36:37], v[40:41]
	v_sub_f32_e32 v7, v7, v20
	v_sub_f32_e32 v20, v39, v41
	v_ldexp_f32 v7, v7, 1
	v_sub_f32_e32 v20, v37, v20
	v_add_f32_e32 v43, v7, v20
	v_mov_b32_e32 v42, v36
	v_pk_add_f32 v[36:37], v[38:39], v[36:37] neg_lo:[0,1] neg_hi:[0,1]
	v_pk_add_f32 v[44:45], v[38:39], v[42:43]
	v_mov_b32_e32 v37, v45
	v_mov_b32_e32 v41, v38
	v_pk_add_f32 v[46:47], v[40:41], v[36:37] neg_lo:[0,1] neg_hi:[0,1]
	v_pk_add_f32 v[36:37], v[40:41], v[36:37]
	v_mov_b32_e32 v20, v37
	v_pk_add_f32 v[40:41], v[20:21], v[38:39] neg_lo:[0,1] neg_hi:[0,1]
	v_mov_b32_e32 v7, v40
	v_pk_add_f32 v[48:49], v[44:45], v[6:7] neg_lo:[0,1] neg_hi:[0,1]
	v_mov_b32_e32 v36, v45
	v_mov_b32_e32 v44, v39
	;; [unrolled: 1-line block ×4, first 2 shown]
	v_pk_add_f32 v[36:37], v[36:37], v[44:45] neg_lo:[0,1] neg_hi:[0,1]
	v_mov_b32_e32 v40, v43
	v_mov_b32_e32 v41, v38
	v_pk_add_f32 v[36:37], v[40:41], v[36:37] neg_lo:[0,1] neg_hi:[0,1]
	v_mov_b32_e32 v48, v46
	v_pk_add_f32 v[38:39], v[48:49], v[36:37]
	v_mov_b32_e32 v40, v39
	v_pk_add_f32 v[40:41], v[38:39], v[40:41]
	v_pk_add_f32 v[42:43], v[20:21], v[40:41]
	v_mov_b32_e32 v39, v42
	v_pk_add_f32 v[44:45], v[38:39], v[46:47] neg_lo:[0,1] neg_hi:[0,1]
	v_mov_b32_e32 v37, v40
	v_sub_f32_e32 v7, v38, v44
	v_pk_add_f32 v[36:37], v[36:37], v[44:45] neg_lo:[0,1] neg_hi:[0,1]
	v_sub_f32_e32 v7, v46, v7
	v_add_f32_e32 v7, v36, v7
	v_cmp_eq_f32_e64 s[22:23], s31, v19
	s_mov_b32 s31, 0x33800000
	v_add_f32_e32 v7, v7, v37
	v_cmp_lt_f32_e64 s[34:35], |v19|, s31
	v_add_f32_e32 v7, v42, v7
	s_or_b64 s[22:23], s[22:23], s[34:35]
	v_cndmask_b32_e64 v7, v7, v19, s[22:23]
	v_add_f32_e32 v36, v6, v7
.LBB136_228:
	s_or_b64 exec, exec, s[24:25]
	v_max_f32_e32 v19, v30, v30
	v_max_f32_e32 v6, v36, v36
	v_min_f32_e32 v7, v6, v19
	v_cmp_u_f32_e64 s[24:25], v36, v36
	v_max_f32_e32 v6, v6, v19
	v_cndmask_b32_e64 v7, v7, v36, s[24:25]
	v_cmp_u_f32_e64 s[22:23], v30, v30
	v_cndmask_b32_e64 v6, v6, v36, s[24:25]
	v_cndmask_b32_e64 v7, v7, v30, s[22:23]
	;; [unrolled: 1-line block ×3, first 2 shown]
	v_cmp_neq_f32_e64 s[24:25], v7, v6
	v_cmp_class_f32_e64 s[30:31], v7, s30
	s_or_b64 s[24:25], s[24:25], s[30:31]
	s_and_saveexec_b64 s[30:31], s[24:25]
	s_cbranch_execz .LBB136_230
; %bb.229:
	v_sub_f32_e32 v7, v7, v6
	s_mov_b32 s24, 0x3fb8aa3b
	v_mul_f32_e32 v20, 0x3fb8aa3b, v7
	v_fma_f32 v36, v7, s24, -v20
	v_rndne_f32_e32 v37, v20
	v_fmac_f32_e32 v36, 0x32a5705f, v7
	v_sub_f32_e32 v20, v20, v37
	v_add_f32_e32 v20, v20, v36
	v_exp_f32_e32 v20, v20
	v_cvt_i32_f32_e32 v36, v37
	s_mov_b32 s24, 0xc2ce8ed0
	v_cmp_ngt_f32_e64 s[24:25], s24, v7
	s_mov_b32 s34, 0x7f800000
	v_ldexp_f32 v20, v20, v36
	v_cndmask_b32_e64 v20, 0, v20, s[24:25]
	s_mov_b32 s24, 0x42b17218
	v_mov_b32_e32 v36, 0x7f800000
	v_cmp_nlt_f32_e64 s[24:25], s24, v7
	v_cndmask_b32_e64 v50, v36, v20, s[24:25]
	v_add_f32_e32 v7, 1.0, v50
	v_add_f32_e32 v20, -1.0, v7
	v_sub_f32_e32 v36, v20, v7
	v_add_f32_e32 v36, 1.0, v36
	v_sub_f32_e32 v20, v50, v20
	v_add_f32_e32 v20, v20, v36
	v_frexp_mant_f32_e32 v38, v7
	s_mov_b32 s24, 0x3f2aaaab
	v_cvt_f64_f32_e32 v[36:37], v7
	v_frexp_exp_i32_f64_e32 v36, v[36:37]
	v_cmp_gt_f32_e64 s[24:25], s24, v38
	v_subbrev_co_u32_e64 v44, s[24:25], 0, v36, s[24:25]
	v_sub_u32_e32 v36, 0, v44
	v_ldexp_f32 v7, v7, v36
	v_ldexp_f32 v20, v20, v36
	v_add_f32_e32 v36, -1.0, v7
	v_add_f32_e32 v37, 1.0, v36
	v_sub_f32_e32 v37, v7, v37
	v_add_f32_e32 v38, v20, v37
	v_add_f32_e32 v37, 1.0, v7
	v_add_f32_e32 v39, -1.0, v37
	v_sub_f32_e32 v7, v7, v39
	v_add_f32_e32 v7, v20, v7
	v_add_f32_e32 v20, v37, v7
	v_rcp_f32_e32 v45, v20
	v_sub_f32_e32 v37, v37, v20
	v_add_f32_e32 v7, v7, v37
	v_add_f32_e32 v37, v36, v38
	v_sub_f32_e32 v36, v36, v37
	v_mul_f32_e32 v47, v37, v45
	v_add_f32_e32 v46, v38, v36
	v_mul_f32_e32 v38, v20, v47
	v_fma_f32 v40, v47, v20, -v38
	v_fmac_f32_e32 v40, v47, v7
	v_add_f32_e32 v36, v38, v40
	v_sub_f32_e32 v39, v37, v36
	v_pk_add_f32 v[42:43], v[36:37], v[38:39] neg_lo:[0,1] neg_hi:[0,1]
	v_mov_b32_e32 v41, v36
	v_pk_add_f32 v[36:37], v[42:43], v[40:41] neg_lo:[0,1] neg_hi:[0,1]
	v_add_f32_e32 v37, v46, v37
	v_add_f32_e32 v36, v36, v37
	;; [unrolled: 1-line block ×3, first 2 shown]
	v_mul_f32_e32 v46, v45, v37
	v_mul_f32_e32 v38, v20, v46
	v_fma_f32 v40, v46, v20, -v38
	v_fmac_f32_e32 v40, v46, v7
	v_sub_f32_e32 v7, v39, v37
	v_add_f32_e32 v7, v36, v7
	v_add_f32_e32 v36, v38, v40
	v_sub_f32_e32 v39, v37, v36
	v_pk_add_f32 v[42:43], v[36:37], v[38:39] neg_lo:[0,1] neg_hi:[0,1]
	v_mov_b32_e32 v41, v36
	v_pk_add_f32 v[36:37], v[42:43], v[40:41] neg_lo:[0,1] neg_hi:[0,1]
	v_add_f32_e32 v7, v7, v37
	v_add_f32_e32 v7, v36, v7
	;; [unrolled: 1-line block ×4, first 2 shown]
	v_sub_f32_e32 v36, v20, v47
	v_mul_f32_e32 v7, v45, v7
	v_sub_f32_e32 v36, v46, v36
	v_add_f32_e32 v7, v36, v7
	v_add_f32_e32 v36, v20, v7
	v_mul_f32_e32 v39, v36, v36
	v_mov_b32_e32 v38, 0x3ecc95a3
	v_fmac_f32_e32 v38, 0x3e9b6dac, v39
	v_mov_b32_e32 v37, 0x3f2aaada
	v_fmac_f32_e32 v37, v39, v38
	v_cvt_f32_i32_e32 v38, v44
	v_sub_f32_e32 v20, v36, v20
	v_ldexp_f32 v41, v36, 1
	v_mul_f32_e32 v39, v36, v39
	v_mov_b32_e32 v36, 0x3f317218
	s_mov_b32 s24, 0x3f317218
	v_pk_mul_f32 v[36:37], v[38:39], v[36:37]
	v_fma_f32 v40, v38, s24, -v36
	v_fmac_f32_e32 v40, 0xb102e308, v38
	v_pk_add_f32 v[38:39], v[36:37], v[40:41]
	v_sub_f32_e32 v7, v7, v20
	v_sub_f32_e32 v20, v39, v41
	v_ldexp_f32 v7, v7, 1
	v_sub_f32_e32 v20, v37, v20
	v_add_f32_e32 v43, v7, v20
	v_mov_b32_e32 v42, v36
	v_pk_add_f32 v[36:37], v[38:39], v[36:37] neg_lo:[0,1] neg_hi:[0,1]
	v_pk_add_f32 v[44:45], v[38:39], v[42:43]
	v_mov_b32_e32 v37, v45
	v_mov_b32_e32 v41, v38
	v_pk_add_f32 v[46:47], v[40:41], v[36:37] neg_lo:[0,1] neg_hi:[0,1]
	v_pk_add_f32 v[36:37], v[40:41], v[36:37]
	v_mov_b32_e32 v20, v37
	v_pk_add_f32 v[40:41], v[20:21], v[38:39] neg_lo:[0,1] neg_hi:[0,1]
	v_mov_b32_e32 v7, v40
	v_pk_add_f32 v[48:49], v[44:45], v[6:7] neg_lo:[0,1] neg_hi:[0,1]
	v_mov_b32_e32 v36, v45
	v_mov_b32_e32 v44, v39
	;; [unrolled: 1-line block ×4, first 2 shown]
	v_pk_add_f32 v[36:37], v[36:37], v[44:45] neg_lo:[0,1] neg_hi:[0,1]
	v_mov_b32_e32 v40, v43
	v_mov_b32_e32 v41, v38
	v_pk_add_f32 v[36:37], v[40:41], v[36:37] neg_lo:[0,1] neg_hi:[0,1]
	v_mov_b32_e32 v48, v46
	v_pk_add_f32 v[38:39], v[48:49], v[36:37]
	v_mov_b32_e32 v40, v39
	v_pk_add_f32 v[40:41], v[38:39], v[40:41]
	v_pk_add_f32 v[42:43], v[20:21], v[40:41]
	v_mov_b32_e32 v39, v42
	v_pk_add_f32 v[44:45], v[38:39], v[46:47] neg_lo:[0,1] neg_hi:[0,1]
	v_mov_b32_e32 v37, v40
	v_sub_f32_e32 v7, v38, v44
	v_pk_add_f32 v[36:37], v[36:37], v[44:45] neg_lo:[0,1] neg_hi:[0,1]
	v_sub_f32_e32 v7, v46, v7
	v_add_f32_e32 v7, v36, v7
	v_cmp_eq_f32_e64 s[24:25], s34, v50
	s_mov_b32 s34, 0x33800000
	v_add_f32_e32 v7, v7, v37
	v_cmp_lt_f32_e64 s[34:35], |v50|, s34
	v_add_f32_e32 v7, v42, v7
	s_or_b64 s[24:25], s[24:25], s[34:35]
	v_cndmask_b32_e64 v7, v7, v50, s[24:25]
	v_add_f32_e32 v36, v6, v7
.LBB136_230:
	s_or_b64 exec, exec, s[30:31]
	v_max_f32_e32 v20, v31, v31
	v_max_f32_e32 v6, v36, v36
	v_min_f32_e32 v7, v6, v20
	v_cmp_u_f32_e64 s[30:31], v36, v36
	v_max_f32_e32 v6, v6, v20
	v_cndmask_b32_e64 v7, v7, v36, s[30:31]
	v_cmp_u_f32_e64 s[24:25], v31, v31
	v_cndmask_b32_e64 v6, v6, v36, s[30:31]
	v_cndmask_b32_e64 v7, v7, v31, s[24:25]
	;; [unrolled: 1-line block ×3, first 2 shown]
	s_movk_i32 s34, 0x1f8
	v_cmp_neq_f32_e64 s[30:31], v7, v6
	v_cmp_class_f32_e64 s[34:35], v7, s34
	s_or_b64 s[30:31], s[30:31], s[34:35]
	s_and_saveexec_b64 s[34:35], s[30:31]
	s_cbranch_execz .LBB136_232
; %bb.231:
	v_sub_f32_e32 v7, v7, v6
	s_mov_b32 s30, 0x3fb8aa3b
	v_mul_f32_e32 v36, 0x3fb8aa3b, v7
	v_fma_f32 v37, v7, s30, -v36
	v_rndne_f32_e32 v38, v36
	v_fmac_f32_e32 v37, 0x32a5705f, v7
	v_sub_f32_e32 v36, v36, v38
	v_add_f32_e32 v36, v36, v37
	v_exp_f32_e32 v36, v36
	v_cvt_i32_f32_e32 v37, v38
	s_mov_b32 s30, 0xc2ce8ed0
	v_cmp_ngt_f32_e64 s[30:31], s30, v7
	s_mov_b32 s36, 0x7f800000
	v_ldexp_f32 v36, v36, v37
	v_cndmask_b32_e64 v36, 0, v36, s[30:31]
	s_mov_b32 s30, 0x42b17218
	v_mov_b32_e32 v37, 0x7f800000
	v_cmp_nlt_f32_e64 s[30:31], s30, v7
	v_cndmask_b32_e64 v52, v37, v36, s[30:31]
	v_add_f32_e32 v7, 1.0, v52
	v_add_f32_e32 v36, -1.0, v7
	v_sub_f32_e32 v37, v36, v7
	v_add_f32_e32 v37, 1.0, v37
	v_sub_f32_e32 v36, v52, v36
	v_add_f32_e32 v38, v36, v37
	v_frexp_mant_f32_e32 v39, v7
	s_mov_b32 s30, 0x3f2aaaab
	v_cvt_f64_f32_e32 v[36:37], v7
	v_frexp_exp_i32_f64_e32 v36, v[36:37]
	v_cmp_gt_f32_e64 s[30:31], s30, v39
	v_subbrev_co_u32_e64 v44, s[30:31], 0, v36, s[30:31]
	v_sub_u32_e32 v36, 0, v44
	v_ldexp_f32 v7, v7, v36
	v_ldexp_f32 v36, v38, v36
	v_add_f32_e32 v38, -1.0, v7
	v_add_f32_e32 v37, 1.0, v38
	v_sub_f32_e32 v37, v7, v37
	v_add_f32_e32 v39, v36, v37
	v_add_f32_e32 v37, 1.0, v7
	v_add_f32_e32 v40, -1.0, v37
	v_sub_f32_e32 v7, v7, v40
	v_add_f32_e32 v7, v36, v7
	v_add_f32_e32 v45, v37, v7
	v_rcp_f32_e32 v46, v45
	v_sub_f32_e32 v36, v37, v45
	v_add_f32_e32 v37, v38, v39
	v_add_f32_e32 v7, v7, v36
	v_mul_f32_e32 v48, v37, v46
	v_sub_f32_e32 v36, v38, v37
	v_mul_f32_e32 v38, v45, v48
	v_fma_f32 v40, v48, v45, -v38
	v_fmac_f32_e32 v40, v48, v7
	v_add_f32_e32 v47, v39, v36
	v_add_f32_e32 v36, v38, v40
	v_sub_f32_e32 v39, v37, v36
	v_pk_add_f32 v[42:43], v[36:37], v[38:39] neg_lo:[0,1] neg_hi:[0,1]
	v_mov_b32_e32 v41, v36
	v_pk_add_f32 v[36:37], v[42:43], v[40:41] neg_lo:[0,1] neg_hi:[0,1]
	v_add_f32_e32 v37, v47, v37
	v_add_f32_e32 v36, v36, v37
	;; [unrolled: 1-line block ×3, first 2 shown]
	v_mul_f32_e32 v47, v46, v37
	v_mul_f32_e32 v38, v45, v47
	v_fma_f32 v40, v47, v45, -v38
	v_fmac_f32_e32 v40, v47, v7
	v_sub_f32_e32 v7, v39, v37
	v_add_f32_e32 v7, v36, v7
	v_add_f32_e32 v36, v38, v40
	v_sub_f32_e32 v39, v37, v36
	v_pk_add_f32 v[42:43], v[36:37], v[38:39] neg_lo:[0,1] neg_hi:[0,1]
	v_mov_b32_e32 v41, v36
	v_pk_add_f32 v[36:37], v[42:43], v[40:41] neg_lo:[0,1] neg_hi:[0,1]
	v_add_f32_e32 v7, v7, v37
	v_add_f32_e32 v7, v36, v7
	v_add_f32_e32 v36, v48, v47
	v_add_f32_e32 v7, v39, v7
	v_sub_f32_e32 v37, v36, v48
	v_mul_f32_e32 v7, v46, v7
	v_sub_f32_e32 v37, v47, v37
	v_add_f32_e32 v7, v37, v7
	v_add_f32_e32 v39, v36, v7
	v_mul_f32_e32 v40, v39, v39
	v_mov_b32_e32 v38, 0x3ecc95a3
	v_fmac_f32_e32 v38, 0x3e9b6dac, v40
	v_mov_b32_e32 v37, 0x3f2aaada
	v_fmac_f32_e32 v37, v40, v38
	v_cvt_f32_i32_e32 v38, v44
	v_sub_f32_e32 v36, v39, v36
	v_sub_f32_e32 v7, v7, v36
	v_ldexp_f32 v41, v39, 1
	v_mul_f32_e32 v39, v39, v40
	v_mov_b32_e32 v36, 0x3f317218
	s_mov_b32 s30, 0x3f317218
	v_pk_mul_f32 v[36:37], v[38:39], v[36:37]
	v_fma_f32 v40, v38, s30, -v36
	v_fmac_f32_e32 v40, 0xb102e308, v38
	v_pk_add_f32 v[38:39], v[36:37], v[40:41]
	v_sub_f32_e32 v41, v39, v41
	v_ldexp_f32 v7, v7, 1
	v_sub_f32_e32 v41, v37, v41
	v_add_f32_e32 v43, v7, v41
	v_mov_b32_e32 v42, v36
	v_pk_add_f32 v[36:37], v[38:39], v[36:37] neg_lo:[0,1] neg_hi:[0,1]
	v_pk_add_f32 v[44:45], v[38:39], v[42:43]
	v_mov_b32_e32 v37, v45
	v_mov_b32_e32 v41, v38
	v_pk_add_f32 v[46:47], v[40:41], v[36:37] neg_lo:[0,1] neg_hi:[0,1]
	v_pk_add_f32 v[36:37], v[40:41], v[36:37]
	v_mov_b32_e32 v40, v37
	v_pk_add_f32 v[48:49], v[40:41], v[38:39] neg_lo:[0,1] neg_hi:[0,1]
	v_mov_b32_e32 v7, v48
	v_pk_add_f32 v[50:51], v[44:45], v[6:7] neg_lo:[0,1] neg_hi:[0,1]
	v_mov_b32_e32 v36, v45
	v_mov_b32_e32 v44, v39
	;; [unrolled: 1-line block ×4, first 2 shown]
	v_pk_add_f32 v[36:37], v[36:37], v[44:45] neg_lo:[0,1] neg_hi:[0,1]
	v_mov_b32_e32 v42, v43
	v_mov_b32_e32 v43, v38
	v_pk_add_f32 v[36:37], v[42:43], v[36:37] neg_lo:[0,1] neg_hi:[0,1]
	v_mov_b32_e32 v50, v46
	v_pk_add_f32 v[38:39], v[50:51], v[36:37]
	v_mov_b32_e32 v42, v39
	v_pk_add_f32 v[42:43], v[38:39], v[42:43]
	v_pk_add_f32 v[40:41], v[40:41], v[42:43]
	v_mov_b32_e32 v39, v40
	v_pk_add_f32 v[44:45], v[38:39], v[46:47] neg_lo:[0,1] neg_hi:[0,1]
	v_mov_b32_e32 v37, v42
	v_sub_f32_e32 v7, v38, v44
	v_pk_add_f32 v[36:37], v[36:37], v[44:45] neg_lo:[0,1] neg_hi:[0,1]
	v_sub_f32_e32 v7, v46, v7
	v_add_f32_e32 v7, v36, v7
	v_cmp_eq_f32_e64 s[30:31], s36, v52
	s_mov_b32 s36, 0x33800000
	v_add_f32_e32 v7, v7, v37
	v_cmp_lt_f32_e64 s[36:37], |v52|, s36
	v_add_f32_e32 v7, v40, v7
	s_or_b64 s[30:31], s[30:31], s[36:37]
	v_cndmask_b32_e64 v7, v7, v52, s[30:31]
	v_add_f32_e32 v36, v6, v7
.LBB136_232:
	s_or_b64 exec, exec, s[34:35]
	v_lshrrev_b32_e32 v6, 5, v0
	v_add_lshl_u32 v6, v6, v0, 2
	v_cmp_gt_u32_e64 s[30:31], 64, v0
	ds_write_b32 v6, v36
	s_waitcnt lgkmcnt(0)
	s_barrier
	s_and_saveexec_b64 s[40:41], s[30:31]
	s_cbranch_execz .LBB136_264
; %bb.233:
	v_lshlrev_b32_e32 v6, 1, v0
	v_lshrrev_b32_e32 v7, 4, v0
	v_add_lshl_u32 v37, v7, v6, 2
	ds_read2_b32 v[6:7], v37 offset1:1
	s_movk_i32 s36, 0x1f8
	s_waitcnt lgkmcnt(0)
	v_max_f32_e32 v40, v7, v7
	v_max_f32_e32 v38, v6, v6
	v_min_f32_e32 v39, v38, v40
	v_cmp_u_f32_e64 s[30:31], v6, v6
	v_max_f32_e32 v40, v38, v40
	v_cndmask_b32_e64 v39, v39, v6, s[30:31]
	v_cmp_u_f32_e64 s[34:35], v7, v7
	v_cndmask_b32_e64 v40, v40, v6, s[30:31]
	v_cndmask_b32_e64 v39, v39, v7, s[34:35]
	;; [unrolled: 1-line block ×3, first 2 shown]
	v_cmp_neq_f32_e64 s[34:35], v39, v7
	v_cmp_class_f32_e64 s[36:37], v39, s36
	s_or_b64 s[34:35], s[34:35], s[36:37]
	v_mov_b32_e32 v40, v6
	s_and_saveexec_b64 s[36:37], s[34:35]
	s_cbranch_execz .LBB136_235
; %bb.234:
	v_sub_f32_e32 v39, v39, v7
	s_mov_b32 s34, 0x3fb8aa3b
	v_mul_f32_e32 v40, 0x3fb8aa3b, v39
	v_fma_f32 v41, v39, s34, -v40
	v_rndne_f32_e32 v42, v40
	v_fmac_f32_e32 v41, 0x32a5705f, v39
	v_sub_f32_e32 v40, v40, v42
	v_add_f32_e32 v40, v40, v41
	v_exp_f32_e32 v40, v40
	v_cvt_i32_f32_e32 v41, v42
	s_mov_b32 s34, 0xc2ce8ed0
	v_cmp_ngt_f32_e64 s[34:35], s34, v39
	s_mov_b32 s54, 0x7f800000
	v_ldexp_f32 v40, v40, v41
	v_cndmask_b32_e64 v40, 0, v40, s[34:35]
	s_mov_b32 s34, 0x42b17218
	v_mov_b32_e32 v41, 0x7f800000
	v_cmp_nlt_f32_e64 s[34:35], s34, v39
	v_cndmask_b32_e64 v56, v41, v40, s[34:35]
	v_add_f32_e32 v39, 1.0, v56
	v_add_f32_e32 v40, -1.0, v39
	v_sub_f32_e32 v41, v40, v39
	v_add_f32_e32 v41, 1.0, v41
	v_sub_f32_e32 v40, v56, v40
	v_add_f32_e32 v42, v40, v41
	v_frexp_mant_f32_e32 v43, v39
	s_mov_b32 s34, 0x3f2aaaab
	v_cvt_f64_f32_e32 v[40:41], v39
	v_frexp_exp_i32_f64_e32 v40, v[40:41]
	v_cmp_gt_f32_e64 s[34:35], s34, v43
	v_subbrev_co_u32_e64 v48, s[34:35], 0, v40, s[34:35]
	v_sub_u32_e32 v40, 0, v48
	v_ldexp_f32 v39, v39, v40
	v_ldexp_f32 v40, v42, v40
	v_add_f32_e32 v42, -1.0, v39
	v_add_f32_e32 v41, 1.0, v42
	v_sub_f32_e32 v41, v39, v41
	v_add_f32_e32 v43, v40, v41
	v_add_f32_e32 v41, 1.0, v39
	v_add_f32_e32 v44, -1.0, v41
	v_sub_f32_e32 v39, v39, v44
	v_add_f32_e32 v39, v40, v39
	v_add_f32_e32 v49, v41, v39
	v_rcp_f32_e32 v50, v49
	v_sub_f32_e32 v40, v41, v49
	v_add_f32_e32 v41, v42, v43
	v_add_f32_e32 v39, v39, v40
	v_mul_f32_e32 v52, v41, v50
	v_sub_f32_e32 v40, v42, v41
	v_mul_f32_e32 v42, v49, v52
	v_fma_f32 v44, v52, v49, -v42
	v_fmac_f32_e32 v44, v52, v39
	v_add_f32_e32 v51, v43, v40
	v_add_f32_e32 v40, v42, v44
	v_sub_f32_e32 v43, v41, v40
	v_pk_add_f32 v[46:47], v[40:41], v[42:43] neg_lo:[0,1] neg_hi:[0,1]
	v_mov_b32_e32 v45, v40
	v_pk_add_f32 v[40:41], v[46:47], v[44:45] neg_lo:[0,1] neg_hi:[0,1]
	v_add_f32_e32 v41, v51, v41
	v_add_f32_e32 v40, v40, v41
	;; [unrolled: 1-line block ×3, first 2 shown]
	v_mul_f32_e32 v51, v50, v41
	v_mul_f32_e32 v42, v49, v51
	v_fma_f32 v44, v51, v49, -v42
	v_fmac_f32_e32 v44, v51, v39
	v_sub_f32_e32 v39, v43, v41
	v_add_f32_e32 v39, v40, v39
	v_add_f32_e32 v40, v42, v44
	v_sub_f32_e32 v43, v41, v40
	v_pk_add_f32 v[46:47], v[40:41], v[42:43] neg_lo:[0,1] neg_hi:[0,1]
	v_mov_b32_e32 v45, v40
	v_pk_add_f32 v[40:41], v[46:47], v[44:45] neg_lo:[0,1] neg_hi:[0,1]
	v_add_f32_e32 v39, v39, v41
	v_add_f32_e32 v39, v40, v39
	;; [unrolled: 1-line block ×4, first 2 shown]
	v_sub_f32_e32 v41, v40, v52
	v_mul_f32_e32 v39, v50, v39
	v_sub_f32_e32 v41, v51, v41
	v_add_f32_e32 v39, v41, v39
	v_add_f32_e32 v43, v40, v39
	v_mul_f32_e32 v44, v43, v43
	v_mov_b32_e32 v42, 0x3ecc95a3
	v_fmac_f32_e32 v42, 0x3e9b6dac, v44
	v_mov_b32_e32 v41, 0x3f2aaada
	v_fmac_f32_e32 v41, v44, v42
	v_cvt_f32_i32_e32 v42, v48
	v_sub_f32_e32 v40, v43, v40
	v_sub_f32_e32 v39, v39, v40
	v_ldexp_f32 v45, v43, 1
	v_mul_f32_e32 v43, v43, v44
	v_mov_b32_e32 v40, 0x3f317218
	s_mov_b32 s34, 0x3f317218
	v_pk_mul_f32 v[40:41], v[42:43], v[40:41]
	v_fma_f32 v44, v42, s34, -v40
	v_fmac_f32_e32 v44, 0xb102e308, v42
	v_pk_add_f32 v[42:43], v[40:41], v[44:45]
	v_sub_f32_e32 v45, v43, v45
	v_ldexp_f32 v39, v39, 1
	v_sub_f32_e32 v45, v41, v45
	v_add_f32_e32 v47, v39, v45
	v_mov_b32_e32 v46, v40
	v_pk_add_f32 v[40:41], v[42:43], v[40:41] neg_lo:[0,1] neg_hi:[0,1]
	v_pk_add_f32 v[48:49], v[42:43], v[46:47]
	v_mov_b32_e32 v41, v49
	v_mov_b32_e32 v45, v42
	v_pk_add_f32 v[50:51], v[44:45], v[40:41] neg_lo:[0,1] neg_hi:[0,1]
	v_pk_add_f32 v[40:41], v[44:45], v[40:41]
	v_mov_b32_e32 v44, v41
	v_pk_add_f32 v[52:53], v[44:45], v[42:43] neg_lo:[0,1] neg_hi:[0,1]
	v_mov_b32_e32 v39, v52
	v_pk_add_f32 v[54:55], v[48:49], v[38:39] neg_lo:[0,1] neg_hi:[0,1]
	v_mov_b32_e32 v40, v49
	v_mov_b32_e32 v48, v43
	;; [unrolled: 1-line block ×4, first 2 shown]
	v_pk_add_f32 v[40:41], v[40:41], v[48:49] neg_lo:[0,1] neg_hi:[0,1]
	v_mov_b32_e32 v46, v47
	v_mov_b32_e32 v47, v42
	v_pk_add_f32 v[40:41], v[46:47], v[40:41] neg_lo:[0,1] neg_hi:[0,1]
	v_mov_b32_e32 v54, v50
	v_pk_add_f32 v[42:43], v[54:55], v[40:41]
	v_mov_b32_e32 v46, v43
	v_pk_add_f32 v[46:47], v[42:43], v[46:47]
	v_pk_add_f32 v[44:45], v[44:45], v[46:47]
	v_mov_b32_e32 v43, v44
	v_pk_add_f32 v[48:49], v[42:43], v[50:51] neg_lo:[0,1] neg_hi:[0,1]
	v_mov_b32_e32 v41, v46
	v_sub_f32_e32 v39, v42, v48
	v_pk_add_f32 v[40:41], v[40:41], v[48:49] neg_lo:[0,1] neg_hi:[0,1]
	v_sub_f32_e32 v39, v50, v39
	v_add_f32_e32 v39, v40, v39
	v_cmp_eq_f32_e64 s[34:35], s54, v56
	s_mov_b32 s54, 0x33800000
	v_add_f32_e32 v39, v39, v41
	v_cmp_lt_f32_e64 s[54:55], |v56|, s54
	v_add_f32_e32 v39, v44, v39
	s_or_b64 s[34:35], s[34:35], s[54:55]
	v_cndmask_b32_e64 v39, v39, v56, s[34:35]
	v_add_f32_e32 v40, v7, v39
.LBB136_235:
	s_or_b64 exec, exec, s[36:37]
	v_mbcnt_lo_u32_b32 v7, -1, 0
	v_mbcnt_hi_u32_b32 v7, -1, v7
	v_and_b32_e32 v39, 15, v7
	v_mov_b32_dpp v41, v40 row_shr:1 row_mask:0xf bank_mask:0xf
	v_cmp_ne_u32_e64 s[34:35], 0, v39
	s_and_saveexec_b64 s[54:55], s[34:35]
	s_cbranch_execz .LBB136_239
; %bb.236:
	v_max_f32_e32 v43, v40, v40
	v_max_f32_e32 v44, v41, v41
	v_min_f32_e32 v42, v44, v43
	v_cmp_u_f32_e64 s[34:35], v41, v41
	v_max_f32_e32 v43, v44, v43
	v_cndmask_b32_e64 v42, v42, v41, s[34:35]
	v_cmp_u_f32_e64 s[36:37], v40, v40
	v_cndmask_b32_e64 v43, v43, v41, s[34:35]
	v_cndmask_b32_e64 v42, v42, v40, s[36:37]
	;; [unrolled: 1-line block ×3, first 2 shown]
	s_movk_i32 s36, 0x1f8
	v_cmp_neq_f32_e64 s[34:35], v42, v40
	v_cmp_class_f32_e64 s[36:37], v42, s36
	s_or_b64 s[34:35], s[34:35], s[36:37]
	s_and_saveexec_b64 s[36:37], s[34:35]
	s_cbranch_execz .LBB136_238
; %bb.237:
	v_sub_f32_e32 v41, v42, v40
	s_mov_b32 s34, 0x3fb8aa3b
	v_mul_f32_e32 v42, 0x3fb8aa3b, v41
	v_fma_f32 v43, v41, s34, -v42
	v_rndne_f32_e32 v44, v42
	v_fmac_f32_e32 v43, 0x32a5705f, v41
	v_sub_f32_e32 v42, v42, v44
	v_add_f32_e32 v42, v42, v43
	v_exp_f32_e32 v42, v42
	v_cvt_i32_f32_e32 v43, v44
	s_mov_b32 s34, 0xc2ce8ed0
	v_cmp_ngt_f32_e64 s[34:35], s34, v41
	s_mov_b32 s57, 0x7f800000
	v_ldexp_f32 v42, v42, v43
	v_cndmask_b32_e64 v42, 0, v42, s[34:35]
	s_mov_b32 s34, 0x42b17218
	v_mov_b32_e32 v43, 0x7f800000
	v_cmp_nlt_f32_e64 s[34:35], s34, v41
	v_cndmask_b32_e64 v58, v43, v42, s[34:35]
	v_add_f32_e32 v41, 1.0, v58
	v_add_f32_e32 v42, -1.0, v41
	v_sub_f32_e32 v43, v42, v41
	v_add_f32_e32 v43, 1.0, v43
	v_sub_f32_e32 v42, v58, v42
	v_add_f32_e32 v44, v42, v43
	v_frexp_mant_f32_e32 v45, v41
	s_mov_b32 s34, 0x3f2aaaab
	v_cvt_f64_f32_e32 v[42:43], v41
	v_frexp_exp_i32_f64_e32 v42, v[42:43]
	v_cmp_gt_f32_e64 s[34:35], s34, v45
	v_subbrev_co_u32_e64 v50, s[34:35], 0, v42, s[34:35]
	v_sub_u32_e32 v42, 0, v50
	v_ldexp_f32 v41, v41, v42
	v_ldexp_f32 v42, v44, v42
	v_add_f32_e32 v44, -1.0, v41
	v_add_f32_e32 v43, 1.0, v44
	v_sub_f32_e32 v43, v41, v43
	v_add_f32_e32 v45, v42, v43
	v_add_f32_e32 v43, 1.0, v41
	v_add_f32_e32 v46, -1.0, v43
	v_sub_f32_e32 v41, v41, v46
	v_add_f32_e32 v41, v42, v41
	v_add_f32_e32 v51, v43, v41
	v_rcp_f32_e32 v52, v51
	v_sub_f32_e32 v42, v43, v51
	v_add_f32_e32 v43, v44, v45
	v_add_f32_e32 v41, v41, v42
	v_mul_f32_e32 v54, v43, v52
	v_sub_f32_e32 v42, v44, v43
	v_mul_f32_e32 v44, v51, v54
	v_fma_f32 v46, v54, v51, -v44
	v_fmac_f32_e32 v46, v54, v41
	v_add_f32_e32 v53, v45, v42
	v_add_f32_e32 v42, v44, v46
	v_sub_f32_e32 v45, v43, v42
	v_pk_add_f32 v[48:49], v[42:43], v[44:45] neg_lo:[0,1] neg_hi:[0,1]
	v_mov_b32_e32 v47, v42
	v_pk_add_f32 v[42:43], v[48:49], v[46:47] neg_lo:[0,1] neg_hi:[0,1]
	v_add_f32_e32 v43, v53, v43
	v_add_f32_e32 v42, v42, v43
	;; [unrolled: 1-line block ×3, first 2 shown]
	v_mul_f32_e32 v53, v52, v43
	v_mul_f32_e32 v44, v51, v53
	v_fma_f32 v46, v53, v51, -v44
	v_fmac_f32_e32 v46, v53, v41
	v_sub_f32_e32 v41, v45, v43
	v_add_f32_e32 v41, v42, v41
	v_add_f32_e32 v42, v44, v46
	v_sub_f32_e32 v45, v43, v42
	v_pk_add_f32 v[48:49], v[42:43], v[44:45] neg_lo:[0,1] neg_hi:[0,1]
	v_mov_b32_e32 v47, v42
	v_pk_add_f32 v[42:43], v[48:49], v[46:47] neg_lo:[0,1] neg_hi:[0,1]
	v_add_f32_e32 v41, v41, v43
	v_add_f32_e32 v41, v42, v41
	;; [unrolled: 1-line block ×4, first 2 shown]
	v_sub_f32_e32 v43, v42, v54
	v_mul_f32_e32 v41, v52, v41
	v_sub_f32_e32 v43, v53, v43
	v_add_f32_e32 v41, v43, v41
	v_add_f32_e32 v45, v42, v41
	v_mul_f32_e32 v46, v45, v45
	v_mov_b32_e32 v44, 0x3ecc95a3
	v_fmac_f32_e32 v44, 0x3e9b6dac, v46
	v_mov_b32_e32 v43, 0x3f2aaada
	v_fmac_f32_e32 v43, v46, v44
	v_cvt_f32_i32_e32 v44, v50
	v_sub_f32_e32 v42, v45, v42
	v_sub_f32_e32 v41, v41, v42
	v_ldexp_f32 v47, v45, 1
	v_mul_f32_e32 v45, v45, v46
	v_mov_b32_e32 v42, 0x3f317218
	s_mov_b32 s34, 0x3f317218
	v_pk_mul_f32 v[42:43], v[44:45], v[42:43]
	v_fma_f32 v46, v44, s34, -v42
	v_fmac_f32_e32 v46, 0xb102e308, v44
	v_pk_add_f32 v[44:45], v[42:43], v[46:47]
	v_sub_f32_e32 v47, v45, v47
	v_ldexp_f32 v41, v41, 1
	v_sub_f32_e32 v47, v43, v47
	v_add_f32_e32 v49, v41, v47
	v_mov_b32_e32 v48, v42
	v_pk_add_f32 v[42:43], v[44:45], v[42:43] neg_lo:[0,1] neg_hi:[0,1]
	v_pk_add_f32 v[50:51], v[44:45], v[48:49]
	v_mov_b32_e32 v43, v51
	v_mov_b32_e32 v47, v44
	v_pk_add_f32 v[52:53], v[46:47], v[42:43] neg_lo:[0,1] neg_hi:[0,1]
	v_pk_add_f32 v[42:43], v[46:47], v[42:43]
	v_mov_b32_e32 v46, v43
	v_pk_add_f32 v[54:55], v[46:47], v[44:45] neg_lo:[0,1] neg_hi:[0,1]
	v_mov_b32_e32 v41, v54
	v_pk_add_f32 v[56:57], v[50:51], v[40:41] neg_lo:[0,1] neg_hi:[0,1]
	v_mov_b32_e32 v42, v51
	v_mov_b32_e32 v50, v45
	;; [unrolled: 1-line block ×4, first 2 shown]
	v_pk_add_f32 v[42:43], v[42:43], v[50:51] neg_lo:[0,1] neg_hi:[0,1]
	v_mov_b32_e32 v48, v49
	v_mov_b32_e32 v49, v44
	v_pk_add_f32 v[42:43], v[48:49], v[42:43] neg_lo:[0,1] neg_hi:[0,1]
	v_mov_b32_e32 v56, v52
	v_pk_add_f32 v[44:45], v[56:57], v[42:43]
	v_mov_b32_e32 v48, v45
	v_pk_add_f32 v[48:49], v[44:45], v[48:49]
	v_pk_add_f32 v[46:47], v[46:47], v[48:49]
	v_mov_b32_e32 v45, v46
	v_pk_add_f32 v[50:51], v[44:45], v[52:53] neg_lo:[0,1] neg_hi:[0,1]
	v_mov_b32_e32 v43, v48
	v_sub_f32_e32 v41, v44, v50
	v_pk_add_f32 v[42:43], v[42:43], v[50:51] neg_lo:[0,1] neg_hi:[0,1]
	v_sub_f32_e32 v41, v52, v41
	v_add_f32_e32 v41, v42, v41
	v_cmp_eq_f32_e64 s[34:35], s57, v58
	s_mov_b32 s57, 0x33800000
	v_add_f32_e32 v41, v41, v43
	v_cmp_lt_f32_e64 s[58:59], |v58|, s57
	v_add_f32_e32 v41, v46, v41
	s_or_b64 s[34:35], s[34:35], s[58:59]
	v_cndmask_b32_e64 v41, v41, v58, s[34:35]
	v_add_f32_e32 v41, v40, v41
.LBB136_238:
	s_or_b64 exec, exec, s[36:37]
	v_mov_b32_e32 v40, v41
.LBB136_239:
	s_or_b64 exec, exec, s[54:55]
	s_nop 0
	v_mov_b32_dpp v41, v40 row_shr:2 row_mask:0xf bank_mask:0xf
	v_cmp_lt_u32_e64 s[34:35], 1, v39
	s_and_saveexec_b64 s[54:55], s[34:35]
	s_cbranch_execz .LBB136_243
; %bb.240:
	v_max_f32_e32 v43, v40, v40
	v_max_f32_e32 v44, v41, v41
	v_min_f32_e32 v42, v44, v43
	v_cmp_u_f32_e64 s[34:35], v41, v41
	v_max_f32_e32 v43, v44, v43
	v_cndmask_b32_e64 v42, v42, v41, s[34:35]
	v_cmp_u_f32_e64 s[36:37], v40, v40
	v_cndmask_b32_e64 v43, v43, v41, s[34:35]
	v_cndmask_b32_e64 v42, v42, v40, s[36:37]
	;; [unrolled: 1-line block ×3, first 2 shown]
	s_movk_i32 s36, 0x1f8
	v_cmp_neq_f32_e64 s[34:35], v42, v40
	v_cmp_class_f32_e64 s[36:37], v42, s36
	s_or_b64 s[34:35], s[34:35], s[36:37]
	s_and_saveexec_b64 s[36:37], s[34:35]
	s_cbranch_execz .LBB136_242
; %bb.241:
	v_sub_f32_e32 v41, v42, v40
	s_mov_b32 s34, 0x3fb8aa3b
	v_mul_f32_e32 v42, 0x3fb8aa3b, v41
	v_fma_f32 v43, v41, s34, -v42
	v_rndne_f32_e32 v44, v42
	v_fmac_f32_e32 v43, 0x32a5705f, v41
	v_sub_f32_e32 v42, v42, v44
	v_add_f32_e32 v42, v42, v43
	v_exp_f32_e32 v42, v42
	v_cvt_i32_f32_e32 v43, v44
	s_mov_b32 s34, 0xc2ce8ed0
	v_cmp_ngt_f32_e64 s[34:35], s34, v41
	s_mov_b32 s57, 0x7f800000
	v_ldexp_f32 v42, v42, v43
	v_cndmask_b32_e64 v42, 0, v42, s[34:35]
	s_mov_b32 s34, 0x42b17218
	v_mov_b32_e32 v43, 0x7f800000
	v_cmp_nlt_f32_e64 s[34:35], s34, v41
	v_cndmask_b32_e64 v58, v43, v42, s[34:35]
	v_add_f32_e32 v41, 1.0, v58
	v_add_f32_e32 v42, -1.0, v41
	v_sub_f32_e32 v43, v42, v41
	v_add_f32_e32 v43, 1.0, v43
	v_sub_f32_e32 v42, v58, v42
	v_add_f32_e32 v44, v42, v43
	v_frexp_mant_f32_e32 v45, v41
	s_mov_b32 s34, 0x3f2aaaab
	v_cvt_f64_f32_e32 v[42:43], v41
	v_frexp_exp_i32_f64_e32 v42, v[42:43]
	v_cmp_gt_f32_e64 s[34:35], s34, v45
	v_subbrev_co_u32_e64 v50, s[34:35], 0, v42, s[34:35]
	v_sub_u32_e32 v42, 0, v50
	v_ldexp_f32 v41, v41, v42
	v_ldexp_f32 v42, v44, v42
	v_add_f32_e32 v44, -1.0, v41
	v_add_f32_e32 v43, 1.0, v44
	v_sub_f32_e32 v43, v41, v43
	v_add_f32_e32 v45, v42, v43
	v_add_f32_e32 v43, 1.0, v41
	v_add_f32_e32 v46, -1.0, v43
	v_sub_f32_e32 v41, v41, v46
	v_add_f32_e32 v41, v42, v41
	v_add_f32_e32 v51, v43, v41
	v_rcp_f32_e32 v52, v51
	v_sub_f32_e32 v42, v43, v51
	v_add_f32_e32 v43, v44, v45
	v_add_f32_e32 v41, v41, v42
	v_mul_f32_e32 v54, v43, v52
	v_sub_f32_e32 v42, v44, v43
	v_mul_f32_e32 v44, v51, v54
	v_fma_f32 v46, v54, v51, -v44
	v_fmac_f32_e32 v46, v54, v41
	v_add_f32_e32 v53, v45, v42
	v_add_f32_e32 v42, v44, v46
	v_sub_f32_e32 v45, v43, v42
	v_pk_add_f32 v[48:49], v[42:43], v[44:45] neg_lo:[0,1] neg_hi:[0,1]
	v_mov_b32_e32 v47, v42
	v_pk_add_f32 v[42:43], v[48:49], v[46:47] neg_lo:[0,1] neg_hi:[0,1]
	v_add_f32_e32 v43, v53, v43
	v_add_f32_e32 v42, v42, v43
	;; [unrolled: 1-line block ×3, first 2 shown]
	v_mul_f32_e32 v53, v52, v43
	v_mul_f32_e32 v44, v51, v53
	v_fma_f32 v46, v53, v51, -v44
	v_fmac_f32_e32 v46, v53, v41
	v_sub_f32_e32 v41, v45, v43
	v_add_f32_e32 v41, v42, v41
	v_add_f32_e32 v42, v44, v46
	v_sub_f32_e32 v45, v43, v42
	v_pk_add_f32 v[48:49], v[42:43], v[44:45] neg_lo:[0,1] neg_hi:[0,1]
	v_mov_b32_e32 v47, v42
	v_pk_add_f32 v[42:43], v[48:49], v[46:47] neg_lo:[0,1] neg_hi:[0,1]
	v_add_f32_e32 v41, v41, v43
	v_add_f32_e32 v41, v42, v41
	;; [unrolled: 1-line block ×4, first 2 shown]
	v_sub_f32_e32 v43, v42, v54
	v_mul_f32_e32 v41, v52, v41
	v_sub_f32_e32 v43, v53, v43
	v_add_f32_e32 v41, v43, v41
	v_add_f32_e32 v45, v42, v41
	v_mul_f32_e32 v46, v45, v45
	v_mov_b32_e32 v44, 0x3ecc95a3
	v_fmac_f32_e32 v44, 0x3e9b6dac, v46
	v_mov_b32_e32 v43, 0x3f2aaada
	v_fmac_f32_e32 v43, v46, v44
	v_cvt_f32_i32_e32 v44, v50
	v_sub_f32_e32 v42, v45, v42
	v_sub_f32_e32 v41, v41, v42
	v_ldexp_f32 v47, v45, 1
	v_mul_f32_e32 v45, v45, v46
	v_mov_b32_e32 v42, 0x3f317218
	s_mov_b32 s34, 0x3f317218
	v_pk_mul_f32 v[42:43], v[44:45], v[42:43]
	v_fma_f32 v46, v44, s34, -v42
	v_fmac_f32_e32 v46, 0xb102e308, v44
	v_pk_add_f32 v[44:45], v[42:43], v[46:47]
	v_sub_f32_e32 v47, v45, v47
	v_ldexp_f32 v41, v41, 1
	v_sub_f32_e32 v47, v43, v47
	v_add_f32_e32 v49, v41, v47
	v_mov_b32_e32 v48, v42
	v_pk_add_f32 v[42:43], v[44:45], v[42:43] neg_lo:[0,1] neg_hi:[0,1]
	v_pk_add_f32 v[50:51], v[44:45], v[48:49]
	v_mov_b32_e32 v43, v51
	v_mov_b32_e32 v47, v44
	v_pk_add_f32 v[52:53], v[46:47], v[42:43] neg_lo:[0,1] neg_hi:[0,1]
	v_pk_add_f32 v[42:43], v[46:47], v[42:43]
	v_mov_b32_e32 v46, v43
	v_pk_add_f32 v[54:55], v[46:47], v[44:45] neg_lo:[0,1] neg_hi:[0,1]
	v_mov_b32_e32 v41, v54
	v_pk_add_f32 v[56:57], v[50:51], v[40:41] neg_lo:[0,1] neg_hi:[0,1]
	v_mov_b32_e32 v42, v51
	v_mov_b32_e32 v50, v45
	;; [unrolled: 1-line block ×4, first 2 shown]
	v_pk_add_f32 v[42:43], v[42:43], v[50:51] neg_lo:[0,1] neg_hi:[0,1]
	v_mov_b32_e32 v48, v49
	v_mov_b32_e32 v49, v44
	v_pk_add_f32 v[42:43], v[48:49], v[42:43] neg_lo:[0,1] neg_hi:[0,1]
	v_mov_b32_e32 v56, v52
	v_pk_add_f32 v[44:45], v[56:57], v[42:43]
	v_mov_b32_e32 v48, v45
	v_pk_add_f32 v[48:49], v[44:45], v[48:49]
	v_pk_add_f32 v[46:47], v[46:47], v[48:49]
	v_mov_b32_e32 v45, v46
	v_pk_add_f32 v[50:51], v[44:45], v[52:53] neg_lo:[0,1] neg_hi:[0,1]
	v_mov_b32_e32 v43, v48
	v_sub_f32_e32 v41, v44, v50
	v_pk_add_f32 v[42:43], v[42:43], v[50:51] neg_lo:[0,1] neg_hi:[0,1]
	v_sub_f32_e32 v41, v52, v41
	v_add_f32_e32 v41, v42, v41
	v_cmp_eq_f32_e64 s[34:35], s57, v58
	s_mov_b32 s57, 0x33800000
	v_add_f32_e32 v41, v41, v43
	v_cmp_lt_f32_e64 s[58:59], |v58|, s57
	v_add_f32_e32 v41, v46, v41
	s_or_b64 s[34:35], s[34:35], s[58:59]
	v_cndmask_b32_e64 v41, v41, v58, s[34:35]
	v_add_f32_e32 v41, v40, v41
.LBB136_242:
	s_or_b64 exec, exec, s[36:37]
	v_mov_b32_e32 v40, v41
.LBB136_243:
	s_or_b64 exec, exec, s[54:55]
	s_nop 0
	v_mov_b32_dpp v41, v40 row_shr:4 row_mask:0xf bank_mask:0xf
	v_cmp_lt_u32_e64 s[34:35], 3, v39
	s_and_saveexec_b64 s[54:55], s[34:35]
	s_cbranch_execz .LBB136_247
; %bb.244:
	v_max_f32_e32 v43, v40, v40
	v_max_f32_e32 v44, v41, v41
	v_min_f32_e32 v42, v44, v43
	v_cmp_u_f32_e64 s[34:35], v41, v41
	v_max_f32_e32 v43, v44, v43
	v_cndmask_b32_e64 v42, v42, v41, s[34:35]
	v_cmp_u_f32_e64 s[36:37], v40, v40
	v_cndmask_b32_e64 v43, v43, v41, s[34:35]
	v_cndmask_b32_e64 v42, v42, v40, s[36:37]
	;; [unrolled: 1-line block ×3, first 2 shown]
	s_movk_i32 s36, 0x1f8
	v_cmp_neq_f32_e64 s[34:35], v42, v40
	v_cmp_class_f32_e64 s[36:37], v42, s36
	s_or_b64 s[34:35], s[34:35], s[36:37]
	s_and_saveexec_b64 s[36:37], s[34:35]
	s_cbranch_execz .LBB136_246
; %bb.245:
	v_sub_f32_e32 v41, v42, v40
	s_mov_b32 s34, 0x3fb8aa3b
	v_mul_f32_e32 v42, 0x3fb8aa3b, v41
	v_fma_f32 v43, v41, s34, -v42
	v_rndne_f32_e32 v44, v42
	v_fmac_f32_e32 v43, 0x32a5705f, v41
	v_sub_f32_e32 v42, v42, v44
	v_add_f32_e32 v42, v42, v43
	v_exp_f32_e32 v42, v42
	v_cvt_i32_f32_e32 v43, v44
	s_mov_b32 s34, 0xc2ce8ed0
	v_cmp_ngt_f32_e64 s[34:35], s34, v41
	s_mov_b32 s57, 0x7f800000
	v_ldexp_f32 v42, v42, v43
	v_cndmask_b32_e64 v42, 0, v42, s[34:35]
	s_mov_b32 s34, 0x42b17218
	v_mov_b32_e32 v43, 0x7f800000
	v_cmp_nlt_f32_e64 s[34:35], s34, v41
	v_cndmask_b32_e64 v58, v43, v42, s[34:35]
	v_add_f32_e32 v41, 1.0, v58
	v_add_f32_e32 v42, -1.0, v41
	v_sub_f32_e32 v43, v42, v41
	v_add_f32_e32 v43, 1.0, v43
	v_sub_f32_e32 v42, v58, v42
	v_add_f32_e32 v44, v42, v43
	v_frexp_mant_f32_e32 v45, v41
	s_mov_b32 s34, 0x3f2aaaab
	v_cvt_f64_f32_e32 v[42:43], v41
	v_frexp_exp_i32_f64_e32 v42, v[42:43]
	v_cmp_gt_f32_e64 s[34:35], s34, v45
	v_subbrev_co_u32_e64 v50, s[34:35], 0, v42, s[34:35]
	v_sub_u32_e32 v42, 0, v50
	v_ldexp_f32 v41, v41, v42
	v_ldexp_f32 v42, v44, v42
	v_add_f32_e32 v44, -1.0, v41
	v_add_f32_e32 v43, 1.0, v44
	v_sub_f32_e32 v43, v41, v43
	v_add_f32_e32 v45, v42, v43
	v_add_f32_e32 v43, 1.0, v41
	v_add_f32_e32 v46, -1.0, v43
	v_sub_f32_e32 v41, v41, v46
	v_add_f32_e32 v41, v42, v41
	v_add_f32_e32 v51, v43, v41
	v_rcp_f32_e32 v52, v51
	v_sub_f32_e32 v42, v43, v51
	v_add_f32_e32 v43, v44, v45
	v_add_f32_e32 v41, v41, v42
	v_mul_f32_e32 v54, v43, v52
	v_sub_f32_e32 v42, v44, v43
	v_mul_f32_e32 v44, v51, v54
	v_fma_f32 v46, v54, v51, -v44
	v_fmac_f32_e32 v46, v54, v41
	v_add_f32_e32 v53, v45, v42
	v_add_f32_e32 v42, v44, v46
	v_sub_f32_e32 v45, v43, v42
	v_pk_add_f32 v[48:49], v[42:43], v[44:45] neg_lo:[0,1] neg_hi:[0,1]
	v_mov_b32_e32 v47, v42
	v_pk_add_f32 v[42:43], v[48:49], v[46:47] neg_lo:[0,1] neg_hi:[0,1]
	v_add_f32_e32 v43, v53, v43
	v_add_f32_e32 v42, v42, v43
	;; [unrolled: 1-line block ×3, first 2 shown]
	v_mul_f32_e32 v53, v52, v43
	v_mul_f32_e32 v44, v51, v53
	v_fma_f32 v46, v53, v51, -v44
	v_fmac_f32_e32 v46, v53, v41
	v_sub_f32_e32 v41, v45, v43
	v_add_f32_e32 v41, v42, v41
	v_add_f32_e32 v42, v44, v46
	v_sub_f32_e32 v45, v43, v42
	v_pk_add_f32 v[48:49], v[42:43], v[44:45] neg_lo:[0,1] neg_hi:[0,1]
	v_mov_b32_e32 v47, v42
	v_pk_add_f32 v[42:43], v[48:49], v[46:47] neg_lo:[0,1] neg_hi:[0,1]
	v_add_f32_e32 v41, v41, v43
	v_add_f32_e32 v41, v42, v41
	;; [unrolled: 1-line block ×4, first 2 shown]
	v_sub_f32_e32 v43, v42, v54
	v_mul_f32_e32 v41, v52, v41
	v_sub_f32_e32 v43, v53, v43
	v_add_f32_e32 v41, v43, v41
	v_add_f32_e32 v45, v42, v41
	v_mul_f32_e32 v46, v45, v45
	v_mov_b32_e32 v44, 0x3ecc95a3
	v_fmac_f32_e32 v44, 0x3e9b6dac, v46
	v_mov_b32_e32 v43, 0x3f2aaada
	v_fmac_f32_e32 v43, v46, v44
	v_cvt_f32_i32_e32 v44, v50
	v_sub_f32_e32 v42, v45, v42
	v_sub_f32_e32 v41, v41, v42
	v_ldexp_f32 v47, v45, 1
	v_mul_f32_e32 v45, v45, v46
	v_mov_b32_e32 v42, 0x3f317218
	s_mov_b32 s34, 0x3f317218
	v_pk_mul_f32 v[42:43], v[44:45], v[42:43]
	v_fma_f32 v46, v44, s34, -v42
	v_fmac_f32_e32 v46, 0xb102e308, v44
	v_pk_add_f32 v[44:45], v[42:43], v[46:47]
	v_sub_f32_e32 v47, v45, v47
	v_ldexp_f32 v41, v41, 1
	v_sub_f32_e32 v47, v43, v47
	v_add_f32_e32 v49, v41, v47
	v_mov_b32_e32 v48, v42
	v_pk_add_f32 v[42:43], v[44:45], v[42:43] neg_lo:[0,1] neg_hi:[0,1]
	v_pk_add_f32 v[50:51], v[44:45], v[48:49]
	v_mov_b32_e32 v43, v51
	v_mov_b32_e32 v47, v44
	v_pk_add_f32 v[52:53], v[46:47], v[42:43] neg_lo:[0,1] neg_hi:[0,1]
	v_pk_add_f32 v[42:43], v[46:47], v[42:43]
	v_mov_b32_e32 v46, v43
	v_pk_add_f32 v[54:55], v[46:47], v[44:45] neg_lo:[0,1] neg_hi:[0,1]
	v_mov_b32_e32 v41, v54
	v_pk_add_f32 v[56:57], v[50:51], v[40:41] neg_lo:[0,1] neg_hi:[0,1]
	v_mov_b32_e32 v42, v51
	v_mov_b32_e32 v50, v45
	;; [unrolled: 1-line block ×4, first 2 shown]
	v_pk_add_f32 v[42:43], v[42:43], v[50:51] neg_lo:[0,1] neg_hi:[0,1]
	v_mov_b32_e32 v48, v49
	v_mov_b32_e32 v49, v44
	v_pk_add_f32 v[42:43], v[48:49], v[42:43] neg_lo:[0,1] neg_hi:[0,1]
	v_mov_b32_e32 v56, v52
	v_pk_add_f32 v[44:45], v[56:57], v[42:43]
	v_mov_b32_e32 v48, v45
	v_pk_add_f32 v[48:49], v[44:45], v[48:49]
	v_pk_add_f32 v[46:47], v[46:47], v[48:49]
	v_mov_b32_e32 v45, v46
	v_pk_add_f32 v[50:51], v[44:45], v[52:53] neg_lo:[0,1] neg_hi:[0,1]
	v_mov_b32_e32 v43, v48
	v_sub_f32_e32 v41, v44, v50
	v_pk_add_f32 v[42:43], v[42:43], v[50:51] neg_lo:[0,1] neg_hi:[0,1]
	v_sub_f32_e32 v41, v52, v41
	v_add_f32_e32 v41, v42, v41
	v_cmp_eq_f32_e64 s[34:35], s57, v58
	s_mov_b32 s57, 0x33800000
	v_add_f32_e32 v41, v41, v43
	v_cmp_lt_f32_e64 s[58:59], |v58|, s57
	v_add_f32_e32 v41, v46, v41
	s_or_b64 s[34:35], s[34:35], s[58:59]
	v_cndmask_b32_e64 v41, v41, v58, s[34:35]
	v_add_f32_e32 v41, v40, v41
.LBB136_246:
	s_or_b64 exec, exec, s[36:37]
	v_mov_b32_e32 v40, v41
.LBB136_247:
	s_or_b64 exec, exec, s[54:55]
	s_nop 0
	v_mov_b32_dpp v41, v40 row_shr:8 row_mask:0xf bank_mask:0xf
	v_cmp_lt_u32_e64 s[34:35], 7, v39
	s_and_saveexec_b64 s[54:55], s[34:35]
	s_cbranch_execz .LBB136_251
; %bb.248:
	v_max_f32_e32 v39, v40, v40
	v_max_f32_e32 v43, v41, v41
	v_min_f32_e32 v42, v43, v39
	v_cmp_u_f32_e64 s[34:35], v41, v41
	v_max_f32_e32 v39, v43, v39
	v_cndmask_b32_e64 v42, v42, v41, s[34:35]
	v_cmp_u_f32_e64 s[36:37], v40, v40
	v_cndmask_b32_e64 v39, v39, v41, s[34:35]
	v_cndmask_b32_e64 v42, v42, v40, s[36:37]
	;; [unrolled: 1-line block ×3, first 2 shown]
	s_movk_i32 s36, 0x1f8
	v_cmp_neq_f32_e64 s[34:35], v42, v39
	v_cmp_class_f32_e64 s[36:37], v42, s36
	s_or_b64 s[34:35], s[34:35], s[36:37]
	s_and_saveexec_b64 s[36:37], s[34:35]
	s_cbranch_execz .LBB136_250
; %bb.249:
	v_sub_f32_e32 v40, v42, v39
	s_mov_b32 s34, 0x3fb8aa3b
	v_mul_f32_e32 v41, 0x3fb8aa3b, v40
	v_fma_f32 v42, v40, s34, -v41
	v_rndne_f32_e32 v43, v41
	v_fmac_f32_e32 v42, 0x32a5705f, v40
	v_sub_f32_e32 v41, v41, v43
	v_add_f32_e32 v41, v41, v42
	v_exp_f32_e32 v41, v41
	v_cvt_i32_f32_e32 v42, v43
	s_mov_b32 s34, 0xc2ce8ed0
	v_cmp_ngt_f32_e64 s[34:35], s34, v40
	s_mov_b32 s57, 0x7f800000
	v_ldexp_f32 v41, v41, v42
	v_cndmask_b32_e64 v41, 0, v41, s[34:35]
	s_mov_b32 s34, 0x42b17218
	v_mov_b32_e32 v42, 0x7f800000
	v_cmp_nlt_f32_e64 s[34:35], s34, v40
	v_cndmask_b32_e64 v56, v42, v41, s[34:35]
	v_add_f32_e32 v42, 1.0, v56
	v_add_f32_e32 v40, -1.0, v42
	v_sub_f32_e32 v41, v40, v42
	v_add_f32_e32 v41, 1.0, v41
	v_sub_f32_e32 v40, v56, v40
	v_add_f32_e32 v43, v40, v41
	v_frexp_mant_f32_e32 v44, v42
	s_mov_b32 s34, 0x3f2aaaab
	v_cvt_f64_f32_e32 v[40:41], v42
	v_frexp_exp_i32_f64_e32 v40, v[40:41]
	v_cmp_gt_f32_e64 s[34:35], s34, v44
	v_subbrev_co_u32_e64 v48, s[34:35], 0, v40, s[34:35]
	v_sub_u32_e32 v40, 0, v48
	v_ldexp_f32 v41, v42, v40
	v_add_f32_e32 v42, -1.0, v41
	v_add_f32_e32 v44, 1.0, v41
	v_ldexp_f32 v40, v43, v40
	v_add_f32_e32 v43, 1.0, v42
	v_add_f32_e32 v45, -1.0, v44
	v_sub_f32_e32 v43, v41, v43
	v_sub_f32_e32 v41, v41, v45
	v_add_f32_e32 v43, v40, v43
	v_add_f32_e32 v40, v40, v41
	;; [unrolled: 1-line block ×3, first 2 shown]
	v_rcp_f32_e32 v51, v49
	v_sub_f32_e32 v41, v44, v49
	v_add_f32_e32 v50, v40, v41
	v_add_f32_e32 v41, v42, v43
	v_mul_f32_e32 v53, v41, v51
	v_sub_f32_e32 v40, v42, v41
	v_mul_f32_e32 v42, v49, v53
	v_fma_f32 v44, v53, v49, -v42
	v_fmac_f32_e32 v44, v53, v50
	v_add_f32_e32 v52, v43, v40
	v_add_f32_e32 v40, v42, v44
	v_sub_f32_e32 v43, v41, v40
	v_pk_add_f32 v[46:47], v[40:41], v[42:43] neg_lo:[0,1] neg_hi:[0,1]
	v_mov_b32_e32 v45, v40
	v_pk_add_f32 v[40:41], v[46:47], v[44:45] neg_lo:[0,1] neg_hi:[0,1]
	v_add_f32_e32 v41, v52, v41
	v_add_f32_e32 v40, v40, v41
	;; [unrolled: 1-line block ×3, first 2 shown]
	v_mul_f32_e32 v52, v51, v41
	v_mul_f32_e32 v42, v49, v52
	v_fma_f32 v44, v52, v49, -v42
	v_fmac_f32_e32 v44, v52, v50
	v_sub_f32_e32 v43, v43, v41
	v_add_f32_e32 v49, v40, v43
	v_add_f32_e32 v40, v42, v44
	v_sub_f32_e32 v43, v41, v40
	v_pk_add_f32 v[46:47], v[40:41], v[42:43] neg_lo:[0,1] neg_hi:[0,1]
	v_mov_b32_e32 v45, v40
	v_pk_add_f32 v[40:41], v[46:47], v[44:45] neg_lo:[0,1] neg_hi:[0,1]
	v_add_f32_e32 v41, v49, v41
	v_add_f32_e32 v40, v40, v41
	;; [unrolled: 1-line block ×4, first 2 shown]
	v_sub_f32_e32 v41, v43, v53
	v_mul_f32_e32 v40, v51, v40
	v_sub_f32_e32 v41, v52, v41
	v_add_f32_e32 v40, v41, v40
	v_add_f32_e32 v44, v43, v40
	v_mul_f32_e32 v46, v44, v44
	v_mov_b32_e32 v42, 0x3ecc95a3
	v_fmac_f32_e32 v42, 0x3e9b6dac, v46
	v_mov_b32_e32 v41, 0x3f2aaada
	v_fmac_f32_e32 v41, v46, v42
	v_cvt_f32_i32_e32 v42, v48
	v_sub_f32_e32 v43, v44, v43
	v_sub_f32_e32 v40, v40, v43
	v_ldexp_f32 v47, v40, 1
	v_mul_f32_e32 v43, v44, v46
	v_mov_b32_e32 v40, 0x3f317218
	s_mov_b32 s34, 0x3f317218
	v_pk_mul_f32 v[40:41], v[42:43], v[40:41]
	v_ldexp_f32 v45, v44, 1
	v_fma_f32 v44, v42, s34, -v40
	v_fmac_f32_e32 v44, 0xb102e308, v42
	v_pk_add_f32 v[42:43], v[40:41], v[44:45]
	v_sub_f32_e32 v45, v43, v45
	v_sub_f32_e32 v45, v41, v45
	v_add_f32_e32 v47, v47, v45
	v_mov_b32_e32 v46, v40
	v_pk_add_f32 v[40:41], v[42:43], v[40:41] neg_lo:[0,1] neg_hi:[0,1]
	v_pk_add_f32 v[48:49], v[42:43], v[46:47]
	v_mov_b32_e32 v41, v49
	v_mov_b32_e32 v45, v42
	v_pk_add_f32 v[50:51], v[44:45], v[40:41] neg_lo:[0,1] neg_hi:[0,1]
	v_pk_add_f32 v[40:41], v[44:45], v[40:41]
	v_mov_b32_e32 v44, v41
	v_pk_add_f32 v[52:53], v[44:45], v[42:43] neg_lo:[0,1] neg_hi:[0,1]
	v_mov_b32_e32 v45, v52
	v_pk_add_f32 v[54:55], v[48:49], v[44:45] neg_lo:[0,1] neg_hi:[0,1]
	v_mov_b32_e32 v40, v49
	v_mov_b32_e32 v48, v43
	;; [unrolled: 1-line block ×4, first 2 shown]
	v_pk_add_f32 v[40:41], v[40:41], v[48:49] neg_lo:[0,1] neg_hi:[0,1]
	v_mov_b32_e32 v46, v47
	v_mov_b32_e32 v47, v42
	v_pk_add_f32 v[40:41], v[46:47], v[40:41] neg_lo:[0,1] neg_hi:[0,1]
	v_mov_b32_e32 v54, v50
	v_pk_add_f32 v[42:43], v[54:55], v[40:41]
	v_mov_b32_e32 v46, v43
	v_pk_add_f32 v[46:47], v[42:43], v[46:47]
	v_pk_add_f32 v[44:45], v[44:45], v[46:47]
	v_mov_b32_e32 v43, v44
	v_pk_add_f32 v[48:49], v[42:43], v[50:51] neg_lo:[0,1] neg_hi:[0,1]
	v_mov_b32_e32 v41, v46
	v_sub_f32_e32 v42, v42, v48
	v_pk_add_f32 v[40:41], v[40:41], v[48:49] neg_lo:[0,1] neg_hi:[0,1]
	v_sub_f32_e32 v42, v50, v42
	v_add_f32_e32 v40, v40, v42
	v_cmp_eq_f32_e64 s[34:35], s57, v56
	s_mov_b32 s57, 0x33800000
	v_add_f32_e32 v40, v40, v41
	v_cmp_lt_f32_e64 s[58:59], |v56|, s57
	v_add_f32_e32 v40, v44, v40
	s_or_b64 s[34:35], s[34:35], s[58:59]
	v_cndmask_b32_e64 v40, v40, v56, s[34:35]
	v_add_f32_e32 v41, v39, v40
.LBB136_250:
	s_or_b64 exec, exec, s[36:37]
	v_mov_b32_e32 v40, v41
.LBB136_251:
	s_or_b64 exec, exec, s[54:55]
	v_and_b32_e32 v39, 16, v7
	v_mov_b32_dpp v41, v40 row_bcast:15 row_mask:0xf bank_mask:0xf
	v_cmp_ne_u32_e64 s[34:35], 0, v39
	s_and_saveexec_b64 s[54:55], s[34:35]
	s_cbranch_execz .LBB136_255
; %bb.252:
	v_max_f32_e32 v39, v40, v40
	v_max_f32_e32 v43, v41, v41
	v_min_f32_e32 v42, v43, v39
	v_cmp_u_f32_e64 s[34:35], v41, v41
	v_max_f32_e32 v39, v43, v39
	v_cndmask_b32_e64 v42, v42, v41, s[34:35]
	v_cmp_u_f32_e64 s[36:37], v40, v40
	v_cndmask_b32_e64 v39, v39, v41, s[34:35]
	v_cndmask_b32_e64 v42, v42, v40, s[36:37]
	;; [unrolled: 1-line block ×3, first 2 shown]
	s_movk_i32 s36, 0x1f8
	v_cmp_neq_f32_e64 s[34:35], v42, v39
	v_cmp_class_f32_e64 s[36:37], v42, s36
	s_or_b64 s[34:35], s[34:35], s[36:37]
	s_and_saveexec_b64 s[36:37], s[34:35]
	s_cbranch_execz .LBB136_254
; %bb.253:
	v_sub_f32_e32 v40, v42, v39
	s_mov_b32 s34, 0x3fb8aa3b
	v_mul_f32_e32 v41, 0x3fb8aa3b, v40
	v_fma_f32 v42, v40, s34, -v41
	v_rndne_f32_e32 v43, v41
	v_fmac_f32_e32 v42, 0x32a5705f, v40
	v_sub_f32_e32 v41, v41, v43
	v_add_f32_e32 v41, v41, v42
	v_exp_f32_e32 v41, v41
	v_cvt_i32_f32_e32 v42, v43
	s_mov_b32 s34, 0xc2ce8ed0
	v_cmp_ngt_f32_e64 s[34:35], s34, v40
	s_mov_b32 s57, 0x7f800000
	v_ldexp_f32 v41, v41, v42
	v_cndmask_b32_e64 v41, 0, v41, s[34:35]
	s_mov_b32 s34, 0x42b17218
	v_mov_b32_e32 v42, 0x7f800000
	v_cmp_nlt_f32_e64 s[34:35], s34, v40
	v_cndmask_b32_e64 v56, v42, v41, s[34:35]
	v_add_f32_e32 v42, 1.0, v56
	v_add_f32_e32 v40, -1.0, v42
	v_sub_f32_e32 v41, v40, v42
	v_add_f32_e32 v41, 1.0, v41
	v_sub_f32_e32 v40, v56, v40
	v_add_f32_e32 v43, v40, v41
	v_frexp_mant_f32_e32 v44, v42
	s_mov_b32 s34, 0x3f2aaaab
	v_cvt_f64_f32_e32 v[40:41], v42
	v_frexp_exp_i32_f64_e32 v40, v[40:41]
	v_cmp_gt_f32_e64 s[34:35], s34, v44
	v_subbrev_co_u32_e64 v48, s[34:35], 0, v40, s[34:35]
	v_sub_u32_e32 v40, 0, v48
	v_ldexp_f32 v41, v42, v40
	v_add_f32_e32 v42, -1.0, v41
	v_add_f32_e32 v44, 1.0, v41
	v_ldexp_f32 v40, v43, v40
	v_add_f32_e32 v43, 1.0, v42
	v_add_f32_e32 v45, -1.0, v44
	v_sub_f32_e32 v43, v41, v43
	v_sub_f32_e32 v41, v41, v45
	v_add_f32_e32 v43, v40, v43
	v_add_f32_e32 v40, v40, v41
	;; [unrolled: 1-line block ×3, first 2 shown]
	v_rcp_f32_e32 v51, v49
	v_sub_f32_e32 v41, v44, v49
	v_add_f32_e32 v50, v40, v41
	v_add_f32_e32 v41, v42, v43
	v_mul_f32_e32 v53, v41, v51
	v_sub_f32_e32 v40, v42, v41
	v_mul_f32_e32 v42, v49, v53
	v_fma_f32 v44, v53, v49, -v42
	v_fmac_f32_e32 v44, v53, v50
	v_add_f32_e32 v52, v43, v40
	v_add_f32_e32 v40, v42, v44
	v_sub_f32_e32 v43, v41, v40
	v_pk_add_f32 v[46:47], v[40:41], v[42:43] neg_lo:[0,1] neg_hi:[0,1]
	v_mov_b32_e32 v45, v40
	v_pk_add_f32 v[40:41], v[46:47], v[44:45] neg_lo:[0,1] neg_hi:[0,1]
	v_add_f32_e32 v41, v52, v41
	v_add_f32_e32 v40, v40, v41
	;; [unrolled: 1-line block ×3, first 2 shown]
	v_mul_f32_e32 v52, v51, v41
	v_mul_f32_e32 v42, v49, v52
	v_fma_f32 v44, v52, v49, -v42
	v_fmac_f32_e32 v44, v52, v50
	v_sub_f32_e32 v43, v43, v41
	v_add_f32_e32 v49, v40, v43
	v_add_f32_e32 v40, v42, v44
	v_sub_f32_e32 v43, v41, v40
	v_pk_add_f32 v[46:47], v[40:41], v[42:43] neg_lo:[0,1] neg_hi:[0,1]
	v_mov_b32_e32 v45, v40
	v_pk_add_f32 v[40:41], v[46:47], v[44:45] neg_lo:[0,1] neg_hi:[0,1]
	v_add_f32_e32 v41, v49, v41
	v_add_f32_e32 v40, v40, v41
	;; [unrolled: 1-line block ×4, first 2 shown]
	v_sub_f32_e32 v41, v43, v53
	v_mul_f32_e32 v40, v51, v40
	v_sub_f32_e32 v41, v52, v41
	v_add_f32_e32 v40, v41, v40
	v_add_f32_e32 v44, v43, v40
	v_mul_f32_e32 v46, v44, v44
	v_mov_b32_e32 v42, 0x3ecc95a3
	v_fmac_f32_e32 v42, 0x3e9b6dac, v46
	v_mov_b32_e32 v41, 0x3f2aaada
	v_fmac_f32_e32 v41, v46, v42
	v_cvt_f32_i32_e32 v42, v48
	v_sub_f32_e32 v43, v44, v43
	v_sub_f32_e32 v40, v40, v43
	v_ldexp_f32 v47, v40, 1
	v_mul_f32_e32 v43, v44, v46
	v_mov_b32_e32 v40, 0x3f317218
	s_mov_b32 s34, 0x3f317218
	v_pk_mul_f32 v[40:41], v[42:43], v[40:41]
	v_ldexp_f32 v45, v44, 1
	v_fma_f32 v44, v42, s34, -v40
	v_fmac_f32_e32 v44, 0xb102e308, v42
	v_pk_add_f32 v[42:43], v[40:41], v[44:45]
	v_sub_f32_e32 v45, v43, v45
	v_sub_f32_e32 v45, v41, v45
	v_add_f32_e32 v47, v47, v45
	v_mov_b32_e32 v46, v40
	v_pk_add_f32 v[40:41], v[42:43], v[40:41] neg_lo:[0,1] neg_hi:[0,1]
	v_pk_add_f32 v[48:49], v[42:43], v[46:47]
	v_mov_b32_e32 v41, v49
	v_mov_b32_e32 v45, v42
	v_pk_add_f32 v[50:51], v[44:45], v[40:41] neg_lo:[0,1] neg_hi:[0,1]
	v_pk_add_f32 v[40:41], v[44:45], v[40:41]
	v_mov_b32_e32 v44, v41
	v_pk_add_f32 v[52:53], v[44:45], v[42:43] neg_lo:[0,1] neg_hi:[0,1]
	v_mov_b32_e32 v45, v52
	v_pk_add_f32 v[54:55], v[48:49], v[44:45] neg_lo:[0,1] neg_hi:[0,1]
	v_mov_b32_e32 v40, v49
	v_mov_b32_e32 v48, v43
	;; [unrolled: 1-line block ×4, first 2 shown]
	v_pk_add_f32 v[40:41], v[40:41], v[48:49] neg_lo:[0,1] neg_hi:[0,1]
	v_mov_b32_e32 v46, v47
	v_mov_b32_e32 v47, v42
	v_pk_add_f32 v[40:41], v[46:47], v[40:41] neg_lo:[0,1] neg_hi:[0,1]
	v_mov_b32_e32 v54, v50
	v_pk_add_f32 v[42:43], v[54:55], v[40:41]
	v_mov_b32_e32 v46, v43
	v_pk_add_f32 v[46:47], v[42:43], v[46:47]
	v_pk_add_f32 v[44:45], v[44:45], v[46:47]
	v_mov_b32_e32 v43, v44
	v_pk_add_f32 v[48:49], v[42:43], v[50:51] neg_lo:[0,1] neg_hi:[0,1]
	v_mov_b32_e32 v41, v46
	v_sub_f32_e32 v42, v42, v48
	v_pk_add_f32 v[40:41], v[40:41], v[48:49] neg_lo:[0,1] neg_hi:[0,1]
	v_sub_f32_e32 v42, v50, v42
	v_add_f32_e32 v40, v40, v42
	v_cmp_eq_f32_e64 s[34:35], s57, v56
	s_mov_b32 s57, 0x33800000
	v_add_f32_e32 v40, v40, v41
	v_cmp_lt_f32_e64 s[58:59], |v56|, s57
	v_add_f32_e32 v40, v44, v40
	s_or_b64 s[34:35], s[34:35], s[58:59]
	v_cndmask_b32_e64 v40, v40, v56, s[34:35]
	v_add_f32_e32 v41, v39, v40
.LBB136_254:
	s_or_b64 exec, exec, s[36:37]
	v_mov_b32_e32 v40, v41
.LBB136_255:
	s_or_b64 exec, exec, s[54:55]
	s_nop 0
	v_mov_b32_dpp v41, v40 row_bcast:31 row_mask:0xf bank_mask:0xf
	v_cmp_lt_u32_e64 s[34:35], 31, v7
	s_and_saveexec_b64 s[54:55], s[34:35]
	s_cbranch_execz .LBB136_259
; %bb.256:
	v_max_f32_e32 v39, v40, v40
	v_max_f32_e32 v43, v41, v41
	v_min_f32_e32 v42, v43, v39
	v_cmp_u_f32_e64 s[34:35], v41, v41
	v_max_f32_e32 v39, v43, v39
	v_cndmask_b32_e64 v42, v42, v41, s[34:35]
	v_cmp_u_f32_e64 s[36:37], v40, v40
	v_cndmask_b32_e64 v39, v39, v41, s[34:35]
	v_cndmask_b32_e64 v42, v42, v40, s[36:37]
	;; [unrolled: 1-line block ×3, first 2 shown]
	s_movk_i32 s36, 0x1f8
	v_cmp_neq_f32_e64 s[34:35], v42, v39
	v_cmp_class_f32_e64 s[36:37], v42, s36
	s_or_b64 s[34:35], s[34:35], s[36:37]
	s_and_saveexec_b64 s[36:37], s[34:35]
	s_cbranch_execz .LBB136_258
; %bb.257:
	v_sub_f32_e32 v40, v42, v39
	s_mov_b32 s34, 0x3fb8aa3b
	v_mul_f32_e32 v41, 0x3fb8aa3b, v40
	v_fma_f32 v42, v40, s34, -v41
	v_rndne_f32_e32 v43, v41
	v_fmac_f32_e32 v42, 0x32a5705f, v40
	v_sub_f32_e32 v41, v41, v43
	v_add_f32_e32 v41, v41, v42
	v_exp_f32_e32 v41, v41
	v_cvt_i32_f32_e32 v42, v43
	s_mov_b32 s34, 0xc2ce8ed0
	v_cmp_ngt_f32_e64 s[34:35], s34, v40
	s_mov_b32 s57, 0x7f800000
	v_ldexp_f32 v41, v41, v42
	v_cndmask_b32_e64 v41, 0, v41, s[34:35]
	s_mov_b32 s34, 0x42b17218
	v_mov_b32_e32 v42, 0x7f800000
	v_cmp_nlt_f32_e64 s[34:35], s34, v40
	v_cndmask_b32_e64 v56, v42, v41, s[34:35]
	v_add_f32_e32 v42, 1.0, v56
	v_add_f32_e32 v40, -1.0, v42
	v_sub_f32_e32 v41, v40, v42
	v_add_f32_e32 v41, 1.0, v41
	v_sub_f32_e32 v40, v56, v40
	v_add_f32_e32 v43, v40, v41
	v_frexp_mant_f32_e32 v44, v42
	s_mov_b32 s34, 0x3f2aaaab
	v_cvt_f64_f32_e32 v[40:41], v42
	v_frexp_exp_i32_f64_e32 v40, v[40:41]
	v_cmp_gt_f32_e64 s[34:35], s34, v44
	v_subbrev_co_u32_e64 v48, s[34:35], 0, v40, s[34:35]
	v_sub_u32_e32 v40, 0, v48
	v_ldexp_f32 v41, v42, v40
	v_add_f32_e32 v42, -1.0, v41
	v_add_f32_e32 v44, 1.0, v41
	v_ldexp_f32 v40, v43, v40
	v_add_f32_e32 v43, 1.0, v42
	v_add_f32_e32 v45, -1.0, v44
	v_sub_f32_e32 v43, v41, v43
	v_sub_f32_e32 v41, v41, v45
	v_add_f32_e32 v43, v40, v43
	v_add_f32_e32 v40, v40, v41
	;; [unrolled: 1-line block ×3, first 2 shown]
	v_rcp_f32_e32 v51, v49
	v_sub_f32_e32 v41, v44, v49
	v_add_f32_e32 v50, v40, v41
	v_add_f32_e32 v41, v42, v43
	v_mul_f32_e32 v53, v41, v51
	v_sub_f32_e32 v40, v42, v41
	v_mul_f32_e32 v42, v49, v53
	v_fma_f32 v44, v53, v49, -v42
	v_fmac_f32_e32 v44, v53, v50
	v_add_f32_e32 v52, v43, v40
	v_add_f32_e32 v40, v42, v44
	v_sub_f32_e32 v43, v41, v40
	v_pk_add_f32 v[46:47], v[40:41], v[42:43] neg_lo:[0,1] neg_hi:[0,1]
	v_mov_b32_e32 v45, v40
	v_pk_add_f32 v[40:41], v[46:47], v[44:45] neg_lo:[0,1] neg_hi:[0,1]
	v_add_f32_e32 v41, v52, v41
	v_add_f32_e32 v40, v40, v41
	;; [unrolled: 1-line block ×3, first 2 shown]
	v_mul_f32_e32 v52, v51, v41
	v_mul_f32_e32 v42, v49, v52
	v_fma_f32 v44, v52, v49, -v42
	v_fmac_f32_e32 v44, v52, v50
	v_sub_f32_e32 v43, v43, v41
	v_add_f32_e32 v49, v40, v43
	v_add_f32_e32 v40, v42, v44
	v_sub_f32_e32 v43, v41, v40
	v_pk_add_f32 v[46:47], v[40:41], v[42:43] neg_lo:[0,1] neg_hi:[0,1]
	v_mov_b32_e32 v45, v40
	v_pk_add_f32 v[40:41], v[46:47], v[44:45] neg_lo:[0,1] neg_hi:[0,1]
	v_add_f32_e32 v41, v49, v41
	v_add_f32_e32 v40, v40, v41
	;; [unrolled: 1-line block ×4, first 2 shown]
	v_sub_f32_e32 v41, v43, v53
	v_mul_f32_e32 v40, v51, v40
	v_sub_f32_e32 v41, v52, v41
	v_add_f32_e32 v40, v41, v40
	v_add_f32_e32 v44, v43, v40
	v_mul_f32_e32 v46, v44, v44
	v_mov_b32_e32 v42, 0x3ecc95a3
	v_fmac_f32_e32 v42, 0x3e9b6dac, v46
	v_mov_b32_e32 v41, 0x3f2aaada
	v_fmac_f32_e32 v41, v46, v42
	v_cvt_f32_i32_e32 v42, v48
	v_sub_f32_e32 v43, v44, v43
	v_sub_f32_e32 v40, v40, v43
	v_ldexp_f32 v47, v40, 1
	v_mul_f32_e32 v43, v44, v46
	v_mov_b32_e32 v40, 0x3f317218
	s_mov_b32 s34, 0x3f317218
	v_pk_mul_f32 v[40:41], v[42:43], v[40:41]
	v_ldexp_f32 v45, v44, 1
	v_fma_f32 v44, v42, s34, -v40
	v_fmac_f32_e32 v44, 0xb102e308, v42
	v_pk_add_f32 v[42:43], v[40:41], v[44:45]
	v_sub_f32_e32 v45, v43, v45
	v_sub_f32_e32 v45, v41, v45
	v_add_f32_e32 v47, v47, v45
	v_mov_b32_e32 v46, v40
	v_pk_add_f32 v[40:41], v[42:43], v[40:41] neg_lo:[0,1] neg_hi:[0,1]
	v_pk_add_f32 v[48:49], v[42:43], v[46:47]
	v_mov_b32_e32 v41, v49
	v_mov_b32_e32 v45, v42
	v_pk_add_f32 v[50:51], v[44:45], v[40:41] neg_lo:[0,1] neg_hi:[0,1]
	v_pk_add_f32 v[40:41], v[44:45], v[40:41]
	v_mov_b32_e32 v44, v41
	v_pk_add_f32 v[52:53], v[44:45], v[42:43] neg_lo:[0,1] neg_hi:[0,1]
	v_mov_b32_e32 v45, v52
	v_pk_add_f32 v[54:55], v[48:49], v[44:45] neg_lo:[0,1] neg_hi:[0,1]
	v_mov_b32_e32 v40, v49
	v_mov_b32_e32 v48, v43
	;; [unrolled: 1-line block ×4, first 2 shown]
	v_pk_add_f32 v[40:41], v[40:41], v[48:49] neg_lo:[0,1] neg_hi:[0,1]
	v_mov_b32_e32 v46, v47
	v_mov_b32_e32 v47, v42
	v_pk_add_f32 v[40:41], v[46:47], v[40:41] neg_lo:[0,1] neg_hi:[0,1]
	v_mov_b32_e32 v54, v50
	v_pk_add_f32 v[42:43], v[54:55], v[40:41]
	v_mov_b32_e32 v46, v43
	v_pk_add_f32 v[46:47], v[42:43], v[46:47]
	v_pk_add_f32 v[44:45], v[44:45], v[46:47]
	v_mov_b32_e32 v43, v44
	v_pk_add_f32 v[48:49], v[42:43], v[50:51] neg_lo:[0,1] neg_hi:[0,1]
	v_mov_b32_e32 v41, v46
	v_sub_f32_e32 v42, v42, v48
	v_pk_add_f32 v[40:41], v[40:41], v[48:49] neg_lo:[0,1] neg_hi:[0,1]
	v_sub_f32_e32 v42, v50, v42
	v_add_f32_e32 v40, v40, v42
	v_cmp_eq_f32_e64 s[34:35], s57, v56
	s_mov_b32 s57, 0x33800000
	v_add_f32_e32 v40, v40, v41
	v_cmp_lt_f32_e64 s[58:59], |v56|, s57
	v_add_f32_e32 v40, v44, v40
	s_or_b64 s[34:35], s[34:35], s[58:59]
	v_cndmask_b32_e64 v40, v40, v56, s[34:35]
	v_add_f32_e32 v41, v39, v40
.LBB136_258:
	s_or_b64 exec, exec, s[36:37]
	v_mov_b32_e32 v40, v41
.LBB136_259:
	s_or_b64 exec, exec, s[54:55]
	v_add_u32_e32 v39, -1, v7
	v_and_b32_e32 v41, 64, v7
	v_cmp_lt_i32_e64 s[34:35], v39, v41
	v_cndmask_b32_e64 v7, v39, v7, s[34:35]
	v_lshlrev_b32_e32 v7, 2, v7
	ds_bpermute_b32 v7, v7, v40
	s_movk_i32 s36, 0x1f8
	s_waitcnt lgkmcnt(0)
	v_max_f32_e32 v39, v7, v7
	v_min_f32_e32 v40, v39, v38
	v_max_f32_e32 v39, v39, v38
	v_cmp_u_f32_e64 s[34:35], v7, v7
	v_cndmask_b32_e64 v38, v40, v7, s[34:35]
	v_cndmask_b32_e64 v39, v39, v7, s[34:35]
	;; [unrolled: 1-line block ×4, first 2 shown]
	v_cmp_neq_f32_e64 s[30:31], v38, v6
	v_cmp_class_f32_e64 s[34:35], v38, s36
	s_or_b64 s[30:31], s[30:31], s[34:35]
	s_and_saveexec_b64 s[34:35], s[30:31]
	s_cbranch_execz .LBB136_261
; %bb.260:
	v_sub_f32_e32 v7, v38, v6
	s_mov_b32 s30, 0x3fb8aa3b
	v_mul_f32_e32 v38, 0x3fb8aa3b, v7
	v_fma_f32 v39, v7, s30, -v38
	v_rndne_f32_e32 v40, v38
	v_fmac_f32_e32 v39, 0x32a5705f, v7
	v_sub_f32_e32 v38, v38, v40
	v_add_f32_e32 v38, v38, v39
	v_exp_f32_e32 v38, v38
	v_cvt_i32_f32_e32 v39, v40
	s_mov_b32 s30, 0xc2ce8ed0
	v_cmp_ngt_f32_e64 s[30:31], s30, v7
	s_mov_b32 s37, 0x7f800000
	v_ldexp_f32 v38, v38, v39
	v_cndmask_b32_e64 v38, 0, v38, s[30:31]
	s_mov_b32 s30, 0x42b17218
	v_mov_b32_e32 v39, 0x7f800000
	v_cmp_nlt_f32_e64 s[30:31], s30, v7
	v_cndmask_b32_e64 v54, v39, v38, s[30:31]
	v_add_f32_e32 v7, 1.0, v54
	v_add_f32_e32 v38, -1.0, v7
	v_sub_f32_e32 v39, v38, v7
	v_add_f32_e32 v39, 1.0, v39
	v_sub_f32_e32 v38, v54, v38
	v_add_f32_e32 v40, v38, v39
	v_frexp_mant_f32_e32 v41, v7
	s_mov_b32 s30, 0x3f2aaaab
	v_cvt_f64_f32_e32 v[38:39], v7
	v_frexp_exp_i32_f64_e32 v38, v[38:39]
	v_cmp_gt_f32_e64 s[30:31], s30, v41
	v_subbrev_co_u32_e64 v46, s[30:31], 0, v38, s[30:31]
	v_sub_u32_e32 v38, 0, v46
	v_ldexp_f32 v7, v7, v38
	v_ldexp_f32 v38, v40, v38
	v_add_f32_e32 v40, -1.0, v7
	v_add_f32_e32 v39, 1.0, v40
	v_sub_f32_e32 v39, v7, v39
	v_add_f32_e32 v41, v38, v39
	v_add_f32_e32 v39, 1.0, v7
	v_add_f32_e32 v42, -1.0, v39
	v_sub_f32_e32 v7, v7, v42
	v_add_f32_e32 v7, v38, v7
	v_add_f32_e32 v47, v39, v7
	v_rcp_f32_e32 v48, v47
	v_sub_f32_e32 v38, v39, v47
	v_add_f32_e32 v39, v40, v41
	v_add_f32_e32 v7, v7, v38
	v_mul_f32_e32 v50, v39, v48
	v_sub_f32_e32 v38, v40, v39
	v_mul_f32_e32 v40, v47, v50
	v_fma_f32 v42, v50, v47, -v40
	v_fmac_f32_e32 v42, v50, v7
	v_add_f32_e32 v49, v41, v38
	v_add_f32_e32 v38, v40, v42
	v_sub_f32_e32 v41, v39, v38
	v_pk_add_f32 v[44:45], v[38:39], v[40:41] neg_lo:[0,1] neg_hi:[0,1]
	v_mov_b32_e32 v43, v38
	v_pk_add_f32 v[38:39], v[44:45], v[42:43] neg_lo:[0,1] neg_hi:[0,1]
	v_add_f32_e32 v39, v49, v39
	v_add_f32_e32 v38, v38, v39
	;; [unrolled: 1-line block ×3, first 2 shown]
	v_mul_f32_e32 v49, v48, v39
	v_mul_f32_e32 v40, v47, v49
	v_fma_f32 v42, v49, v47, -v40
	v_fmac_f32_e32 v42, v49, v7
	v_sub_f32_e32 v7, v41, v39
	v_add_f32_e32 v7, v38, v7
	v_add_f32_e32 v38, v40, v42
	v_sub_f32_e32 v41, v39, v38
	v_pk_add_f32 v[44:45], v[38:39], v[40:41] neg_lo:[0,1] neg_hi:[0,1]
	v_mov_b32_e32 v43, v38
	v_pk_add_f32 v[38:39], v[44:45], v[42:43] neg_lo:[0,1] neg_hi:[0,1]
	v_add_f32_e32 v7, v7, v39
	v_add_f32_e32 v7, v38, v7
	;; [unrolled: 1-line block ×4, first 2 shown]
	v_sub_f32_e32 v39, v38, v50
	v_mul_f32_e32 v7, v48, v7
	v_sub_f32_e32 v39, v49, v39
	v_add_f32_e32 v7, v39, v7
	v_add_f32_e32 v41, v38, v7
	v_mul_f32_e32 v42, v41, v41
	v_mov_b32_e32 v40, 0x3ecc95a3
	v_fmac_f32_e32 v40, 0x3e9b6dac, v42
	v_mov_b32_e32 v39, 0x3f2aaada
	v_fmac_f32_e32 v39, v42, v40
	v_cvt_f32_i32_e32 v40, v46
	v_sub_f32_e32 v38, v41, v38
	v_sub_f32_e32 v7, v7, v38
	v_ldexp_f32 v43, v41, 1
	v_mul_f32_e32 v41, v41, v42
	v_mov_b32_e32 v38, 0x3f317218
	s_mov_b32 s30, 0x3f317218
	v_pk_mul_f32 v[38:39], v[40:41], v[38:39]
	v_fma_f32 v42, v40, s30, -v38
	v_fmac_f32_e32 v42, 0xb102e308, v40
	v_pk_add_f32 v[40:41], v[38:39], v[42:43]
	v_sub_f32_e32 v43, v41, v43
	v_ldexp_f32 v7, v7, 1
	v_sub_f32_e32 v43, v39, v43
	v_add_f32_e32 v45, v7, v43
	v_mov_b32_e32 v44, v38
	v_pk_add_f32 v[38:39], v[40:41], v[38:39] neg_lo:[0,1] neg_hi:[0,1]
	v_pk_add_f32 v[46:47], v[40:41], v[44:45]
	v_mov_b32_e32 v39, v47
	v_mov_b32_e32 v43, v40
	v_pk_add_f32 v[48:49], v[42:43], v[38:39] neg_lo:[0,1] neg_hi:[0,1]
	v_pk_add_f32 v[38:39], v[42:43], v[38:39]
	v_mov_b32_e32 v42, v39
	v_pk_add_f32 v[50:51], v[42:43], v[40:41] neg_lo:[0,1] neg_hi:[0,1]
	v_mov_b32_e32 v7, v50
	v_pk_add_f32 v[52:53], v[46:47], v[6:7] neg_lo:[0,1] neg_hi:[0,1]
	v_mov_b32_e32 v38, v47
	v_mov_b32_e32 v46, v41
	;; [unrolled: 1-line block ×4, first 2 shown]
	v_pk_add_f32 v[38:39], v[38:39], v[46:47] neg_lo:[0,1] neg_hi:[0,1]
	v_mov_b32_e32 v44, v45
	v_mov_b32_e32 v45, v40
	v_pk_add_f32 v[38:39], v[44:45], v[38:39] neg_lo:[0,1] neg_hi:[0,1]
	v_mov_b32_e32 v52, v48
	v_pk_add_f32 v[40:41], v[52:53], v[38:39]
	v_mov_b32_e32 v44, v41
	v_pk_add_f32 v[44:45], v[40:41], v[44:45]
	v_pk_add_f32 v[42:43], v[42:43], v[44:45]
	v_mov_b32_e32 v41, v42
	v_pk_add_f32 v[46:47], v[40:41], v[48:49] neg_lo:[0,1] neg_hi:[0,1]
	v_mov_b32_e32 v39, v44
	v_sub_f32_e32 v7, v40, v46
	v_pk_add_f32 v[38:39], v[38:39], v[46:47] neg_lo:[0,1] neg_hi:[0,1]
	v_sub_f32_e32 v7, v48, v7
	v_add_f32_e32 v7, v38, v7
	v_cmp_eq_f32_e64 s[30:31], s37, v54
	s_mov_b32 s37, 0x33800000
	v_add_f32_e32 v7, v7, v39
	v_cmp_lt_f32_e64 s[54:55], |v54|, s37
	v_add_f32_e32 v7, v42, v7
	s_or_b64 s[30:31], s[30:31], s[54:55]
	v_cndmask_b32_e64 v7, v7, v54, s[30:31]
	v_add_f32_e32 v7, v6, v7
.LBB136_261:
	s_or_b64 exec, exec, s[34:35]
	v_cndmask_b32_e64 v7, v7, v36, s[26:27]
	; wave barrier
	ds_write_b32 v37, v7
	; wave barrier
	ds_read_b32 v6, v37 offset:4
	v_max_f32_e32 v39, v7, v7
	v_cmp_u_f32_e64 s[26:27], v7, v7
	s_waitcnt lgkmcnt(0)
	v_max_f32_e32 v40, v6, v6
	v_min_f32_e32 v38, v39, v40
	v_max_f32_e32 v39, v39, v40
	v_cndmask_b32_e64 v38, v38, v7, s[26:27]
	v_cmp_u_f32_e64 s[30:31], v6, v6
	v_cndmask_b32_e64 v39, v39, v7, s[26:27]
	v_cndmask_b32_e64 v38, v38, v6, s[30:31]
	;; [unrolled: 1-line block ×3, first 2 shown]
	v_cmp_neq_f32_e64 s[26:27], v38, v6
	v_cmp_class_f32_e64 s[30:31], v38, s36
	s_or_b64 s[26:27], s[26:27], s[30:31]
	s_and_saveexec_b64 s[30:31], s[26:27]
	s_cbranch_execz .LBB136_263
; %bb.262:
	v_sub_f32_e32 v7, v38, v6
	s_mov_b32 s26, 0x3fb8aa3b
	v_mul_f32_e32 v38, 0x3fb8aa3b, v7
	v_fma_f32 v39, v7, s26, -v38
	v_rndne_f32_e32 v40, v38
	v_fmac_f32_e32 v39, 0x32a5705f, v7
	v_sub_f32_e32 v38, v38, v40
	v_add_f32_e32 v38, v38, v39
	v_exp_f32_e32 v38, v38
	v_cvt_i32_f32_e32 v39, v40
	s_mov_b32 s26, 0xc2ce8ed0
	v_cmp_ngt_f32_e64 s[26:27], s26, v7
	s_mov_b32 s34, 0x7f800000
	v_ldexp_f32 v38, v38, v39
	v_cndmask_b32_e64 v38, 0, v38, s[26:27]
	s_mov_b32 s26, 0x42b17218
	v_mov_b32_e32 v39, 0x7f800000
	v_cmp_nlt_f32_e64 s[26:27], s26, v7
	v_cndmask_b32_e64 v54, v39, v38, s[26:27]
	v_add_f32_e32 v7, 1.0, v54
	v_add_f32_e32 v38, -1.0, v7
	v_sub_f32_e32 v39, v38, v7
	v_add_f32_e32 v39, 1.0, v39
	v_sub_f32_e32 v38, v54, v38
	v_add_f32_e32 v40, v38, v39
	v_frexp_mant_f32_e32 v41, v7
	s_mov_b32 s26, 0x3f2aaaab
	v_cvt_f64_f32_e32 v[38:39], v7
	v_frexp_exp_i32_f64_e32 v38, v[38:39]
	v_cmp_gt_f32_e64 s[26:27], s26, v41
	v_subbrev_co_u32_e64 v46, s[26:27], 0, v38, s[26:27]
	v_sub_u32_e32 v38, 0, v46
	v_ldexp_f32 v7, v7, v38
	v_ldexp_f32 v38, v40, v38
	v_add_f32_e32 v40, -1.0, v7
	v_add_f32_e32 v39, 1.0, v40
	v_sub_f32_e32 v39, v7, v39
	v_add_f32_e32 v41, v38, v39
	v_add_f32_e32 v39, 1.0, v7
	v_add_f32_e32 v42, -1.0, v39
	v_sub_f32_e32 v7, v7, v42
	v_add_f32_e32 v7, v38, v7
	v_add_f32_e32 v47, v39, v7
	v_rcp_f32_e32 v48, v47
	v_sub_f32_e32 v38, v39, v47
	v_add_f32_e32 v39, v40, v41
	v_add_f32_e32 v7, v7, v38
	v_mul_f32_e32 v50, v39, v48
	v_sub_f32_e32 v38, v40, v39
	v_mul_f32_e32 v40, v47, v50
	v_fma_f32 v42, v50, v47, -v40
	v_fmac_f32_e32 v42, v50, v7
	v_add_f32_e32 v49, v41, v38
	v_add_f32_e32 v38, v40, v42
	v_sub_f32_e32 v41, v39, v38
	v_pk_add_f32 v[44:45], v[38:39], v[40:41] neg_lo:[0,1] neg_hi:[0,1]
	v_mov_b32_e32 v43, v38
	v_pk_add_f32 v[38:39], v[44:45], v[42:43] neg_lo:[0,1] neg_hi:[0,1]
	v_add_f32_e32 v39, v49, v39
	v_add_f32_e32 v38, v38, v39
	;; [unrolled: 1-line block ×3, first 2 shown]
	v_mul_f32_e32 v49, v48, v39
	v_mul_f32_e32 v40, v47, v49
	v_fma_f32 v42, v49, v47, -v40
	v_fmac_f32_e32 v42, v49, v7
	v_sub_f32_e32 v7, v41, v39
	v_add_f32_e32 v7, v38, v7
	v_add_f32_e32 v38, v40, v42
	v_sub_f32_e32 v41, v39, v38
	v_pk_add_f32 v[44:45], v[38:39], v[40:41] neg_lo:[0,1] neg_hi:[0,1]
	v_mov_b32_e32 v43, v38
	v_pk_add_f32 v[38:39], v[44:45], v[42:43] neg_lo:[0,1] neg_hi:[0,1]
	v_add_f32_e32 v7, v7, v39
	v_add_f32_e32 v7, v38, v7
	;; [unrolled: 1-line block ×4, first 2 shown]
	v_sub_f32_e32 v39, v38, v50
	v_mul_f32_e32 v7, v48, v7
	v_sub_f32_e32 v39, v49, v39
	v_add_f32_e32 v7, v39, v7
	v_add_f32_e32 v41, v38, v7
	v_mul_f32_e32 v42, v41, v41
	v_mov_b32_e32 v40, 0x3ecc95a3
	v_fmac_f32_e32 v40, 0x3e9b6dac, v42
	v_mov_b32_e32 v39, 0x3f2aaada
	v_fmac_f32_e32 v39, v42, v40
	v_cvt_f32_i32_e32 v40, v46
	v_sub_f32_e32 v38, v41, v38
	v_sub_f32_e32 v7, v7, v38
	v_ldexp_f32 v43, v41, 1
	v_mul_f32_e32 v41, v41, v42
	v_mov_b32_e32 v38, 0x3f317218
	s_mov_b32 s26, 0x3f317218
	v_pk_mul_f32 v[38:39], v[40:41], v[38:39]
	v_fma_f32 v42, v40, s26, -v38
	v_fmac_f32_e32 v42, 0xb102e308, v40
	v_pk_add_f32 v[40:41], v[38:39], v[42:43]
	v_sub_f32_e32 v43, v41, v43
	v_ldexp_f32 v7, v7, 1
	v_sub_f32_e32 v43, v39, v43
	v_add_f32_e32 v45, v7, v43
	v_mov_b32_e32 v44, v38
	v_pk_add_f32 v[38:39], v[40:41], v[38:39] neg_lo:[0,1] neg_hi:[0,1]
	v_pk_add_f32 v[46:47], v[40:41], v[44:45]
	v_mov_b32_e32 v39, v47
	v_mov_b32_e32 v43, v40
	v_pk_add_f32 v[48:49], v[42:43], v[38:39] neg_lo:[0,1] neg_hi:[0,1]
	v_pk_add_f32 v[38:39], v[42:43], v[38:39]
	v_mov_b32_e32 v42, v39
	v_pk_add_f32 v[50:51], v[42:43], v[40:41] neg_lo:[0,1] neg_hi:[0,1]
	v_mov_b32_e32 v7, v50
	v_pk_add_f32 v[52:53], v[46:47], v[6:7] neg_lo:[0,1] neg_hi:[0,1]
	v_mov_b32_e32 v38, v47
	v_mov_b32_e32 v46, v41
	;; [unrolled: 1-line block ×4, first 2 shown]
	v_pk_add_f32 v[38:39], v[38:39], v[46:47] neg_lo:[0,1] neg_hi:[0,1]
	v_mov_b32_e32 v44, v45
	v_mov_b32_e32 v45, v40
	v_pk_add_f32 v[38:39], v[44:45], v[38:39] neg_lo:[0,1] neg_hi:[0,1]
	v_mov_b32_e32 v52, v48
	v_pk_add_f32 v[40:41], v[52:53], v[38:39]
	v_mov_b32_e32 v44, v41
	v_pk_add_f32 v[44:45], v[40:41], v[44:45]
	v_pk_add_f32 v[42:43], v[42:43], v[44:45]
	v_mov_b32_e32 v41, v42
	v_pk_add_f32 v[46:47], v[40:41], v[48:49] neg_lo:[0,1] neg_hi:[0,1]
	v_mov_b32_e32 v39, v44
	v_sub_f32_e32 v7, v40, v46
	v_pk_add_f32 v[38:39], v[38:39], v[46:47] neg_lo:[0,1] neg_hi:[0,1]
	v_sub_f32_e32 v7, v48, v7
	v_add_f32_e32 v7, v38, v7
	v_cmp_eq_f32_e64 s[26:27], s34, v54
	s_mov_b32 s34, 0x33800000
	v_add_f32_e32 v7, v7, v39
	v_cmp_lt_f32_e64 s[34:35], |v54|, s34
	v_add_f32_e32 v7, v42, v7
	s_or_b64 s[26:27], s[26:27], s[34:35]
	v_cndmask_b32_e64 v7, v7, v54, s[26:27]
	v_add_f32_e32 v7, v6, v7
.LBB136_263:
	s_or_b64 exec, exec, s[30:31]
	ds_write_b32 v37, v7 offset:4
.LBB136_264:
	s_or_b64 exec, exec, s[40:41]
	s_waitcnt lgkmcnt(0)
	s_barrier
	s_and_saveexec_b64 s[26:27], vcc
	s_cbranch_execz .LBB136_266
; %bb.265:
	v_add_u32_e32 v6, -1, v0
	v_lshrrev_b32_e32 v7, 5, v6
	v_add_lshl_u32 v6, v7, v6, 2
	ds_read_b32 v36, v6
.LBB136_266:
	s_or_b64 exec, exec, s[26:27]
	s_and_saveexec_b64 s[26:27], vcc
	s_cbranch_execz .LBB136_270
; %bb.267:
	s_waitcnt lgkmcnt(0)
	v_max_f32_e32 v7, v36, v36
	v_min_f32_e32 v6, v7, v35
	v_cmp_u_f32_e32 vcc, v36, v36
	v_max_f32_e32 v7, v7, v35
	v_cndmask_b32_e32 v6, v6, v36, vcc
	v_cndmask_b32_e32 v7, v7, v36, vcc
	v_cndmask_b32_e64 v6, v6, v2, s[28:29]
	v_cndmask_b32_e64 v2, v7, v2, s[28:29]
	s_movk_i32 s28, 0x1f8
	v_cmp_neq_f32_e32 vcc, v6, v2
	v_cmp_class_f32_e64 s[28:29], v6, s28
	s_or_b64 s[30:31], vcc, s[28:29]
	s_and_saveexec_b64 s[28:29], s[30:31]
	s_cbranch_execz .LBB136_269
; %bb.268:
	v_sub_f32_e32 v6, v6, v2
	s_mov_b32 s30, 0x3fb8aa3b
	v_mul_f32_e32 v7, 0x3fb8aa3b, v6
	v_fma_f32 v21, v6, s30, -v7
	v_rndne_f32_e32 v34, v7
	v_fmac_f32_e32 v21, 0x32a5705f, v6
	v_sub_f32_e32 v7, v7, v34
	v_add_f32_e32 v7, v7, v21
	v_exp_f32_e32 v7, v7
	v_cvt_i32_f32_e32 v21, v34
	s_mov_b32 s30, 0xc2ce8ed0
	v_cmp_ngt_f32_e32 vcc, s30, v6
	s_mov_b32 s30, 0x42b17218
	v_ldexp_f32 v7, v7, v21
	v_cndmask_b32_e32 v7, 0, v7, vcc
	v_mov_b32_e32 v21, 0x7f800000
	v_cmp_nlt_f32_e32 vcc, s30, v6
	v_cndmask_b32_e32 v48, v21, v7, vcc
	v_add_f32_e32 v21, 1.0, v48
	v_add_f32_e32 v6, -1.0, v21
	v_sub_f32_e32 v7, v6, v21
	v_add_f32_e32 v7, 1.0, v7
	v_sub_f32_e32 v6, v48, v6
	v_add_f32_e32 v34, v6, v7
	v_frexp_mant_f32_e32 v35, v21
	s_mov_b32 s30, 0x3f2aaaab
	v_cvt_f64_f32_e32 v[6:7], v21
	v_frexp_exp_i32_f64_e32 v6, v[6:7]
	v_cmp_gt_f32_e32 vcc, s30, v35
	v_subbrev_co_u32_e32 v40, vcc, 0, v6, vcc
	v_sub_u32_e32 v6, 0, v40
	v_ldexp_f32 v7, v21, v6
	v_add_f32_e32 v21, -1.0, v7
	v_add_f32_e32 v35, 1.0, v7
	v_ldexp_f32 v6, v34, v6
	v_add_f32_e32 v34, 1.0, v21
	v_add_f32_e32 v36, -1.0, v35
	v_sub_f32_e32 v34, v7, v34
	v_sub_f32_e32 v7, v7, v36
	v_add_f32_e32 v34, v6, v34
	v_add_f32_e32 v6, v6, v7
	;; [unrolled: 1-line block ×3, first 2 shown]
	v_rcp_f32_e32 v43, v41
	v_sub_f32_e32 v7, v35, v41
	v_add_f32_e32 v42, v6, v7
	v_add_f32_e32 v7, v21, v34
	v_sub_f32_e32 v6, v21, v7
	v_mul_f32_e32 v44, v7, v43
	v_add_f32_e32 v21, v34, v6
	v_mul_f32_e32 v34, v41, v44
	v_fma_f32 v36, v44, v41, -v34
	v_fmac_f32_e32 v36, v44, v42
	v_add_f32_e32 v6, v34, v36
	v_sub_f32_e32 v35, v7, v6
	v_pk_add_f32 v[38:39], v[6:7], v[34:35] neg_lo:[0,1] neg_hi:[0,1]
	v_mov_b32_e32 v37, v6
	v_pk_add_f32 v[6:7], v[38:39], v[36:37] neg_lo:[0,1] neg_hi:[0,1]
	v_add_f32_e32 v7, v21, v7
	v_add_f32_e32 v6, v6, v7
	;; [unrolled: 1-line block ×3, first 2 shown]
	v_mul_f32_e32 v21, v43, v7
	v_mul_f32_e32 v34, v41, v21
	v_fma_f32 v36, v21, v41, -v34
	v_fmac_f32_e32 v36, v21, v42
	v_sub_f32_e32 v35, v35, v7
	v_add_f32_e32 v41, v6, v35
	v_add_f32_e32 v6, v34, v36
	v_sub_f32_e32 v35, v7, v6
	v_pk_add_f32 v[38:39], v[6:7], v[34:35] neg_lo:[0,1] neg_hi:[0,1]
	v_mov_b32_e32 v37, v6
	v_pk_add_f32 v[6:7], v[38:39], v[36:37] neg_lo:[0,1] neg_hi:[0,1]
	v_add_f32_e32 v7, v41, v7
	v_add_f32_e32 v6, v6, v7
	v_add_f32_e32 v6, v35, v6
	v_add_f32_e32 v35, v44, v21
	v_sub_f32_e32 v7, v35, v44
	v_mul_f32_e32 v6, v43, v6
	v_sub_f32_e32 v7, v21, v7
	v_add_f32_e32 v6, v7, v6
	v_add_f32_e32 v21, v35, v6
	v_mul_f32_e32 v36, v21, v21
	v_mov_b32_e32 v34, 0x3ecc95a3
	v_fmac_f32_e32 v34, 0x3e9b6dac, v36
	v_mov_b32_e32 v7, 0x3f2aaada
	v_fmac_f32_e32 v7, v36, v34
	v_cvt_f32_i32_e32 v34, v40
	v_sub_f32_e32 v35, v21, v35
	v_sub_f32_e32 v6, v6, v35
	v_ldexp_f32 v38, v6, 1
	v_mul_f32_e32 v35, v21, v36
	v_mov_b32_e32 v6, 0x3f317218
	s_mov_b32 s30, 0x3f317218
	v_pk_mul_f32 v[6:7], v[34:35], v[6:7]
	v_fma_f32 v36, v34, s30, -v6
	v_ldexp_f32 v37, v21, 1
	v_fmac_f32_e32 v36, 0xb102e308, v34
	v_pk_add_f32 v[34:35], v[6:7], v[36:37]
	v_sub_f32_e32 v21, v35, v37
	v_sub_f32_e32 v21, v7, v21
	v_add_f32_e32 v39, v38, v21
	v_mov_b32_e32 v38, v6
	v_pk_add_f32 v[6:7], v[34:35], v[6:7] neg_lo:[0,1] neg_hi:[0,1]
	v_pk_add_f32 v[40:41], v[34:35], v[38:39]
	v_mov_b32_e32 v7, v41
	v_mov_b32_e32 v37, v34
	v_pk_add_f32 v[42:43], v[36:37], v[6:7] neg_lo:[0,1] neg_hi:[0,1]
	v_pk_add_f32 v[6:7], v[36:37], v[6:7]
	v_mov_b32_e32 v36, v7
	v_pk_add_f32 v[44:45], v[36:37], v[34:35] neg_lo:[0,1] neg_hi:[0,1]
	v_mov_b32_e32 v21, v44
	v_pk_add_f32 v[46:47], v[40:41], v[20:21] neg_lo:[0,1] neg_hi:[0,1]
	v_mov_b32_e32 v6, v41
	v_mov_b32_e32 v40, v35
	;; [unrolled: 1-line block ×4, first 2 shown]
	v_pk_add_f32 v[6:7], v[6:7], v[40:41] neg_lo:[0,1] neg_hi:[0,1]
	v_mov_b32_e32 v38, v39
	v_mov_b32_e32 v39, v34
	v_pk_add_f32 v[6:7], v[38:39], v[6:7] neg_lo:[0,1] neg_hi:[0,1]
	v_mov_b32_e32 v46, v42
	v_pk_add_f32 v[34:35], v[46:47], v[6:7]
	v_mov_b32_e32 v38, v35
	v_pk_add_f32 v[38:39], v[34:35], v[38:39]
	v_pk_add_f32 v[36:37], v[36:37], v[38:39]
	v_mov_b32_e32 v35, v36
	v_pk_add_f32 v[40:41], v[34:35], v[42:43] neg_lo:[0,1] neg_hi:[0,1]
	v_mov_b32_e32 v7, v38
	v_sub_f32_e32 v21, v34, v40
	v_pk_add_f32 v[6:7], v[6:7], v[40:41] neg_lo:[0,1] neg_hi:[0,1]
	v_sub_f32_e32 v21, v42, v21
	s_mov_b32 s31, 0x7f800000
	v_add_f32_e32 v6, v6, v21
	s_mov_b32 s30, 0x33800000
	v_add_f32_e32 v6, v6, v7
	v_cmp_eq_f32_e32 vcc, s31, v48
	v_cmp_lt_f32_e64 s[30:31], |v48|, s30
	v_add_f32_e32 v6, v36, v6
	s_or_b64 vcc, vcc, s[30:31]
	v_cndmask_b32_e32 v6, v6, v48, vcc
	v_add_f32_e32 v36, v2, v6
.LBB136_269:
	s_or_b64 exec, exec, s[28:29]
	v_max_f32_e32 v2, v36, v36
	v_min_f32_e32 v21, v2, v14
	v_max_f32_e32 v34, v2, v14
	v_mov_b32_e32 v2, v36
	;;#ASMSTART
	;;#ASMEND
.LBB136_270:
	s_or_b64 exec, exec, s[26:27]
	v_cmp_u_f32_e32 vcc, v2, v2
	v_cndmask_b32_e32 v6, v21, v2, vcc
	v_cndmask_b32_e64 v7, v6, v3, s[0:1]
	v_cndmask_b32_e32 v6, v34, v2, vcc
	v_cndmask_b32_e64 v6, v6, v3, s[0:1]
	s_movk_i32 s26, 0x1f8
	v_cmp_neq_f32_e32 vcc, v7, v6
	v_cmp_class_f32_e64 s[0:1], v7, s26
	s_or_b64 s[28:29], vcc, s[0:1]
	v_mov_b32_e32 v3, v2
	s_and_saveexec_b64 s[0:1], s[28:29]
	s_cbranch_execz .LBB136_272
; %bb.271:
	v_sub_f32_e32 v3, v7, v6
	s_mov_b32 s27, 0x3fb8aa3b
	v_mul_f32_e32 v7, 0x3fb8aa3b, v3
	v_fma_f32 v14, v3, s27, -v7
	v_rndne_f32_e32 v21, v7
	v_fmac_f32_e32 v14, 0x32a5705f, v3
	v_sub_f32_e32 v7, v7, v21
	v_add_f32_e32 v7, v7, v14
	v_exp_f32_e32 v7, v7
	v_cvt_i32_f32_e32 v14, v21
	s_mov_b32 s27, 0xc2ce8ed0
	v_cmp_ngt_f32_e32 vcc, s27, v3
	s_mov_b32 s27, 0x42b17218
	v_ldexp_f32 v7, v7, v14
	v_cndmask_b32_e32 v7, 0, v7, vcc
	v_mov_b32_e32 v14, 0x7f800000
	v_cmp_nlt_f32_e32 vcc, s27, v3
	v_cndmask_b32_e32 v7, v14, v7, vcc
	v_add_f32_e32 v3, 1.0, v7
	v_add_f32_e32 v14, -1.0, v3
	v_sub_f32_e32 v21, v14, v3
	v_add_f32_e32 v21, 1.0, v21
	v_sub_f32_e32 v14, v7, v14
	v_add_f32_e32 v14, v14, v21
	v_frexp_mant_f32_e32 v21, v3
	s_mov_b32 s27, 0x3f2aaaab
	v_cvt_f64_f32_e32 v[34:35], v3
	v_frexp_exp_i32_f64_e32 v34, v[34:35]
	v_cmp_gt_f32_e32 vcc, s27, v21
	v_subbrev_co_u32_e32 v21, vcc, 0, v34, vcc
	v_sub_u32_e32 v34, 0, v21
	v_ldexp_f32 v3, v3, v34
	v_ldexp_f32 v14, v14, v34
	v_add_f32_e32 v34, -1.0, v3
	v_add_f32_e32 v35, 1.0, v34
	v_sub_f32_e32 v35, v3, v35
	s_waitcnt lgkmcnt(0)
	v_add_f32_e32 v36, v14, v35
	v_add_f32_e32 v35, 1.0, v3
	v_add_f32_e32 v37, -1.0, v35
	v_sub_f32_e32 v3, v3, v37
	v_add_f32_e32 v3, v14, v3
	v_add_f32_e32 v14, v35, v3
	v_rcp_f32_e32 v42, v14
	v_sub_f32_e32 v35, v35, v14
	v_add_f32_e32 v3, v3, v35
	v_add_f32_e32 v35, v34, v36
	v_sub_f32_e32 v34, v34, v35
	v_mul_f32_e32 v44, v35, v42
	v_add_f32_e32 v43, v36, v34
	v_mul_f32_e32 v36, v14, v44
	v_fma_f32 v38, v44, v14, -v36
	v_fmac_f32_e32 v38, v44, v3
	v_add_f32_e32 v34, v36, v38
	v_sub_f32_e32 v37, v35, v34
	v_pk_add_f32 v[40:41], v[34:35], v[36:37] neg_lo:[0,1] neg_hi:[0,1]
	v_mov_b32_e32 v39, v34
	v_pk_add_f32 v[34:35], v[40:41], v[38:39] neg_lo:[0,1] neg_hi:[0,1]
	v_add_f32_e32 v35, v43, v35
	v_add_f32_e32 v34, v34, v35
	;; [unrolled: 1-line block ×3, first 2 shown]
	v_mul_f32_e32 v43, v42, v35
	v_mul_f32_e32 v36, v14, v43
	v_fma_f32 v38, v43, v14, -v36
	v_fmac_f32_e32 v38, v43, v3
	v_sub_f32_e32 v3, v37, v35
	v_add_f32_e32 v3, v34, v3
	v_add_f32_e32 v34, v36, v38
	v_sub_f32_e32 v37, v35, v34
	v_pk_add_f32 v[40:41], v[34:35], v[36:37] neg_lo:[0,1] neg_hi:[0,1]
	v_mov_b32_e32 v39, v34
	v_pk_add_f32 v[34:35], v[40:41], v[38:39] neg_lo:[0,1] neg_hi:[0,1]
	v_add_f32_e32 v3, v3, v35
	v_add_f32_e32 v3, v34, v3
	;; [unrolled: 1-line block ×4, first 2 shown]
	v_sub_f32_e32 v34, v14, v44
	v_mul_f32_e32 v3, v42, v3
	v_sub_f32_e32 v34, v43, v34
	v_add_f32_e32 v3, v34, v3
	v_add_f32_e32 v34, v14, v3
	v_mul_f32_e32 v37, v34, v34
	v_mov_b32_e32 v36, 0x3ecc95a3
	v_fmac_f32_e32 v36, 0x3e9b6dac, v37
	v_mov_b32_e32 v35, 0x3f2aaada
	v_fmac_f32_e32 v35, v37, v36
	v_cvt_f32_i32_e32 v36, v21
	v_sub_f32_e32 v14, v34, v14
	v_ldexp_f32 v39, v34, 1
	v_mul_f32_e32 v37, v34, v37
	v_mov_b32_e32 v34, 0x3f317218
	s_mov_b32 s27, 0x3f317218
	v_pk_mul_f32 v[34:35], v[36:37], v[34:35]
	v_fma_f32 v38, v36, s27, -v34
	v_fmac_f32_e32 v38, 0xb102e308, v36
	v_pk_add_f32 v[36:37], v[34:35], v[38:39]
	v_sub_f32_e32 v3, v3, v14
	v_sub_f32_e32 v14, v37, v39
	v_ldexp_f32 v3, v3, 1
	v_sub_f32_e32 v14, v35, v14
	v_add_f32_e32 v41, v3, v14
	v_mov_b32_e32 v40, v34
	v_pk_add_f32 v[34:35], v[36:37], v[34:35] neg_lo:[0,1] neg_hi:[0,1]
	v_pk_add_f32 v[42:43], v[36:37], v[40:41]
	v_mov_b32_e32 v35, v43
	v_mov_b32_e32 v39, v36
	v_pk_add_f32 v[44:45], v[38:39], v[34:35] neg_lo:[0,1] neg_hi:[0,1]
	v_pk_add_f32 v[34:35], v[38:39], v[34:35]
	v_mov_b32_e32 v14, v35
	v_pk_add_f32 v[38:39], v[14:15], v[36:37] neg_lo:[0,1] neg_hi:[0,1]
	v_mov_b32_e32 v3, v38
	v_pk_add_f32 v[46:47], v[42:43], v[2:3] neg_lo:[0,1] neg_hi:[0,1]
	v_mov_b32_e32 v34, v43
	v_mov_b32_e32 v42, v37
	;; [unrolled: 1-line block ×4, first 2 shown]
	v_pk_add_f32 v[34:35], v[34:35], v[42:43] neg_lo:[0,1] neg_hi:[0,1]
	v_mov_b32_e32 v38, v41
	v_mov_b32_e32 v39, v36
	v_pk_add_f32 v[34:35], v[38:39], v[34:35] neg_lo:[0,1] neg_hi:[0,1]
	v_mov_b32_e32 v46, v44
	v_pk_add_f32 v[36:37], v[46:47], v[34:35]
	v_mov_b32_e32 v38, v37
	v_pk_add_f32 v[38:39], v[36:37], v[38:39]
	v_pk_add_f32 v[40:41], v[14:15], v[38:39]
	v_mov_b32_e32 v37, v40
	v_pk_add_f32 v[42:43], v[36:37], v[44:45] neg_lo:[0,1] neg_hi:[0,1]
	v_mov_b32_e32 v35, v38
	v_sub_f32_e32 v3, v36, v42
	v_pk_add_f32 v[34:35], v[34:35], v[42:43] neg_lo:[0,1] neg_hi:[0,1]
	v_sub_f32_e32 v3, v44, v3
	s_mov_b32 s28, 0x7f800000
	v_add_f32_e32 v3, v34, v3
	s_mov_b32 s27, 0x33800000
	v_add_f32_e32 v3, v3, v35
	v_cmp_eq_f32_e32 vcc, s28, v7
	v_cmp_lt_f32_e64 s[28:29], |v7|, s27
	v_add_f32_e32 v3, v40, v3
	s_or_b64 vcc, vcc, s[28:29]
	v_cndmask_b32_e32 v3, v3, v7, vcc
	v_add_f32_e32 v3, v6, v3
.LBB136_272:
	s_or_b64 exec, exec, s[0:1]
	v_max_f32_e32 v6, v3, v3
	v_min_f32_e32 v7, v6, v8
	v_cmp_u_f32_e32 vcc, v3, v3
	v_max_f32_e32 v6, v6, v8
	v_cndmask_b32_e32 v7, v7, v3, vcc
	v_cndmask_b32_e32 v6, v6, v3, vcc
	v_cndmask_b32_e64 v7, v7, v4, s[2:3]
	v_cndmask_b32_e64 v6, v6, v4, s[2:3]
	v_cmp_neq_f32_e32 vcc, v7, v6
	v_cmp_class_f32_e64 s[0:1], v7, s26
	s_or_b64 s[2:3], vcc, s[0:1]
	v_mov_b32_e32 v4, v3
	s_and_saveexec_b64 s[0:1], s[2:3]
	s_cbranch_execz .LBB136_274
; %bb.273:
	v_sub_f32_e32 v4, v7, v6
	s_mov_b32 s2, 0x3fb8aa3b
	v_mul_f32_e32 v7, 0x3fb8aa3b, v4
	v_fma_f32 v8, v4, s2, -v7
	v_rndne_f32_e32 v14, v7
	v_fmac_f32_e32 v8, 0x32a5705f, v4
	v_sub_f32_e32 v7, v7, v14
	v_add_f32_e32 v7, v7, v8
	v_exp_f32_e32 v7, v7
	v_cvt_i32_f32_e32 v8, v14
	s_mov_b32 s2, 0xc2ce8ed0
	v_cmp_ngt_f32_e32 vcc, s2, v4
	s_mov_b32 s2, 0x42b17218
	v_ldexp_f32 v7, v7, v8
	v_cndmask_b32_e32 v7, 0, v7, vcc
	v_mov_b32_e32 v8, 0x7f800000
	v_cmp_nlt_f32_e32 vcc, s2, v4
	v_cndmask_b32_e32 v14, v8, v7, vcc
	v_add_f32_e32 v4, 1.0, v14
	v_add_f32_e32 v7, -1.0, v4
	v_sub_f32_e32 v8, v7, v4
	v_add_f32_e32 v8, 1.0, v8
	v_sub_f32_e32 v7, v14, v7
	v_add_f32_e32 v7, v7, v8
	v_frexp_mant_f32_e32 v8, v4
	s_mov_b32 s2, 0x3f2aaaab
	v_cvt_f64_f32_e32 v[34:35], v4
	v_frexp_exp_i32_f64_e32 v21, v[34:35]
	v_cmp_gt_f32_e32 vcc, s2, v8
	v_subbrev_co_u32_e32 v8, vcc, 0, v21, vcc
	v_sub_u32_e32 v21, 0, v8
	v_ldexp_f32 v4, v4, v21
	v_ldexp_f32 v7, v7, v21
	v_add_f32_e32 v21, -1.0, v4
	v_add_f32_e32 v35, 1.0, v4
	v_add_f32_e32 v34, 1.0, v21
	s_waitcnt lgkmcnt(0)
	v_add_f32_e32 v36, -1.0, v35
	v_sub_f32_e32 v34, v4, v34
	v_sub_f32_e32 v4, v4, v36
	v_add_f32_e32 v4, v7, v4
	v_add_f32_e32 v34, v7, v34
	;; [unrolled: 1-line block ×3, first 2 shown]
	v_rcp_f32_e32 v42, v7
	v_sub_f32_e32 v35, v35, v7
	v_add_f32_e32 v4, v4, v35
	v_add_f32_e32 v35, v21, v34
	v_mul_f32_e32 v43, v35, v42
	v_mul_f32_e32 v36, v7, v43
	v_fma_f32 v38, v43, v7, -v36
	v_sub_f32_e32 v21, v21, v35
	v_fmac_f32_e32 v38, v43, v4
	v_add_f32_e32 v21, v34, v21
	v_add_f32_e32 v34, v36, v38
	v_sub_f32_e32 v37, v35, v34
	v_pk_add_f32 v[40:41], v[34:35], v[36:37] neg_lo:[0,1] neg_hi:[0,1]
	v_mov_b32_e32 v39, v34
	v_pk_add_f32 v[34:35], v[40:41], v[38:39] neg_lo:[0,1] neg_hi:[0,1]
	v_add_f32_e32 v21, v21, v35
	v_add_f32_e32 v21, v34, v21
	;; [unrolled: 1-line block ×3, first 2 shown]
	v_mul_f32_e32 v44, v42, v35
	v_mul_f32_e32 v36, v7, v44
	v_fma_f32 v38, v44, v7, -v36
	v_fmac_f32_e32 v38, v44, v4
	v_add_f32_e32 v34, v36, v38
	v_sub_f32_e32 v4, v37, v35
	v_sub_f32_e32 v37, v35, v34
	v_pk_add_f32 v[40:41], v[34:35], v[36:37] neg_lo:[0,1] neg_hi:[0,1]
	v_mov_b32_e32 v39, v34
	v_add_f32_e32 v4, v21, v4
	v_pk_add_f32 v[34:35], v[40:41], v[38:39] neg_lo:[0,1] neg_hi:[0,1]
	v_add_f32_e32 v4, v4, v35
	v_add_f32_e32 v4, v34, v4
	;; [unrolled: 1-line block ×4, first 2 shown]
	v_sub_f32_e32 v21, v7, v43
	v_mul_f32_e32 v4, v42, v4
	v_sub_f32_e32 v21, v44, v21
	v_add_f32_e32 v4, v21, v4
	v_add_f32_e32 v21, v7, v4
	v_mul_f32_e32 v34, v21, v21
	v_mov_b32_e32 v36, 0x3ecc95a3
	v_fmac_f32_e32 v36, 0x3e9b6dac, v34
	v_mov_b32_e32 v35, 0x3f2aaada
	v_fmac_f32_e32 v35, v34, v36
	v_cvt_f32_i32_e32 v36, v8
	v_mul_f32_e32 v37, v21, v34
	v_mov_b32_e32 v34, 0x3f317218
	s_mov_b32 s2, 0x3f317218
	v_pk_mul_f32 v[34:35], v[36:37], v[34:35]
	v_fma_f32 v38, v36, s2, -v34
	v_ldexp_f32 v39, v21, 1
	v_fmac_f32_e32 v38, 0xb102e308, v36
	v_sub_f32_e32 v7, v21, v7
	v_pk_add_f32 v[36:37], v[34:35], v[38:39]
	v_sub_f32_e32 v4, v4, v7
	v_sub_f32_e32 v7, v37, v39
	v_ldexp_f32 v4, v4, 1
	v_sub_f32_e32 v7, v35, v7
	v_add_f32_e32 v41, v4, v7
	v_mov_b32_e32 v40, v34
	v_pk_add_f32 v[34:35], v[36:37], v[34:35] neg_lo:[0,1] neg_hi:[0,1]
	v_pk_add_f32 v[42:43], v[36:37], v[40:41]
	v_mov_b32_e32 v35, v43
	v_mov_b32_e32 v39, v36
	v_pk_add_f32 v[44:45], v[38:39], v[34:35] neg_lo:[0,1] neg_hi:[0,1]
	v_pk_add_f32 v[34:35], v[38:39], v[34:35]
	v_mov_b32_e32 v4, v35
	v_pk_add_f32 v[38:39], v[4:5], v[36:37] neg_lo:[0,1] neg_hi:[0,1]
	v_mov_b32_e32 v7, v38
	v_pk_add_f32 v[46:47], v[42:43], v[6:7] neg_lo:[0,1] neg_hi:[0,1]
	v_mov_b32_e32 v34, v43
	v_mov_b32_e32 v42, v37
	;; [unrolled: 1-line block ×4, first 2 shown]
	v_pk_add_f32 v[34:35], v[34:35], v[42:43] neg_lo:[0,1] neg_hi:[0,1]
	v_mov_b32_e32 v38, v41
	v_mov_b32_e32 v39, v36
	v_pk_add_f32 v[34:35], v[38:39], v[34:35] neg_lo:[0,1] neg_hi:[0,1]
	v_mov_b32_e32 v46, v44
	v_pk_add_f32 v[36:37], v[46:47], v[34:35]
	v_mov_b32_e32 v8, v37
	v_pk_add_f32 v[38:39], v[36:37], v[8:9]
	v_pk_add_f32 v[40:41], v[4:5], v[38:39]
	v_mov_b32_e32 v37, v40
	v_pk_add_f32 v[42:43], v[36:37], v[44:45] neg_lo:[0,1] neg_hi:[0,1]
	v_mov_b32_e32 v35, v38
	v_sub_f32_e32 v4, v36, v42
	v_pk_add_f32 v[34:35], v[34:35], v[42:43] neg_lo:[0,1] neg_hi:[0,1]
	v_sub_f32_e32 v4, v44, v4
	s_mov_b32 s3, 0x7f800000
	v_add_f32_e32 v4, v34, v4
	s_mov_b32 s2, 0x33800000
	v_add_f32_e32 v4, v4, v35
	v_cmp_eq_f32_e32 vcc, s3, v14
	v_cmp_lt_f32_e64 s[2:3], |v14|, s2
	v_add_f32_e32 v4, v40, v4
	s_or_b64 vcc, vcc, s[2:3]
	v_cndmask_b32_e32 v4, v4, v14, vcc
	v_add_f32_e32 v4, v6, v4
.LBB136_274:
	s_or_b64 exec, exec, s[0:1]
	v_max_f32_e32 v6, v4, v4
	v_min_f32_e32 v7, v6, v9
	v_cmp_u_f32_e32 vcc, v4, v4
	v_max_f32_e32 v6, v6, v9
	v_cndmask_b32_e32 v7, v7, v4, vcc
	v_cndmask_b32_e32 v6, v6, v4, vcc
	v_cndmask_b32_e64 v7, v7, v5, s[4:5]
	v_cndmask_b32_e64 v6, v6, v5, s[4:5]
	s_movk_i32 s2, 0x1f8
	v_cmp_neq_f32_e32 vcc, v7, v6
	v_cmp_class_f32_e64 s[0:1], v7, s2
	s_or_b64 s[4:5], vcc, s[0:1]
	v_mov_b32_e32 v5, v4
	s_and_saveexec_b64 s[0:1], s[4:5]
	s_cbranch_execz .LBB136_276
; %bb.275:
	v_sub_f32_e32 v5, v7, v6
	s_mov_b32 s3, 0x3fb8aa3b
	v_mul_f32_e32 v7, 0x3fb8aa3b, v5
	v_fma_f32 v8, v5, s3, -v7
	v_rndne_f32_e32 v9, v7
	v_fmac_f32_e32 v8, 0x32a5705f, v5
	v_sub_f32_e32 v7, v7, v9
	v_add_f32_e32 v7, v7, v8
	v_exp_f32_e32 v7, v7
	v_cvt_i32_f32_e32 v8, v9
	s_mov_b32 s3, 0xc2ce8ed0
	v_cmp_ngt_f32_e32 vcc, s3, v5
	s_mov_b32 s3, 0x42b17218
	v_ldexp_f32 v7, v7, v8
	v_cndmask_b32_e32 v7, 0, v7, vcc
	v_mov_b32_e32 v8, 0x7f800000
	v_cmp_nlt_f32_e32 vcc, s3, v5
	v_cndmask_b32_e32 v7, v8, v7, vcc
	v_add_f32_e32 v5, 1.0, v7
	v_add_f32_e32 v8, -1.0, v5
	v_sub_f32_e32 v9, v8, v5
	v_add_f32_e32 v9, 1.0, v9
	v_sub_f32_e32 v8, v7, v8
	v_add_f32_e32 v14, v8, v9
	v_frexp_mant_f32_e32 v21, v5
	s_mov_b32 s3, 0x3f2aaaab
	v_cvt_f64_f32_e32 v[8:9], v5
	v_frexp_exp_i32_f64_e32 v8, v[8:9]
	v_cmp_gt_f32_e32 vcc, s3, v21
	v_subbrev_co_u32_e32 v21, vcc, 0, v8, vcc
	v_sub_u32_e32 v8, 0, v21
	v_ldexp_f32 v5, v5, v8
	v_ldexp_f32 v8, v14, v8
	v_add_f32_e32 v14, -1.0, v5
	v_add_f32_e32 v9, 1.0, v14
	v_sub_f32_e32 v9, v5, v9
	v_add_f32_e32 v34, v8, v9
	v_add_f32_e32 v9, 1.0, v5
	v_add_f32_e32 v35, -1.0, v9
	v_sub_f32_e32 v5, v5, v35
	v_add_f32_e32 v5, v8, v5
	v_add_f32_e32 v40, v9, v5
	v_rcp_f32_e32 v41, v40
	v_sub_f32_e32 v8, v9, v40
	v_add_f32_e32 v9, v14, v34
	v_add_f32_e32 v5, v5, v8
	v_sub_f32_e32 v8, v14, v9
	v_mul_f32_e32 v42, v9, v41
	v_add_f32_e32 v14, v34, v8
	v_mul_f32_e32 v34, v40, v42
	s_waitcnt lgkmcnt(0)
	v_fma_f32 v36, v42, v40, -v34
	v_fmac_f32_e32 v36, v42, v5
	v_add_f32_e32 v8, v34, v36
	v_sub_f32_e32 v35, v9, v8
	v_pk_add_f32 v[38:39], v[8:9], v[34:35] neg_lo:[0,1] neg_hi:[0,1]
	v_mov_b32_e32 v37, v8
	v_pk_add_f32 v[8:9], v[38:39], v[36:37] neg_lo:[0,1] neg_hi:[0,1]
	v_add_f32_e32 v9, v14, v9
	v_add_f32_e32 v8, v8, v9
	;; [unrolled: 1-line block ×3, first 2 shown]
	v_mul_f32_e32 v14, v41, v9
	v_mul_f32_e32 v34, v40, v14
	v_fma_f32 v36, v14, v40, -v34
	v_fmac_f32_e32 v36, v14, v5
	v_sub_f32_e32 v5, v35, v9
	v_add_f32_e32 v5, v8, v5
	v_add_f32_e32 v8, v34, v36
	v_sub_f32_e32 v35, v9, v8
	v_pk_add_f32 v[38:39], v[8:9], v[34:35] neg_lo:[0,1] neg_hi:[0,1]
	v_mov_b32_e32 v37, v8
	v_pk_add_f32 v[8:9], v[38:39], v[36:37] neg_lo:[0,1] neg_hi:[0,1]
	v_add_f32_e32 v5, v5, v9
	v_add_f32_e32 v5, v8, v5
	;; [unrolled: 1-line block ×4, first 2 shown]
	v_sub_f32_e32 v9, v8, v42
	v_mul_f32_e32 v5, v41, v5
	v_sub_f32_e32 v9, v14, v9
	v_add_f32_e32 v5, v9, v5
	v_add_f32_e32 v14, v8, v5
	v_mul_f32_e32 v35, v14, v14
	v_mov_b32_e32 v34, 0x3ecc95a3
	v_fmac_f32_e32 v34, 0x3e9b6dac, v35
	v_mov_b32_e32 v9, 0x3f2aaada
	v_fmac_f32_e32 v9, v35, v34
	v_cvt_f32_i32_e32 v34, v21
	v_sub_f32_e32 v8, v14, v8
	v_sub_f32_e32 v5, v5, v8
	v_mul_f32_e32 v35, v14, v35
	v_mov_b32_e32 v8, 0x3f317218
	s_mov_b32 s3, 0x3f317218
	v_pk_mul_f32 v[8:9], v[34:35], v[8:9]
	v_fma_f32 v36, v34, s3, -v8
	v_ldexp_f32 v37, v14, 1
	v_fmac_f32_e32 v36, 0xb102e308, v34
	v_pk_add_f32 v[34:35], v[8:9], v[36:37]
	v_sub_f32_e32 v14, v35, v37
	v_ldexp_f32 v5, v5, 1
	v_sub_f32_e32 v14, v9, v14
	v_add_f32_e32 v39, v5, v14
	v_mov_b32_e32 v38, v8
	v_pk_add_f32 v[8:9], v[34:35], v[8:9] neg_lo:[0,1] neg_hi:[0,1]
	v_pk_add_f32 v[40:41], v[34:35], v[38:39]
	v_mov_b32_e32 v9, v41
	v_mov_b32_e32 v37, v34
	v_pk_add_f32 v[42:43], v[36:37], v[8:9] neg_lo:[0,1] neg_hi:[0,1]
	v_pk_add_f32 v[8:9], v[36:37], v[8:9]
	v_mov_b32_e32 v14, v9
	v_pk_add_f32 v[36:37], v[14:15], v[34:35] neg_lo:[0,1] neg_hi:[0,1]
	v_mov_b32_e32 v5, v36
	v_pk_add_f32 v[44:45], v[40:41], v[4:5] neg_lo:[0,1] neg_hi:[0,1]
	v_mov_b32_e32 v8, v41
	v_mov_b32_e32 v40, v35
	;; [unrolled: 1-line block ×4, first 2 shown]
	v_pk_add_f32 v[8:9], v[8:9], v[40:41] neg_lo:[0,1] neg_hi:[0,1]
	v_mov_b32_e32 v36, v39
	v_mov_b32_e32 v37, v34
	v_pk_add_f32 v[8:9], v[36:37], v[8:9] neg_lo:[0,1] neg_hi:[0,1]
	v_mov_b32_e32 v44, v42
	v_pk_add_f32 v[34:35], v[44:45], v[8:9]
	v_mov_b32_e32 v36, v35
	v_pk_add_f32 v[36:37], v[34:35], v[36:37]
	v_pk_add_f32 v[38:39], v[14:15], v[36:37]
	v_mov_b32_e32 v35, v38
	v_pk_add_f32 v[40:41], v[34:35], v[42:43] neg_lo:[0,1] neg_hi:[0,1]
	v_mov_b32_e32 v9, v36
	v_sub_f32_e32 v5, v34, v40
	v_pk_add_f32 v[8:9], v[8:9], v[40:41] neg_lo:[0,1] neg_hi:[0,1]
	v_sub_f32_e32 v5, v42, v5
	s_mov_b32 s4, 0x7f800000
	v_add_f32_e32 v5, v8, v5
	s_mov_b32 s3, 0x33800000
	v_add_f32_e32 v5, v5, v9
	v_cmp_eq_f32_e32 vcc, s4, v7
	v_cmp_lt_f32_e64 s[4:5], |v7|, s3
	v_add_f32_e32 v5, v38, v5
	s_or_b64 vcc, vcc, s[4:5]
	v_cndmask_b32_e32 v5, v5, v7, vcc
	v_add_f32_e32 v5, v6, v5
.LBB136_276:
	s_or_b64 exec, exec, s[0:1]
	v_max_f32_e32 v6, v5, v5
	v_min_f32_e32 v7, v6, v10
	v_cmp_u_f32_e32 vcc, v5, v5
	v_max_f32_e32 v6, v6, v10
	v_cndmask_b32_e32 v7, v7, v5, vcc
	v_cndmask_b32_e32 v6, v6, v5, vcc
	v_cndmask_b32_e64 v8, v7, v26, s[6:7]
	v_cndmask_b32_e64 v7, v6, v26, s[6:7]
	v_cmp_neq_f32_e32 vcc, v8, v7
	v_cmp_class_f32_e64 s[0:1], v8, s2
	s_or_b64 s[2:3], vcc, s[0:1]
	v_mov_b32_e32 v6, v5
	s_and_saveexec_b64 s[0:1], s[2:3]
	s_cbranch_execz .LBB136_278
; %bb.277:
	v_sub_f32_e32 v6, v8, v7
	s_mov_b32 s2, 0x3fb8aa3b
	v_mul_f32_e32 v8, 0x3fb8aa3b, v6
	v_fma_f32 v9, v6, s2, -v8
	v_rndne_f32_e32 v10, v8
	v_fmac_f32_e32 v9, 0x32a5705f, v6
	v_sub_f32_e32 v8, v8, v10
	v_add_f32_e32 v8, v8, v9
	v_exp_f32_e32 v8, v8
	v_cvt_i32_f32_e32 v9, v10
	s_mov_b32 s2, 0xc2ce8ed0
	v_cmp_ngt_f32_e32 vcc, s2, v6
	s_mov_b32 s2, 0x42b17218
	v_ldexp_f32 v8, v8, v9
	v_cndmask_b32_e32 v8, 0, v8, vcc
	v_mov_b32_e32 v9, 0x7f800000
	v_cmp_nlt_f32_e32 vcc, s2, v6
	v_cndmask_b32_e32 v14, v9, v8, vcc
	v_add_f32_e32 v6, 1.0, v14
	v_add_f32_e32 v8, -1.0, v6
	v_sub_f32_e32 v9, v8, v6
	v_add_f32_e32 v9, 1.0, v9
	v_sub_f32_e32 v8, v14, v8
	v_add_f32_e32 v10, v8, v9
	v_frexp_mant_f32_e32 v21, v6
	s_mov_b32 s2, 0x3f2aaaab
	v_cvt_f64_f32_e32 v[8:9], v6
	v_frexp_exp_i32_f64_e32 v8, v[8:9]
	v_cmp_gt_f32_e32 vcc, s2, v21
	v_subbrev_co_u32_e32 v21, vcc, 0, v8, vcc
	v_sub_u32_e32 v8, 0, v21
	v_ldexp_f32 v6, v6, v8
	v_ldexp_f32 v8, v10, v8
	v_add_f32_e32 v10, -1.0, v6
	v_add_f32_e32 v9, 1.0, v10
	v_sub_f32_e32 v9, v6, v9
	v_add_f32_e32 v26, v8, v9
	v_add_f32_e32 v9, 1.0, v6
	v_add_f32_e32 v34, -1.0, v9
	v_sub_f32_e32 v6, v6, v34
	v_add_f32_e32 v6, v8, v6
	v_add_f32_e32 v40, v9, v6
	v_rcp_f32_e32 v41, v40
	v_sub_f32_e32 v8, v9, v40
	v_add_f32_e32 v9, v10, v26
	v_add_f32_e32 v6, v6, v8
	v_sub_f32_e32 v8, v10, v9
	v_add_f32_e32 v10, v26, v8
	v_mul_f32_e32 v26, v9, v41
	v_mul_f32_e32 v34, v40, v26
	s_waitcnt lgkmcnt(0)
	v_fma_f32 v36, v26, v40, -v34
	v_fmac_f32_e32 v36, v26, v6
	v_add_f32_e32 v8, v34, v36
	v_sub_f32_e32 v35, v9, v8
	v_pk_add_f32 v[38:39], v[8:9], v[34:35] neg_lo:[0,1] neg_hi:[0,1]
	v_mov_b32_e32 v37, v8
	v_pk_add_f32 v[8:9], v[38:39], v[36:37] neg_lo:[0,1] neg_hi:[0,1]
	v_add_f32_e32 v9, v10, v9
	v_add_f32_e32 v8, v8, v9
	;; [unrolled: 1-line block ×3, first 2 shown]
	v_mul_f32_e32 v10, v41, v9
	v_mul_f32_e32 v34, v40, v10
	v_fma_f32 v36, v10, v40, -v34
	v_fmac_f32_e32 v36, v10, v6
	v_sub_f32_e32 v6, v35, v9
	v_add_f32_e32 v6, v8, v6
	v_add_f32_e32 v8, v34, v36
	v_sub_f32_e32 v35, v9, v8
	v_pk_add_f32 v[38:39], v[8:9], v[34:35] neg_lo:[0,1] neg_hi:[0,1]
	v_mov_b32_e32 v37, v8
	v_pk_add_f32 v[8:9], v[38:39], v[36:37] neg_lo:[0,1] neg_hi:[0,1]
	v_add_f32_e32 v6, v6, v9
	v_add_f32_e32 v6, v8, v6
	;; [unrolled: 1-line block ×4, first 2 shown]
	v_sub_f32_e32 v9, v8, v26
	v_mul_f32_e32 v6, v41, v6
	v_sub_f32_e32 v9, v10, v9
	v_add_f32_e32 v6, v9, v6
	v_add_f32_e32 v10, v8, v6
	v_mul_f32_e32 v26, v10, v10
	v_mov_b32_e32 v34, 0x3ecc95a3
	v_fmac_f32_e32 v34, 0x3e9b6dac, v26
	v_mov_b32_e32 v9, 0x3f2aaada
	v_fmac_f32_e32 v9, v26, v34
	v_cvt_f32_i32_e32 v34, v21
	v_sub_f32_e32 v8, v10, v8
	v_sub_f32_e32 v6, v6, v8
	v_mul_f32_e32 v35, v10, v26
	v_mov_b32_e32 v8, 0x3f317218
	s_mov_b32 s2, 0x3f317218
	v_pk_mul_f32 v[8:9], v[34:35], v[8:9]
	v_fma_f32 v36, v34, s2, -v8
	v_ldexp_f32 v37, v10, 1
	v_fmac_f32_e32 v36, 0xb102e308, v34
	v_pk_add_f32 v[34:35], v[8:9], v[36:37]
	v_sub_f32_e32 v10, v35, v37
	v_ldexp_f32 v6, v6, 1
	v_sub_f32_e32 v10, v9, v10
	v_add_f32_e32 v39, v6, v10
	v_mov_b32_e32 v38, v8
	v_pk_add_f32 v[8:9], v[34:35], v[8:9] neg_lo:[0,1] neg_hi:[0,1]
	v_pk_add_f32 v[40:41], v[34:35], v[38:39]
	v_mov_b32_e32 v9, v41
	v_mov_b32_e32 v37, v34
	v_pk_add_f32 v[42:43], v[36:37], v[8:9] neg_lo:[0,1] neg_hi:[0,1]
	v_pk_add_f32 v[8:9], v[36:37], v[8:9]
	v_mov_b32_e32 v6, v9
	v_pk_add_f32 v[36:37], v[6:7], v[34:35] neg_lo:[0,1] neg_hi:[0,1]
	v_mov_b32_e32 v21, v36
	v_pk_add_f32 v[44:45], v[40:41], v[20:21] neg_lo:[0,1] neg_hi:[0,1]
	v_mov_b32_e32 v8, v41
	v_mov_b32_e32 v40, v35
	;; [unrolled: 1-line block ×4, first 2 shown]
	v_pk_add_f32 v[8:9], v[8:9], v[40:41] neg_lo:[0,1] neg_hi:[0,1]
	v_mov_b32_e32 v36, v39
	v_mov_b32_e32 v37, v34
	v_pk_add_f32 v[8:9], v[36:37], v[8:9] neg_lo:[0,1] neg_hi:[0,1]
	v_mov_b32_e32 v44, v42
	v_pk_add_f32 v[34:35], v[44:45], v[8:9]
	v_mov_b32_e32 v10, v35
	v_pk_add_f32 v[36:37], v[34:35], v[10:11]
	v_pk_add_f32 v[38:39], v[6:7], v[36:37]
	v_mov_b32_e32 v35, v38
	v_pk_add_f32 v[40:41], v[34:35], v[42:43] neg_lo:[0,1] neg_hi:[0,1]
	v_mov_b32_e32 v9, v36
	v_sub_f32_e32 v6, v34, v40
	v_pk_add_f32 v[8:9], v[8:9], v[40:41] neg_lo:[0,1] neg_hi:[0,1]
	v_sub_f32_e32 v6, v42, v6
	s_mov_b32 s3, 0x7f800000
	v_add_f32_e32 v6, v8, v6
	s_mov_b32 s2, 0x33800000
	v_add_f32_e32 v6, v6, v9
	v_cmp_eq_f32_e32 vcc, s3, v14
	v_cmp_lt_f32_e64 s[2:3], |v14|, s2
	v_add_f32_e32 v6, v38, v6
	s_or_b64 vcc, vcc, s[2:3]
	v_cndmask_b32_e32 v6, v6, v14, vcc
	v_add_f32_e32 v6, v7, v6
.LBB136_278:
	s_or_b64 exec, exec, s[0:1]
	v_max_f32_e32 v7, v6, v6
	v_min_f32_e32 v8, v7, v11
	v_cmp_u_f32_e32 vcc, v6, v6
	v_max_f32_e32 v7, v7, v11
	v_cndmask_b32_e32 v8, v8, v6, vcc
	v_cndmask_b32_e32 v7, v7, v6, vcc
	v_cndmask_b32_e64 v9, v8, v27, s[8:9]
	v_cndmask_b32_e64 v8, v7, v27, s[8:9]
	s_movk_i32 s2, 0x1f8
	v_cmp_neq_f32_e32 vcc, v9, v8
	v_cmp_class_f32_e64 s[0:1], v9, s2
	s_or_b64 s[4:5], vcc, s[0:1]
	v_mov_b32_e32 v7, v6
	s_and_saveexec_b64 s[0:1], s[4:5]
	s_cbranch_execz .LBB136_280
; %bb.279:
	v_sub_f32_e32 v7, v9, v8
	s_mov_b32 s3, 0x3fb8aa3b
	v_mul_f32_e32 v9, 0x3fb8aa3b, v7
	v_fma_f32 v10, v7, s3, -v9
	v_rndne_f32_e32 v11, v9
	v_fmac_f32_e32 v10, 0x32a5705f, v7
	v_sub_f32_e32 v9, v9, v11
	v_add_f32_e32 v9, v9, v10
	v_exp_f32_e32 v9, v9
	v_cvt_i32_f32_e32 v10, v11
	s_mov_b32 s3, 0xc2ce8ed0
	v_cmp_ngt_f32_e32 vcc, s3, v7
	s_mov_b32 s3, 0x42b17218
	v_ldexp_f32 v9, v9, v10
	v_cndmask_b32_e32 v9, 0, v9, vcc
	v_mov_b32_e32 v10, 0x7f800000
	v_cmp_nlt_f32_e32 vcc, s3, v7
	v_cndmask_b32_e32 v9, v10, v9, vcc
	v_add_f32_e32 v7, 1.0, v9
	v_add_f32_e32 v10, -1.0, v7
	v_sub_f32_e32 v11, v10, v7
	v_add_f32_e32 v11, 1.0, v11
	v_sub_f32_e32 v10, v9, v10
	v_add_f32_e32 v14, v10, v11
	v_frexp_mant_f32_e32 v21, v7
	s_mov_b32 s3, 0x3f2aaaab
	v_cvt_f64_f32_e32 v[10:11], v7
	v_frexp_exp_i32_f64_e32 v10, v[10:11]
	v_cmp_gt_f32_e32 vcc, s3, v21
	v_subbrev_co_u32_e32 v21, vcc, 0, v10, vcc
	v_sub_u32_e32 v10, 0, v21
	v_ldexp_f32 v7, v7, v10
	v_ldexp_f32 v10, v14, v10
	v_add_f32_e32 v14, -1.0, v7
	v_add_f32_e32 v11, 1.0, v14
	v_sub_f32_e32 v11, v7, v11
	v_add_f32_e32 v26, v10, v11
	v_add_f32_e32 v11, 1.0, v7
	v_add_f32_e32 v27, -1.0, v11
	v_sub_f32_e32 v7, v7, v27
	v_add_f32_e32 v7, v10, v7
	v_add_f32_e32 v38, v11, v7
	v_rcp_f32_e32 v39, v38
	v_sub_f32_e32 v10, v11, v38
	v_add_f32_e32 v11, v14, v26
	v_add_f32_e32 v7, v7, v10
	v_sub_f32_e32 v10, v14, v11
	v_mul_f32_e32 v40, v11, v39
	v_add_f32_e32 v14, v26, v10
	v_mul_f32_e32 v26, v38, v40
	v_fma_f32 v34, v40, v38, -v26
	v_fmac_f32_e32 v34, v40, v7
	v_add_f32_e32 v10, v26, v34
	v_sub_f32_e32 v27, v11, v10
	s_waitcnt lgkmcnt(0)
	v_pk_add_f32 v[36:37], v[10:11], v[26:27] neg_lo:[0,1] neg_hi:[0,1]
	v_mov_b32_e32 v35, v10
	v_pk_add_f32 v[10:11], v[36:37], v[34:35] neg_lo:[0,1] neg_hi:[0,1]
	v_add_f32_e32 v11, v14, v11
	v_add_f32_e32 v10, v10, v11
	;; [unrolled: 1-line block ×3, first 2 shown]
	v_mul_f32_e32 v14, v39, v11
	v_mul_f32_e32 v26, v38, v14
	v_fma_f32 v34, v14, v38, -v26
	v_fmac_f32_e32 v34, v14, v7
	v_sub_f32_e32 v7, v27, v11
	v_add_f32_e32 v7, v10, v7
	v_add_f32_e32 v10, v26, v34
	v_sub_f32_e32 v27, v11, v10
	v_pk_add_f32 v[36:37], v[10:11], v[26:27] neg_lo:[0,1] neg_hi:[0,1]
	v_mov_b32_e32 v35, v10
	v_pk_add_f32 v[10:11], v[36:37], v[34:35] neg_lo:[0,1] neg_hi:[0,1]
	v_add_f32_e32 v7, v7, v11
	v_add_f32_e32 v7, v10, v7
	;; [unrolled: 1-line block ×4, first 2 shown]
	v_sub_f32_e32 v11, v10, v40
	v_mul_f32_e32 v7, v39, v7
	v_sub_f32_e32 v11, v14, v11
	v_add_f32_e32 v7, v11, v7
	v_add_f32_e32 v14, v10, v7
	v_mul_f32_e32 v27, v14, v14
	v_mov_b32_e32 v26, 0x3ecc95a3
	v_fmac_f32_e32 v26, 0x3e9b6dac, v27
	v_mov_b32_e32 v11, 0x3f2aaada
	v_fmac_f32_e32 v11, v27, v26
	v_cvt_f32_i32_e32 v26, v21
	v_sub_f32_e32 v10, v14, v10
	v_sub_f32_e32 v7, v7, v10
	v_mul_f32_e32 v27, v14, v27
	v_mov_b32_e32 v10, 0x3f317218
	s_mov_b32 s3, 0x3f317218
	v_pk_mul_f32 v[10:11], v[26:27], v[10:11]
	v_fma_f32 v34, v26, s3, -v10
	v_ldexp_f32 v35, v14, 1
	v_fmac_f32_e32 v34, 0xb102e308, v26
	v_pk_add_f32 v[26:27], v[10:11], v[34:35]
	v_sub_f32_e32 v14, v27, v35
	v_ldexp_f32 v7, v7, 1
	v_sub_f32_e32 v14, v11, v14
	v_add_f32_e32 v37, v7, v14
	v_mov_b32_e32 v36, v10
	v_pk_add_f32 v[10:11], v[26:27], v[10:11] neg_lo:[0,1] neg_hi:[0,1]
	v_pk_add_f32 v[38:39], v[26:27], v[36:37]
	v_mov_b32_e32 v11, v39
	v_mov_b32_e32 v35, v26
	v_pk_add_f32 v[40:41], v[34:35], v[10:11] neg_lo:[0,1] neg_hi:[0,1]
	v_pk_add_f32 v[10:11], v[34:35], v[10:11]
	v_mov_b32_e32 v14, v11
	v_pk_add_f32 v[34:35], v[14:15], v[26:27] neg_lo:[0,1] neg_hi:[0,1]
	v_mov_b32_e32 v7, v34
	v_pk_add_f32 v[42:43], v[38:39], v[6:7] neg_lo:[0,1] neg_hi:[0,1]
	v_mov_b32_e32 v10, v39
	v_mov_b32_e32 v38, v27
	;; [unrolled: 1-line block ×4, first 2 shown]
	v_pk_add_f32 v[10:11], v[10:11], v[38:39] neg_lo:[0,1] neg_hi:[0,1]
	v_mov_b32_e32 v34, v37
	v_mov_b32_e32 v35, v26
	v_pk_add_f32 v[10:11], v[34:35], v[10:11] neg_lo:[0,1] neg_hi:[0,1]
	v_mov_b32_e32 v42, v40
	v_pk_add_f32 v[26:27], v[42:43], v[10:11]
	v_mov_b32_e32 v34, v27
	v_pk_add_f32 v[34:35], v[26:27], v[34:35]
	v_pk_add_f32 v[36:37], v[14:15], v[34:35]
	v_mov_b32_e32 v27, v36
	v_pk_add_f32 v[38:39], v[26:27], v[40:41] neg_lo:[0,1] neg_hi:[0,1]
	v_mov_b32_e32 v11, v34
	v_sub_f32_e32 v7, v26, v38
	v_pk_add_f32 v[10:11], v[10:11], v[38:39] neg_lo:[0,1] neg_hi:[0,1]
	v_sub_f32_e32 v7, v40, v7
	s_mov_b32 s4, 0x7f800000
	v_add_f32_e32 v7, v10, v7
	s_mov_b32 s3, 0x33800000
	v_add_f32_e32 v7, v7, v11
	v_cmp_eq_f32_e32 vcc, s4, v9
	v_cmp_lt_f32_e64 s[4:5], |v9|, s3
	v_add_f32_e32 v7, v36, v7
	s_or_b64 vcc, vcc, s[4:5]
	v_cndmask_b32_e32 v7, v7, v9, vcc
	v_add_f32_e32 v7, v8, v7
.LBB136_280:
	s_or_b64 exec, exec, s[0:1]
	v_max_f32_e32 v8, v7, v7
	v_min_f32_e32 v9, v8, v12
	v_cmp_u_f32_e32 vcc, v7, v7
	v_max_f32_e32 v8, v8, v12
	v_cndmask_b32_e32 v9, v9, v7, vcc
	v_cndmask_b32_e32 v8, v8, v7, vcc
	v_cndmask_b32_e64 v10, v9, v28, s[10:11]
	v_cndmask_b32_e64 v9, v8, v28, s[10:11]
	v_cmp_neq_f32_e32 vcc, v10, v9
	v_cmp_class_f32_e64 s[0:1], v10, s2
	s_or_b64 s[2:3], vcc, s[0:1]
	v_mov_b32_e32 v8, v7
	s_and_saveexec_b64 s[0:1], s[2:3]
	s_cbranch_execz .LBB136_282
; %bb.281:
	v_sub_f32_e32 v8, v10, v9
	s_mov_b32 s2, 0x3fb8aa3b
	v_mul_f32_e32 v10, 0x3fb8aa3b, v8
	v_fma_f32 v11, v8, s2, -v10
	v_rndne_f32_e32 v12, v10
	v_fmac_f32_e32 v11, 0x32a5705f, v8
	v_sub_f32_e32 v10, v10, v12
	v_add_f32_e32 v10, v10, v11
	v_exp_f32_e32 v10, v10
	v_cvt_i32_f32_e32 v11, v12
	s_mov_b32 s2, 0xc2ce8ed0
	v_cmp_ngt_f32_e32 vcc, s2, v8
	s_mov_b32 s2, 0x42b17218
	v_ldexp_f32 v10, v10, v11
	v_cndmask_b32_e32 v10, 0, v10, vcc
	v_mov_b32_e32 v11, 0x7f800000
	v_cmp_nlt_f32_e32 vcc, s2, v8
	v_cndmask_b32_e32 v14, v11, v10, vcc
	v_add_f32_e32 v8, 1.0, v14
	v_add_f32_e32 v10, -1.0, v8
	v_sub_f32_e32 v11, v10, v8
	v_add_f32_e32 v11, 1.0, v11
	v_sub_f32_e32 v10, v14, v10
	v_add_f32_e32 v12, v10, v11
	v_frexp_mant_f32_e32 v21, v8
	s_mov_b32 s2, 0x3f2aaaab
	v_cvt_f64_f32_e32 v[10:11], v8
	v_frexp_exp_i32_f64_e32 v10, v[10:11]
	v_cmp_gt_f32_e32 vcc, s2, v21
	v_subbrev_co_u32_e32 v21, vcc, 0, v10, vcc
	v_sub_u32_e32 v10, 0, v21
	v_ldexp_f32 v8, v8, v10
	v_ldexp_f32 v10, v12, v10
	v_add_f32_e32 v12, -1.0, v8
	v_add_f32_e32 v11, 1.0, v12
	v_sub_f32_e32 v11, v8, v11
	v_add_f32_e32 v26, v10, v11
	v_add_f32_e32 v11, 1.0, v8
	v_add_f32_e32 v27, -1.0, v11
	v_sub_f32_e32 v8, v8, v27
	v_add_f32_e32 v8, v10, v8
	v_add_f32_e32 v28, v11, v8
	v_rcp_f32_e32 v38, v28
	v_sub_f32_e32 v10, v11, v28
	v_add_f32_e32 v11, v12, v26
	v_add_f32_e32 v8, v8, v10
	v_sub_f32_e32 v10, v12, v11
	v_mul_f32_e32 v39, v11, v38
	v_add_f32_e32 v12, v26, v10
	v_mul_f32_e32 v26, v28, v39
	v_fma_f32 v34, v39, v28, -v26
	v_fmac_f32_e32 v34, v39, v8
	v_add_f32_e32 v10, v26, v34
	v_sub_f32_e32 v27, v11, v10
	s_waitcnt lgkmcnt(0)
	v_pk_add_f32 v[36:37], v[10:11], v[26:27] neg_lo:[0,1] neg_hi:[0,1]
	v_mov_b32_e32 v35, v10
	v_pk_add_f32 v[10:11], v[36:37], v[34:35] neg_lo:[0,1] neg_hi:[0,1]
	v_add_f32_e32 v11, v12, v11
	v_add_f32_e32 v10, v10, v11
	;; [unrolled: 1-line block ×3, first 2 shown]
	v_mul_f32_e32 v12, v38, v11
	v_mul_f32_e32 v26, v28, v12
	v_fma_f32 v34, v12, v28, -v26
	v_fmac_f32_e32 v34, v12, v8
	v_sub_f32_e32 v8, v27, v11
	v_add_f32_e32 v8, v10, v8
	v_add_f32_e32 v10, v26, v34
	v_sub_f32_e32 v27, v11, v10
	v_pk_add_f32 v[36:37], v[10:11], v[26:27] neg_lo:[0,1] neg_hi:[0,1]
	v_mov_b32_e32 v35, v10
	v_pk_add_f32 v[10:11], v[36:37], v[34:35] neg_lo:[0,1] neg_hi:[0,1]
	v_add_f32_e32 v8, v8, v11
	v_add_f32_e32 v8, v10, v8
	;; [unrolled: 1-line block ×4, first 2 shown]
	v_sub_f32_e32 v11, v10, v39
	v_mul_f32_e32 v8, v38, v8
	v_sub_f32_e32 v11, v12, v11
	v_add_f32_e32 v8, v11, v8
	v_add_f32_e32 v12, v10, v8
	v_mul_f32_e32 v27, v12, v12
	v_mov_b32_e32 v26, 0x3ecc95a3
	v_fmac_f32_e32 v26, 0x3e9b6dac, v27
	v_mov_b32_e32 v11, 0x3f2aaada
	v_fmac_f32_e32 v11, v27, v26
	v_cvt_f32_i32_e32 v26, v21
	v_sub_f32_e32 v10, v12, v10
	v_sub_f32_e32 v8, v8, v10
	v_mul_f32_e32 v27, v12, v27
	v_mov_b32_e32 v10, 0x3f317218
	s_mov_b32 s2, 0x3f317218
	v_pk_mul_f32 v[10:11], v[26:27], v[10:11]
	v_fma_f32 v34, v26, s2, -v10
	v_ldexp_f32 v35, v12, 1
	v_fmac_f32_e32 v34, 0xb102e308, v26
	v_pk_add_f32 v[26:27], v[10:11], v[34:35]
	v_sub_f32_e32 v12, v27, v35
	v_ldexp_f32 v8, v8, 1
	v_sub_f32_e32 v12, v11, v12
	v_add_f32_e32 v37, v8, v12
	v_mov_b32_e32 v36, v10
	v_pk_add_f32 v[10:11], v[26:27], v[10:11] neg_lo:[0,1] neg_hi:[0,1]
	v_pk_add_f32 v[38:39], v[26:27], v[36:37]
	v_mov_b32_e32 v11, v39
	v_mov_b32_e32 v35, v26
	v_pk_add_f32 v[40:41], v[34:35], v[10:11] neg_lo:[0,1] neg_hi:[0,1]
	v_pk_add_f32 v[10:11], v[34:35], v[10:11]
	v_mov_b32_e32 v8, v11
	v_pk_add_f32 v[34:35], v[8:9], v[26:27] neg_lo:[0,1] neg_hi:[0,1]
	v_mov_b32_e32 v21, v34
	v_pk_add_f32 v[42:43], v[38:39], v[20:21] neg_lo:[0,1] neg_hi:[0,1]
	v_mov_b32_e32 v10, v39
	v_mov_b32_e32 v38, v27
	;; [unrolled: 1-line block ×4, first 2 shown]
	v_pk_add_f32 v[10:11], v[10:11], v[38:39] neg_lo:[0,1] neg_hi:[0,1]
	v_mov_b32_e32 v34, v37
	v_mov_b32_e32 v35, v26
	v_pk_add_f32 v[10:11], v[34:35], v[10:11] neg_lo:[0,1] neg_hi:[0,1]
	v_mov_b32_e32 v42, v40
	v_pk_add_f32 v[26:27], v[42:43], v[10:11]
	v_mov_b32_e32 v12, v27
	v_pk_add_f32 v[34:35], v[26:27], v[12:13]
	v_pk_add_f32 v[36:37], v[8:9], v[34:35]
	v_mov_b32_e32 v27, v36
	v_pk_add_f32 v[38:39], v[26:27], v[40:41] neg_lo:[0,1] neg_hi:[0,1]
	v_mov_b32_e32 v11, v34
	v_sub_f32_e32 v8, v26, v38
	v_pk_add_f32 v[10:11], v[10:11], v[38:39] neg_lo:[0,1] neg_hi:[0,1]
	v_sub_f32_e32 v8, v40, v8
	s_mov_b32 s3, 0x7f800000
	v_add_f32_e32 v8, v10, v8
	s_mov_b32 s2, 0x33800000
	v_add_f32_e32 v8, v8, v11
	v_cmp_eq_f32_e32 vcc, s3, v14
	v_cmp_lt_f32_e64 s[2:3], |v14|, s2
	v_add_f32_e32 v8, v36, v8
	s_or_b64 vcc, vcc, s[2:3]
	v_cndmask_b32_e32 v8, v8, v14, vcc
	v_add_f32_e32 v8, v9, v8
.LBB136_282:
	s_or_b64 exec, exec, s[0:1]
	v_max_f32_e32 v9, v8, v8
	v_min_f32_e32 v10, v9, v13
	v_cmp_u_f32_e32 vcc, v8, v8
	v_max_f32_e32 v9, v9, v13
	v_cndmask_b32_e32 v10, v10, v8, vcc
	v_cndmask_b32_e32 v9, v9, v8, vcc
	v_cndmask_b32_e64 v11, v10, v29, s[12:13]
	v_cndmask_b32_e64 v10, v9, v29, s[12:13]
	s_movk_i32 s2, 0x1f8
	v_cmp_neq_f32_e32 vcc, v11, v10
	v_cmp_class_f32_e64 s[0:1], v11, s2
	s_or_b64 s[4:5], vcc, s[0:1]
	v_mov_b32_e32 v9, v8
	s_and_saveexec_b64 s[0:1], s[4:5]
	s_cbranch_execz .LBB136_284
; %bb.283:
	v_sub_f32_e32 v9, v11, v10
	s_mov_b32 s3, 0x3fb8aa3b
	v_mul_f32_e32 v11, 0x3fb8aa3b, v9
	v_fma_f32 v12, v9, s3, -v11
	v_rndne_f32_e32 v13, v11
	v_fmac_f32_e32 v12, 0x32a5705f, v9
	v_sub_f32_e32 v11, v11, v13
	v_add_f32_e32 v11, v11, v12
	v_exp_f32_e32 v11, v11
	v_cvt_i32_f32_e32 v12, v13
	s_mov_b32 s3, 0xc2ce8ed0
	v_cmp_ngt_f32_e32 vcc, s3, v9
	s_mov_b32 s3, 0x42b17218
	v_ldexp_f32 v11, v11, v12
	v_cndmask_b32_e32 v11, 0, v11, vcc
	v_mov_b32_e32 v12, 0x7f800000
	v_cmp_nlt_f32_e32 vcc, s3, v9
	v_cndmask_b32_e32 v11, v12, v11, vcc
	v_add_f32_e32 v9, 1.0, v11
	v_add_f32_e32 v12, -1.0, v9
	v_sub_f32_e32 v13, v12, v9
	v_add_f32_e32 v13, 1.0, v13
	v_sub_f32_e32 v12, v11, v12
	v_add_f32_e32 v14, v12, v13
	v_frexp_mant_f32_e32 v21, v9
	s_mov_b32 s3, 0x3f2aaaab
	v_cvt_f64_f32_e32 v[12:13], v9
	v_frexp_exp_i32_f64_e32 v12, v[12:13]
	v_cmp_gt_f32_e32 vcc, s3, v21
	v_subbrev_co_u32_e32 v21, vcc, 0, v12, vcc
	v_sub_u32_e32 v12, 0, v21
	v_ldexp_f32 v9, v9, v12
	v_ldexp_f32 v12, v14, v12
	v_add_f32_e32 v14, -1.0, v9
	v_add_f32_e32 v13, 1.0, v14
	v_sub_f32_e32 v13, v9, v13
	v_add_f32_e32 v26, v12, v13
	v_add_f32_e32 v13, 1.0, v9
	v_add_f32_e32 v27, -1.0, v13
	v_sub_f32_e32 v9, v9, v27
	v_add_f32_e32 v9, v12, v9
	s_waitcnt lgkmcnt(0)
	v_add_f32_e32 v36, v13, v9
	v_rcp_f32_e32 v37, v36
	v_sub_f32_e32 v12, v13, v36
	v_add_f32_e32 v13, v14, v26
	v_add_f32_e32 v9, v9, v12
	v_sub_f32_e32 v12, v14, v13
	v_mul_f32_e32 v38, v13, v37
	v_add_f32_e32 v14, v26, v12
	v_mul_f32_e32 v26, v36, v38
	v_fma_f32 v28, v38, v36, -v26
	v_fmac_f32_e32 v28, v38, v9
	v_add_f32_e32 v12, v26, v28
	v_sub_f32_e32 v27, v13, v12
	v_pk_add_f32 v[34:35], v[12:13], v[26:27] neg_lo:[0,1] neg_hi:[0,1]
	v_mov_b32_e32 v29, v12
	v_pk_add_f32 v[12:13], v[34:35], v[28:29] neg_lo:[0,1] neg_hi:[0,1]
	v_add_f32_e32 v13, v14, v13
	v_add_f32_e32 v12, v12, v13
	;; [unrolled: 1-line block ×3, first 2 shown]
	v_mul_f32_e32 v14, v37, v13
	v_mul_f32_e32 v26, v36, v14
	v_fma_f32 v28, v14, v36, -v26
	v_fmac_f32_e32 v28, v14, v9
	v_sub_f32_e32 v9, v27, v13
	v_add_f32_e32 v9, v12, v9
	v_add_f32_e32 v12, v26, v28
	v_sub_f32_e32 v27, v13, v12
	v_pk_add_f32 v[34:35], v[12:13], v[26:27] neg_lo:[0,1] neg_hi:[0,1]
	v_mov_b32_e32 v29, v12
	v_pk_add_f32 v[12:13], v[34:35], v[28:29] neg_lo:[0,1] neg_hi:[0,1]
	v_add_f32_e32 v9, v9, v13
	v_add_f32_e32 v9, v12, v9
	;; [unrolled: 1-line block ×4, first 2 shown]
	v_sub_f32_e32 v13, v12, v38
	v_mul_f32_e32 v9, v37, v9
	v_sub_f32_e32 v13, v14, v13
	v_add_f32_e32 v9, v13, v9
	v_add_f32_e32 v14, v12, v9
	v_mul_f32_e32 v27, v14, v14
	v_mov_b32_e32 v26, 0x3ecc95a3
	v_fmac_f32_e32 v26, 0x3e9b6dac, v27
	v_mov_b32_e32 v13, 0x3f2aaada
	v_fmac_f32_e32 v13, v27, v26
	v_cvt_f32_i32_e32 v26, v21
	v_sub_f32_e32 v12, v14, v12
	v_sub_f32_e32 v9, v9, v12
	v_mul_f32_e32 v27, v14, v27
	v_mov_b32_e32 v12, 0x3f317218
	s_mov_b32 s3, 0x3f317218
	v_pk_mul_f32 v[12:13], v[26:27], v[12:13]
	v_fma_f32 v28, v26, s3, -v12
	v_ldexp_f32 v29, v14, 1
	v_fmac_f32_e32 v28, 0xb102e308, v26
	v_pk_add_f32 v[26:27], v[12:13], v[28:29]
	v_sub_f32_e32 v14, v27, v29
	v_ldexp_f32 v9, v9, 1
	v_sub_f32_e32 v14, v13, v14
	v_add_f32_e32 v35, v9, v14
	v_mov_b32_e32 v34, v12
	v_pk_add_f32 v[12:13], v[26:27], v[12:13] neg_lo:[0,1] neg_hi:[0,1]
	v_pk_add_f32 v[36:37], v[26:27], v[34:35]
	v_mov_b32_e32 v13, v37
	v_mov_b32_e32 v29, v26
	v_pk_add_f32 v[38:39], v[28:29], v[12:13] neg_lo:[0,1] neg_hi:[0,1]
	v_pk_add_f32 v[12:13], v[28:29], v[12:13]
	v_mov_b32_e32 v14, v13
	v_pk_add_f32 v[28:29], v[14:15], v[26:27] neg_lo:[0,1] neg_hi:[0,1]
	v_mov_b32_e32 v9, v28
	v_pk_add_f32 v[40:41], v[36:37], v[8:9] neg_lo:[0,1] neg_hi:[0,1]
	v_mov_b32_e32 v12, v37
	v_mov_b32_e32 v36, v27
	;; [unrolled: 1-line block ×4, first 2 shown]
	v_pk_add_f32 v[12:13], v[12:13], v[36:37] neg_lo:[0,1] neg_hi:[0,1]
	v_mov_b32_e32 v28, v35
	v_mov_b32_e32 v29, v26
	v_pk_add_f32 v[12:13], v[28:29], v[12:13] neg_lo:[0,1] neg_hi:[0,1]
	v_mov_b32_e32 v40, v38
	v_pk_add_f32 v[26:27], v[40:41], v[12:13]
	v_mov_b32_e32 v28, v27
	v_pk_add_f32 v[28:29], v[26:27], v[28:29]
	v_pk_add_f32 v[34:35], v[14:15], v[28:29]
	v_mov_b32_e32 v27, v34
	v_pk_add_f32 v[36:37], v[26:27], v[38:39] neg_lo:[0,1] neg_hi:[0,1]
	v_mov_b32_e32 v13, v28
	v_sub_f32_e32 v9, v26, v36
	v_pk_add_f32 v[12:13], v[12:13], v[36:37] neg_lo:[0,1] neg_hi:[0,1]
	v_sub_f32_e32 v9, v38, v9
	s_mov_b32 s4, 0x7f800000
	v_add_f32_e32 v9, v12, v9
	s_mov_b32 s3, 0x33800000
	v_add_f32_e32 v9, v9, v13
	v_cmp_eq_f32_e32 vcc, s4, v11
	v_cmp_lt_f32_e64 s[4:5], |v11|, s3
	v_add_f32_e32 v9, v34, v9
	s_or_b64 vcc, vcc, s[4:5]
	v_cndmask_b32_e32 v9, v9, v11, vcc
	v_add_f32_e32 v9, v10, v9
.LBB136_284:
	s_or_b64 exec, exec, s[0:1]
	v_max_f32_e32 v10, v9, v9
	v_min_f32_e32 v11, v10, v15
	v_cmp_u_f32_e32 vcc, v9, v9
	v_max_f32_e32 v10, v10, v15
	v_cndmask_b32_e32 v11, v11, v9, vcc
	v_cndmask_b32_e32 v10, v10, v9, vcc
	v_cndmask_b32_e64 v12, v11, v22, s[14:15]
	v_cndmask_b32_e64 v11, v10, v22, s[14:15]
	v_cmp_neq_f32_e32 vcc, v12, v11
	v_cmp_class_f32_e64 s[0:1], v12, s2
	s_or_b64 s[2:3], vcc, s[0:1]
	v_mov_b32_e32 v10, v9
	s_and_saveexec_b64 s[0:1], s[2:3]
	s_cbranch_execz .LBB136_286
; %bb.285:
	v_sub_f32_e32 v10, v12, v11
	s_mov_b32 s2, 0x3fb8aa3b
	v_mul_f32_e32 v12, 0x3fb8aa3b, v10
	v_fma_f32 v13, v10, s2, -v12
	v_rndne_f32_e32 v14, v12
	v_fmac_f32_e32 v13, 0x32a5705f, v10
	v_sub_f32_e32 v12, v12, v14
	v_add_f32_e32 v12, v12, v13
	v_exp_f32_e32 v12, v12
	v_cvt_i32_f32_e32 v13, v14
	s_mov_b32 s2, 0xc2ce8ed0
	v_cmp_ngt_f32_e32 vcc, s2, v10
	s_mov_b32 s2, 0x42b17218
	v_ldexp_f32 v12, v12, v13
	v_cndmask_b32_e32 v12, 0, v12, vcc
	v_mov_b32_e32 v13, 0x7f800000
	v_cmp_nlt_f32_e32 vcc, s2, v10
	v_cndmask_b32_e32 v40, v13, v12, vcc
	v_add_f32_e32 v10, 1.0, v40
	v_add_f32_e32 v12, -1.0, v10
	v_sub_f32_e32 v13, v12, v10
	v_add_f32_e32 v13, 1.0, v13
	v_sub_f32_e32 v12, v40, v12
	v_add_f32_e32 v14, v12, v13
	v_frexp_mant_f32_e32 v15, v10
	s_mov_b32 s2, 0x3f2aaaab
	v_cvt_f64_f32_e32 v[12:13], v10
	v_frexp_exp_i32_f64_e32 v12, v[12:13]
	v_cmp_gt_f32_e32 vcc, s2, v15
	v_subbrev_co_u32_e32 v21, vcc, 0, v12, vcc
	v_sub_u32_e32 v12, 0, v21
	v_ldexp_f32 v10, v10, v12
	v_ldexp_f32 v12, v14, v12
	v_add_f32_e32 v14, -1.0, v10
	v_add_f32_e32 v13, 1.0, v14
	v_sub_f32_e32 v13, v10, v13
	v_add_f32_e32 v15, v12, v13
	v_add_f32_e32 v13, 1.0, v10
	v_add_f32_e32 v22, -1.0, v13
	v_sub_f32_e32 v10, v10, v22
	v_add_f32_e32 v10, v12, v10
	v_add_f32_e32 v22, v13, v10
	v_rcp_f32_e32 v34, v22
	v_sub_f32_e32 v12, v13, v22
	v_add_f32_e32 v13, v14, v15
	v_add_f32_e32 v10, v10, v12
	s_waitcnt lgkmcnt(0)
	v_mul_f32_e32 v36, v13, v34
	v_sub_f32_e32 v12, v14, v13
	v_mul_f32_e32 v14, v22, v36
	v_fma_f32 v26, v36, v22, -v14
	v_fmac_f32_e32 v26, v36, v10
	v_add_f32_e32 v35, v15, v12
	v_add_f32_e32 v12, v14, v26
	v_sub_f32_e32 v15, v13, v12
	v_pk_add_f32 v[28:29], v[12:13], v[14:15] neg_lo:[0,1] neg_hi:[0,1]
	v_mov_b32_e32 v27, v12
	v_pk_add_f32 v[12:13], v[28:29], v[26:27] neg_lo:[0,1] neg_hi:[0,1]
	v_add_f32_e32 v13, v35, v13
	v_add_f32_e32 v12, v12, v13
	;; [unrolled: 1-line block ×3, first 2 shown]
	v_mul_f32_e32 v35, v34, v13
	v_mul_f32_e32 v14, v22, v35
	v_fma_f32 v26, v35, v22, -v14
	v_fmac_f32_e32 v26, v35, v10
	v_sub_f32_e32 v10, v15, v13
	v_add_f32_e32 v10, v12, v10
	v_add_f32_e32 v12, v14, v26
	v_sub_f32_e32 v15, v13, v12
	v_pk_add_f32 v[28:29], v[12:13], v[14:15] neg_lo:[0,1] neg_hi:[0,1]
	v_mov_b32_e32 v27, v12
	v_pk_add_f32 v[12:13], v[28:29], v[26:27] neg_lo:[0,1] neg_hi:[0,1]
	v_add_f32_e32 v10, v10, v13
	v_add_f32_e32 v10, v12, v10
	;; [unrolled: 1-line block ×4, first 2 shown]
	v_sub_f32_e32 v13, v12, v36
	v_mul_f32_e32 v10, v34, v10
	v_sub_f32_e32 v13, v35, v13
	v_add_f32_e32 v10, v13, v10
	v_add_f32_e32 v15, v12, v10
	v_mul_f32_e32 v22, v15, v15
	v_mov_b32_e32 v14, 0x3ecc95a3
	v_fmac_f32_e32 v14, 0x3e9b6dac, v22
	v_mov_b32_e32 v13, 0x3f2aaada
	v_fmac_f32_e32 v13, v22, v14
	v_cvt_f32_i32_e32 v14, v21
	v_sub_f32_e32 v12, v15, v12
	v_sub_f32_e32 v10, v10, v12
	v_ldexp_f32 v27, v15, 1
	v_mul_f32_e32 v15, v15, v22
	v_mov_b32_e32 v12, 0x3f317218
	s_mov_b32 s2, 0x3f317218
	v_pk_mul_f32 v[12:13], v[14:15], v[12:13]
	v_fma_f32 v26, v14, s2, -v12
	v_fmac_f32_e32 v26, 0xb102e308, v14
	v_pk_add_f32 v[14:15], v[12:13], v[26:27]
	v_sub_f32_e32 v21, v15, v27
	v_ldexp_f32 v10, v10, 1
	v_sub_f32_e32 v21, v13, v21
	v_add_f32_e32 v29, v10, v21
	v_mov_b32_e32 v28, v12
	v_pk_add_f32 v[12:13], v[14:15], v[12:13] neg_lo:[0,1] neg_hi:[0,1]
	v_pk_add_f32 v[34:35], v[14:15], v[28:29]
	v_mov_b32_e32 v13, v35
	v_mov_b32_e32 v27, v14
	v_pk_add_f32 v[36:37], v[26:27], v[12:13] neg_lo:[0,1] neg_hi:[0,1]
	v_pk_add_f32 v[12:13], v[26:27], v[12:13]
	v_mov_b32_e32 v10, v13
	v_pk_add_f32 v[26:27], v[10:11], v[14:15] neg_lo:[0,1] neg_hi:[0,1]
	v_mov_b32_e32 v21, v26
	v_pk_add_f32 v[38:39], v[34:35], v[20:21] neg_lo:[0,1] neg_hi:[0,1]
	v_mov_b32_e32 v12, v35
	v_mov_b32_e32 v34, v15
	;; [unrolled: 1-line block ×4, first 2 shown]
	v_pk_add_f32 v[12:13], v[12:13], v[34:35] neg_lo:[0,1] neg_hi:[0,1]
	v_mov_b32_e32 v26, v29
	v_mov_b32_e32 v27, v14
	v_pk_add_f32 v[12:13], v[26:27], v[12:13] neg_lo:[0,1] neg_hi:[0,1]
	v_mov_b32_e32 v38, v36
	v_pk_add_f32 v[14:15], v[38:39], v[12:13]
	v_mov_b32_e32 v22, v15
	v_pk_add_f32 v[26:27], v[14:15], v[22:23]
	v_pk_add_f32 v[28:29], v[10:11], v[26:27]
	v_mov_b32_e32 v15, v28
	v_pk_add_f32 v[34:35], v[14:15], v[36:37] neg_lo:[0,1] neg_hi:[0,1]
	v_mov_b32_e32 v13, v26
	v_sub_f32_e32 v10, v14, v34
	v_pk_add_f32 v[12:13], v[12:13], v[34:35] neg_lo:[0,1] neg_hi:[0,1]
	v_sub_f32_e32 v10, v36, v10
	s_mov_b32 s3, 0x7f800000
	v_add_f32_e32 v10, v12, v10
	s_mov_b32 s2, 0x33800000
	v_add_f32_e32 v10, v10, v13
	v_cmp_eq_f32_e32 vcc, s3, v40
	v_cmp_lt_f32_e64 s[2:3], |v40|, s2
	v_add_f32_e32 v10, v28, v10
	s_or_b64 vcc, vcc, s[2:3]
	v_cndmask_b32_e32 v10, v10, v40, vcc
	v_add_f32_e32 v10, v11, v10
.LBB136_286:
	s_or_b64 exec, exec, s[0:1]
	v_max_f32_e32 v11, v10, v10
	v_min_f32_e32 v12, v11, v16
	v_cmp_u_f32_e32 vcc, v10, v10
	v_max_f32_e32 v11, v11, v16
	v_cndmask_b32_e32 v12, v12, v10, vcc
	v_cndmask_b32_e32 v11, v11, v10, vcc
	v_cndmask_b32_e64 v13, v12, v23, s[16:17]
	v_cndmask_b32_e64 v12, v11, v23, s[16:17]
	s_movk_i32 s2, 0x1f8
	v_cmp_neq_f32_e32 vcc, v13, v12
	v_cmp_class_f32_e64 s[0:1], v13, s2
	s_or_b64 s[4:5], vcc, s[0:1]
	v_mov_b32_e32 v11, v10
	s_and_saveexec_b64 s[0:1], s[4:5]
	s_cbranch_execz .LBB136_288
; %bb.287:
	v_sub_f32_e32 v11, v13, v12
	s_mov_b32 s3, 0x3fb8aa3b
	v_mul_f32_e32 v13, 0x3fb8aa3b, v11
	v_fma_f32 v14, v11, s3, -v13
	v_rndne_f32_e32 v15, v13
	v_fmac_f32_e32 v14, 0x32a5705f, v11
	v_sub_f32_e32 v13, v13, v15
	v_add_f32_e32 v13, v13, v14
	v_exp_f32_e32 v13, v13
	v_cvt_i32_f32_e32 v14, v15
	s_mov_b32 s3, 0xc2ce8ed0
	v_cmp_ngt_f32_e32 vcc, s3, v11
	s_mov_b32 s3, 0x42b17218
	v_ldexp_f32 v13, v13, v14
	v_cndmask_b32_e32 v13, 0, v13, vcc
	v_mov_b32_e32 v14, 0x7f800000
	v_cmp_nlt_f32_e32 vcc, s3, v11
	v_cndmask_b32_e32 v13, v14, v13, vcc
	v_add_f32_e32 v11, 1.0, v13
	v_add_f32_e32 v14, -1.0, v11
	v_sub_f32_e32 v15, v14, v11
	v_add_f32_e32 v15, 1.0, v15
	v_sub_f32_e32 v14, v13, v14
	v_add_f32_e32 v16, v14, v15
	v_frexp_mant_f32_e32 v21, v11
	s_mov_b32 s3, 0x3f2aaaab
	v_cvt_f64_f32_e32 v[14:15], v11
	v_frexp_exp_i32_f64_e32 v14, v[14:15]
	v_cmp_gt_f32_e32 vcc, s3, v21
	v_subbrev_co_u32_e32 v21, vcc, 0, v14, vcc
	v_sub_u32_e32 v14, 0, v21
	v_ldexp_f32 v11, v11, v14
	v_ldexp_f32 v14, v16, v14
	v_add_f32_e32 v16, -1.0, v11
	v_add_f32_e32 v15, 1.0, v16
	v_sub_f32_e32 v15, v11, v15
	v_add_f32_e32 v22, v14, v15
	v_add_f32_e32 v15, 1.0, v11
	v_add_f32_e32 v23, -1.0, v15
	v_sub_f32_e32 v11, v11, v23
	v_add_f32_e32 v11, v14, v11
	v_add_f32_e32 v34, v15, v11
	v_rcp_f32_e32 v35, v34
	v_sub_f32_e32 v14, v15, v34
	v_add_f32_e32 v15, v16, v22
	v_add_f32_e32 v11, v11, v14
	v_sub_f32_e32 v14, v16, v15
	s_waitcnt lgkmcnt(0)
	v_mul_f32_e32 v36, v15, v35
	v_add_f32_e32 v16, v22, v14
	v_mul_f32_e32 v22, v34, v36
	v_fma_f32 v26, v36, v34, -v22
	v_fmac_f32_e32 v26, v36, v11
	v_add_f32_e32 v14, v22, v26
	v_sub_f32_e32 v23, v15, v14
	v_pk_add_f32 v[28:29], v[14:15], v[22:23] neg_lo:[0,1] neg_hi:[0,1]
	v_mov_b32_e32 v27, v14
	v_pk_add_f32 v[14:15], v[28:29], v[26:27] neg_lo:[0,1] neg_hi:[0,1]
	v_add_f32_e32 v15, v16, v15
	v_add_f32_e32 v14, v14, v15
	;; [unrolled: 1-line block ×3, first 2 shown]
	v_mul_f32_e32 v16, v35, v15
	v_mul_f32_e32 v22, v34, v16
	v_fma_f32 v26, v16, v34, -v22
	v_fmac_f32_e32 v26, v16, v11
	v_sub_f32_e32 v11, v23, v15
	v_add_f32_e32 v11, v14, v11
	v_add_f32_e32 v14, v22, v26
	v_sub_f32_e32 v23, v15, v14
	v_pk_add_f32 v[28:29], v[14:15], v[22:23] neg_lo:[0,1] neg_hi:[0,1]
	v_mov_b32_e32 v27, v14
	v_pk_add_f32 v[14:15], v[28:29], v[26:27] neg_lo:[0,1] neg_hi:[0,1]
	v_add_f32_e32 v11, v11, v15
	v_add_f32_e32 v11, v14, v11
	;; [unrolled: 1-line block ×4, first 2 shown]
	v_sub_f32_e32 v15, v14, v36
	v_mul_f32_e32 v11, v35, v11
	v_sub_f32_e32 v15, v16, v15
	v_add_f32_e32 v11, v15, v11
	v_add_f32_e32 v16, v14, v11
	v_mul_f32_e32 v23, v16, v16
	v_mov_b32_e32 v22, 0x3ecc95a3
	v_fmac_f32_e32 v22, 0x3e9b6dac, v23
	v_mov_b32_e32 v15, 0x3f2aaada
	v_fmac_f32_e32 v15, v23, v22
	v_cvt_f32_i32_e32 v22, v21
	v_sub_f32_e32 v14, v16, v14
	v_sub_f32_e32 v11, v11, v14
	v_mul_f32_e32 v23, v16, v23
	v_mov_b32_e32 v14, 0x3f317218
	s_mov_b32 s3, 0x3f317218
	v_pk_mul_f32 v[14:15], v[22:23], v[14:15]
	v_fma_f32 v26, v22, s3, -v14
	v_ldexp_f32 v27, v16, 1
	v_fmac_f32_e32 v26, 0xb102e308, v22
	v_pk_add_f32 v[22:23], v[14:15], v[26:27]
	v_sub_f32_e32 v16, v23, v27
	v_ldexp_f32 v11, v11, 1
	v_sub_f32_e32 v16, v15, v16
	v_add_f32_e32 v29, v11, v16
	v_mov_b32_e32 v28, v14
	v_pk_add_f32 v[14:15], v[22:23], v[14:15] neg_lo:[0,1] neg_hi:[0,1]
	v_pk_add_f32 v[34:35], v[22:23], v[28:29]
	v_mov_b32_e32 v15, v35
	v_mov_b32_e32 v27, v22
	v_pk_add_f32 v[36:37], v[26:27], v[14:15] neg_lo:[0,1] neg_hi:[0,1]
	v_pk_add_f32 v[14:15], v[26:27], v[14:15]
	v_mov_b32_e32 v16, v15
	v_pk_add_f32 v[26:27], v[16:17], v[22:23] neg_lo:[0,1] neg_hi:[0,1]
	v_mov_b32_e32 v11, v26
	v_pk_add_f32 v[38:39], v[34:35], v[10:11] neg_lo:[0,1] neg_hi:[0,1]
	v_mov_b32_e32 v14, v35
	v_mov_b32_e32 v34, v23
	;; [unrolled: 1-line block ×4, first 2 shown]
	v_pk_add_f32 v[14:15], v[14:15], v[34:35] neg_lo:[0,1] neg_hi:[0,1]
	v_mov_b32_e32 v26, v29
	v_mov_b32_e32 v27, v22
	v_pk_add_f32 v[14:15], v[26:27], v[14:15] neg_lo:[0,1] neg_hi:[0,1]
	v_mov_b32_e32 v38, v36
	v_pk_add_f32 v[22:23], v[38:39], v[14:15]
	v_mov_b32_e32 v26, v23
	v_pk_add_f32 v[26:27], v[22:23], v[26:27]
	v_pk_add_f32 v[28:29], v[16:17], v[26:27]
	v_mov_b32_e32 v23, v28
	v_pk_add_f32 v[34:35], v[22:23], v[36:37] neg_lo:[0,1] neg_hi:[0,1]
	v_mov_b32_e32 v15, v26
	v_sub_f32_e32 v11, v22, v34
	v_pk_add_f32 v[14:15], v[14:15], v[34:35] neg_lo:[0,1] neg_hi:[0,1]
	v_sub_f32_e32 v11, v36, v11
	s_mov_b32 s4, 0x7f800000
	v_add_f32_e32 v11, v14, v11
	s_mov_b32 s3, 0x33800000
	v_add_f32_e32 v11, v11, v15
	v_cmp_eq_f32_e32 vcc, s4, v13
	v_cmp_lt_f32_e64 s[4:5], |v13|, s3
	v_add_f32_e32 v11, v28, v11
	s_or_b64 vcc, vcc, s[4:5]
	v_cndmask_b32_e32 v11, v11, v13, vcc
	v_add_f32_e32 v11, v12, v11
.LBB136_288:
	s_or_b64 exec, exec, s[0:1]
	v_max_f32_e32 v12, v11, v11
	v_min_f32_e32 v13, v12, v17
	v_cmp_u_f32_e32 vcc, v11, v11
	v_max_f32_e32 v12, v12, v17
	v_cndmask_b32_e32 v13, v13, v11, vcc
	v_cndmask_b32_e32 v12, v12, v11, vcc
	v_cndmask_b32_e64 v14, v13, v24, s[18:19]
	v_cndmask_b32_e64 v13, v12, v24, s[18:19]
	v_cmp_neq_f32_e32 vcc, v14, v13
	v_cmp_class_f32_e64 s[0:1], v14, s2
	s_or_b64 s[2:3], vcc, s[0:1]
	v_mov_b32_e32 v12, v11
	s_and_saveexec_b64 s[0:1], s[2:3]
	s_cbranch_execz .LBB136_290
; %bb.289:
	v_sub_f32_e32 v12, v14, v13
	s_mov_b32 s2, 0x3fb8aa3b
	v_mul_f32_e32 v14, 0x3fb8aa3b, v12
	v_fma_f32 v15, v12, s2, -v14
	v_rndne_f32_e32 v16, v14
	v_fmac_f32_e32 v15, 0x32a5705f, v12
	v_sub_f32_e32 v14, v14, v16
	v_add_f32_e32 v14, v14, v15
	v_exp_f32_e32 v14, v14
	v_cvt_i32_f32_e32 v15, v16
	s_mov_b32 s2, 0xc2ce8ed0
	v_cmp_ngt_f32_e32 vcc, s2, v12
	s_mov_b32 s2, 0x42b17218
	v_ldexp_f32 v14, v14, v15
	v_cndmask_b32_e32 v14, 0, v14, vcc
	v_mov_b32_e32 v15, 0x7f800000
	v_cmp_nlt_f32_e32 vcc, s2, v12
	v_cndmask_b32_e32 v24, v15, v14, vcc
	v_add_f32_e32 v12, 1.0, v24
	v_add_f32_e32 v14, -1.0, v12
	v_sub_f32_e32 v15, v14, v12
	v_add_f32_e32 v15, 1.0, v15
	v_sub_f32_e32 v14, v24, v14
	v_add_f32_e32 v16, v14, v15
	v_frexp_mant_f32_e32 v17, v12
	s_mov_b32 s2, 0x3f2aaaab
	v_cvt_f64_f32_e32 v[14:15], v12
	v_frexp_exp_i32_f64_e32 v14, v[14:15]
	v_cmp_gt_f32_e32 vcc, s2, v17
	v_subbrev_co_u32_e32 v21, vcc, 0, v14, vcc
	v_sub_u32_e32 v14, 0, v21
	v_ldexp_f32 v12, v12, v14
	v_ldexp_f32 v14, v16, v14
	v_add_f32_e32 v16, -1.0, v12
	v_add_f32_e32 v15, 1.0, v16
	v_sub_f32_e32 v15, v12, v15
	v_add_f32_e32 v17, v14, v15
	v_add_f32_e32 v15, 1.0, v12
	v_add_f32_e32 v22, -1.0, v15
	v_sub_f32_e32 v12, v12, v22
	v_add_f32_e32 v12, v14, v12
	v_add_f32_e32 v28, v15, v12
	v_rcp_f32_e32 v29, v28
	v_sub_f32_e32 v14, v15, v28
	v_add_f32_e32 v15, v16, v17
	v_add_f32_e32 v12, v12, v14
	v_mul_f32_e32 v35, v15, v29
	v_sub_f32_e32 v14, v16, v15
	v_mul_f32_e32 v16, v28, v35
	v_fma_f32 v22, v35, v28, -v16
	v_fmac_f32_e32 v22, v35, v12
	v_add_f32_e32 v34, v17, v14
	v_add_f32_e32 v14, v16, v22
	v_sub_f32_e32 v17, v15, v14
	v_pk_add_f32 v[26:27], v[14:15], v[16:17] neg_lo:[0,1] neg_hi:[0,1]
	v_mov_b32_e32 v23, v14
	v_pk_add_f32 v[14:15], v[26:27], v[22:23] neg_lo:[0,1] neg_hi:[0,1]
	v_add_f32_e32 v15, v34, v15
	v_add_f32_e32 v14, v14, v15
	;; [unrolled: 1-line block ×3, first 2 shown]
	v_mul_f32_e32 v34, v29, v15
	v_mul_f32_e32 v16, v28, v34
	v_fma_f32 v22, v34, v28, -v16
	v_fmac_f32_e32 v22, v34, v12
	v_sub_f32_e32 v12, v17, v15
	v_add_f32_e32 v12, v14, v12
	v_add_f32_e32 v14, v16, v22
	v_sub_f32_e32 v17, v15, v14
	v_pk_add_f32 v[26:27], v[14:15], v[16:17] neg_lo:[0,1] neg_hi:[0,1]
	v_mov_b32_e32 v23, v14
	v_pk_add_f32 v[14:15], v[26:27], v[22:23] neg_lo:[0,1] neg_hi:[0,1]
	v_add_f32_e32 v12, v12, v15
	v_add_f32_e32 v12, v14, v12
	v_add_f32_e32 v14, v35, v34
	v_add_f32_e32 v12, v17, v12
	v_sub_f32_e32 v15, v14, v35
	v_mul_f32_e32 v12, v29, v12
	v_sub_f32_e32 v15, v34, v15
	v_add_f32_e32 v12, v15, v12
	v_add_f32_e32 v17, v14, v12
	v_mul_f32_e32 v22, v17, v17
	v_mov_b32_e32 v16, 0x3ecc95a3
	v_fmac_f32_e32 v16, 0x3e9b6dac, v22
	v_mov_b32_e32 v15, 0x3f2aaada
	v_fmac_f32_e32 v15, v22, v16
	v_cvt_f32_i32_e32 v16, v21
	v_sub_f32_e32 v14, v17, v14
	v_sub_f32_e32 v12, v12, v14
	v_ldexp_f32 v23, v17, 1
	v_mul_f32_e32 v17, v17, v22
	v_mov_b32_e32 v14, 0x3f317218
	s_mov_b32 s2, 0x3f317218
	v_pk_mul_f32 v[14:15], v[16:17], v[14:15]
	v_fma_f32 v22, v16, s2, -v14
	v_fmac_f32_e32 v22, 0xb102e308, v16
	v_pk_add_f32 v[16:17], v[14:15], v[22:23]
	v_sub_f32_e32 v21, v17, v23
	v_ldexp_f32 v12, v12, 1
	v_sub_f32_e32 v21, v15, v21
	v_add_f32_e32 v27, v12, v21
	v_mov_b32_e32 v26, v14
	v_pk_add_f32 v[14:15], v[16:17], v[14:15] neg_lo:[0,1] neg_hi:[0,1]
	v_pk_add_f32 v[28:29], v[16:17], v[26:27]
	v_mov_b32_e32 v15, v29
	v_mov_b32_e32 v23, v16
	v_pk_add_f32 v[34:35], v[22:23], v[14:15] neg_lo:[0,1] neg_hi:[0,1]
	v_pk_add_f32 v[14:15], v[22:23], v[14:15]
	v_mov_b32_e32 v12, v15
	v_pk_add_f32 v[22:23], v[12:13], v[16:17] neg_lo:[0,1] neg_hi:[0,1]
	v_mov_b32_e32 v21, v22
	s_waitcnt lgkmcnt(0)
	v_pk_add_f32 v[36:37], v[28:29], v[20:21] neg_lo:[0,1] neg_hi:[0,1]
	v_mov_b32_e32 v14, v29
	v_mov_b32_e32 v28, v17
	;; [unrolled: 1-line block ×4, first 2 shown]
	v_pk_add_f32 v[14:15], v[14:15], v[28:29] neg_lo:[0,1] neg_hi:[0,1]
	v_mov_b32_e32 v22, v27
	v_mov_b32_e32 v23, v16
	v_pk_add_f32 v[14:15], v[22:23], v[14:15] neg_lo:[0,1] neg_hi:[0,1]
	v_mov_b32_e32 v36, v34
	v_pk_add_f32 v[16:17], v[36:37], v[14:15]
	v_mov_b32_e32 v22, v17
	v_pk_add_f32 v[22:23], v[16:17], v[22:23]
	v_pk_add_f32 v[26:27], v[12:13], v[22:23]
	v_mov_b32_e32 v17, v26
	v_pk_add_f32 v[28:29], v[16:17], v[34:35] neg_lo:[0,1] neg_hi:[0,1]
	v_mov_b32_e32 v15, v22
	v_sub_f32_e32 v12, v16, v28
	v_pk_add_f32 v[14:15], v[14:15], v[28:29] neg_lo:[0,1] neg_hi:[0,1]
	v_sub_f32_e32 v12, v34, v12
	s_mov_b32 s3, 0x7f800000
	v_add_f32_e32 v12, v14, v12
	s_mov_b32 s2, 0x33800000
	v_add_f32_e32 v12, v12, v15
	v_cmp_eq_f32_e32 vcc, s3, v24
	v_cmp_lt_f32_e64 s[2:3], |v24|, s2
	v_add_f32_e32 v12, v26, v12
	s_or_b64 vcc, vcc, s[2:3]
	v_cndmask_b32_e32 v12, v12, v24, vcc
	v_add_f32_e32 v12, v13, v12
.LBB136_290:
	s_or_b64 exec, exec, s[0:1]
	v_max_f32_e32 v13, v12, v12
	v_min_f32_e32 v14, v13, v18
	v_cmp_u_f32_e32 vcc, v12, v12
	v_max_f32_e32 v13, v13, v18
	v_cndmask_b32_e32 v14, v14, v12, vcc
	v_cndmask_b32_e32 v13, v13, v12, vcc
	v_cndmask_b32_e64 v15, v14, v25, s[20:21]
	v_cndmask_b32_e64 v14, v13, v25, s[20:21]
	s_movk_i32 s2, 0x1f8
	v_cmp_neq_f32_e32 vcc, v15, v14
	v_cmp_class_f32_e64 s[0:1], v15, s2
	s_or_b64 s[4:5], vcc, s[0:1]
	v_mov_b32_e32 v13, v12
	s_and_saveexec_b64 s[0:1], s[4:5]
	s_cbranch_execz .LBB136_292
; %bb.291:
	v_sub_f32_e32 v13, v15, v14
	s_mov_b32 s3, 0x3fb8aa3b
	v_mul_f32_e32 v15, 0x3fb8aa3b, v13
	v_fma_f32 v16, v13, s3, -v15
	v_rndne_f32_e32 v17, v15
	v_fmac_f32_e32 v16, 0x32a5705f, v13
	v_sub_f32_e32 v15, v15, v17
	v_add_f32_e32 v15, v15, v16
	v_exp_f32_e32 v15, v15
	v_cvt_i32_f32_e32 v16, v17
	s_mov_b32 s3, 0xc2ce8ed0
	v_cmp_ngt_f32_e32 vcc, s3, v13
	s_mov_b32 s3, 0x42b17218
	v_ldexp_f32 v15, v15, v16
	v_cndmask_b32_e32 v15, 0, v15, vcc
	v_mov_b32_e32 v16, 0x7f800000
	v_cmp_nlt_f32_e32 vcc, s3, v13
	v_cndmask_b32_e32 v15, v16, v15, vcc
	v_add_f32_e32 v13, 1.0, v15
	v_add_f32_e32 v16, -1.0, v13
	v_sub_f32_e32 v17, v16, v13
	v_add_f32_e32 v17, 1.0, v17
	v_sub_f32_e32 v16, v15, v16
	v_add_f32_e32 v18, v16, v17
	v_frexp_mant_f32_e32 v21, v13
	s_mov_b32 s3, 0x3f2aaaab
	v_cvt_f64_f32_e32 v[16:17], v13
	v_frexp_exp_i32_f64_e32 v16, v[16:17]
	v_cmp_gt_f32_e32 vcc, s3, v21
	v_subbrev_co_u32_e32 v21, vcc, 0, v16, vcc
	v_sub_u32_e32 v16, 0, v21
	v_ldexp_f32 v13, v13, v16
	v_ldexp_f32 v16, v18, v16
	v_add_f32_e32 v18, -1.0, v13
	v_add_f32_e32 v17, 1.0, v18
	v_sub_f32_e32 v17, v13, v17
	v_add_f32_e32 v22, v16, v17
	v_add_f32_e32 v17, 1.0, v13
	v_add_f32_e32 v23, -1.0, v17
	v_sub_f32_e32 v13, v13, v23
	v_add_f32_e32 v13, v16, v13
	v_add_f32_e32 v28, v17, v13
	v_rcp_f32_e32 v29, v28
	v_sub_f32_e32 v16, v17, v28
	v_add_f32_e32 v17, v18, v22
	v_add_f32_e32 v13, v13, v16
	v_sub_f32_e32 v16, v18, v17
	v_mul_f32_e32 v34, v17, v29
	v_add_f32_e32 v18, v22, v16
	v_mul_f32_e32 v22, v28, v34
	v_fma_f32 v24, v34, v28, -v22
	v_fmac_f32_e32 v24, v34, v13
	v_add_f32_e32 v16, v22, v24
	v_sub_f32_e32 v23, v17, v16
	v_pk_add_f32 v[26:27], v[16:17], v[22:23] neg_lo:[0,1] neg_hi:[0,1]
	v_mov_b32_e32 v25, v16
	v_pk_add_f32 v[16:17], v[26:27], v[24:25] neg_lo:[0,1] neg_hi:[0,1]
	v_add_f32_e32 v17, v18, v17
	v_add_f32_e32 v16, v16, v17
	;; [unrolled: 1-line block ×3, first 2 shown]
	v_mul_f32_e32 v18, v29, v17
	v_mul_f32_e32 v22, v28, v18
	v_fma_f32 v24, v18, v28, -v22
	v_fmac_f32_e32 v24, v18, v13
	v_sub_f32_e32 v13, v23, v17
	v_add_f32_e32 v13, v16, v13
	v_add_f32_e32 v16, v22, v24
	v_sub_f32_e32 v23, v17, v16
	v_pk_add_f32 v[26:27], v[16:17], v[22:23] neg_lo:[0,1] neg_hi:[0,1]
	v_mov_b32_e32 v25, v16
	v_pk_add_f32 v[16:17], v[26:27], v[24:25] neg_lo:[0,1] neg_hi:[0,1]
	v_add_f32_e32 v13, v13, v17
	v_add_f32_e32 v13, v16, v13
	;; [unrolled: 1-line block ×4, first 2 shown]
	v_sub_f32_e32 v17, v16, v34
	v_mul_f32_e32 v13, v29, v13
	v_sub_f32_e32 v17, v18, v17
	v_add_f32_e32 v13, v17, v13
	v_add_f32_e32 v18, v16, v13
	v_mul_f32_e32 v23, v18, v18
	v_mov_b32_e32 v22, 0x3ecc95a3
	v_fmac_f32_e32 v22, 0x3e9b6dac, v23
	v_mov_b32_e32 v17, 0x3f2aaada
	v_fmac_f32_e32 v17, v23, v22
	v_cvt_f32_i32_e32 v22, v21
	v_sub_f32_e32 v16, v18, v16
	v_sub_f32_e32 v13, v13, v16
	v_mul_f32_e32 v23, v18, v23
	v_mov_b32_e32 v16, 0x3f317218
	s_mov_b32 s3, 0x3f317218
	v_pk_mul_f32 v[16:17], v[22:23], v[16:17]
	v_fma_f32 v24, v22, s3, -v16
	v_ldexp_f32 v25, v18, 1
	v_fmac_f32_e32 v24, 0xb102e308, v22
	v_pk_add_f32 v[22:23], v[16:17], v[24:25]
	v_sub_f32_e32 v18, v23, v25
	v_ldexp_f32 v13, v13, 1
	v_sub_f32_e32 v18, v17, v18
	v_add_f32_e32 v27, v13, v18
	v_mov_b32_e32 v26, v16
	v_pk_add_f32 v[16:17], v[22:23], v[16:17] neg_lo:[0,1] neg_hi:[0,1]
	v_pk_add_f32 v[28:29], v[22:23], v[26:27]
	v_mov_b32_e32 v17, v29
	v_mov_b32_e32 v25, v22
	v_pk_add_f32 v[34:35], v[24:25], v[16:17] neg_lo:[0,1] neg_hi:[0,1]
	v_pk_add_f32 v[16:17], v[24:25], v[16:17]
	v_mov_b32_e32 v18, v17
	v_pk_add_f32 v[24:25], v[18:19], v[22:23] neg_lo:[0,1] neg_hi:[0,1]
	v_mov_b32_e32 v13, v24
	s_waitcnt lgkmcnt(0)
	v_pk_add_f32 v[36:37], v[28:29], v[12:13] neg_lo:[0,1] neg_hi:[0,1]
	v_mov_b32_e32 v16, v29
	v_mov_b32_e32 v28, v23
	v_mov_b32_e32 v29, v24
	v_mov_b32_e32 v35, v17
	v_pk_add_f32 v[16:17], v[16:17], v[28:29] neg_lo:[0,1] neg_hi:[0,1]
	v_mov_b32_e32 v24, v27
	v_mov_b32_e32 v25, v22
	v_pk_add_f32 v[16:17], v[24:25], v[16:17] neg_lo:[0,1] neg_hi:[0,1]
	v_mov_b32_e32 v36, v34
	v_pk_add_f32 v[22:23], v[36:37], v[16:17]
	v_mov_b32_e32 v24, v23
	v_pk_add_f32 v[24:25], v[22:23], v[24:25]
	v_pk_add_f32 v[26:27], v[18:19], v[24:25]
	v_mov_b32_e32 v23, v26
	v_pk_add_f32 v[28:29], v[22:23], v[34:35] neg_lo:[0,1] neg_hi:[0,1]
	v_mov_b32_e32 v17, v24
	v_sub_f32_e32 v13, v22, v28
	v_pk_add_f32 v[16:17], v[16:17], v[28:29] neg_lo:[0,1] neg_hi:[0,1]
	v_sub_f32_e32 v13, v34, v13
	s_mov_b32 s4, 0x7f800000
	v_add_f32_e32 v13, v16, v13
	s_mov_b32 s3, 0x33800000
	v_add_f32_e32 v13, v13, v17
	v_cmp_eq_f32_e32 vcc, s4, v15
	v_cmp_lt_f32_e64 s[4:5], |v15|, s3
	v_add_f32_e32 v13, v26, v13
	s_or_b64 vcc, vcc, s[4:5]
	v_cndmask_b32_e32 v13, v13, v15, vcc
	v_add_f32_e32 v13, v14, v13
.LBB136_292:
	s_or_b64 exec, exec, s[0:1]
	v_max_f32_e32 v14, v13, v13
	v_min_f32_e32 v15, v14, v19
	v_cmp_u_f32_e32 vcc, v13, v13
	v_max_f32_e32 v14, v14, v19
	v_cndmask_b32_e32 v15, v15, v13, vcc
	v_cndmask_b32_e32 v14, v14, v13, vcc
	v_cndmask_b32_e64 v16, v15, v30, s[22:23]
	v_cndmask_b32_e64 v15, v14, v30, s[22:23]
	v_cmp_neq_f32_e32 vcc, v16, v15
	v_cmp_class_f32_e64 s[0:1], v16, s2
	s_or_b64 s[2:3], vcc, s[0:1]
	v_mov_b32_e32 v14, v13
	s_and_saveexec_b64 s[0:1], s[2:3]
	s_cbranch_execz .LBB136_294
; %bb.293:
	v_sub_f32_e32 v14, v16, v15
	s_mov_b32 s2, 0x3fb8aa3b
	v_mul_f32_e32 v16, 0x3fb8aa3b, v14
	v_fma_f32 v17, v14, s2, -v16
	v_rndne_f32_e32 v18, v16
	v_fmac_f32_e32 v17, 0x32a5705f, v14
	v_sub_f32_e32 v16, v16, v18
	v_add_f32_e32 v16, v16, v17
	v_exp_f32_e32 v16, v16
	v_cvt_i32_f32_e32 v17, v18
	s_mov_b32 s2, 0xc2ce8ed0
	v_cmp_ngt_f32_e32 vcc, s2, v14
	s_mov_b32 s2, 0x42b17218
	v_ldexp_f32 v16, v16, v17
	v_cndmask_b32_e32 v16, 0, v16, vcc
	v_mov_b32_e32 v17, 0x7f800000
	v_cmp_nlt_f32_e32 vcc, s2, v14
	v_cndmask_b32_e32 v30, v17, v16, vcc
	v_add_f32_e32 v14, 1.0, v30
	v_add_f32_e32 v16, -1.0, v14
	v_sub_f32_e32 v17, v16, v14
	v_add_f32_e32 v17, 1.0, v17
	v_sub_f32_e32 v16, v30, v16
	v_add_f32_e32 v18, v16, v17
	v_frexp_mant_f32_e32 v19, v14
	s_mov_b32 s2, 0x3f2aaaab
	v_cvt_f64_f32_e32 v[16:17], v14
	v_frexp_exp_i32_f64_e32 v16, v[16:17]
	v_cmp_gt_f32_e32 vcc, s2, v19
	v_subbrev_co_u32_e32 v21, vcc, 0, v16, vcc
	v_sub_u32_e32 v16, 0, v21
	v_ldexp_f32 v14, v14, v16
	v_ldexp_f32 v16, v18, v16
	v_add_f32_e32 v18, -1.0, v14
	v_add_f32_e32 v17, 1.0, v18
	v_sub_f32_e32 v17, v14, v17
	v_add_f32_e32 v19, v16, v17
	v_add_f32_e32 v17, 1.0, v14
	v_add_f32_e32 v22, -1.0, v17
	v_sub_f32_e32 v14, v14, v22
	v_add_f32_e32 v14, v16, v14
	v_add_f32_e32 v26, v17, v14
	v_rcp_f32_e32 v27, v26
	v_sub_f32_e32 v16, v17, v26
	v_add_f32_e32 v17, v18, v19
	v_add_f32_e32 v14, v14, v16
	v_mul_f32_e32 v29, v17, v27
	v_sub_f32_e32 v16, v18, v17
	v_mul_f32_e32 v18, v26, v29
	v_fma_f32 v22, v29, v26, -v18
	v_fmac_f32_e32 v22, v29, v14
	v_add_f32_e32 v28, v19, v16
	v_add_f32_e32 v16, v18, v22
	v_sub_f32_e32 v19, v17, v16
	v_pk_add_f32 v[24:25], v[16:17], v[18:19] neg_lo:[0,1] neg_hi:[0,1]
	v_mov_b32_e32 v23, v16
	v_pk_add_f32 v[16:17], v[24:25], v[22:23] neg_lo:[0,1] neg_hi:[0,1]
	v_add_f32_e32 v17, v28, v17
	v_add_f32_e32 v16, v16, v17
	;; [unrolled: 1-line block ×3, first 2 shown]
	v_mul_f32_e32 v28, v27, v17
	v_mul_f32_e32 v18, v26, v28
	v_fma_f32 v22, v28, v26, -v18
	v_fmac_f32_e32 v22, v28, v14
	v_sub_f32_e32 v14, v19, v17
	v_add_f32_e32 v14, v16, v14
	v_add_f32_e32 v16, v18, v22
	v_sub_f32_e32 v19, v17, v16
	v_pk_add_f32 v[24:25], v[16:17], v[18:19] neg_lo:[0,1] neg_hi:[0,1]
	v_mov_b32_e32 v23, v16
	v_pk_add_f32 v[16:17], v[24:25], v[22:23] neg_lo:[0,1] neg_hi:[0,1]
	v_add_f32_e32 v14, v14, v17
	v_add_f32_e32 v14, v16, v14
	;; [unrolled: 1-line block ×4, first 2 shown]
	v_sub_f32_e32 v17, v16, v29
	v_mul_f32_e32 v14, v27, v14
	v_sub_f32_e32 v17, v28, v17
	v_add_f32_e32 v14, v17, v14
	v_add_f32_e32 v19, v16, v14
	v_mul_f32_e32 v22, v19, v19
	v_mov_b32_e32 v18, 0x3ecc95a3
	v_fmac_f32_e32 v18, 0x3e9b6dac, v22
	v_mov_b32_e32 v17, 0x3f2aaada
	v_fmac_f32_e32 v17, v22, v18
	v_cvt_f32_i32_e32 v18, v21
	v_sub_f32_e32 v16, v19, v16
	v_sub_f32_e32 v14, v14, v16
	v_ldexp_f32 v23, v19, 1
	v_mul_f32_e32 v19, v19, v22
	v_mov_b32_e32 v16, 0x3f317218
	s_mov_b32 s2, 0x3f317218
	v_pk_mul_f32 v[16:17], v[18:19], v[16:17]
	v_fma_f32 v22, v18, s2, -v16
	v_fmac_f32_e32 v22, 0xb102e308, v18
	v_pk_add_f32 v[18:19], v[16:17], v[22:23]
	v_sub_f32_e32 v21, v19, v23
	v_ldexp_f32 v14, v14, 1
	v_sub_f32_e32 v21, v17, v21
	v_add_f32_e32 v25, v14, v21
	v_mov_b32_e32 v24, v16
	v_pk_add_f32 v[16:17], v[18:19], v[16:17] neg_lo:[0,1] neg_hi:[0,1]
	v_pk_add_f32 v[26:27], v[18:19], v[24:25]
	v_mov_b32_e32 v17, v27
	v_mov_b32_e32 v23, v18
	v_pk_add_f32 v[28:29], v[22:23], v[16:17] neg_lo:[0,1] neg_hi:[0,1]
	v_pk_add_f32 v[16:17], v[22:23], v[16:17]
	v_mov_b32_e32 v14, v17
	v_pk_add_f32 v[22:23], v[14:15], v[18:19] neg_lo:[0,1] neg_hi:[0,1]
	v_mov_b32_e32 v21, v22
	v_pk_add_f32 v[34:35], v[26:27], v[20:21] neg_lo:[0,1] neg_hi:[0,1]
	v_mov_b32_e32 v16, v27
	v_mov_b32_e32 v26, v19
	;; [unrolled: 1-line block ×4, first 2 shown]
	v_pk_add_f32 v[16:17], v[16:17], v[26:27] neg_lo:[0,1] neg_hi:[0,1]
	v_mov_b32_e32 v22, v25
	v_mov_b32_e32 v23, v18
	v_pk_add_f32 v[16:17], v[22:23], v[16:17] neg_lo:[0,1] neg_hi:[0,1]
	v_mov_b32_e32 v34, v28
	v_pk_add_f32 v[18:19], v[34:35], v[16:17]
	v_mov_b32_e32 v22, v19
	v_pk_add_f32 v[22:23], v[18:19], v[22:23]
	v_pk_add_f32 v[24:25], v[14:15], v[22:23]
	v_mov_b32_e32 v19, v24
	v_pk_add_f32 v[26:27], v[18:19], v[28:29] neg_lo:[0,1] neg_hi:[0,1]
	v_mov_b32_e32 v17, v22
	v_sub_f32_e32 v14, v18, v26
	v_pk_add_f32 v[16:17], v[16:17], v[26:27] neg_lo:[0,1] neg_hi:[0,1]
	v_sub_f32_e32 v14, v28, v14
	s_mov_b32 s3, 0x7f800000
	v_add_f32_e32 v14, v16, v14
	s_mov_b32 s2, 0x33800000
	v_add_f32_e32 v14, v14, v17
	v_cmp_eq_f32_e32 vcc, s3, v30
	v_cmp_lt_f32_e64 s[2:3], |v30|, s2
	v_add_f32_e32 v14, v24, v14
	s_or_b64 vcc, vcc, s[2:3]
	v_cndmask_b32_e32 v14, v14, v30, vcc
	v_add_f32_e32 v14, v15, v14
.LBB136_294:
	s_or_b64 exec, exec, s[0:1]
	v_max_f32_e32 v15, v14, v14
	v_min_f32_e32 v16, v15, v20
	v_cmp_u_f32_e32 vcc, v14, v14
	v_max_f32_e32 v15, v15, v20
	v_cndmask_b32_e32 v16, v16, v14, vcc
	v_cndmask_b32_e32 v15, v15, v14, vcc
	v_cndmask_b32_e64 v17, v16, v31, s[24:25]
	v_cndmask_b32_e64 v16, v15, v31, s[24:25]
	s_movk_i32 s0, 0x1f8
	v_cmp_neq_f32_e32 vcc, v17, v16
	v_cmp_class_f32_e64 s[0:1], v17, s0
	s_or_b64 s[2:3], vcc, s[0:1]
	v_mov_b32_e32 v15, v14
	s_and_saveexec_b64 s[0:1], s[2:3]
	s_cbranch_execz .LBB136_296
; %bb.295:
	v_sub_f32_e32 v15, v17, v16
	s_mov_b32 s2, 0x3fb8aa3b
	v_mul_f32_e32 v17, 0x3fb8aa3b, v15
	v_fma_f32 v18, v15, s2, -v17
	v_rndne_f32_e32 v19, v17
	v_fmac_f32_e32 v18, 0x32a5705f, v15
	v_sub_f32_e32 v17, v17, v19
	v_add_f32_e32 v17, v17, v18
	v_exp_f32_e32 v17, v17
	v_cvt_i32_f32_e32 v18, v19
	s_mov_b32 s2, 0xc2ce8ed0
	v_cmp_ngt_f32_e32 vcc, s2, v15
	s_mov_b32 s2, 0x42b17218
	v_ldexp_f32 v17, v17, v18
	v_cndmask_b32_e32 v17, 0, v17, vcc
	v_mov_b32_e32 v18, 0x7f800000
	v_cmp_nlt_f32_e32 vcc, s2, v15
	v_cndmask_b32_e32 v17, v18, v17, vcc
	v_add_f32_e32 v15, 1.0, v17
	v_add_f32_e32 v18, -1.0, v15
	v_sub_f32_e32 v19, v18, v15
	v_add_f32_e32 v19, 1.0, v19
	v_sub_f32_e32 v18, v17, v18
	v_add_f32_e32 v20, v18, v19
	v_frexp_mant_f32_e32 v21, v15
	s_mov_b32 s2, 0x3f2aaaab
	v_cvt_f64_f32_e32 v[18:19], v15
	v_frexp_exp_i32_f64_e32 v18, v[18:19]
	v_cmp_gt_f32_e32 vcc, s2, v21
	v_subbrev_co_u32_e32 v26, vcc, 0, v18, vcc
	v_sub_u32_e32 v18, 0, v26
	v_ldexp_f32 v15, v15, v18
	v_ldexp_f32 v18, v20, v18
	v_add_f32_e32 v20, -1.0, v15
	v_add_f32_e32 v19, 1.0, v20
	v_sub_f32_e32 v19, v15, v19
	v_add_f32_e32 v21, v18, v19
	v_add_f32_e32 v19, 1.0, v15
	v_add_f32_e32 v22, -1.0, v19
	v_sub_f32_e32 v15, v15, v22
	v_add_f32_e32 v15, v18, v15
	v_add_f32_e32 v27, v19, v15
	v_rcp_f32_e32 v28, v27
	v_sub_f32_e32 v18, v19, v27
	v_add_f32_e32 v19, v20, v21
	v_add_f32_e32 v15, v15, v18
	v_mul_f32_e32 v30, v19, v28
	v_sub_f32_e32 v18, v20, v19
	v_mul_f32_e32 v20, v27, v30
	v_fma_f32 v22, v30, v27, -v20
	v_fmac_f32_e32 v22, v30, v15
	v_add_f32_e32 v29, v21, v18
	v_add_f32_e32 v18, v20, v22
	v_sub_f32_e32 v21, v19, v18
	v_pk_add_f32 v[24:25], v[18:19], v[20:21] neg_lo:[0,1] neg_hi:[0,1]
	v_mov_b32_e32 v23, v18
	v_pk_add_f32 v[18:19], v[24:25], v[22:23] neg_lo:[0,1] neg_hi:[0,1]
	v_add_f32_e32 v19, v29, v19
	v_add_f32_e32 v18, v18, v19
	;; [unrolled: 1-line block ×3, first 2 shown]
	v_mul_f32_e32 v29, v28, v19
	v_mul_f32_e32 v20, v27, v29
	v_fma_f32 v22, v29, v27, -v20
	v_fmac_f32_e32 v22, v29, v15
	v_sub_f32_e32 v15, v21, v19
	v_add_f32_e32 v15, v18, v15
	v_add_f32_e32 v18, v20, v22
	v_sub_f32_e32 v21, v19, v18
	v_pk_add_f32 v[24:25], v[18:19], v[20:21] neg_lo:[0,1] neg_hi:[0,1]
	v_mov_b32_e32 v23, v18
	v_pk_add_f32 v[18:19], v[24:25], v[22:23] neg_lo:[0,1] neg_hi:[0,1]
	v_add_f32_e32 v15, v15, v19
	v_add_f32_e32 v15, v18, v15
	;; [unrolled: 1-line block ×4, first 2 shown]
	v_sub_f32_e32 v19, v18, v30
	v_mul_f32_e32 v15, v28, v15
	v_sub_f32_e32 v19, v29, v19
	v_add_f32_e32 v15, v19, v15
	v_add_f32_e32 v21, v18, v15
	v_mul_f32_e32 v22, v21, v21
	v_mov_b32_e32 v20, 0x3ecc95a3
	v_fmac_f32_e32 v20, 0x3e9b6dac, v22
	v_mov_b32_e32 v19, 0x3f2aaada
	v_fmac_f32_e32 v19, v22, v20
	v_cvt_f32_i32_e32 v20, v26
	v_sub_f32_e32 v18, v21, v18
	v_sub_f32_e32 v15, v15, v18
	v_ldexp_f32 v23, v21, 1
	v_mul_f32_e32 v21, v21, v22
	v_mov_b32_e32 v18, 0x3f317218
	s_mov_b32 s2, 0x3f317218
	v_pk_mul_f32 v[18:19], v[20:21], v[18:19]
	v_fma_f32 v22, v20, s2, -v18
	v_fmac_f32_e32 v22, 0xb102e308, v20
	v_pk_add_f32 v[20:21], v[18:19], v[22:23]
	v_sub_f32_e32 v23, v21, v23
	v_ldexp_f32 v15, v15, 1
	v_sub_f32_e32 v23, v19, v23
	v_add_f32_e32 v25, v15, v23
	v_mov_b32_e32 v24, v18
	v_pk_add_f32 v[18:19], v[20:21], v[18:19] neg_lo:[0,1] neg_hi:[0,1]
	v_pk_add_f32 v[26:27], v[20:21], v[24:25]
	v_mov_b32_e32 v19, v27
	v_mov_b32_e32 v23, v20
	v_pk_add_f32 v[28:29], v[22:23], v[18:19] neg_lo:[0,1] neg_hi:[0,1]
	v_pk_add_f32 v[18:19], v[22:23], v[18:19]
	v_mov_b32_e32 v22, v19
	v_pk_add_f32 v[30:31], v[22:23], v[20:21] neg_lo:[0,1] neg_hi:[0,1]
	v_mov_b32_e32 v15, v30
	v_pk_add_f32 v[34:35], v[26:27], v[14:15] neg_lo:[0,1] neg_hi:[0,1]
	v_mov_b32_e32 v18, v27
	v_mov_b32_e32 v26, v21
	;; [unrolled: 1-line block ×4, first 2 shown]
	v_pk_add_f32 v[18:19], v[18:19], v[26:27] neg_lo:[0,1] neg_hi:[0,1]
	v_mov_b32_e32 v24, v25
	v_mov_b32_e32 v25, v20
	v_pk_add_f32 v[18:19], v[24:25], v[18:19] neg_lo:[0,1] neg_hi:[0,1]
	v_mov_b32_e32 v34, v28
	v_pk_add_f32 v[20:21], v[34:35], v[18:19]
	v_mov_b32_e32 v24, v21
	v_pk_add_f32 v[24:25], v[20:21], v[24:25]
	v_pk_add_f32 v[22:23], v[22:23], v[24:25]
	v_mov_b32_e32 v21, v22
	v_pk_add_f32 v[26:27], v[20:21], v[28:29] neg_lo:[0,1] neg_hi:[0,1]
	v_mov_b32_e32 v19, v24
	v_sub_f32_e32 v15, v20, v26
	v_pk_add_f32 v[18:19], v[18:19], v[26:27] neg_lo:[0,1] neg_hi:[0,1]
	v_sub_f32_e32 v15, v28, v15
	s_mov_b32 s3, 0x7f800000
	v_add_f32_e32 v15, v18, v15
	s_mov_b32 s2, 0x33800000
	v_add_f32_e32 v15, v15, v19
	v_cmp_eq_f32_e32 vcc, s3, v17
	v_cmp_lt_f32_e64 s[2:3], |v17|, s2
	v_add_f32_e32 v15, v22, v15
	s_or_b64 vcc, vcc, s[2:3]
	v_cndmask_b32_e32 v15, v15, v17, vcc
	v_add_f32_e32 v15, v16, v15
.LBB136_296:
	s_or_b64 exec, exec, s[0:1]
	s_movk_i32 s0, 0x7f
	v_cmp_eq_u32_e32 vcc, s0, v0
	s_and_saveexec_b64 s[0:1], vcc
	s_cbranch_execz .LBB136_298
; %bb.297:
	v_mov_b32_e32 v18, 0
	v_mov_b32_e32 v17, 2
	;; [unrolled: 1-line block ×3, first 2 shown]
	global_store_dwordx2 v18, v[16:17], s[52:53] offset:512
.LBB136_298:
	s_or_b64 exec, exec, s[0:1]
	v_pk_mov_b32 v[20:21], v[16:17], v[16:17] op_sel:[0,1]
	v_pk_mov_b32 v[18:19], v[14:15], v[14:15] op_sel:[0,1]
	;; [unrolled: 1-line block ×8, first 2 shown]
.LBB136_299:
	s_add_u32 s0, s44, s48
	s_addc_u32 s1, s45, s49
	s_add_u32 s0, s0, s50
	s_addc_u32 s1, s1, s51
	s_mov_b64 s[2:3], -1
	s_and_b64 vcc, exec, s[46:47]
	s_waitcnt lgkmcnt(0)
	s_barrier
	s_cbranch_vccz .LBB136_301
; %bb.300:
	ds_write2_b64 v1, v[6:7], v[8:9] offset1:1
	ds_write2_b64 v1, v[10:11], v[12:13] offset0:2 offset1:3
	ds_write2_b64 v1, v[14:15], v[16:17] offset0:4 offset1:5
	ds_write_b64 v1, v[18:19] offset:48
	s_waitcnt lgkmcnt(0)
	s_barrier
	ds_read2st64_b32 v[2:3], v32 offset1:2
	ds_read2st64_b32 v[4:5], v32 offset0:4 offset1:6
	ds_read2st64_b32 v[20:21], v32 offset0:8 offset1:10
	;; [unrolled: 1-line block ×6, first 2 shown]
	v_mov_b32_e32 v30, s1
	v_add_co_u32_e32 v31, vcc, s0, v32
	v_addc_co_u32_e32 v30, vcc, 0, v30, vcc
	s_waitcnt lgkmcnt(6)
	global_store_dword v32, v2, s[0:1]
	global_store_dword v32, v3, s[0:1] offset:512
	s_waitcnt lgkmcnt(5)
	global_store_dword v32, v4, s[0:1] offset:1024
	global_store_dword v32, v5, s[0:1] offset:1536
	s_waitcnt lgkmcnt(4)
	global_store_dword v32, v20, s[0:1] offset:2048
	global_store_dword v32, v21, s[0:1] offset:2560
	s_waitcnt lgkmcnt(3)
	global_store_dword v32, v22, s[0:1] offset:3072
	global_store_dword v32, v23, s[0:1] offset:3584
	v_add_co_u32_e32 v2, vcc, 0x1000, v31
	v_addc_co_u32_e32 v3, vcc, 0, v30, vcc
	s_waitcnt lgkmcnt(2)
	global_store_dword v[2:3], v24, off
	global_store_dword v[2:3], v25, off offset:512
	s_waitcnt lgkmcnt(1)
	global_store_dword v[2:3], v26, off offset:1024
	global_store_dword v[2:3], v27, off offset:1536
	s_waitcnt lgkmcnt(0)
	global_store_dword v[2:3], v28, off offset:2048
	global_store_dword v[2:3], v29, off offset:2560
	s_mov_b64 s[2:3], 0
.LBB136_301:
	s_andn2_b64 vcc, exec, s[2:3]
	s_cbranch_vccnz .LBB136_381
; %bb.302:
	ds_write2_b64 v1, v[6:7], v[8:9] offset1:1
	ds_write2_b64 v1, v[10:11], v[12:13] offset0:2 offset1:3
	ds_write2_b64 v1, v[14:15], v[16:17] offset0:4 offset1:5
	ds_write_b64 v1, v[18:19] offset:48
	s_waitcnt lgkmcnt(0)
	s_barrier
	ds_read2st64_b32 v[4:5], v32 offset1:2
	ds_read2st64_b32 v[6:7], v32 offset0:4 offset1:6
	ds_read2st64_b32 v[8:9], v32 offset0:8 offset1:10
	;; [unrolled: 1-line block ×6, first 2 shown]
	v_mov_b32_e32 v17, s1
	v_add_co_u32_e32 v16, vcc, s0, v32
	v_addc_co_u32_e32 v17, vcc, 0, v17, vcc
	v_mov_b32_e32 v1, 0
	v_cmp_gt_u32_e32 vcc, s33, v0
	s_and_saveexec_b64 s[0:1], vcc
	s_cbranch_execz .LBB136_304
; %bb.303:
	s_waitcnt lgkmcnt(6)
	global_store_dword v[16:17], v4, off
.LBB136_304:
	s_or_b64 exec, exec, s[0:1]
	v_or_b32_e32 v18, 0x80, v0
	v_cmp_gt_u32_e32 vcc, s33, v18
	s_and_saveexec_b64 s[0:1], vcc
	s_cbranch_execz .LBB136_306
; %bb.305:
	s_waitcnt lgkmcnt(6)
	global_store_dword v[16:17], v5, off offset:512
.LBB136_306:
	s_or_b64 exec, exec, s[0:1]
	v_or_b32_e32 v18, 0x100, v0
	v_cmp_gt_u32_e32 vcc, s33, v18
	s_and_saveexec_b64 s[0:1], vcc
	s_cbranch_execz .LBB136_308
; %bb.307:
	s_waitcnt lgkmcnt(5)
	global_store_dword v[16:17], v6, off offset:1024
.LBB136_308:
	;; [unrolled: 9-line block ×7, first 2 shown]
	s_or_b64 exec, exec, s[0:1]
	v_or_b32_e32 v18, 0x400, v0
	v_cmp_gt_u32_e32 vcc, s33, v18
	s_and_saveexec_b64 s[0:1], vcc
	s_cbranch_execz .LBB136_320
; %bb.319:
	v_add_co_u32_e32 v18, vcc, 0x1000, v16
	v_addc_co_u32_e32 v19, vcc, 0, v17, vcc
	s_waitcnt lgkmcnt(2)
	global_store_dword v[18:19], v12, off
.LBB136_320:
	s_or_b64 exec, exec, s[0:1]
	v_or_b32_e32 v18, 0x480, v0
	v_cmp_gt_u32_e32 vcc, s33, v18
	s_and_saveexec_b64 s[0:1], vcc
	s_cbranch_execz .LBB136_322
; %bb.321:
	v_add_co_u32_e32 v18, vcc, 0x1000, v16
	v_addc_co_u32_e32 v19, vcc, 0, v17, vcc
	s_waitcnt lgkmcnt(2)
	global_store_dword v[18:19], v13, off offset:512
.LBB136_322:
	s_or_b64 exec, exec, s[0:1]
	v_or_b32_e32 v18, 0x500, v0
	v_cmp_gt_u32_e32 vcc, s33, v18
	s_and_saveexec_b64 s[0:1], vcc
	s_cbranch_execz .LBB136_324
; %bb.323:
	v_add_co_u32_e32 v18, vcc, 0x1000, v16
	v_addc_co_u32_e32 v19, vcc, 0, v17, vcc
	s_waitcnt lgkmcnt(1)
	global_store_dword v[18:19], v10, off offset:1024
.LBB136_324:
	;; [unrolled: 11-line block ×5, first 2 shown]
	s_or_b64 exec, exec, s[0:1]
	v_cmp_lt_u64_e64 s[0:1], s[42:43], 2
	s_and_b64 vcc, exec, s[0:1]
	s_cbranch_vccnz .LBB136_381
; %bb.331:
	s_add_u32 s0, s33, -1
	s_addc_u32 s1, s56, -1
	s_add_u32 s2, 0, 0x49240800
	s_addc_u32 s3, 0, 50
	s_add_i32 s3, s3, 0x12492460
	s_mul_hi_u32 s7, s2, -14
	s_sub_i32 s7, s7, s2
	s_mul_i32 s8, s3, -14
	s_mul_i32 s4, s2, -14
	s_add_i32 s7, s7, s8
	s_mul_hi_u32 s5, s3, s4
	s_mul_i32 s6, s3, s4
	s_mul_i32 s9, s2, s7
	s_mul_hi_u32 s4, s2, s4
	s_mul_hi_u32 s8, s2, s7
	s_add_u32 s4, s4, s9
	s_addc_u32 s8, 0, s8
	s_add_u32 s4, s4, s6
	s_mul_hi_u32 s9, s3, s7
	s_addc_u32 s4, s8, s5
	s_addc_u32 s5, s9, 0
	s_mul_i32 s6, s3, s7
	s_add_u32 s4, s4, s6
	v_mov_b32_e32 v16, s4
	s_addc_u32 s5, 0, s5
	v_add_co_u32_e32 v16, vcc, s2, v16
	s_cmp_lg_u64 vcc, 0
	s_addc_u32 s2, s3, s5
	v_readfirstlane_b32 s5, v16
	s_mul_i32 s4, s0, s2
	s_mul_hi_u32 s6, s0, s5
	s_mul_hi_u32 s3, s0, s2
	s_add_u32 s4, s6, s4
	s_addc_u32 s3, 0, s3
	s_mul_hi_u32 s7, s1, s5
	s_mul_i32 s5, s1, s5
	s_add_u32 s4, s4, s5
	s_mul_hi_u32 s6, s1, s2
	s_addc_u32 s3, s3, s7
	s_addc_u32 s4, s6, 0
	s_mul_i32 s2, s1, s2
	s_add_u32 s2, s3, s2
	s_addc_u32 s3, 0, s4
	s_add_u32 s4, s2, 1
	s_addc_u32 s5, s3, 0
	s_add_u32 s6, s2, 2
	s_mul_i32 s8, s3, 14
	s_mul_hi_u32 s9, s2, 14
	s_addc_u32 s7, s3, 0
	s_add_i32 s9, s9, s8
	s_mul_i32 s8, s2, 14
	v_mov_b32_e32 v16, s8
	v_sub_co_u32_e32 v16, vcc, s0, v16
	s_cmp_lg_u64 vcc, 0
	s_subb_u32 s8, s1, s9
	v_subrev_co_u32_e32 v17, vcc, 14, v16
	s_cmp_lg_u64 vcc, 0
	s_subb_u32 s9, s8, 0
	v_readfirstlane_b32 s10, v17
	s_cmp_gt_u32 s10, 13
	s_cselect_b32 s10, -1, 0
	s_cmp_eq_u32 s9, 0
	s_cselect_b32 s9, s10, -1
	s_cmp_lg_u32 s9, 0
	s_cselect_b32 s4, s6, s4
	v_readfirstlane_b32 s6, v16
	s_cselect_b32 s5, s7, s5
	s_cmp_gt_u32 s6, 13
	s_cselect_b32 s6, -1, 0
	s_cmp_eq_u32 s8, 0
	s_cselect_b32 s6, s6, -1
	s_cmp_lg_u32 s6, 0
	s_cselect_b32 s3, s5, s3
	s_cselect_b32 s2, s4, s2
	v_cmp_eq_u64_e32 vcc, s[2:3], v[0:1]
	s_and_saveexec_b64 s[2:3], vcc
	s_cbranch_execz .LBB136_381
; %bb.332:
	v_mul_hi_u32_u24_e32 v1, 14, v0
	v_mov_b32_e32 v16, s1
	v_sub_co_u32_e32 v0, vcc, s0, v33
	v_subb_co_u32_e32 v1, vcc, v16, v1, vcc
	v_cmp_lt_i64_e32 vcc, 6, v[0:1]
	s_and_saveexec_b64 s[0:1], vcc
	s_xor_b64 s[0:1], exec, s[0:1]
	s_cbranch_execz .LBB136_358
; %bb.333:
	v_cmp_lt_i64_e32 vcc, 9, v[0:1]
	s_and_saveexec_b64 s[2:3], vcc
	s_xor_b64 s[2:3], exec, s[2:3]
	s_cbranch_execz .LBB136_347
; %bb.334:
	;; [unrolled: 5-line block ×4, first 2 shown]
	v_mov_b32_e32 v0, 0
	s_waitcnt lgkmcnt(0)
	global_store_dword v0, v15, s[38:39]
                                        ; implicit-def: $vgpr14_vgpr15
.LBB136_337:
	s_andn2_saveexec_b64 s[6:7], s[6:7]
	s_cbranch_execz .LBB136_339
; %bb.338:
	v_mov_b32_e32 v0, 0
	s_waitcnt lgkmcnt(0)
	global_store_dword v0, v14, s[38:39]
.LBB136_339:
	s_or_b64 exec, exec, s[6:7]
                                        ; implicit-def: $vgpr10_vgpr11
                                        ; implicit-def: $vgpr0_vgpr1
.LBB136_340:
	s_andn2_saveexec_b64 s[4:5], s[4:5]
	s_cbranch_execz .LBB136_346
; %bb.341:
	v_cmp_lt_i64_e32 vcc, 10, v[0:1]
	s_and_saveexec_b64 s[6:7], vcc
	s_xor_b64 s[6:7], exec, s[6:7]
	s_cbranch_execz .LBB136_343
; %bb.342:
	v_mov_b32_e32 v0, 0
	s_waitcnt lgkmcnt(1)
	global_store_dword v0, v11, s[38:39]
                                        ; implicit-def: $vgpr10_vgpr11
.LBB136_343:
	s_andn2_saveexec_b64 s[6:7], s[6:7]
	s_cbranch_execz .LBB136_345
; %bb.344:
	v_mov_b32_e32 v0, 0
	s_waitcnt lgkmcnt(1)
	global_store_dword v0, v10, s[38:39]
.LBB136_345:
	s_or_b64 exec, exec, s[6:7]
.LBB136_346:
	s_or_b64 exec, exec, s[4:5]
                                        ; implicit-def: $vgpr2_vgpr3
                                        ; implicit-def: $vgpr0_vgpr1
                                        ; implicit-def: $vgpr12_vgpr13
.LBB136_347:
	s_andn2_saveexec_b64 s[2:3], s[2:3]
	s_cbranch_execz .LBB136_357
; %bb.348:
	v_cmp_lt_i64_e32 vcc, 7, v[0:1]
	s_and_saveexec_b64 s[4:5], vcc
	s_xor_b64 s[4:5], exec, s[4:5]
	s_cbranch_execz .LBB136_354
; %bb.349:
	v_cmp_lt_i64_e32 vcc, 8, v[0:1]
	s_and_saveexec_b64 s[6:7], vcc
	s_xor_b64 s[6:7], exec, s[6:7]
	s_cbranch_execz .LBB136_351
; %bb.350:
	v_mov_b32_e32 v0, 0
	s_waitcnt lgkmcnt(2)
	global_store_dword v0, v13, s[38:39]
                                        ; implicit-def: $vgpr12_vgpr13
.LBB136_351:
	s_andn2_saveexec_b64 s[6:7], s[6:7]
	s_cbranch_execz .LBB136_353
; %bb.352:
	v_mov_b32_e32 v0, 0
	s_waitcnt lgkmcnt(2)
	global_store_dword v0, v12, s[38:39]
.LBB136_353:
	s_or_b64 exec, exec, s[6:7]
                                        ; implicit-def: $vgpr2_vgpr3
.LBB136_354:
	s_andn2_saveexec_b64 s[4:5], s[4:5]
	s_cbranch_execz .LBB136_356
; %bb.355:
	v_mov_b32_e32 v0, 0
	s_waitcnt lgkmcnt(3)
	global_store_dword v0, v3, s[38:39]
.LBB136_356:
	s_or_b64 exec, exec, s[4:5]
.LBB136_357:
	s_or_b64 exec, exec, s[2:3]
                                        ; implicit-def: $vgpr0_vgpr1
                                        ; implicit-def: $vgpr8_vgpr9
                                        ; implicit-def: $vgpr4_vgpr5
                                        ; implicit-def: $vgpr6_vgpr7
                                        ; implicit-def: $vgpr2_vgpr3
.LBB136_358:
	s_andn2_saveexec_b64 s[0:1], s[0:1]
	s_cbranch_execz .LBB136_381
; %bb.359:
	v_cmp_lt_i64_e32 vcc, 3, v[0:1]
	s_and_saveexec_b64 s[0:1], vcc
	s_xor_b64 s[0:1], exec, s[0:1]
	s_cbranch_execz .LBB136_369
; %bb.360:
	v_cmp_lt_i64_e32 vcc, 4, v[0:1]
	s_and_saveexec_b64 s[2:3], vcc
	s_xor_b64 s[2:3], exec, s[2:3]
	;; [unrolled: 5-line block ×3, first 2 shown]
	s_cbranch_execz .LBB136_363
; %bb.362:
	v_mov_b32_e32 v0, 0
	s_waitcnt lgkmcnt(3)
	global_store_dword v0, v2, s[38:39]
                                        ; implicit-def: $vgpr8_vgpr9
.LBB136_363:
	s_andn2_saveexec_b64 s[4:5], s[4:5]
	s_cbranch_execz .LBB136_365
; %bb.364:
	v_mov_b32_e32 v0, 0
	s_waitcnt lgkmcnt(4)
	global_store_dword v0, v9, s[38:39]
.LBB136_365:
	s_or_b64 exec, exec, s[4:5]
                                        ; implicit-def: $vgpr8_vgpr9
.LBB136_366:
	s_andn2_saveexec_b64 s[2:3], s[2:3]
	s_cbranch_execz .LBB136_368
; %bb.367:
	v_mov_b32_e32 v0, 0
	s_waitcnt lgkmcnt(4)
	global_store_dword v0, v8, s[38:39]
.LBB136_368:
	s_or_b64 exec, exec, s[2:3]
                                        ; implicit-def: $vgpr0_vgpr1
                                        ; implicit-def: $vgpr4_vgpr5
                                        ; implicit-def: $vgpr6_vgpr7
.LBB136_369:
	s_andn2_saveexec_b64 s[0:1], s[0:1]
	s_cbranch_execz .LBB136_381
; %bb.370:
	v_cmp_lt_i64_e32 vcc, 1, v[0:1]
	s_and_saveexec_b64 s[0:1], vcc
	s_xor_b64 s[0:1], exec, s[0:1]
	s_cbranch_execz .LBB136_376
; %bb.371:
	v_cmp_lt_i64_e32 vcc, 2, v[0:1]
	s_and_saveexec_b64 s[2:3], vcc
	s_xor_b64 s[2:3], exec, s[2:3]
	s_cbranch_execz .LBB136_373
; %bb.372:
	v_mov_b32_e32 v0, 0
	s_waitcnt lgkmcnt(5)
	global_store_dword v0, v7, s[38:39]
                                        ; implicit-def: $vgpr6_vgpr7
.LBB136_373:
	s_andn2_saveexec_b64 s[2:3], s[2:3]
	s_cbranch_execz .LBB136_375
; %bb.374:
	v_mov_b32_e32 v0, 0
	s_waitcnt lgkmcnt(5)
	global_store_dword v0, v6, s[38:39]
.LBB136_375:
	s_or_b64 exec, exec, s[2:3]
                                        ; implicit-def: $vgpr4_vgpr5
                                        ; implicit-def: $vgpr0_vgpr1
.LBB136_376:
	s_andn2_saveexec_b64 s[0:1], s[0:1]
	s_cbranch_execz .LBB136_381
; %bb.377:
	v_cmp_ne_u64_e32 vcc, 1, v[0:1]
	s_and_saveexec_b64 s[0:1], vcc
	s_xor_b64 s[0:1], exec, s[0:1]
	s_cbranch_execz .LBB136_379
; %bb.378:
	v_mov_b32_e32 v0, 0
	s_waitcnt lgkmcnt(6)
	global_store_dword v0, v4, s[38:39]
                                        ; implicit-def: $vgpr4_vgpr5
.LBB136_379:
	s_andn2_saveexec_b64 s[0:1], s[0:1]
	s_cbranch_execz .LBB136_381
; %bb.380:
	v_mov_b32_e32 v0, 0
	s_waitcnt lgkmcnt(6)
	global_store_dword v0, v5, s[38:39]
.LBB136_381:
	s_endpgm
	.section	.rodata,"a",@progbits
	.p2align	6, 0x0
	.amdhsa_kernel _ZN7rocprim17ROCPRIM_400000_NS6detail17trampoline_kernelINS0_14default_configENS1_20scan_config_selectorIfEEZZNS1_9scan_implILNS1_25lookback_scan_determinismE0ELb0ELb0ES3_PKfPffZZZN2at6native31launch_logcumsumexp_cuda_kernelERKNSB_10TensorBaseESF_lENKUlvE_clEvENKUlvE0_clEvEUlffE_fEEDaPvRmT3_T4_T5_mT6_P12ihipStream_tbENKUlT_T0_E_clISt17integral_constantIbLb1EESV_IbLb0EEEEDaSR_SS_EUlSR_E_NS1_11comp_targetILNS1_3genE4ELNS1_11target_archE910ELNS1_3gpuE8ELNS1_3repE0EEENS1_30default_config_static_selectorELNS0_4arch9wavefront6targetE1EEEvT1_
		.amdhsa_group_segment_fixed_size 7168
		.amdhsa_private_segment_fixed_size 0
		.amdhsa_kernarg_size 96
		.amdhsa_user_sgpr_count 6
		.amdhsa_user_sgpr_private_segment_buffer 1
		.amdhsa_user_sgpr_dispatch_ptr 0
		.amdhsa_user_sgpr_queue_ptr 0
		.amdhsa_user_sgpr_kernarg_segment_ptr 1
		.amdhsa_user_sgpr_dispatch_id 0
		.amdhsa_user_sgpr_flat_scratch_init 0
		.amdhsa_user_sgpr_kernarg_preload_length 0
		.amdhsa_user_sgpr_kernarg_preload_offset 0
		.amdhsa_user_sgpr_private_segment_size 0
		.amdhsa_uses_dynamic_stack 0
		.amdhsa_system_sgpr_private_segment_wavefront_offset 0
		.amdhsa_system_sgpr_workgroup_id_x 1
		.amdhsa_system_sgpr_workgroup_id_y 0
		.amdhsa_system_sgpr_workgroup_id_z 0
		.amdhsa_system_sgpr_workgroup_info 0
		.amdhsa_system_vgpr_workitem_id 0
		.amdhsa_next_free_vgpr 76
		.amdhsa_next_free_sgpr 68
		.amdhsa_accum_offset 76
		.amdhsa_reserve_vcc 1
		.amdhsa_reserve_flat_scratch 0
		.amdhsa_float_round_mode_32 0
		.amdhsa_float_round_mode_16_64 0
		.amdhsa_float_denorm_mode_32 3
		.amdhsa_float_denorm_mode_16_64 3
		.amdhsa_dx10_clamp 1
		.amdhsa_ieee_mode 1
		.amdhsa_fp16_overflow 0
		.amdhsa_tg_split 0
		.amdhsa_exception_fp_ieee_invalid_op 0
		.amdhsa_exception_fp_denorm_src 0
		.amdhsa_exception_fp_ieee_div_zero 0
		.amdhsa_exception_fp_ieee_overflow 0
		.amdhsa_exception_fp_ieee_underflow 0
		.amdhsa_exception_fp_ieee_inexact 0
		.amdhsa_exception_int_div_zero 0
	.end_amdhsa_kernel
	.section	.text._ZN7rocprim17ROCPRIM_400000_NS6detail17trampoline_kernelINS0_14default_configENS1_20scan_config_selectorIfEEZZNS1_9scan_implILNS1_25lookback_scan_determinismE0ELb0ELb0ES3_PKfPffZZZN2at6native31launch_logcumsumexp_cuda_kernelERKNSB_10TensorBaseESF_lENKUlvE_clEvENKUlvE0_clEvEUlffE_fEEDaPvRmT3_T4_T5_mT6_P12ihipStream_tbENKUlT_T0_E_clISt17integral_constantIbLb1EESV_IbLb0EEEEDaSR_SS_EUlSR_E_NS1_11comp_targetILNS1_3genE4ELNS1_11target_archE910ELNS1_3gpuE8ELNS1_3repE0EEENS1_30default_config_static_selectorELNS0_4arch9wavefront6targetE1EEEvT1_,"axG",@progbits,_ZN7rocprim17ROCPRIM_400000_NS6detail17trampoline_kernelINS0_14default_configENS1_20scan_config_selectorIfEEZZNS1_9scan_implILNS1_25lookback_scan_determinismE0ELb0ELb0ES3_PKfPffZZZN2at6native31launch_logcumsumexp_cuda_kernelERKNSB_10TensorBaseESF_lENKUlvE_clEvENKUlvE0_clEvEUlffE_fEEDaPvRmT3_T4_T5_mT6_P12ihipStream_tbENKUlT_T0_E_clISt17integral_constantIbLb1EESV_IbLb0EEEEDaSR_SS_EUlSR_E_NS1_11comp_targetILNS1_3genE4ELNS1_11target_archE910ELNS1_3gpuE8ELNS1_3repE0EEENS1_30default_config_static_selectorELNS0_4arch9wavefront6targetE1EEEvT1_,comdat
.Lfunc_end136:
	.size	_ZN7rocprim17ROCPRIM_400000_NS6detail17trampoline_kernelINS0_14default_configENS1_20scan_config_selectorIfEEZZNS1_9scan_implILNS1_25lookback_scan_determinismE0ELb0ELb0ES3_PKfPffZZZN2at6native31launch_logcumsumexp_cuda_kernelERKNSB_10TensorBaseESF_lENKUlvE_clEvENKUlvE0_clEvEUlffE_fEEDaPvRmT3_T4_T5_mT6_P12ihipStream_tbENKUlT_T0_E_clISt17integral_constantIbLb1EESV_IbLb0EEEEDaSR_SS_EUlSR_E_NS1_11comp_targetILNS1_3genE4ELNS1_11target_archE910ELNS1_3gpuE8ELNS1_3repE0EEENS1_30default_config_static_selectorELNS0_4arch9wavefront6targetE1EEEvT1_, .Lfunc_end136-_ZN7rocprim17ROCPRIM_400000_NS6detail17trampoline_kernelINS0_14default_configENS1_20scan_config_selectorIfEEZZNS1_9scan_implILNS1_25lookback_scan_determinismE0ELb0ELb0ES3_PKfPffZZZN2at6native31launch_logcumsumexp_cuda_kernelERKNSB_10TensorBaseESF_lENKUlvE_clEvENKUlvE0_clEvEUlffE_fEEDaPvRmT3_T4_T5_mT6_P12ihipStream_tbENKUlT_T0_E_clISt17integral_constantIbLb1EESV_IbLb0EEEEDaSR_SS_EUlSR_E_NS1_11comp_targetILNS1_3genE4ELNS1_11target_archE910ELNS1_3gpuE8ELNS1_3repE0EEENS1_30default_config_static_selectorELNS0_4arch9wavefront6targetE1EEEvT1_
                                        ; -- End function
	.section	.AMDGPU.csdata,"",@progbits
; Kernel info:
; codeLenInByte = 78324
; NumSgprs: 72
; NumVgprs: 76
; NumAgprs: 0
; TotalNumVgprs: 76
; ScratchSize: 0
; MemoryBound: 0
; FloatMode: 240
; IeeeMode: 1
; LDSByteSize: 7168 bytes/workgroup (compile time only)
; SGPRBlocks: 8
; VGPRBlocks: 9
; NumSGPRsForWavesPerEU: 72
; NumVGPRsForWavesPerEU: 76
; AccumOffset: 76
; Occupancy: 5
; WaveLimiterHint : 1
; COMPUTE_PGM_RSRC2:SCRATCH_EN: 0
; COMPUTE_PGM_RSRC2:USER_SGPR: 6
; COMPUTE_PGM_RSRC2:TRAP_HANDLER: 0
; COMPUTE_PGM_RSRC2:TGID_X_EN: 1
; COMPUTE_PGM_RSRC2:TGID_Y_EN: 0
; COMPUTE_PGM_RSRC2:TGID_Z_EN: 0
; COMPUTE_PGM_RSRC2:TIDIG_COMP_CNT: 0
; COMPUTE_PGM_RSRC3_GFX90A:ACCUM_OFFSET: 18
; COMPUTE_PGM_RSRC3_GFX90A:TG_SPLIT: 0
	.section	.text._ZN7rocprim17ROCPRIM_400000_NS6detail17trampoline_kernelINS0_14default_configENS1_20scan_config_selectorIfEEZZNS1_9scan_implILNS1_25lookback_scan_determinismE0ELb0ELb0ES3_PKfPffZZZN2at6native31launch_logcumsumexp_cuda_kernelERKNSB_10TensorBaseESF_lENKUlvE_clEvENKUlvE0_clEvEUlffE_fEEDaPvRmT3_T4_T5_mT6_P12ihipStream_tbENKUlT_T0_E_clISt17integral_constantIbLb1EESV_IbLb0EEEEDaSR_SS_EUlSR_E_NS1_11comp_targetILNS1_3genE3ELNS1_11target_archE908ELNS1_3gpuE7ELNS1_3repE0EEENS1_30default_config_static_selectorELNS0_4arch9wavefront6targetE1EEEvT1_,"axG",@progbits,_ZN7rocprim17ROCPRIM_400000_NS6detail17trampoline_kernelINS0_14default_configENS1_20scan_config_selectorIfEEZZNS1_9scan_implILNS1_25lookback_scan_determinismE0ELb0ELb0ES3_PKfPffZZZN2at6native31launch_logcumsumexp_cuda_kernelERKNSB_10TensorBaseESF_lENKUlvE_clEvENKUlvE0_clEvEUlffE_fEEDaPvRmT3_T4_T5_mT6_P12ihipStream_tbENKUlT_T0_E_clISt17integral_constantIbLb1EESV_IbLb0EEEEDaSR_SS_EUlSR_E_NS1_11comp_targetILNS1_3genE3ELNS1_11target_archE908ELNS1_3gpuE7ELNS1_3repE0EEENS1_30default_config_static_selectorELNS0_4arch9wavefront6targetE1EEEvT1_,comdat
	.globl	_ZN7rocprim17ROCPRIM_400000_NS6detail17trampoline_kernelINS0_14default_configENS1_20scan_config_selectorIfEEZZNS1_9scan_implILNS1_25lookback_scan_determinismE0ELb0ELb0ES3_PKfPffZZZN2at6native31launch_logcumsumexp_cuda_kernelERKNSB_10TensorBaseESF_lENKUlvE_clEvENKUlvE0_clEvEUlffE_fEEDaPvRmT3_T4_T5_mT6_P12ihipStream_tbENKUlT_T0_E_clISt17integral_constantIbLb1EESV_IbLb0EEEEDaSR_SS_EUlSR_E_NS1_11comp_targetILNS1_3genE3ELNS1_11target_archE908ELNS1_3gpuE7ELNS1_3repE0EEENS1_30default_config_static_selectorELNS0_4arch9wavefront6targetE1EEEvT1_ ; -- Begin function _ZN7rocprim17ROCPRIM_400000_NS6detail17trampoline_kernelINS0_14default_configENS1_20scan_config_selectorIfEEZZNS1_9scan_implILNS1_25lookback_scan_determinismE0ELb0ELb0ES3_PKfPffZZZN2at6native31launch_logcumsumexp_cuda_kernelERKNSB_10TensorBaseESF_lENKUlvE_clEvENKUlvE0_clEvEUlffE_fEEDaPvRmT3_T4_T5_mT6_P12ihipStream_tbENKUlT_T0_E_clISt17integral_constantIbLb1EESV_IbLb0EEEEDaSR_SS_EUlSR_E_NS1_11comp_targetILNS1_3genE3ELNS1_11target_archE908ELNS1_3gpuE7ELNS1_3repE0EEENS1_30default_config_static_selectorELNS0_4arch9wavefront6targetE1EEEvT1_
	.p2align	8
	.type	_ZN7rocprim17ROCPRIM_400000_NS6detail17trampoline_kernelINS0_14default_configENS1_20scan_config_selectorIfEEZZNS1_9scan_implILNS1_25lookback_scan_determinismE0ELb0ELb0ES3_PKfPffZZZN2at6native31launch_logcumsumexp_cuda_kernelERKNSB_10TensorBaseESF_lENKUlvE_clEvENKUlvE0_clEvEUlffE_fEEDaPvRmT3_T4_T5_mT6_P12ihipStream_tbENKUlT_T0_E_clISt17integral_constantIbLb1EESV_IbLb0EEEEDaSR_SS_EUlSR_E_NS1_11comp_targetILNS1_3genE3ELNS1_11target_archE908ELNS1_3gpuE7ELNS1_3repE0EEENS1_30default_config_static_selectorELNS0_4arch9wavefront6targetE1EEEvT1_,@function
_ZN7rocprim17ROCPRIM_400000_NS6detail17trampoline_kernelINS0_14default_configENS1_20scan_config_selectorIfEEZZNS1_9scan_implILNS1_25lookback_scan_determinismE0ELb0ELb0ES3_PKfPffZZZN2at6native31launch_logcumsumexp_cuda_kernelERKNSB_10TensorBaseESF_lENKUlvE_clEvENKUlvE0_clEvEUlffE_fEEDaPvRmT3_T4_T5_mT6_P12ihipStream_tbENKUlT_T0_E_clISt17integral_constantIbLb1EESV_IbLb0EEEEDaSR_SS_EUlSR_E_NS1_11comp_targetILNS1_3genE3ELNS1_11target_archE908ELNS1_3gpuE7ELNS1_3repE0EEENS1_30default_config_static_selectorELNS0_4arch9wavefront6targetE1EEEvT1_: ; @_ZN7rocprim17ROCPRIM_400000_NS6detail17trampoline_kernelINS0_14default_configENS1_20scan_config_selectorIfEEZZNS1_9scan_implILNS1_25lookback_scan_determinismE0ELb0ELb0ES3_PKfPffZZZN2at6native31launch_logcumsumexp_cuda_kernelERKNSB_10TensorBaseESF_lENKUlvE_clEvENKUlvE0_clEvEUlffE_fEEDaPvRmT3_T4_T5_mT6_P12ihipStream_tbENKUlT_T0_E_clISt17integral_constantIbLb1EESV_IbLb0EEEEDaSR_SS_EUlSR_E_NS1_11comp_targetILNS1_3genE3ELNS1_11target_archE908ELNS1_3gpuE7ELNS1_3repE0EEENS1_30default_config_static_selectorELNS0_4arch9wavefront6targetE1EEEvT1_
; %bb.0:
	.section	.rodata,"a",@progbits
	.p2align	6, 0x0
	.amdhsa_kernel _ZN7rocprim17ROCPRIM_400000_NS6detail17trampoline_kernelINS0_14default_configENS1_20scan_config_selectorIfEEZZNS1_9scan_implILNS1_25lookback_scan_determinismE0ELb0ELb0ES3_PKfPffZZZN2at6native31launch_logcumsumexp_cuda_kernelERKNSB_10TensorBaseESF_lENKUlvE_clEvENKUlvE0_clEvEUlffE_fEEDaPvRmT3_T4_T5_mT6_P12ihipStream_tbENKUlT_T0_E_clISt17integral_constantIbLb1EESV_IbLb0EEEEDaSR_SS_EUlSR_E_NS1_11comp_targetILNS1_3genE3ELNS1_11target_archE908ELNS1_3gpuE7ELNS1_3repE0EEENS1_30default_config_static_selectorELNS0_4arch9wavefront6targetE1EEEvT1_
		.amdhsa_group_segment_fixed_size 0
		.amdhsa_private_segment_fixed_size 0
		.amdhsa_kernarg_size 96
		.amdhsa_user_sgpr_count 6
		.amdhsa_user_sgpr_private_segment_buffer 1
		.amdhsa_user_sgpr_dispatch_ptr 0
		.amdhsa_user_sgpr_queue_ptr 0
		.amdhsa_user_sgpr_kernarg_segment_ptr 1
		.amdhsa_user_sgpr_dispatch_id 0
		.amdhsa_user_sgpr_flat_scratch_init 0
		.amdhsa_user_sgpr_kernarg_preload_length 0
		.amdhsa_user_sgpr_kernarg_preload_offset 0
		.amdhsa_user_sgpr_private_segment_size 0
		.amdhsa_uses_dynamic_stack 0
		.amdhsa_system_sgpr_private_segment_wavefront_offset 0
		.amdhsa_system_sgpr_workgroup_id_x 1
		.amdhsa_system_sgpr_workgroup_id_y 0
		.amdhsa_system_sgpr_workgroup_id_z 0
		.amdhsa_system_sgpr_workgroup_info 0
		.amdhsa_system_vgpr_workitem_id 0
		.amdhsa_next_free_vgpr 1
		.amdhsa_next_free_sgpr 0
		.amdhsa_accum_offset 4
		.amdhsa_reserve_vcc 0
		.amdhsa_reserve_flat_scratch 0
		.amdhsa_float_round_mode_32 0
		.amdhsa_float_round_mode_16_64 0
		.amdhsa_float_denorm_mode_32 3
		.amdhsa_float_denorm_mode_16_64 3
		.amdhsa_dx10_clamp 1
		.amdhsa_ieee_mode 1
		.amdhsa_fp16_overflow 0
		.amdhsa_tg_split 0
		.amdhsa_exception_fp_ieee_invalid_op 0
		.amdhsa_exception_fp_denorm_src 0
		.amdhsa_exception_fp_ieee_div_zero 0
		.amdhsa_exception_fp_ieee_overflow 0
		.amdhsa_exception_fp_ieee_underflow 0
		.amdhsa_exception_fp_ieee_inexact 0
		.amdhsa_exception_int_div_zero 0
	.end_amdhsa_kernel
	.section	.text._ZN7rocprim17ROCPRIM_400000_NS6detail17trampoline_kernelINS0_14default_configENS1_20scan_config_selectorIfEEZZNS1_9scan_implILNS1_25lookback_scan_determinismE0ELb0ELb0ES3_PKfPffZZZN2at6native31launch_logcumsumexp_cuda_kernelERKNSB_10TensorBaseESF_lENKUlvE_clEvENKUlvE0_clEvEUlffE_fEEDaPvRmT3_T4_T5_mT6_P12ihipStream_tbENKUlT_T0_E_clISt17integral_constantIbLb1EESV_IbLb0EEEEDaSR_SS_EUlSR_E_NS1_11comp_targetILNS1_3genE3ELNS1_11target_archE908ELNS1_3gpuE7ELNS1_3repE0EEENS1_30default_config_static_selectorELNS0_4arch9wavefront6targetE1EEEvT1_,"axG",@progbits,_ZN7rocprim17ROCPRIM_400000_NS6detail17trampoline_kernelINS0_14default_configENS1_20scan_config_selectorIfEEZZNS1_9scan_implILNS1_25lookback_scan_determinismE0ELb0ELb0ES3_PKfPffZZZN2at6native31launch_logcumsumexp_cuda_kernelERKNSB_10TensorBaseESF_lENKUlvE_clEvENKUlvE0_clEvEUlffE_fEEDaPvRmT3_T4_T5_mT6_P12ihipStream_tbENKUlT_T0_E_clISt17integral_constantIbLb1EESV_IbLb0EEEEDaSR_SS_EUlSR_E_NS1_11comp_targetILNS1_3genE3ELNS1_11target_archE908ELNS1_3gpuE7ELNS1_3repE0EEENS1_30default_config_static_selectorELNS0_4arch9wavefront6targetE1EEEvT1_,comdat
.Lfunc_end137:
	.size	_ZN7rocprim17ROCPRIM_400000_NS6detail17trampoline_kernelINS0_14default_configENS1_20scan_config_selectorIfEEZZNS1_9scan_implILNS1_25lookback_scan_determinismE0ELb0ELb0ES3_PKfPffZZZN2at6native31launch_logcumsumexp_cuda_kernelERKNSB_10TensorBaseESF_lENKUlvE_clEvENKUlvE0_clEvEUlffE_fEEDaPvRmT3_T4_T5_mT6_P12ihipStream_tbENKUlT_T0_E_clISt17integral_constantIbLb1EESV_IbLb0EEEEDaSR_SS_EUlSR_E_NS1_11comp_targetILNS1_3genE3ELNS1_11target_archE908ELNS1_3gpuE7ELNS1_3repE0EEENS1_30default_config_static_selectorELNS0_4arch9wavefront6targetE1EEEvT1_, .Lfunc_end137-_ZN7rocprim17ROCPRIM_400000_NS6detail17trampoline_kernelINS0_14default_configENS1_20scan_config_selectorIfEEZZNS1_9scan_implILNS1_25lookback_scan_determinismE0ELb0ELb0ES3_PKfPffZZZN2at6native31launch_logcumsumexp_cuda_kernelERKNSB_10TensorBaseESF_lENKUlvE_clEvENKUlvE0_clEvEUlffE_fEEDaPvRmT3_T4_T5_mT6_P12ihipStream_tbENKUlT_T0_E_clISt17integral_constantIbLb1EESV_IbLb0EEEEDaSR_SS_EUlSR_E_NS1_11comp_targetILNS1_3genE3ELNS1_11target_archE908ELNS1_3gpuE7ELNS1_3repE0EEENS1_30default_config_static_selectorELNS0_4arch9wavefront6targetE1EEEvT1_
                                        ; -- End function
	.section	.AMDGPU.csdata,"",@progbits
; Kernel info:
; codeLenInByte = 0
; NumSgprs: 4
; NumVgprs: 0
; NumAgprs: 0
; TotalNumVgprs: 0
; ScratchSize: 0
; MemoryBound: 0
; FloatMode: 240
; IeeeMode: 1
; LDSByteSize: 0 bytes/workgroup (compile time only)
; SGPRBlocks: 0
; VGPRBlocks: 0
; NumSGPRsForWavesPerEU: 4
; NumVGPRsForWavesPerEU: 1
; AccumOffset: 4
; Occupancy: 8
; WaveLimiterHint : 0
; COMPUTE_PGM_RSRC2:SCRATCH_EN: 0
; COMPUTE_PGM_RSRC2:USER_SGPR: 6
; COMPUTE_PGM_RSRC2:TRAP_HANDLER: 0
; COMPUTE_PGM_RSRC2:TGID_X_EN: 1
; COMPUTE_PGM_RSRC2:TGID_Y_EN: 0
; COMPUTE_PGM_RSRC2:TGID_Z_EN: 0
; COMPUTE_PGM_RSRC2:TIDIG_COMP_CNT: 0
; COMPUTE_PGM_RSRC3_GFX90A:ACCUM_OFFSET: 0
; COMPUTE_PGM_RSRC3_GFX90A:TG_SPLIT: 0
	.section	.text._ZN7rocprim17ROCPRIM_400000_NS6detail17trampoline_kernelINS0_14default_configENS1_20scan_config_selectorIfEEZZNS1_9scan_implILNS1_25lookback_scan_determinismE0ELb0ELb0ES3_PKfPffZZZN2at6native31launch_logcumsumexp_cuda_kernelERKNSB_10TensorBaseESF_lENKUlvE_clEvENKUlvE0_clEvEUlffE_fEEDaPvRmT3_T4_T5_mT6_P12ihipStream_tbENKUlT_T0_E_clISt17integral_constantIbLb1EESV_IbLb0EEEEDaSR_SS_EUlSR_E_NS1_11comp_targetILNS1_3genE2ELNS1_11target_archE906ELNS1_3gpuE6ELNS1_3repE0EEENS1_30default_config_static_selectorELNS0_4arch9wavefront6targetE1EEEvT1_,"axG",@progbits,_ZN7rocprim17ROCPRIM_400000_NS6detail17trampoline_kernelINS0_14default_configENS1_20scan_config_selectorIfEEZZNS1_9scan_implILNS1_25lookback_scan_determinismE0ELb0ELb0ES3_PKfPffZZZN2at6native31launch_logcumsumexp_cuda_kernelERKNSB_10TensorBaseESF_lENKUlvE_clEvENKUlvE0_clEvEUlffE_fEEDaPvRmT3_T4_T5_mT6_P12ihipStream_tbENKUlT_T0_E_clISt17integral_constantIbLb1EESV_IbLb0EEEEDaSR_SS_EUlSR_E_NS1_11comp_targetILNS1_3genE2ELNS1_11target_archE906ELNS1_3gpuE6ELNS1_3repE0EEENS1_30default_config_static_selectorELNS0_4arch9wavefront6targetE1EEEvT1_,comdat
	.globl	_ZN7rocprim17ROCPRIM_400000_NS6detail17trampoline_kernelINS0_14default_configENS1_20scan_config_selectorIfEEZZNS1_9scan_implILNS1_25lookback_scan_determinismE0ELb0ELb0ES3_PKfPffZZZN2at6native31launch_logcumsumexp_cuda_kernelERKNSB_10TensorBaseESF_lENKUlvE_clEvENKUlvE0_clEvEUlffE_fEEDaPvRmT3_T4_T5_mT6_P12ihipStream_tbENKUlT_T0_E_clISt17integral_constantIbLb1EESV_IbLb0EEEEDaSR_SS_EUlSR_E_NS1_11comp_targetILNS1_3genE2ELNS1_11target_archE906ELNS1_3gpuE6ELNS1_3repE0EEENS1_30default_config_static_selectorELNS0_4arch9wavefront6targetE1EEEvT1_ ; -- Begin function _ZN7rocprim17ROCPRIM_400000_NS6detail17trampoline_kernelINS0_14default_configENS1_20scan_config_selectorIfEEZZNS1_9scan_implILNS1_25lookback_scan_determinismE0ELb0ELb0ES3_PKfPffZZZN2at6native31launch_logcumsumexp_cuda_kernelERKNSB_10TensorBaseESF_lENKUlvE_clEvENKUlvE0_clEvEUlffE_fEEDaPvRmT3_T4_T5_mT6_P12ihipStream_tbENKUlT_T0_E_clISt17integral_constantIbLb1EESV_IbLb0EEEEDaSR_SS_EUlSR_E_NS1_11comp_targetILNS1_3genE2ELNS1_11target_archE906ELNS1_3gpuE6ELNS1_3repE0EEENS1_30default_config_static_selectorELNS0_4arch9wavefront6targetE1EEEvT1_
	.p2align	8
	.type	_ZN7rocprim17ROCPRIM_400000_NS6detail17trampoline_kernelINS0_14default_configENS1_20scan_config_selectorIfEEZZNS1_9scan_implILNS1_25lookback_scan_determinismE0ELb0ELb0ES3_PKfPffZZZN2at6native31launch_logcumsumexp_cuda_kernelERKNSB_10TensorBaseESF_lENKUlvE_clEvENKUlvE0_clEvEUlffE_fEEDaPvRmT3_T4_T5_mT6_P12ihipStream_tbENKUlT_T0_E_clISt17integral_constantIbLb1EESV_IbLb0EEEEDaSR_SS_EUlSR_E_NS1_11comp_targetILNS1_3genE2ELNS1_11target_archE906ELNS1_3gpuE6ELNS1_3repE0EEENS1_30default_config_static_selectorELNS0_4arch9wavefront6targetE1EEEvT1_,@function
_ZN7rocprim17ROCPRIM_400000_NS6detail17trampoline_kernelINS0_14default_configENS1_20scan_config_selectorIfEEZZNS1_9scan_implILNS1_25lookback_scan_determinismE0ELb0ELb0ES3_PKfPffZZZN2at6native31launch_logcumsumexp_cuda_kernelERKNSB_10TensorBaseESF_lENKUlvE_clEvENKUlvE0_clEvEUlffE_fEEDaPvRmT3_T4_T5_mT6_P12ihipStream_tbENKUlT_T0_E_clISt17integral_constantIbLb1EESV_IbLb0EEEEDaSR_SS_EUlSR_E_NS1_11comp_targetILNS1_3genE2ELNS1_11target_archE906ELNS1_3gpuE6ELNS1_3repE0EEENS1_30default_config_static_selectorELNS0_4arch9wavefront6targetE1EEEvT1_: ; @_ZN7rocprim17ROCPRIM_400000_NS6detail17trampoline_kernelINS0_14default_configENS1_20scan_config_selectorIfEEZZNS1_9scan_implILNS1_25lookback_scan_determinismE0ELb0ELb0ES3_PKfPffZZZN2at6native31launch_logcumsumexp_cuda_kernelERKNSB_10TensorBaseESF_lENKUlvE_clEvENKUlvE0_clEvEUlffE_fEEDaPvRmT3_T4_T5_mT6_P12ihipStream_tbENKUlT_T0_E_clISt17integral_constantIbLb1EESV_IbLb0EEEEDaSR_SS_EUlSR_E_NS1_11comp_targetILNS1_3genE2ELNS1_11target_archE906ELNS1_3gpuE6ELNS1_3repE0EEENS1_30default_config_static_selectorELNS0_4arch9wavefront6targetE1EEEvT1_
; %bb.0:
	.section	.rodata,"a",@progbits
	.p2align	6, 0x0
	.amdhsa_kernel _ZN7rocprim17ROCPRIM_400000_NS6detail17trampoline_kernelINS0_14default_configENS1_20scan_config_selectorIfEEZZNS1_9scan_implILNS1_25lookback_scan_determinismE0ELb0ELb0ES3_PKfPffZZZN2at6native31launch_logcumsumexp_cuda_kernelERKNSB_10TensorBaseESF_lENKUlvE_clEvENKUlvE0_clEvEUlffE_fEEDaPvRmT3_T4_T5_mT6_P12ihipStream_tbENKUlT_T0_E_clISt17integral_constantIbLb1EESV_IbLb0EEEEDaSR_SS_EUlSR_E_NS1_11comp_targetILNS1_3genE2ELNS1_11target_archE906ELNS1_3gpuE6ELNS1_3repE0EEENS1_30default_config_static_selectorELNS0_4arch9wavefront6targetE1EEEvT1_
		.amdhsa_group_segment_fixed_size 0
		.amdhsa_private_segment_fixed_size 0
		.amdhsa_kernarg_size 96
		.amdhsa_user_sgpr_count 6
		.amdhsa_user_sgpr_private_segment_buffer 1
		.amdhsa_user_sgpr_dispatch_ptr 0
		.amdhsa_user_sgpr_queue_ptr 0
		.amdhsa_user_sgpr_kernarg_segment_ptr 1
		.amdhsa_user_sgpr_dispatch_id 0
		.amdhsa_user_sgpr_flat_scratch_init 0
		.amdhsa_user_sgpr_kernarg_preload_length 0
		.amdhsa_user_sgpr_kernarg_preload_offset 0
		.amdhsa_user_sgpr_private_segment_size 0
		.amdhsa_uses_dynamic_stack 0
		.amdhsa_system_sgpr_private_segment_wavefront_offset 0
		.amdhsa_system_sgpr_workgroup_id_x 1
		.amdhsa_system_sgpr_workgroup_id_y 0
		.amdhsa_system_sgpr_workgroup_id_z 0
		.amdhsa_system_sgpr_workgroup_info 0
		.amdhsa_system_vgpr_workitem_id 0
		.amdhsa_next_free_vgpr 1
		.amdhsa_next_free_sgpr 0
		.amdhsa_accum_offset 4
		.amdhsa_reserve_vcc 0
		.amdhsa_reserve_flat_scratch 0
		.amdhsa_float_round_mode_32 0
		.amdhsa_float_round_mode_16_64 0
		.amdhsa_float_denorm_mode_32 3
		.amdhsa_float_denorm_mode_16_64 3
		.amdhsa_dx10_clamp 1
		.amdhsa_ieee_mode 1
		.amdhsa_fp16_overflow 0
		.amdhsa_tg_split 0
		.amdhsa_exception_fp_ieee_invalid_op 0
		.amdhsa_exception_fp_denorm_src 0
		.amdhsa_exception_fp_ieee_div_zero 0
		.amdhsa_exception_fp_ieee_overflow 0
		.amdhsa_exception_fp_ieee_underflow 0
		.amdhsa_exception_fp_ieee_inexact 0
		.amdhsa_exception_int_div_zero 0
	.end_amdhsa_kernel
	.section	.text._ZN7rocprim17ROCPRIM_400000_NS6detail17trampoline_kernelINS0_14default_configENS1_20scan_config_selectorIfEEZZNS1_9scan_implILNS1_25lookback_scan_determinismE0ELb0ELb0ES3_PKfPffZZZN2at6native31launch_logcumsumexp_cuda_kernelERKNSB_10TensorBaseESF_lENKUlvE_clEvENKUlvE0_clEvEUlffE_fEEDaPvRmT3_T4_T5_mT6_P12ihipStream_tbENKUlT_T0_E_clISt17integral_constantIbLb1EESV_IbLb0EEEEDaSR_SS_EUlSR_E_NS1_11comp_targetILNS1_3genE2ELNS1_11target_archE906ELNS1_3gpuE6ELNS1_3repE0EEENS1_30default_config_static_selectorELNS0_4arch9wavefront6targetE1EEEvT1_,"axG",@progbits,_ZN7rocprim17ROCPRIM_400000_NS6detail17trampoline_kernelINS0_14default_configENS1_20scan_config_selectorIfEEZZNS1_9scan_implILNS1_25lookback_scan_determinismE0ELb0ELb0ES3_PKfPffZZZN2at6native31launch_logcumsumexp_cuda_kernelERKNSB_10TensorBaseESF_lENKUlvE_clEvENKUlvE0_clEvEUlffE_fEEDaPvRmT3_T4_T5_mT6_P12ihipStream_tbENKUlT_T0_E_clISt17integral_constantIbLb1EESV_IbLb0EEEEDaSR_SS_EUlSR_E_NS1_11comp_targetILNS1_3genE2ELNS1_11target_archE906ELNS1_3gpuE6ELNS1_3repE0EEENS1_30default_config_static_selectorELNS0_4arch9wavefront6targetE1EEEvT1_,comdat
.Lfunc_end138:
	.size	_ZN7rocprim17ROCPRIM_400000_NS6detail17trampoline_kernelINS0_14default_configENS1_20scan_config_selectorIfEEZZNS1_9scan_implILNS1_25lookback_scan_determinismE0ELb0ELb0ES3_PKfPffZZZN2at6native31launch_logcumsumexp_cuda_kernelERKNSB_10TensorBaseESF_lENKUlvE_clEvENKUlvE0_clEvEUlffE_fEEDaPvRmT3_T4_T5_mT6_P12ihipStream_tbENKUlT_T0_E_clISt17integral_constantIbLb1EESV_IbLb0EEEEDaSR_SS_EUlSR_E_NS1_11comp_targetILNS1_3genE2ELNS1_11target_archE906ELNS1_3gpuE6ELNS1_3repE0EEENS1_30default_config_static_selectorELNS0_4arch9wavefront6targetE1EEEvT1_, .Lfunc_end138-_ZN7rocprim17ROCPRIM_400000_NS6detail17trampoline_kernelINS0_14default_configENS1_20scan_config_selectorIfEEZZNS1_9scan_implILNS1_25lookback_scan_determinismE0ELb0ELb0ES3_PKfPffZZZN2at6native31launch_logcumsumexp_cuda_kernelERKNSB_10TensorBaseESF_lENKUlvE_clEvENKUlvE0_clEvEUlffE_fEEDaPvRmT3_T4_T5_mT6_P12ihipStream_tbENKUlT_T0_E_clISt17integral_constantIbLb1EESV_IbLb0EEEEDaSR_SS_EUlSR_E_NS1_11comp_targetILNS1_3genE2ELNS1_11target_archE906ELNS1_3gpuE6ELNS1_3repE0EEENS1_30default_config_static_selectorELNS0_4arch9wavefront6targetE1EEEvT1_
                                        ; -- End function
	.section	.AMDGPU.csdata,"",@progbits
; Kernel info:
; codeLenInByte = 0
; NumSgprs: 4
; NumVgprs: 0
; NumAgprs: 0
; TotalNumVgprs: 0
; ScratchSize: 0
; MemoryBound: 0
; FloatMode: 240
; IeeeMode: 1
; LDSByteSize: 0 bytes/workgroup (compile time only)
; SGPRBlocks: 0
; VGPRBlocks: 0
; NumSGPRsForWavesPerEU: 4
; NumVGPRsForWavesPerEU: 1
; AccumOffset: 4
; Occupancy: 8
; WaveLimiterHint : 0
; COMPUTE_PGM_RSRC2:SCRATCH_EN: 0
; COMPUTE_PGM_RSRC2:USER_SGPR: 6
; COMPUTE_PGM_RSRC2:TRAP_HANDLER: 0
; COMPUTE_PGM_RSRC2:TGID_X_EN: 1
; COMPUTE_PGM_RSRC2:TGID_Y_EN: 0
; COMPUTE_PGM_RSRC2:TGID_Z_EN: 0
; COMPUTE_PGM_RSRC2:TIDIG_COMP_CNT: 0
; COMPUTE_PGM_RSRC3_GFX90A:ACCUM_OFFSET: 0
; COMPUTE_PGM_RSRC3_GFX90A:TG_SPLIT: 0
	.section	.text._ZN7rocprim17ROCPRIM_400000_NS6detail17trampoline_kernelINS0_14default_configENS1_20scan_config_selectorIfEEZZNS1_9scan_implILNS1_25lookback_scan_determinismE0ELb0ELb0ES3_PKfPffZZZN2at6native31launch_logcumsumexp_cuda_kernelERKNSB_10TensorBaseESF_lENKUlvE_clEvENKUlvE0_clEvEUlffE_fEEDaPvRmT3_T4_T5_mT6_P12ihipStream_tbENKUlT_T0_E_clISt17integral_constantIbLb1EESV_IbLb0EEEEDaSR_SS_EUlSR_E_NS1_11comp_targetILNS1_3genE10ELNS1_11target_archE1201ELNS1_3gpuE5ELNS1_3repE0EEENS1_30default_config_static_selectorELNS0_4arch9wavefront6targetE1EEEvT1_,"axG",@progbits,_ZN7rocprim17ROCPRIM_400000_NS6detail17trampoline_kernelINS0_14default_configENS1_20scan_config_selectorIfEEZZNS1_9scan_implILNS1_25lookback_scan_determinismE0ELb0ELb0ES3_PKfPffZZZN2at6native31launch_logcumsumexp_cuda_kernelERKNSB_10TensorBaseESF_lENKUlvE_clEvENKUlvE0_clEvEUlffE_fEEDaPvRmT3_T4_T5_mT6_P12ihipStream_tbENKUlT_T0_E_clISt17integral_constantIbLb1EESV_IbLb0EEEEDaSR_SS_EUlSR_E_NS1_11comp_targetILNS1_3genE10ELNS1_11target_archE1201ELNS1_3gpuE5ELNS1_3repE0EEENS1_30default_config_static_selectorELNS0_4arch9wavefront6targetE1EEEvT1_,comdat
	.globl	_ZN7rocprim17ROCPRIM_400000_NS6detail17trampoline_kernelINS0_14default_configENS1_20scan_config_selectorIfEEZZNS1_9scan_implILNS1_25lookback_scan_determinismE0ELb0ELb0ES3_PKfPffZZZN2at6native31launch_logcumsumexp_cuda_kernelERKNSB_10TensorBaseESF_lENKUlvE_clEvENKUlvE0_clEvEUlffE_fEEDaPvRmT3_T4_T5_mT6_P12ihipStream_tbENKUlT_T0_E_clISt17integral_constantIbLb1EESV_IbLb0EEEEDaSR_SS_EUlSR_E_NS1_11comp_targetILNS1_3genE10ELNS1_11target_archE1201ELNS1_3gpuE5ELNS1_3repE0EEENS1_30default_config_static_selectorELNS0_4arch9wavefront6targetE1EEEvT1_ ; -- Begin function _ZN7rocprim17ROCPRIM_400000_NS6detail17trampoline_kernelINS0_14default_configENS1_20scan_config_selectorIfEEZZNS1_9scan_implILNS1_25lookback_scan_determinismE0ELb0ELb0ES3_PKfPffZZZN2at6native31launch_logcumsumexp_cuda_kernelERKNSB_10TensorBaseESF_lENKUlvE_clEvENKUlvE0_clEvEUlffE_fEEDaPvRmT3_T4_T5_mT6_P12ihipStream_tbENKUlT_T0_E_clISt17integral_constantIbLb1EESV_IbLb0EEEEDaSR_SS_EUlSR_E_NS1_11comp_targetILNS1_3genE10ELNS1_11target_archE1201ELNS1_3gpuE5ELNS1_3repE0EEENS1_30default_config_static_selectorELNS0_4arch9wavefront6targetE1EEEvT1_
	.p2align	8
	.type	_ZN7rocprim17ROCPRIM_400000_NS6detail17trampoline_kernelINS0_14default_configENS1_20scan_config_selectorIfEEZZNS1_9scan_implILNS1_25lookback_scan_determinismE0ELb0ELb0ES3_PKfPffZZZN2at6native31launch_logcumsumexp_cuda_kernelERKNSB_10TensorBaseESF_lENKUlvE_clEvENKUlvE0_clEvEUlffE_fEEDaPvRmT3_T4_T5_mT6_P12ihipStream_tbENKUlT_T0_E_clISt17integral_constantIbLb1EESV_IbLb0EEEEDaSR_SS_EUlSR_E_NS1_11comp_targetILNS1_3genE10ELNS1_11target_archE1201ELNS1_3gpuE5ELNS1_3repE0EEENS1_30default_config_static_selectorELNS0_4arch9wavefront6targetE1EEEvT1_,@function
_ZN7rocprim17ROCPRIM_400000_NS6detail17trampoline_kernelINS0_14default_configENS1_20scan_config_selectorIfEEZZNS1_9scan_implILNS1_25lookback_scan_determinismE0ELb0ELb0ES3_PKfPffZZZN2at6native31launch_logcumsumexp_cuda_kernelERKNSB_10TensorBaseESF_lENKUlvE_clEvENKUlvE0_clEvEUlffE_fEEDaPvRmT3_T4_T5_mT6_P12ihipStream_tbENKUlT_T0_E_clISt17integral_constantIbLb1EESV_IbLb0EEEEDaSR_SS_EUlSR_E_NS1_11comp_targetILNS1_3genE10ELNS1_11target_archE1201ELNS1_3gpuE5ELNS1_3repE0EEENS1_30default_config_static_selectorELNS0_4arch9wavefront6targetE1EEEvT1_: ; @_ZN7rocprim17ROCPRIM_400000_NS6detail17trampoline_kernelINS0_14default_configENS1_20scan_config_selectorIfEEZZNS1_9scan_implILNS1_25lookback_scan_determinismE0ELb0ELb0ES3_PKfPffZZZN2at6native31launch_logcumsumexp_cuda_kernelERKNSB_10TensorBaseESF_lENKUlvE_clEvENKUlvE0_clEvEUlffE_fEEDaPvRmT3_T4_T5_mT6_P12ihipStream_tbENKUlT_T0_E_clISt17integral_constantIbLb1EESV_IbLb0EEEEDaSR_SS_EUlSR_E_NS1_11comp_targetILNS1_3genE10ELNS1_11target_archE1201ELNS1_3gpuE5ELNS1_3repE0EEENS1_30default_config_static_selectorELNS0_4arch9wavefront6targetE1EEEvT1_
; %bb.0:
	.section	.rodata,"a",@progbits
	.p2align	6, 0x0
	.amdhsa_kernel _ZN7rocprim17ROCPRIM_400000_NS6detail17trampoline_kernelINS0_14default_configENS1_20scan_config_selectorIfEEZZNS1_9scan_implILNS1_25lookback_scan_determinismE0ELb0ELb0ES3_PKfPffZZZN2at6native31launch_logcumsumexp_cuda_kernelERKNSB_10TensorBaseESF_lENKUlvE_clEvENKUlvE0_clEvEUlffE_fEEDaPvRmT3_T4_T5_mT6_P12ihipStream_tbENKUlT_T0_E_clISt17integral_constantIbLb1EESV_IbLb0EEEEDaSR_SS_EUlSR_E_NS1_11comp_targetILNS1_3genE10ELNS1_11target_archE1201ELNS1_3gpuE5ELNS1_3repE0EEENS1_30default_config_static_selectorELNS0_4arch9wavefront6targetE1EEEvT1_
		.amdhsa_group_segment_fixed_size 0
		.amdhsa_private_segment_fixed_size 0
		.amdhsa_kernarg_size 96
		.amdhsa_user_sgpr_count 6
		.amdhsa_user_sgpr_private_segment_buffer 1
		.amdhsa_user_sgpr_dispatch_ptr 0
		.amdhsa_user_sgpr_queue_ptr 0
		.amdhsa_user_sgpr_kernarg_segment_ptr 1
		.amdhsa_user_sgpr_dispatch_id 0
		.amdhsa_user_sgpr_flat_scratch_init 0
		.amdhsa_user_sgpr_kernarg_preload_length 0
		.amdhsa_user_sgpr_kernarg_preload_offset 0
		.amdhsa_user_sgpr_private_segment_size 0
		.amdhsa_uses_dynamic_stack 0
		.amdhsa_system_sgpr_private_segment_wavefront_offset 0
		.amdhsa_system_sgpr_workgroup_id_x 1
		.amdhsa_system_sgpr_workgroup_id_y 0
		.amdhsa_system_sgpr_workgroup_id_z 0
		.amdhsa_system_sgpr_workgroup_info 0
		.amdhsa_system_vgpr_workitem_id 0
		.amdhsa_next_free_vgpr 1
		.amdhsa_next_free_sgpr 0
		.amdhsa_accum_offset 4
		.amdhsa_reserve_vcc 0
		.amdhsa_reserve_flat_scratch 0
		.amdhsa_float_round_mode_32 0
		.amdhsa_float_round_mode_16_64 0
		.amdhsa_float_denorm_mode_32 3
		.amdhsa_float_denorm_mode_16_64 3
		.amdhsa_dx10_clamp 1
		.amdhsa_ieee_mode 1
		.amdhsa_fp16_overflow 0
		.amdhsa_tg_split 0
		.amdhsa_exception_fp_ieee_invalid_op 0
		.amdhsa_exception_fp_denorm_src 0
		.amdhsa_exception_fp_ieee_div_zero 0
		.amdhsa_exception_fp_ieee_overflow 0
		.amdhsa_exception_fp_ieee_underflow 0
		.amdhsa_exception_fp_ieee_inexact 0
		.amdhsa_exception_int_div_zero 0
	.end_amdhsa_kernel
	.section	.text._ZN7rocprim17ROCPRIM_400000_NS6detail17trampoline_kernelINS0_14default_configENS1_20scan_config_selectorIfEEZZNS1_9scan_implILNS1_25lookback_scan_determinismE0ELb0ELb0ES3_PKfPffZZZN2at6native31launch_logcumsumexp_cuda_kernelERKNSB_10TensorBaseESF_lENKUlvE_clEvENKUlvE0_clEvEUlffE_fEEDaPvRmT3_T4_T5_mT6_P12ihipStream_tbENKUlT_T0_E_clISt17integral_constantIbLb1EESV_IbLb0EEEEDaSR_SS_EUlSR_E_NS1_11comp_targetILNS1_3genE10ELNS1_11target_archE1201ELNS1_3gpuE5ELNS1_3repE0EEENS1_30default_config_static_selectorELNS0_4arch9wavefront6targetE1EEEvT1_,"axG",@progbits,_ZN7rocprim17ROCPRIM_400000_NS6detail17trampoline_kernelINS0_14default_configENS1_20scan_config_selectorIfEEZZNS1_9scan_implILNS1_25lookback_scan_determinismE0ELb0ELb0ES3_PKfPffZZZN2at6native31launch_logcumsumexp_cuda_kernelERKNSB_10TensorBaseESF_lENKUlvE_clEvENKUlvE0_clEvEUlffE_fEEDaPvRmT3_T4_T5_mT6_P12ihipStream_tbENKUlT_T0_E_clISt17integral_constantIbLb1EESV_IbLb0EEEEDaSR_SS_EUlSR_E_NS1_11comp_targetILNS1_3genE10ELNS1_11target_archE1201ELNS1_3gpuE5ELNS1_3repE0EEENS1_30default_config_static_selectorELNS0_4arch9wavefront6targetE1EEEvT1_,comdat
.Lfunc_end139:
	.size	_ZN7rocprim17ROCPRIM_400000_NS6detail17trampoline_kernelINS0_14default_configENS1_20scan_config_selectorIfEEZZNS1_9scan_implILNS1_25lookback_scan_determinismE0ELb0ELb0ES3_PKfPffZZZN2at6native31launch_logcumsumexp_cuda_kernelERKNSB_10TensorBaseESF_lENKUlvE_clEvENKUlvE0_clEvEUlffE_fEEDaPvRmT3_T4_T5_mT6_P12ihipStream_tbENKUlT_T0_E_clISt17integral_constantIbLb1EESV_IbLb0EEEEDaSR_SS_EUlSR_E_NS1_11comp_targetILNS1_3genE10ELNS1_11target_archE1201ELNS1_3gpuE5ELNS1_3repE0EEENS1_30default_config_static_selectorELNS0_4arch9wavefront6targetE1EEEvT1_, .Lfunc_end139-_ZN7rocprim17ROCPRIM_400000_NS6detail17trampoline_kernelINS0_14default_configENS1_20scan_config_selectorIfEEZZNS1_9scan_implILNS1_25lookback_scan_determinismE0ELb0ELb0ES3_PKfPffZZZN2at6native31launch_logcumsumexp_cuda_kernelERKNSB_10TensorBaseESF_lENKUlvE_clEvENKUlvE0_clEvEUlffE_fEEDaPvRmT3_T4_T5_mT6_P12ihipStream_tbENKUlT_T0_E_clISt17integral_constantIbLb1EESV_IbLb0EEEEDaSR_SS_EUlSR_E_NS1_11comp_targetILNS1_3genE10ELNS1_11target_archE1201ELNS1_3gpuE5ELNS1_3repE0EEENS1_30default_config_static_selectorELNS0_4arch9wavefront6targetE1EEEvT1_
                                        ; -- End function
	.section	.AMDGPU.csdata,"",@progbits
; Kernel info:
; codeLenInByte = 0
; NumSgprs: 4
; NumVgprs: 0
; NumAgprs: 0
; TotalNumVgprs: 0
; ScratchSize: 0
; MemoryBound: 0
; FloatMode: 240
; IeeeMode: 1
; LDSByteSize: 0 bytes/workgroup (compile time only)
; SGPRBlocks: 0
; VGPRBlocks: 0
; NumSGPRsForWavesPerEU: 4
; NumVGPRsForWavesPerEU: 1
; AccumOffset: 4
; Occupancy: 8
; WaveLimiterHint : 0
; COMPUTE_PGM_RSRC2:SCRATCH_EN: 0
; COMPUTE_PGM_RSRC2:USER_SGPR: 6
; COMPUTE_PGM_RSRC2:TRAP_HANDLER: 0
; COMPUTE_PGM_RSRC2:TGID_X_EN: 1
; COMPUTE_PGM_RSRC2:TGID_Y_EN: 0
; COMPUTE_PGM_RSRC2:TGID_Z_EN: 0
; COMPUTE_PGM_RSRC2:TIDIG_COMP_CNT: 0
; COMPUTE_PGM_RSRC3_GFX90A:ACCUM_OFFSET: 0
; COMPUTE_PGM_RSRC3_GFX90A:TG_SPLIT: 0
	.section	.text._ZN7rocprim17ROCPRIM_400000_NS6detail17trampoline_kernelINS0_14default_configENS1_20scan_config_selectorIfEEZZNS1_9scan_implILNS1_25lookback_scan_determinismE0ELb0ELb0ES3_PKfPffZZZN2at6native31launch_logcumsumexp_cuda_kernelERKNSB_10TensorBaseESF_lENKUlvE_clEvENKUlvE0_clEvEUlffE_fEEDaPvRmT3_T4_T5_mT6_P12ihipStream_tbENKUlT_T0_E_clISt17integral_constantIbLb1EESV_IbLb0EEEEDaSR_SS_EUlSR_E_NS1_11comp_targetILNS1_3genE10ELNS1_11target_archE1200ELNS1_3gpuE4ELNS1_3repE0EEENS1_30default_config_static_selectorELNS0_4arch9wavefront6targetE1EEEvT1_,"axG",@progbits,_ZN7rocprim17ROCPRIM_400000_NS6detail17trampoline_kernelINS0_14default_configENS1_20scan_config_selectorIfEEZZNS1_9scan_implILNS1_25lookback_scan_determinismE0ELb0ELb0ES3_PKfPffZZZN2at6native31launch_logcumsumexp_cuda_kernelERKNSB_10TensorBaseESF_lENKUlvE_clEvENKUlvE0_clEvEUlffE_fEEDaPvRmT3_T4_T5_mT6_P12ihipStream_tbENKUlT_T0_E_clISt17integral_constantIbLb1EESV_IbLb0EEEEDaSR_SS_EUlSR_E_NS1_11comp_targetILNS1_3genE10ELNS1_11target_archE1200ELNS1_3gpuE4ELNS1_3repE0EEENS1_30default_config_static_selectorELNS0_4arch9wavefront6targetE1EEEvT1_,comdat
	.globl	_ZN7rocprim17ROCPRIM_400000_NS6detail17trampoline_kernelINS0_14default_configENS1_20scan_config_selectorIfEEZZNS1_9scan_implILNS1_25lookback_scan_determinismE0ELb0ELb0ES3_PKfPffZZZN2at6native31launch_logcumsumexp_cuda_kernelERKNSB_10TensorBaseESF_lENKUlvE_clEvENKUlvE0_clEvEUlffE_fEEDaPvRmT3_T4_T5_mT6_P12ihipStream_tbENKUlT_T0_E_clISt17integral_constantIbLb1EESV_IbLb0EEEEDaSR_SS_EUlSR_E_NS1_11comp_targetILNS1_3genE10ELNS1_11target_archE1200ELNS1_3gpuE4ELNS1_3repE0EEENS1_30default_config_static_selectorELNS0_4arch9wavefront6targetE1EEEvT1_ ; -- Begin function _ZN7rocprim17ROCPRIM_400000_NS6detail17trampoline_kernelINS0_14default_configENS1_20scan_config_selectorIfEEZZNS1_9scan_implILNS1_25lookback_scan_determinismE0ELb0ELb0ES3_PKfPffZZZN2at6native31launch_logcumsumexp_cuda_kernelERKNSB_10TensorBaseESF_lENKUlvE_clEvENKUlvE0_clEvEUlffE_fEEDaPvRmT3_T4_T5_mT6_P12ihipStream_tbENKUlT_T0_E_clISt17integral_constantIbLb1EESV_IbLb0EEEEDaSR_SS_EUlSR_E_NS1_11comp_targetILNS1_3genE10ELNS1_11target_archE1200ELNS1_3gpuE4ELNS1_3repE0EEENS1_30default_config_static_selectorELNS0_4arch9wavefront6targetE1EEEvT1_
	.p2align	8
	.type	_ZN7rocprim17ROCPRIM_400000_NS6detail17trampoline_kernelINS0_14default_configENS1_20scan_config_selectorIfEEZZNS1_9scan_implILNS1_25lookback_scan_determinismE0ELb0ELb0ES3_PKfPffZZZN2at6native31launch_logcumsumexp_cuda_kernelERKNSB_10TensorBaseESF_lENKUlvE_clEvENKUlvE0_clEvEUlffE_fEEDaPvRmT3_T4_T5_mT6_P12ihipStream_tbENKUlT_T0_E_clISt17integral_constantIbLb1EESV_IbLb0EEEEDaSR_SS_EUlSR_E_NS1_11comp_targetILNS1_3genE10ELNS1_11target_archE1200ELNS1_3gpuE4ELNS1_3repE0EEENS1_30default_config_static_selectorELNS0_4arch9wavefront6targetE1EEEvT1_,@function
_ZN7rocprim17ROCPRIM_400000_NS6detail17trampoline_kernelINS0_14default_configENS1_20scan_config_selectorIfEEZZNS1_9scan_implILNS1_25lookback_scan_determinismE0ELb0ELb0ES3_PKfPffZZZN2at6native31launch_logcumsumexp_cuda_kernelERKNSB_10TensorBaseESF_lENKUlvE_clEvENKUlvE0_clEvEUlffE_fEEDaPvRmT3_T4_T5_mT6_P12ihipStream_tbENKUlT_T0_E_clISt17integral_constantIbLb1EESV_IbLb0EEEEDaSR_SS_EUlSR_E_NS1_11comp_targetILNS1_3genE10ELNS1_11target_archE1200ELNS1_3gpuE4ELNS1_3repE0EEENS1_30default_config_static_selectorELNS0_4arch9wavefront6targetE1EEEvT1_: ; @_ZN7rocprim17ROCPRIM_400000_NS6detail17trampoline_kernelINS0_14default_configENS1_20scan_config_selectorIfEEZZNS1_9scan_implILNS1_25lookback_scan_determinismE0ELb0ELb0ES3_PKfPffZZZN2at6native31launch_logcumsumexp_cuda_kernelERKNSB_10TensorBaseESF_lENKUlvE_clEvENKUlvE0_clEvEUlffE_fEEDaPvRmT3_T4_T5_mT6_P12ihipStream_tbENKUlT_T0_E_clISt17integral_constantIbLb1EESV_IbLb0EEEEDaSR_SS_EUlSR_E_NS1_11comp_targetILNS1_3genE10ELNS1_11target_archE1200ELNS1_3gpuE4ELNS1_3repE0EEENS1_30default_config_static_selectorELNS0_4arch9wavefront6targetE1EEEvT1_
; %bb.0:
	.section	.rodata,"a",@progbits
	.p2align	6, 0x0
	.amdhsa_kernel _ZN7rocprim17ROCPRIM_400000_NS6detail17trampoline_kernelINS0_14default_configENS1_20scan_config_selectorIfEEZZNS1_9scan_implILNS1_25lookback_scan_determinismE0ELb0ELb0ES3_PKfPffZZZN2at6native31launch_logcumsumexp_cuda_kernelERKNSB_10TensorBaseESF_lENKUlvE_clEvENKUlvE0_clEvEUlffE_fEEDaPvRmT3_T4_T5_mT6_P12ihipStream_tbENKUlT_T0_E_clISt17integral_constantIbLb1EESV_IbLb0EEEEDaSR_SS_EUlSR_E_NS1_11comp_targetILNS1_3genE10ELNS1_11target_archE1200ELNS1_3gpuE4ELNS1_3repE0EEENS1_30default_config_static_selectorELNS0_4arch9wavefront6targetE1EEEvT1_
		.amdhsa_group_segment_fixed_size 0
		.amdhsa_private_segment_fixed_size 0
		.amdhsa_kernarg_size 96
		.amdhsa_user_sgpr_count 6
		.amdhsa_user_sgpr_private_segment_buffer 1
		.amdhsa_user_sgpr_dispatch_ptr 0
		.amdhsa_user_sgpr_queue_ptr 0
		.amdhsa_user_sgpr_kernarg_segment_ptr 1
		.amdhsa_user_sgpr_dispatch_id 0
		.amdhsa_user_sgpr_flat_scratch_init 0
		.amdhsa_user_sgpr_kernarg_preload_length 0
		.amdhsa_user_sgpr_kernarg_preload_offset 0
		.amdhsa_user_sgpr_private_segment_size 0
		.amdhsa_uses_dynamic_stack 0
		.amdhsa_system_sgpr_private_segment_wavefront_offset 0
		.amdhsa_system_sgpr_workgroup_id_x 1
		.amdhsa_system_sgpr_workgroup_id_y 0
		.amdhsa_system_sgpr_workgroup_id_z 0
		.amdhsa_system_sgpr_workgroup_info 0
		.amdhsa_system_vgpr_workitem_id 0
		.amdhsa_next_free_vgpr 1
		.amdhsa_next_free_sgpr 0
		.amdhsa_accum_offset 4
		.amdhsa_reserve_vcc 0
		.amdhsa_reserve_flat_scratch 0
		.amdhsa_float_round_mode_32 0
		.amdhsa_float_round_mode_16_64 0
		.amdhsa_float_denorm_mode_32 3
		.amdhsa_float_denorm_mode_16_64 3
		.amdhsa_dx10_clamp 1
		.amdhsa_ieee_mode 1
		.amdhsa_fp16_overflow 0
		.amdhsa_tg_split 0
		.amdhsa_exception_fp_ieee_invalid_op 0
		.amdhsa_exception_fp_denorm_src 0
		.amdhsa_exception_fp_ieee_div_zero 0
		.amdhsa_exception_fp_ieee_overflow 0
		.amdhsa_exception_fp_ieee_underflow 0
		.amdhsa_exception_fp_ieee_inexact 0
		.amdhsa_exception_int_div_zero 0
	.end_amdhsa_kernel
	.section	.text._ZN7rocprim17ROCPRIM_400000_NS6detail17trampoline_kernelINS0_14default_configENS1_20scan_config_selectorIfEEZZNS1_9scan_implILNS1_25lookback_scan_determinismE0ELb0ELb0ES3_PKfPffZZZN2at6native31launch_logcumsumexp_cuda_kernelERKNSB_10TensorBaseESF_lENKUlvE_clEvENKUlvE0_clEvEUlffE_fEEDaPvRmT3_T4_T5_mT6_P12ihipStream_tbENKUlT_T0_E_clISt17integral_constantIbLb1EESV_IbLb0EEEEDaSR_SS_EUlSR_E_NS1_11comp_targetILNS1_3genE10ELNS1_11target_archE1200ELNS1_3gpuE4ELNS1_3repE0EEENS1_30default_config_static_selectorELNS0_4arch9wavefront6targetE1EEEvT1_,"axG",@progbits,_ZN7rocprim17ROCPRIM_400000_NS6detail17trampoline_kernelINS0_14default_configENS1_20scan_config_selectorIfEEZZNS1_9scan_implILNS1_25lookback_scan_determinismE0ELb0ELb0ES3_PKfPffZZZN2at6native31launch_logcumsumexp_cuda_kernelERKNSB_10TensorBaseESF_lENKUlvE_clEvENKUlvE0_clEvEUlffE_fEEDaPvRmT3_T4_T5_mT6_P12ihipStream_tbENKUlT_T0_E_clISt17integral_constantIbLb1EESV_IbLb0EEEEDaSR_SS_EUlSR_E_NS1_11comp_targetILNS1_3genE10ELNS1_11target_archE1200ELNS1_3gpuE4ELNS1_3repE0EEENS1_30default_config_static_selectorELNS0_4arch9wavefront6targetE1EEEvT1_,comdat
.Lfunc_end140:
	.size	_ZN7rocprim17ROCPRIM_400000_NS6detail17trampoline_kernelINS0_14default_configENS1_20scan_config_selectorIfEEZZNS1_9scan_implILNS1_25lookback_scan_determinismE0ELb0ELb0ES3_PKfPffZZZN2at6native31launch_logcumsumexp_cuda_kernelERKNSB_10TensorBaseESF_lENKUlvE_clEvENKUlvE0_clEvEUlffE_fEEDaPvRmT3_T4_T5_mT6_P12ihipStream_tbENKUlT_T0_E_clISt17integral_constantIbLb1EESV_IbLb0EEEEDaSR_SS_EUlSR_E_NS1_11comp_targetILNS1_3genE10ELNS1_11target_archE1200ELNS1_3gpuE4ELNS1_3repE0EEENS1_30default_config_static_selectorELNS0_4arch9wavefront6targetE1EEEvT1_, .Lfunc_end140-_ZN7rocprim17ROCPRIM_400000_NS6detail17trampoline_kernelINS0_14default_configENS1_20scan_config_selectorIfEEZZNS1_9scan_implILNS1_25lookback_scan_determinismE0ELb0ELb0ES3_PKfPffZZZN2at6native31launch_logcumsumexp_cuda_kernelERKNSB_10TensorBaseESF_lENKUlvE_clEvENKUlvE0_clEvEUlffE_fEEDaPvRmT3_T4_T5_mT6_P12ihipStream_tbENKUlT_T0_E_clISt17integral_constantIbLb1EESV_IbLb0EEEEDaSR_SS_EUlSR_E_NS1_11comp_targetILNS1_3genE10ELNS1_11target_archE1200ELNS1_3gpuE4ELNS1_3repE0EEENS1_30default_config_static_selectorELNS0_4arch9wavefront6targetE1EEEvT1_
                                        ; -- End function
	.section	.AMDGPU.csdata,"",@progbits
; Kernel info:
; codeLenInByte = 0
; NumSgprs: 4
; NumVgprs: 0
; NumAgprs: 0
; TotalNumVgprs: 0
; ScratchSize: 0
; MemoryBound: 0
; FloatMode: 240
; IeeeMode: 1
; LDSByteSize: 0 bytes/workgroup (compile time only)
; SGPRBlocks: 0
; VGPRBlocks: 0
; NumSGPRsForWavesPerEU: 4
; NumVGPRsForWavesPerEU: 1
; AccumOffset: 4
; Occupancy: 8
; WaveLimiterHint : 0
; COMPUTE_PGM_RSRC2:SCRATCH_EN: 0
; COMPUTE_PGM_RSRC2:USER_SGPR: 6
; COMPUTE_PGM_RSRC2:TRAP_HANDLER: 0
; COMPUTE_PGM_RSRC2:TGID_X_EN: 1
; COMPUTE_PGM_RSRC2:TGID_Y_EN: 0
; COMPUTE_PGM_RSRC2:TGID_Z_EN: 0
; COMPUTE_PGM_RSRC2:TIDIG_COMP_CNT: 0
; COMPUTE_PGM_RSRC3_GFX90A:ACCUM_OFFSET: 0
; COMPUTE_PGM_RSRC3_GFX90A:TG_SPLIT: 0
	.section	.text._ZN7rocprim17ROCPRIM_400000_NS6detail17trampoline_kernelINS0_14default_configENS1_20scan_config_selectorIfEEZZNS1_9scan_implILNS1_25lookback_scan_determinismE0ELb0ELb0ES3_PKfPffZZZN2at6native31launch_logcumsumexp_cuda_kernelERKNSB_10TensorBaseESF_lENKUlvE_clEvENKUlvE0_clEvEUlffE_fEEDaPvRmT3_T4_T5_mT6_P12ihipStream_tbENKUlT_T0_E_clISt17integral_constantIbLb1EESV_IbLb0EEEEDaSR_SS_EUlSR_E_NS1_11comp_targetILNS1_3genE9ELNS1_11target_archE1100ELNS1_3gpuE3ELNS1_3repE0EEENS1_30default_config_static_selectorELNS0_4arch9wavefront6targetE1EEEvT1_,"axG",@progbits,_ZN7rocprim17ROCPRIM_400000_NS6detail17trampoline_kernelINS0_14default_configENS1_20scan_config_selectorIfEEZZNS1_9scan_implILNS1_25lookback_scan_determinismE0ELb0ELb0ES3_PKfPffZZZN2at6native31launch_logcumsumexp_cuda_kernelERKNSB_10TensorBaseESF_lENKUlvE_clEvENKUlvE0_clEvEUlffE_fEEDaPvRmT3_T4_T5_mT6_P12ihipStream_tbENKUlT_T0_E_clISt17integral_constantIbLb1EESV_IbLb0EEEEDaSR_SS_EUlSR_E_NS1_11comp_targetILNS1_3genE9ELNS1_11target_archE1100ELNS1_3gpuE3ELNS1_3repE0EEENS1_30default_config_static_selectorELNS0_4arch9wavefront6targetE1EEEvT1_,comdat
	.globl	_ZN7rocprim17ROCPRIM_400000_NS6detail17trampoline_kernelINS0_14default_configENS1_20scan_config_selectorIfEEZZNS1_9scan_implILNS1_25lookback_scan_determinismE0ELb0ELb0ES3_PKfPffZZZN2at6native31launch_logcumsumexp_cuda_kernelERKNSB_10TensorBaseESF_lENKUlvE_clEvENKUlvE0_clEvEUlffE_fEEDaPvRmT3_T4_T5_mT6_P12ihipStream_tbENKUlT_T0_E_clISt17integral_constantIbLb1EESV_IbLb0EEEEDaSR_SS_EUlSR_E_NS1_11comp_targetILNS1_3genE9ELNS1_11target_archE1100ELNS1_3gpuE3ELNS1_3repE0EEENS1_30default_config_static_selectorELNS0_4arch9wavefront6targetE1EEEvT1_ ; -- Begin function _ZN7rocprim17ROCPRIM_400000_NS6detail17trampoline_kernelINS0_14default_configENS1_20scan_config_selectorIfEEZZNS1_9scan_implILNS1_25lookback_scan_determinismE0ELb0ELb0ES3_PKfPffZZZN2at6native31launch_logcumsumexp_cuda_kernelERKNSB_10TensorBaseESF_lENKUlvE_clEvENKUlvE0_clEvEUlffE_fEEDaPvRmT3_T4_T5_mT6_P12ihipStream_tbENKUlT_T0_E_clISt17integral_constantIbLb1EESV_IbLb0EEEEDaSR_SS_EUlSR_E_NS1_11comp_targetILNS1_3genE9ELNS1_11target_archE1100ELNS1_3gpuE3ELNS1_3repE0EEENS1_30default_config_static_selectorELNS0_4arch9wavefront6targetE1EEEvT1_
	.p2align	8
	.type	_ZN7rocprim17ROCPRIM_400000_NS6detail17trampoline_kernelINS0_14default_configENS1_20scan_config_selectorIfEEZZNS1_9scan_implILNS1_25lookback_scan_determinismE0ELb0ELb0ES3_PKfPffZZZN2at6native31launch_logcumsumexp_cuda_kernelERKNSB_10TensorBaseESF_lENKUlvE_clEvENKUlvE0_clEvEUlffE_fEEDaPvRmT3_T4_T5_mT6_P12ihipStream_tbENKUlT_T0_E_clISt17integral_constantIbLb1EESV_IbLb0EEEEDaSR_SS_EUlSR_E_NS1_11comp_targetILNS1_3genE9ELNS1_11target_archE1100ELNS1_3gpuE3ELNS1_3repE0EEENS1_30default_config_static_selectorELNS0_4arch9wavefront6targetE1EEEvT1_,@function
_ZN7rocprim17ROCPRIM_400000_NS6detail17trampoline_kernelINS0_14default_configENS1_20scan_config_selectorIfEEZZNS1_9scan_implILNS1_25lookback_scan_determinismE0ELb0ELb0ES3_PKfPffZZZN2at6native31launch_logcumsumexp_cuda_kernelERKNSB_10TensorBaseESF_lENKUlvE_clEvENKUlvE0_clEvEUlffE_fEEDaPvRmT3_T4_T5_mT6_P12ihipStream_tbENKUlT_T0_E_clISt17integral_constantIbLb1EESV_IbLb0EEEEDaSR_SS_EUlSR_E_NS1_11comp_targetILNS1_3genE9ELNS1_11target_archE1100ELNS1_3gpuE3ELNS1_3repE0EEENS1_30default_config_static_selectorELNS0_4arch9wavefront6targetE1EEEvT1_: ; @_ZN7rocprim17ROCPRIM_400000_NS6detail17trampoline_kernelINS0_14default_configENS1_20scan_config_selectorIfEEZZNS1_9scan_implILNS1_25lookback_scan_determinismE0ELb0ELb0ES3_PKfPffZZZN2at6native31launch_logcumsumexp_cuda_kernelERKNSB_10TensorBaseESF_lENKUlvE_clEvENKUlvE0_clEvEUlffE_fEEDaPvRmT3_T4_T5_mT6_P12ihipStream_tbENKUlT_T0_E_clISt17integral_constantIbLb1EESV_IbLb0EEEEDaSR_SS_EUlSR_E_NS1_11comp_targetILNS1_3genE9ELNS1_11target_archE1100ELNS1_3gpuE3ELNS1_3repE0EEENS1_30default_config_static_selectorELNS0_4arch9wavefront6targetE1EEEvT1_
; %bb.0:
	.section	.rodata,"a",@progbits
	.p2align	6, 0x0
	.amdhsa_kernel _ZN7rocprim17ROCPRIM_400000_NS6detail17trampoline_kernelINS0_14default_configENS1_20scan_config_selectorIfEEZZNS1_9scan_implILNS1_25lookback_scan_determinismE0ELb0ELb0ES3_PKfPffZZZN2at6native31launch_logcumsumexp_cuda_kernelERKNSB_10TensorBaseESF_lENKUlvE_clEvENKUlvE0_clEvEUlffE_fEEDaPvRmT3_T4_T5_mT6_P12ihipStream_tbENKUlT_T0_E_clISt17integral_constantIbLb1EESV_IbLb0EEEEDaSR_SS_EUlSR_E_NS1_11comp_targetILNS1_3genE9ELNS1_11target_archE1100ELNS1_3gpuE3ELNS1_3repE0EEENS1_30default_config_static_selectorELNS0_4arch9wavefront6targetE1EEEvT1_
		.amdhsa_group_segment_fixed_size 0
		.amdhsa_private_segment_fixed_size 0
		.amdhsa_kernarg_size 96
		.amdhsa_user_sgpr_count 6
		.amdhsa_user_sgpr_private_segment_buffer 1
		.amdhsa_user_sgpr_dispatch_ptr 0
		.amdhsa_user_sgpr_queue_ptr 0
		.amdhsa_user_sgpr_kernarg_segment_ptr 1
		.amdhsa_user_sgpr_dispatch_id 0
		.amdhsa_user_sgpr_flat_scratch_init 0
		.amdhsa_user_sgpr_kernarg_preload_length 0
		.amdhsa_user_sgpr_kernarg_preload_offset 0
		.amdhsa_user_sgpr_private_segment_size 0
		.amdhsa_uses_dynamic_stack 0
		.amdhsa_system_sgpr_private_segment_wavefront_offset 0
		.amdhsa_system_sgpr_workgroup_id_x 1
		.amdhsa_system_sgpr_workgroup_id_y 0
		.amdhsa_system_sgpr_workgroup_id_z 0
		.amdhsa_system_sgpr_workgroup_info 0
		.amdhsa_system_vgpr_workitem_id 0
		.amdhsa_next_free_vgpr 1
		.amdhsa_next_free_sgpr 0
		.amdhsa_accum_offset 4
		.amdhsa_reserve_vcc 0
		.amdhsa_reserve_flat_scratch 0
		.amdhsa_float_round_mode_32 0
		.amdhsa_float_round_mode_16_64 0
		.amdhsa_float_denorm_mode_32 3
		.amdhsa_float_denorm_mode_16_64 3
		.amdhsa_dx10_clamp 1
		.amdhsa_ieee_mode 1
		.amdhsa_fp16_overflow 0
		.amdhsa_tg_split 0
		.amdhsa_exception_fp_ieee_invalid_op 0
		.amdhsa_exception_fp_denorm_src 0
		.amdhsa_exception_fp_ieee_div_zero 0
		.amdhsa_exception_fp_ieee_overflow 0
		.amdhsa_exception_fp_ieee_underflow 0
		.amdhsa_exception_fp_ieee_inexact 0
		.amdhsa_exception_int_div_zero 0
	.end_amdhsa_kernel
	.section	.text._ZN7rocprim17ROCPRIM_400000_NS6detail17trampoline_kernelINS0_14default_configENS1_20scan_config_selectorIfEEZZNS1_9scan_implILNS1_25lookback_scan_determinismE0ELb0ELb0ES3_PKfPffZZZN2at6native31launch_logcumsumexp_cuda_kernelERKNSB_10TensorBaseESF_lENKUlvE_clEvENKUlvE0_clEvEUlffE_fEEDaPvRmT3_T4_T5_mT6_P12ihipStream_tbENKUlT_T0_E_clISt17integral_constantIbLb1EESV_IbLb0EEEEDaSR_SS_EUlSR_E_NS1_11comp_targetILNS1_3genE9ELNS1_11target_archE1100ELNS1_3gpuE3ELNS1_3repE0EEENS1_30default_config_static_selectorELNS0_4arch9wavefront6targetE1EEEvT1_,"axG",@progbits,_ZN7rocprim17ROCPRIM_400000_NS6detail17trampoline_kernelINS0_14default_configENS1_20scan_config_selectorIfEEZZNS1_9scan_implILNS1_25lookback_scan_determinismE0ELb0ELb0ES3_PKfPffZZZN2at6native31launch_logcumsumexp_cuda_kernelERKNSB_10TensorBaseESF_lENKUlvE_clEvENKUlvE0_clEvEUlffE_fEEDaPvRmT3_T4_T5_mT6_P12ihipStream_tbENKUlT_T0_E_clISt17integral_constantIbLb1EESV_IbLb0EEEEDaSR_SS_EUlSR_E_NS1_11comp_targetILNS1_3genE9ELNS1_11target_archE1100ELNS1_3gpuE3ELNS1_3repE0EEENS1_30default_config_static_selectorELNS0_4arch9wavefront6targetE1EEEvT1_,comdat
.Lfunc_end141:
	.size	_ZN7rocprim17ROCPRIM_400000_NS6detail17trampoline_kernelINS0_14default_configENS1_20scan_config_selectorIfEEZZNS1_9scan_implILNS1_25lookback_scan_determinismE0ELb0ELb0ES3_PKfPffZZZN2at6native31launch_logcumsumexp_cuda_kernelERKNSB_10TensorBaseESF_lENKUlvE_clEvENKUlvE0_clEvEUlffE_fEEDaPvRmT3_T4_T5_mT6_P12ihipStream_tbENKUlT_T0_E_clISt17integral_constantIbLb1EESV_IbLb0EEEEDaSR_SS_EUlSR_E_NS1_11comp_targetILNS1_3genE9ELNS1_11target_archE1100ELNS1_3gpuE3ELNS1_3repE0EEENS1_30default_config_static_selectorELNS0_4arch9wavefront6targetE1EEEvT1_, .Lfunc_end141-_ZN7rocprim17ROCPRIM_400000_NS6detail17trampoline_kernelINS0_14default_configENS1_20scan_config_selectorIfEEZZNS1_9scan_implILNS1_25lookback_scan_determinismE0ELb0ELb0ES3_PKfPffZZZN2at6native31launch_logcumsumexp_cuda_kernelERKNSB_10TensorBaseESF_lENKUlvE_clEvENKUlvE0_clEvEUlffE_fEEDaPvRmT3_T4_T5_mT6_P12ihipStream_tbENKUlT_T0_E_clISt17integral_constantIbLb1EESV_IbLb0EEEEDaSR_SS_EUlSR_E_NS1_11comp_targetILNS1_3genE9ELNS1_11target_archE1100ELNS1_3gpuE3ELNS1_3repE0EEENS1_30default_config_static_selectorELNS0_4arch9wavefront6targetE1EEEvT1_
                                        ; -- End function
	.section	.AMDGPU.csdata,"",@progbits
; Kernel info:
; codeLenInByte = 0
; NumSgprs: 4
; NumVgprs: 0
; NumAgprs: 0
; TotalNumVgprs: 0
; ScratchSize: 0
; MemoryBound: 0
; FloatMode: 240
; IeeeMode: 1
; LDSByteSize: 0 bytes/workgroup (compile time only)
; SGPRBlocks: 0
; VGPRBlocks: 0
; NumSGPRsForWavesPerEU: 4
; NumVGPRsForWavesPerEU: 1
; AccumOffset: 4
; Occupancy: 8
; WaveLimiterHint : 0
; COMPUTE_PGM_RSRC2:SCRATCH_EN: 0
; COMPUTE_PGM_RSRC2:USER_SGPR: 6
; COMPUTE_PGM_RSRC2:TRAP_HANDLER: 0
; COMPUTE_PGM_RSRC2:TGID_X_EN: 1
; COMPUTE_PGM_RSRC2:TGID_Y_EN: 0
; COMPUTE_PGM_RSRC2:TGID_Z_EN: 0
; COMPUTE_PGM_RSRC2:TIDIG_COMP_CNT: 0
; COMPUTE_PGM_RSRC3_GFX90A:ACCUM_OFFSET: 0
; COMPUTE_PGM_RSRC3_GFX90A:TG_SPLIT: 0
	.section	.text._ZN7rocprim17ROCPRIM_400000_NS6detail17trampoline_kernelINS0_14default_configENS1_20scan_config_selectorIfEEZZNS1_9scan_implILNS1_25lookback_scan_determinismE0ELb0ELb0ES3_PKfPffZZZN2at6native31launch_logcumsumexp_cuda_kernelERKNSB_10TensorBaseESF_lENKUlvE_clEvENKUlvE0_clEvEUlffE_fEEDaPvRmT3_T4_T5_mT6_P12ihipStream_tbENKUlT_T0_E_clISt17integral_constantIbLb1EESV_IbLb0EEEEDaSR_SS_EUlSR_E_NS1_11comp_targetILNS1_3genE8ELNS1_11target_archE1030ELNS1_3gpuE2ELNS1_3repE0EEENS1_30default_config_static_selectorELNS0_4arch9wavefront6targetE1EEEvT1_,"axG",@progbits,_ZN7rocprim17ROCPRIM_400000_NS6detail17trampoline_kernelINS0_14default_configENS1_20scan_config_selectorIfEEZZNS1_9scan_implILNS1_25lookback_scan_determinismE0ELb0ELb0ES3_PKfPffZZZN2at6native31launch_logcumsumexp_cuda_kernelERKNSB_10TensorBaseESF_lENKUlvE_clEvENKUlvE0_clEvEUlffE_fEEDaPvRmT3_T4_T5_mT6_P12ihipStream_tbENKUlT_T0_E_clISt17integral_constantIbLb1EESV_IbLb0EEEEDaSR_SS_EUlSR_E_NS1_11comp_targetILNS1_3genE8ELNS1_11target_archE1030ELNS1_3gpuE2ELNS1_3repE0EEENS1_30default_config_static_selectorELNS0_4arch9wavefront6targetE1EEEvT1_,comdat
	.globl	_ZN7rocprim17ROCPRIM_400000_NS6detail17trampoline_kernelINS0_14default_configENS1_20scan_config_selectorIfEEZZNS1_9scan_implILNS1_25lookback_scan_determinismE0ELb0ELb0ES3_PKfPffZZZN2at6native31launch_logcumsumexp_cuda_kernelERKNSB_10TensorBaseESF_lENKUlvE_clEvENKUlvE0_clEvEUlffE_fEEDaPvRmT3_T4_T5_mT6_P12ihipStream_tbENKUlT_T0_E_clISt17integral_constantIbLb1EESV_IbLb0EEEEDaSR_SS_EUlSR_E_NS1_11comp_targetILNS1_3genE8ELNS1_11target_archE1030ELNS1_3gpuE2ELNS1_3repE0EEENS1_30default_config_static_selectorELNS0_4arch9wavefront6targetE1EEEvT1_ ; -- Begin function _ZN7rocprim17ROCPRIM_400000_NS6detail17trampoline_kernelINS0_14default_configENS1_20scan_config_selectorIfEEZZNS1_9scan_implILNS1_25lookback_scan_determinismE0ELb0ELb0ES3_PKfPffZZZN2at6native31launch_logcumsumexp_cuda_kernelERKNSB_10TensorBaseESF_lENKUlvE_clEvENKUlvE0_clEvEUlffE_fEEDaPvRmT3_T4_T5_mT6_P12ihipStream_tbENKUlT_T0_E_clISt17integral_constantIbLb1EESV_IbLb0EEEEDaSR_SS_EUlSR_E_NS1_11comp_targetILNS1_3genE8ELNS1_11target_archE1030ELNS1_3gpuE2ELNS1_3repE0EEENS1_30default_config_static_selectorELNS0_4arch9wavefront6targetE1EEEvT1_
	.p2align	8
	.type	_ZN7rocprim17ROCPRIM_400000_NS6detail17trampoline_kernelINS0_14default_configENS1_20scan_config_selectorIfEEZZNS1_9scan_implILNS1_25lookback_scan_determinismE0ELb0ELb0ES3_PKfPffZZZN2at6native31launch_logcumsumexp_cuda_kernelERKNSB_10TensorBaseESF_lENKUlvE_clEvENKUlvE0_clEvEUlffE_fEEDaPvRmT3_T4_T5_mT6_P12ihipStream_tbENKUlT_T0_E_clISt17integral_constantIbLb1EESV_IbLb0EEEEDaSR_SS_EUlSR_E_NS1_11comp_targetILNS1_3genE8ELNS1_11target_archE1030ELNS1_3gpuE2ELNS1_3repE0EEENS1_30default_config_static_selectorELNS0_4arch9wavefront6targetE1EEEvT1_,@function
_ZN7rocprim17ROCPRIM_400000_NS6detail17trampoline_kernelINS0_14default_configENS1_20scan_config_selectorIfEEZZNS1_9scan_implILNS1_25lookback_scan_determinismE0ELb0ELb0ES3_PKfPffZZZN2at6native31launch_logcumsumexp_cuda_kernelERKNSB_10TensorBaseESF_lENKUlvE_clEvENKUlvE0_clEvEUlffE_fEEDaPvRmT3_T4_T5_mT6_P12ihipStream_tbENKUlT_T0_E_clISt17integral_constantIbLb1EESV_IbLb0EEEEDaSR_SS_EUlSR_E_NS1_11comp_targetILNS1_3genE8ELNS1_11target_archE1030ELNS1_3gpuE2ELNS1_3repE0EEENS1_30default_config_static_selectorELNS0_4arch9wavefront6targetE1EEEvT1_: ; @_ZN7rocprim17ROCPRIM_400000_NS6detail17trampoline_kernelINS0_14default_configENS1_20scan_config_selectorIfEEZZNS1_9scan_implILNS1_25lookback_scan_determinismE0ELb0ELb0ES3_PKfPffZZZN2at6native31launch_logcumsumexp_cuda_kernelERKNSB_10TensorBaseESF_lENKUlvE_clEvENKUlvE0_clEvEUlffE_fEEDaPvRmT3_T4_T5_mT6_P12ihipStream_tbENKUlT_T0_E_clISt17integral_constantIbLb1EESV_IbLb0EEEEDaSR_SS_EUlSR_E_NS1_11comp_targetILNS1_3genE8ELNS1_11target_archE1030ELNS1_3gpuE2ELNS1_3repE0EEENS1_30default_config_static_selectorELNS0_4arch9wavefront6targetE1EEEvT1_
; %bb.0:
	.section	.rodata,"a",@progbits
	.p2align	6, 0x0
	.amdhsa_kernel _ZN7rocprim17ROCPRIM_400000_NS6detail17trampoline_kernelINS0_14default_configENS1_20scan_config_selectorIfEEZZNS1_9scan_implILNS1_25lookback_scan_determinismE0ELb0ELb0ES3_PKfPffZZZN2at6native31launch_logcumsumexp_cuda_kernelERKNSB_10TensorBaseESF_lENKUlvE_clEvENKUlvE0_clEvEUlffE_fEEDaPvRmT3_T4_T5_mT6_P12ihipStream_tbENKUlT_T0_E_clISt17integral_constantIbLb1EESV_IbLb0EEEEDaSR_SS_EUlSR_E_NS1_11comp_targetILNS1_3genE8ELNS1_11target_archE1030ELNS1_3gpuE2ELNS1_3repE0EEENS1_30default_config_static_selectorELNS0_4arch9wavefront6targetE1EEEvT1_
		.amdhsa_group_segment_fixed_size 0
		.amdhsa_private_segment_fixed_size 0
		.amdhsa_kernarg_size 96
		.amdhsa_user_sgpr_count 6
		.amdhsa_user_sgpr_private_segment_buffer 1
		.amdhsa_user_sgpr_dispatch_ptr 0
		.amdhsa_user_sgpr_queue_ptr 0
		.amdhsa_user_sgpr_kernarg_segment_ptr 1
		.amdhsa_user_sgpr_dispatch_id 0
		.amdhsa_user_sgpr_flat_scratch_init 0
		.amdhsa_user_sgpr_kernarg_preload_length 0
		.amdhsa_user_sgpr_kernarg_preload_offset 0
		.amdhsa_user_sgpr_private_segment_size 0
		.amdhsa_uses_dynamic_stack 0
		.amdhsa_system_sgpr_private_segment_wavefront_offset 0
		.amdhsa_system_sgpr_workgroup_id_x 1
		.amdhsa_system_sgpr_workgroup_id_y 0
		.amdhsa_system_sgpr_workgroup_id_z 0
		.amdhsa_system_sgpr_workgroup_info 0
		.amdhsa_system_vgpr_workitem_id 0
		.amdhsa_next_free_vgpr 1
		.amdhsa_next_free_sgpr 0
		.amdhsa_accum_offset 4
		.amdhsa_reserve_vcc 0
		.amdhsa_reserve_flat_scratch 0
		.amdhsa_float_round_mode_32 0
		.amdhsa_float_round_mode_16_64 0
		.amdhsa_float_denorm_mode_32 3
		.amdhsa_float_denorm_mode_16_64 3
		.amdhsa_dx10_clamp 1
		.amdhsa_ieee_mode 1
		.amdhsa_fp16_overflow 0
		.amdhsa_tg_split 0
		.amdhsa_exception_fp_ieee_invalid_op 0
		.amdhsa_exception_fp_denorm_src 0
		.amdhsa_exception_fp_ieee_div_zero 0
		.amdhsa_exception_fp_ieee_overflow 0
		.amdhsa_exception_fp_ieee_underflow 0
		.amdhsa_exception_fp_ieee_inexact 0
		.amdhsa_exception_int_div_zero 0
	.end_amdhsa_kernel
	.section	.text._ZN7rocprim17ROCPRIM_400000_NS6detail17trampoline_kernelINS0_14default_configENS1_20scan_config_selectorIfEEZZNS1_9scan_implILNS1_25lookback_scan_determinismE0ELb0ELb0ES3_PKfPffZZZN2at6native31launch_logcumsumexp_cuda_kernelERKNSB_10TensorBaseESF_lENKUlvE_clEvENKUlvE0_clEvEUlffE_fEEDaPvRmT3_T4_T5_mT6_P12ihipStream_tbENKUlT_T0_E_clISt17integral_constantIbLb1EESV_IbLb0EEEEDaSR_SS_EUlSR_E_NS1_11comp_targetILNS1_3genE8ELNS1_11target_archE1030ELNS1_3gpuE2ELNS1_3repE0EEENS1_30default_config_static_selectorELNS0_4arch9wavefront6targetE1EEEvT1_,"axG",@progbits,_ZN7rocprim17ROCPRIM_400000_NS6detail17trampoline_kernelINS0_14default_configENS1_20scan_config_selectorIfEEZZNS1_9scan_implILNS1_25lookback_scan_determinismE0ELb0ELb0ES3_PKfPffZZZN2at6native31launch_logcumsumexp_cuda_kernelERKNSB_10TensorBaseESF_lENKUlvE_clEvENKUlvE0_clEvEUlffE_fEEDaPvRmT3_T4_T5_mT6_P12ihipStream_tbENKUlT_T0_E_clISt17integral_constantIbLb1EESV_IbLb0EEEEDaSR_SS_EUlSR_E_NS1_11comp_targetILNS1_3genE8ELNS1_11target_archE1030ELNS1_3gpuE2ELNS1_3repE0EEENS1_30default_config_static_selectorELNS0_4arch9wavefront6targetE1EEEvT1_,comdat
.Lfunc_end142:
	.size	_ZN7rocprim17ROCPRIM_400000_NS6detail17trampoline_kernelINS0_14default_configENS1_20scan_config_selectorIfEEZZNS1_9scan_implILNS1_25lookback_scan_determinismE0ELb0ELb0ES3_PKfPffZZZN2at6native31launch_logcumsumexp_cuda_kernelERKNSB_10TensorBaseESF_lENKUlvE_clEvENKUlvE0_clEvEUlffE_fEEDaPvRmT3_T4_T5_mT6_P12ihipStream_tbENKUlT_T0_E_clISt17integral_constantIbLb1EESV_IbLb0EEEEDaSR_SS_EUlSR_E_NS1_11comp_targetILNS1_3genE8ELNS1_11target_archE1030ELNS1_3gpuE2ELNS1_3repE0EEENS1_30default_config_static_selectorELNS0_4arch9wavefront6targetE1EEEvT1_, .Lfunc_end142-_ZN7rocprim17ROCPRIM_400000_NS6detail17trampoline_kernelINS0_14default_configENS1_20scan_config_selectorIfEEZZNS1_9scan_implILNS1_25lookback_scan_determinismE0ELb0ELb0ES3_PKfPffZZZN2at6native31launch_logcumsumexp_cuda_kernelERKNSB_10TensorBaseESF_lENKUlvE_clEvENKUlvE0_clEvEUlffE_fEEDaPvRmT3_T4_T5_mT6_P12ihipStream_tbENKUlT_T0_E_clISt17integral_constantIbLb1EESV_IbLb0EEEEDaSR_SS_EUlSR_E_NS1_11comp_targetILNS1_3genE8ELNS1_11target_archE1030ELNS1_3gpuE2ELNS1_3repE0EEENS1_30default_config_static_selectorELNS0_4arch9wavefront6targetE1EEEvT1_
                                        ; -- End function
	.section	.AMDGPU.csdata,"",@progbits
; Kernel info:
; codeLenInByte = 0
; NumSgprs: 4
; NumVgprs: 0
; NumAgprs: 0
; TotalNumVgprs: 0
; ScratchSize: 0
; MemoryBound: 0
; FloatMode: 240
; IeeeMode: 1
; LDSByteSize: 0 bytes/workgroup (compile time only)
; SGPRBlocks: 0
; VGPRBlocks: 0
; NumSGPRsForWavesPerEU: 4
; NumVGPRsForWavesPerEU: 1
; AccumOffset: 4
; Occupancy: 8
; WaveLimiterHint : 0
; COMPUTE_PGM_RSRC2:SCRATCH_EN: 0
; COMPUTE_PGM_RSRC2:USER_SGPR: 6
; COMPUTE_PGM_RSRC2:TRAP_HANDLER: 0
; COMPUTE_PGM_RSRC2:TGID_X_EN: 1
; COMPUTE_PGM_RSRC2:TGID_Y_EN: 0
; COMPUTE_PGM_RSRC2:TGID_Z_EN: 0
; COMPUTE_PGM_RSRC2:TIDIG_COMP_CNT: 0
; COMPUTE_PGM_RSRC3_GFX90A:ACCUM_OFFSET: 0
; COMPUTE_PGM_RSRC3_GFX90A:TG_SPLIT: 0
	.section	.text._ZN7rocprim17ROCPRIM_400000_NS6detail17trampoline_kernelINS0_14default_configENS1_20scan_config_selectorIfEEZZNS1_9scan_implILNS1_25lookback_scan_determinismE0ELb0ELb0ES3_PKfPffZZZN2at6native31launch_logcumsumexp_cuda_kernelERKNSB_10TensorBaseESF_lENKUlvE_clEvENKUlvE0_clEvEUlffE_fEEDaPvRmT3_T4_T5_mT6_P12ihipStream_tbENKUlT_T0_E_clISt17integral_constantIbLb1EESV_IbLb0EEEEDaSR_SS_EUlSR_E0_NS1_11comp_targetILNS1_3genE0ELNS1_11target_archE4294967295ELNS1_3gpuE0ELNS1_3repE0EEENS1_30default_config_static_selectorELNS0_4arch9wavefront6targetE1EEEvT1_,"axG",@progbits,_ZN7rocprim17ROCPRIM_400000_NS6detail17trampoline_kernelINS0_14default_configENS1_20scan_config_selectorIfEEZZNS1_9scan_implILNS1_25lookback_scan_determinismE0ELb0ELb0ES3_PKfPffZZZN2at6native31launch_logcumsumexp_cuda_kernelERKNSB_10TensorBaseESF_lENKUlvE_clEvENKUlvE0_clEvEUlffE_fEEDaPvRmT3_T4_T5_mT6_P12ihipStream_tbENKUlT_T0_E_clISt17integral_constantIbLb1EESV_IbLb0EEEEDaSR_SS_EUlSR_E0_NS1_11comp_targetILNS1_3genE0ELNS1_11target_archE4294967295ELNS1_3gpuE0ELNS1_3repE0EEENS1_30default_config_static_selectorELNS0_4arch9wavefront6targetE1EEEvT1_,comdat
	.globl	_ZN7rocprim17ROCPRIM_400000_NS6detail17trampoline_kernelINS0_14default_configENS1_20scan_config_selectorIfEEZZNS1_9scan_implILNS1_25lookback_scan_determinismE0ELb0ELb0ES3_PKfPffZZZN2at6native31launch_logcumsumexp_cuda_kernelERKNSB_10TensorBaseESF_lENKUlvE_clEvENKUlvE0_clEvEUlffE_fEEDaPvRmT3_T4_T5_mT6_P12ihipStream_tbENKUlT_T0_E_clISt17integral_constantIbLb1EESV_IbLb0EEEEDaSR_SS_EUlSR_E0_NS1_11comp_targetILNS1_3genE0ELNS1_11target_archE4294967295ELNS1_3gpuE0ELNS1_3repE0EEENS1_30default_config_static_selectorELNS0_4arch9wavefront6targetE1EEEvT1_ ; -- Begin function _ZN7rocprim17ROCPRIM_400000_NS6detail17trampoline_kernelINS0_14default_configENS1_20scan_config_selectorIfEEZZNS1_9scan_implILNS1_25lookback_scan_determinismE0ELb0ELb0ES3_PKfPffZZZN2at6native31launch_logcumsumexp_cuda_kernelERKNSB_10TensorBaseESF_lENKUlvE_clEvENKUlvE0_clEvEUlffE_fEEDaPvRmT3_T4_T5_mT6_P12ihipStream_tbENKUlT_T0_E_clISt17integral_constantIbLb1EESV_IbLb0EEEEDaSR_SS_EUlSR_E0_NS1_11comp_targetILNS1_3genE0ELNS1_11target_archE4294967295ELNS1_3gpuE0ELNS1_3repE0EEENS1_30default_config_static_selectorELNS0_4arch9wavefront6targetE1EEEvT1_
	.p2align	8
	.type	_ZN7rocprim17ROCPRIM_400000_NS6detail17trampoline_kernelINS0_14default_configENS1_20scan_config_selectorIfEEZZNS1_9scan_implILNS1_25lookback_scan_determinismE0ELb0ELb0ES3_PKfPffZZZN2at6native31launch_logcumsumexp_cuda_kernelERKNSB_10TensorBaseESF_lENKUlvE_clEvENKUlvE0_clEvEUlffE_fEEDaPvRmT3_T4_T5_mT6_P12ihipStream_tbENKUlT_T0_E_clISt17integral_constantIbLb1EESV_IbLb0EEEEDaSR_SS_EUlSR_E0_NS1_11comp_targetILNS1_3genE0ELNS1_11target_archE4294967295ELNS1_3gpuE0ELNS1_3repE0EEENS1_30default_config_static_selectorELNS0_4arch9wavefront6targetE1EEEvT1_,@function
_ZN7rocprim17ROCPRIM_400000_NS6detail17trampoline_kernelINS0_14default_configENS1_20scan_config_selectorIfEEZZNS1_9scan_implILNS1_25lookback_scan_determinismE0ELb0ELb0ES3_PKfPffZZZN2at6native31launch_logcumsumexp_cuda_kernelERKNSB_10TensorBaseESF_lENKUlvE_clEvENKUlvE0_clEvEUlffE_fEEDaPvRmT3_T4_T5_mT6_P12ihipStream_tbENKUlT_T0_E_clISt17integral_constantIbLb1EESV_IbLb0EEEEDaSR_SS_EUlSR_E0_NS1_11comp_targetILNS1_3genE0ELNS1_11target_archE4294967295ELNS1_3gpuE0ELNS1_3repE0EEENS1_30default_config_static_selectorELNS0_4arch9wavefront6targetE1EEEvT1_: ; @_ZN7rocprim17ROCPRIM_400000_NS6detail17trampoline_kernelINS0_14default_configENS1_20scan_config_selectorIfEEZZNS1_9scan_implILNS1_25lookback_scan_determinismE0ELb0ELb0ES3_PKfPffZZZN2at6native31launch_logcumsumexp_cuda_kernelERKNSB_10TensorBaseESF_lENKUlvE_clEvENKUlvE0_clEvEUlffE_fEEDaPvRmT3_T4_T5_mT6_P12ihipStream_tbENKUlT_T0_E_clISt17integral_constantIbLb1EESV_IbLb0EEEEDaSR_SS_EUlSR_E0_NS1_11comp_targetILNS1_3genE0ELNS1_11target_archE4294967295ELNS1_3gpuE0ELNS1_3repE0EEENS1_30default_config_static_selectorELNS0_4arch9wavefront6targetE1EEEvT1_
; %bb.0:
	.section	.rodata,"a",@progbits
	.p2align	6, 0x0
	.amdhsa_kernel _ZN7rocprim17ROCPRIM_400000_NS6detail17trampoline_kernelINS0_14default_configENS1_20scan_config_selectorIfEEZZNS1_9scan_implILNS1_25lookback_scan_determinismE0ELb0ELb0ES3_PKfPffZZZN2at6native31launch_logcumsumexp_cuda_kernelERKNSB_10TensorBaseESF_lENKUlvE_clEvENKUlvE0_clEvEUlffE_fEEDaPvRmT3_T4_T5_mT6_P12ihipStream_tbENKUlT_T0_E_clISt17integral_constantIbLb1EESV_IbLb0EEEEDaSR_SS_EUlSR_E0_NS1_11comp_targetILNS1_3genE0ELNS1_11target_archE4294967295ELNS1_3gpuE0ELNS1_3repE0EEENS1_30default_config_static_selectorELNS0_4arch9wavefront6targetE1EEEvT1_
		.amdhsa_group_segment_fixed_size 0
		.amdhsa_private_segment_fixed_size 0
		.amdhsa_kernarg_size 32
		.amdhsa_user_sgpr_count 6
		.amdhsa_user_sgpr_private_segment_buffer 1
		.amdhsa_user_sgpr_dispatch_ptr 0
		.amdhsa_user_sgpr_queue_ptr 0
		.amdhsa_user_sgpr_kernarg_segment_ptr 1
		.amdhsa_user_sgpr_dispatch_id 0
		.amdhsa_user_sgpr_flat_scratch_init 0
		.amdhsa_user_sgpr_kernarg_preload_length 0
		.amdhsa_user_sgpr_kernarg_preload_offset 0
		.amdhsa_user_sgpr_private_segment_size 0
		.amdhsa_uses_dynamic_stack 0
		.amdhsa_system_sgpr_private_segment_wavefront_offset 0
		.amdhsa_system_sgpr_workgroup_id_x 1
		.amdhsa_system_sgpr_workgroup_id_y 0
		.amdhsa_system_sgpr_workgroup_id_z 0
		.amdhsa_system_sgpr_workgroup_info 0
		.amdhsa_system_vgpr_workitem_id 0
		.amdhsa_next_free_vgpr 1
		.amdhsa_next_free_sgpr 0
		.amdhsa_accum_offset 4
		.amdhsa_reserve_vcc 0
		.amdhsa_reserve_flat_scratch 0
		.amdhsa_float_round_mode_32 0
		.amdhsa_float_round_mode_16_64 0
		.amdhsa_float_denorm_mode_32 3
		.amdhsa_float_denorm_mode_16_64 3
		.amdhsa_dx10_clamp 1
		.amdhsa_ieee_mode 1
		.amdhsa_fp16_overflow 0
		.amdhsa_tg_split 0
		.amdhsa_exception_fp_ieee_invalid_op 0
		.amdhsa_exception_fp_denorm_src 0
		.amdhsa_exception_fp_ieee_div_zero 0
		.amdhsa_exception_fp_ieee_overflow 0
		.amdhsa_exception_fp_ieee_underflow 0
		.amdhsa_exception_fp_ieee_inexact 0
		.amdhsa_exception_int_div_zero 0
	.end_amdhsa_kernel
	.section	.text._ZN7rocprim17ROCPRIM_400000_NS6detail17trampoline_kernelINS0_14default_configENS1_20scan_config_selectorIfEEZZNS1_9scan_implILNS1_25lookback_scan_determinismE0ELb0ELb0ES3_PKfPffZZZN2at6native31launch_logcumsumexp_cuda_kernelERKNSB_10TensorBaseESF_lENKUlvE_clEvENKUlvE0_clEvEUlffE_fEEDaPvRmT3_T4_T5_mT6_P12ihipStream_tbENKUlT_T0_E_clISt17integral_constantIbLb1EESV_IbLb0EEEEDaSR_SS_EUlSR_E0_NS1_11comp_targetILNS1_3genE0ELNS1_11target_archE4294967295ELNS1_3gpuE0ELNS1_3repE0EEENS1_30default_config_static_selectorELNS0_4arch9wavefront6targetE1EEEvT1_,"axG",@progbits,_ZN7rocprim17ROCPRIM_400000_NS6detail17trampoline_kernelINS0_14default_configENS1_20scan_config_selectorIfEEZZNS1_9scan_implILNS1_25lookback_scan_determinismE0ELb0ELb0ES3_PKfPffZZZN2at6native31launch_logcumsumexp_cuda_kernelERKNSB_10TensorBaseESF_lENKUlvE_clEvENKUlvE0_clEvEUlffE_fEEDaPvRmT3_T4_T5_mT6_P12ihipStream_tbENKUlT_T0_E_clISt17integral_constantIbLb1EESV_IbLb0EEEEDaSR_SS_EUlSR_E0_NS1_11comp_targetILNS1_3genE0ELNS1_11target_archE4294967295ELNS1_3gpuE0ELNS1_3repE0EEENS1_30default_config_static_selectorELNS0_4arch9wavefront6targetE1EEEvT1_,comdat
.Lfunc_end143:
	.size	_ZN7rocprim17ROCPRIM_400000_NS6detail17trampoline_kernelINS0_14default_configENS1_20scan_config_selectorIfEEZZNS1_9scan_implILNS1_25lookback_scan_determinismE0ELb0ELb0ES3_PKfPffZZZN2at6native31launch_logcumsumexp_cuda_kernelERKNSB_10TensorBaseESF_lENKUlvE_clEvENKUlvE0_clEvEUlffE_fEEDaPvRmT3_T4_T5_mT6_P12ihipStream_tbENKUlT_T0_E_clISt17integral_constantIbLb1EESV_IbLb0EEEEDaSR_SS_EUlSR_E0_NS1_11comp_targetILNS1_3genE0ELNS1_11target_archE4294967295ELNS1_3gpuE0ELNS1_3repE0EEENS1_30default_config_static_selectorELNS0_4arch9wavefront6targetE1EEEvT1_, .Lfunc_end143-_ZN7rocprim17ROCPRIM_400000_NS6detail17trampoline_kernelINS0_14default_configENS1_20scan_config_selectorIfEEZZNS1_9scan_implILNS1_25lookback_scan_determinismE0ELb0ELb0ES3_PKfPffZZZN2at6native31launch_logcumsumexp_cuda_kernelERKNSB_10TensorBaseESF_lENKUlvE_clEvENKUlvE0_clEvEUlffE_fEEDaPvRmT3_T4_T5_mT6_P12ihipStream_tbENKUlT_T0_E_clISt17integral_constantIbLb1EESV_IbLb0EEEEDaSR_SS_EUlSR_E0_NS1_11comp_targetILNS1_3genE0ELNS1_11target_archE4294967295ELNS1_3gpuE0ELNS1_3repE0EEENS1_30default_config_static_selectorELNS0_4arch9wavefront6targetE1EEEvT1_
                                        ; -- End function
	.section	.AMDGPU.csdata,"",@progbits
; Kernel info:
; codeLenInByte = 0
; NumSgprs: 4
; NumVgprs: 0
; NumAgprs: 0
; TotalNumVgprs: 0
; ScratchSize: 0
; MemoryBound: 0
; FloatMode: 240
; IeeeMode: 1
; LDSByteSize: 0 bytes/workgroup (compile time only)
; SGPRBlocks: 0
; VGPRBlocks: 0
; NumSGPRsForWavesPerEU: 4
; NumVGPRsForWavesPerEU: 1
; AccumOffset: 4
; Occupancy: 8
; WaveLimiterHint : 0
; COMPUTE_PGM_RSRC2:SCRATCH_EN: 0
; COMPUTE_PGM_RSRC2:USER_SGPR: 6
; COMPUTE_PGM_RSRC2:TRAP_HANDLER: 0
; COMPUTE_PGM_RSRC2:TGID_X_EN: 1
; COMPUTE_PGM_RSRC2:TGID_Y_EN: 0
; COMPUTE_PGM_RSRC2:TGID_Z_EN: 0
; COMPUTE_PGM_RSRC2:TIDIG_COMP_CNT: 0
; COMPUTE_PGM_RSRC3_GFX90A:ACCUM_OFFSET: 0
; COMPUTE_PGM_RSRC3_GFX90A:TG_SPLIT: 0
	.section	.text._ZN7rocprim17ROCPRIM_400000_NS6detail17trampoline_kernelINS0_14default_configENS1_20scan_config_selectorIfEEZZNS1_9scan_implILNS1_25lookback_scan_determinismE0ELb0ELb0ES3_PKfPffZZZN2at6native31launch_logcumsumexp_cuda_kernelERKNSB_10TensorBaseESF_lENKUlvE_clEvENKUlvE0_clEvEUlffE_fEEDaPvRmT3_T4_T5_mT6_P12ihipStream_tbENKUlT_T0_E_clISt17integral_constantIbLb1EESV_IbLb0EEEEDaSR_SS_EUlSR_E0_NS1_11comp_targetILNS1_3genE5ELNS1_11target_archE942ELNS1_3gpuE9ELNS1_3repE0EEENS1_30default_config_static_selectorELNS0_4arch9wavefront6targetE1EEEvT1_,"axG",@progbits,_ZN7rocprim17ROCPRIM_400000_NS6detail17trampoline_kernelINS0_14default_configENS1_20scan_config_selectorIfEEZZNS1_9scan_implILNS1_25lookback_scan_determinismE0ELb0ELb0ES3_PKfPffZZZN2at6native31launch_logcumsumexp_cuda_kernelERKNSB_10TensorBaseESF_lENKUlvE_clEvENKUlvE0_clEvEUlffE_fEEDaPvRmT3_T4_T5_mT6_P12ihipStream_tbENKUlT_T0_E_clISt17integral_constantIbLb1EESV_IbLb0EEEEDaSR_SS_EUlSR_E0_NS1_11comp_targetILNS1_3genE5ELNS1_11target_archE942ELNS1_3gpuE9ELNS1_3repE0EEENS1_30default_config_static_selectorELNS0_4arch9wavefront6targetE1EEEvT1_,comdat
	.globl	_ZN7rocprim17ROCPRIM_400000_NS6detail17trampoline_kernelINS0_14default_configENS1_20scan_config_selectorIfEEZZNS1_9scan_implILNS1_25lookback_scan_determinismE0ELb0ELb0ES3_PKfPffZZZN2at6native31launch_logcumsumexp_cuda_kernelERKNSB_10TensorBaseESF_lENKUlvE_clEvENKUlvE0_clEvEUlffE_fEEDaPvRmT3_T4_T5_mT6_P12ihipStream_tbENKUlT_T0_E_clISt17integral_constantIbLb1EESV_IbLb0EEEEDaSR_SS_EUlSR_E0_NS1_11comp_targetILNS1_3genE5ELNS1_11target_archE942ELNS1_3gpuE9ELNS1_3repE0EEENS1_30default_config_static_selectorELNS0_4arch9wavefront6targetE1EEEvT1_ ; -- Begin function _ZN7rocprim17ROCPRIM_400000_NS6detail17trampoline_kernelINS0_14default_configENS1_20scan_config_selectorIfEEZZNS1_9scan_implILNS1_25lookback_scan_determinismE0ELb0ELb0ES3_PKfPffZZZN2at6native31launch_logcumsumexp_cuda_kernelERKNSB_10TensorBaseESF_lENKUlvE_clEvENKUlvE0_clEvEUlffE_fEEDaPvRmT3_T4_T5_mT6_P12ihipStream_tbENKUlT_T0_E_clISt17integral_constantIbLb1EESV_IbLb0EEEEDaSR_SS_EUlSR_E0_NS1_11comp_targetILNS1_3genE5ELNS1_11target_archE942ELNS1_3gpuE9ELNS1_3repE0EEENS1_30default_config_static_selectorELNS0_4arch9wavefront6targetE1EEEvT1_
	.p2align	8
	.type	_ZN7rocprim17ROCPRIM_400000_NS6detail17trampoline_kernelINS0_14default_configENS1_20scan_config_selectorIfEEZZNS1_9scan_implILNS1_25lookback_scan_determinismE0ELb0ELb0ES3_PKfPffZZZN2at6native31launch_logcumsumexp_cuda_kernelERKNSB_10TensorBaseESF_lENKUlvE_clEvENKUlvE0_clEvEUlffE_fEEDaPvRmT3_T4_T5_mT6_P12ihipStream_tbENKUlT_T0_E_clISt17integral_constantIbLb1EESV_IbLb0EEEEDaSR_SS_EUlSR_E0_NS1_11comp_targetILNS1_3genE5ELNS1_11target_archE942ELNS1_3gpuE9ELNS1_3repE0EEENS1_30default_config_static_selectorELNS0_4arch9wavefront6targetE1EEEvT1_,@function
_ZN7rocprim17ROCPRIM_400000_NS6detail17trampoline_kernelINS0_14default_configENS1_20scan_config_selectorIfEEZZNS1_9scan_implILNS1_25lookback_scan_determinismE0ELb0ELb0ES3_PKfPffZZZN2at6native31launch_logcumsumexp_cuda_kernelERKNSB_10TensorBaseESF_lENKUlvE_clEvENKUlvE0_clEvEUlffE_fEEDaPvRmT3_T4_T5_mT6_P12ihipStream_tbENKUlT_T0_E_clISt17integral_constantIbLb1EESV_IbLb0EEEEDaSR_SS_EUlSR_E0_NS1_11comp_targetILNS1_3genE5ELNS1_11target_archE942ELNS1_3gpuE9ELNS1_3repE0EEENS1_30default_config_static_selectorELNS0_4arch9wavefront6targetE1EEEvT1_: ; @_ZN7rocprim17ROCPRIM_400000_NS6detail17trampoline_kernelINS0_14default_configENS1_20scan_config_selectorIfEEZZNS1_9scan_implILNS1_25lookback_scan_determinismE0ELb0ELb0ES3_PKfPffZZZN2at6native31launch_logcumsumexp_cuda_kernelERKNSB_10TensorBaseESF_lENKUlvE_clEvENKUlvE0_clEvEUlffE_fEEDaPvRmT3_T4_T5_mT6_P12ihipStream_tbENKUlT_T0_E_clISt17integral_constantIbLb1EESV_IbLb0EEEEDaSR_SS_EUlSR_E0_NS1_11comp_targetILNS1_3genE5ELNS1_11target_archE942ELNS1_3gpuE9ELNS1_3repE0EEENS1_30default_config_static_selectorELNS0_4arch9wavefront6targetE1EEEvT1_
; %bb.0:
	.section	.rodata,"a",@progbits
	.p2align	6, 0x0
	.amdhsa_kernel _ZN7rocprim17ROCPRIM_400000_NS6detail17trampoline_kernelINS0_14default_configENS1_20scan_config_selectorIfEEZZNS1_9scan_implILNS1_25lookback_scan_determinismE0ELb0ELb0ES3_PKfPffZZZN2at6native31launch_logcumsumexp_cuda_kernelERKNSB_10TensorBaseESF_lENKUlvE_clEvENKUlvE0_clEvEUlffE_fEEDaPvRmT3_T4_T5_mT6_P12ihipStream_tbENKUlT_T0_E_clISt17integral_constantIbLb1EESV_IbLb0EEEEDaSR_SS_EUlSR_E0_NS1_11comp_targetILNS1_3genE5ELNS1_11target_archE942ELNS1_3gpuE9ELNS1_3repE0EEENS1_30default_config_static_selectorELNS0_4arch9wavefront6targetE1EEEvT1_
		.amdhsa_group_segment_fixed_size 0
		.amdhsa_private_segment_fixed_size 0
		.amdhsa_kernarg_size 32
		.amdhsa_user_sgpr_count 6
		.amdhsa_user_sgpr_private_segment_buffer 1
		.amdhsa_user_sgpr_dispatch_ptr 0
		.amdhsa_user_sgpr_queue_ptr 0
		.amdhsa_user_sgpr_kernarg_segment_ptr 1
		.amdhsa_user_sgpr_dispatch_id 0
		.amdhsa_user_sgpr_flat_scratch_init 0
		.amdhsa_user_sgpr_kernarg_preload_length 0
		.amdhsa_user_sgpr_kernarg_preload_offset 0
		.amdhsa_user_sgpr_private_segment_size 0
		.amdhsa_uses_dynamic_stack 0
		.amdhsa_system_sgpr_private_segment_wavefront_offset 0
		.amdhsa_system_sgpr_workgroup_id_x 1
		.amdhsa_system_sgpr_workgroup_id_y 0
		.amdhsa_system_sgpr_workgroup_id_z 0
		.amdhsa_system_sgpr_workgroup_info 0
		.amdhsa_system_vgpr_workitem_id 0
		.amdhsa_next_free_vgpr 1
		.amdhsa_next_free_sgpr 0
		.amdhsa_accum_offset 4
		.amdhsa_reserve_vcc 0
		.amdhsa_reserve_flat_scratch 0
		.amdhsa_float_round_mode_32 0
		.amdhsa_float_round_mode_16_64 0
		.amdhsa_float_denorm_mode_32 3
		.amdhsa_float_denorm_mode_16_64 3
		.amdhsa_dx10_clamp 1
		.amdhsa_ieee_mode 1
		.amdhsa_fp16_overflow 0
		.amdhsa_tg_split 0
		.amdhsa_exception_fp_ieee_invalid_op 0
		.amdhsa_exception_fp_denorm_src 0
		.amdhsa_exception_fp_ieee_div_zero 0
		.amdhsa_exception_fp_ieee_overflow 0
		.amdhsa_exception_fp_ieee_underflow 0
		.amdhsa_exception_fp_ieee_inexact 0
		.amdhsa_exception_int_div_zero 0
	.end_amdhsa_kernel
	.section	.text._ZN7rocprim17ROCPRIM_400000_NS6detail17trampoline_kernelINS0_14default_configENS1_20scan_config_selectorIfEEZZNS1_9scan_implILNS1_25lookback_scan_determinismE0ELb0ELb0ES3_PKfPffZZZN2at6native31launch_logcumsumexp_cuda_kernelERKNSB_10TensorBaseESF_lENKUlvE_clEvENKUlvE0_clEvEUlffE_fEEDaPvRmT3_T4_T5_mT6_P12ihipStream_tbENKUlT_T0_E_clISt17integral_constantIbLb1EESV_IbLb0EEEEDaSR_SS_EUlSR_E0_NS1_11comp_targetILNS1_3genE5ELNS1_11target_archE942ELNS1_3gpuE9ELNS1_3repE0EEENS1_30default_config_static_selectorELNS0_4arch9wavefront6targetE1EEEvT1_,"axG",@progbits,_ZN7rocprim17ROCPRIM_400000_NS6detail17trampoline_kernelINS0_14default_configENS1_20scan_config_selectorIfEEZZNS1_9scan_implILNS1_25lookback_scan_determinismE0ELb0ELb0ES3_PKfPffZZZN2at6native31launch_logcumsumexp_cuda_kernelERKNSB_10TensorBaseESF_lENKUlvE_clEvENKUlvE0_clEvEUlffE_fEEDaPvRmT3_T4_T5_mT6_P12ihipStream_tbENKUlT_T0_E_clISt17integral_constantIbLb1EESV_IbLb0EEEEDaSR_SS_EUlSR_E0_NS1_11comp_targetILNS1_3genE5ELNS1_11target_archE942ELNS1_3gpuE9ELNS1_3repE0EEENS1_30default_config_static_selectorELNS0_4arch9wavefront6targetE1EEEvT1_,comdat
.Lfunc_end144:
	.size	_ZN7rocprim17ROCPRIM_400000_NS6detail17trampoline_kernelINS0_14default_configENS1_20scan_config_selectorIfEEZZNS1_9scan_implILNS1_25lookback_scan_determinismE0ELb0ELb0ES3_PKfPffZZZN2at6native31launch_logcumsumexp_cuda_kernelERKNSB_10TensorBaseESF_lENKUlvE_clEvENKUlvE0_clEvEUlffE_fEEDaPvRmT3_T4_T5_mT6_P12ihipStream_tbENKUlT_T0_E_clISt17integral_constantIbLb1EESV_IbLb0EEEEDaSR_SS_EUlSR_E0_NS1_11comp_targetILNS1_3genE5ELNS1_11target_archE942ELNS1_3gpuE9ELNS1_3repE0EEENS1_30default_config_static_selectorELNS0_4arch9wavefront6targetE1EEEvT1_, .Lfunc_end144-_ZN7rocprim17ROCPRIM_400000_NS6detail17trampoline_kernelINS0_14default_configENS1_20scan_config_selectorIfEEZZNS1_9scan_implILNS1_25lookback_scan_determinismE0ELb0ELb0ES3_PKfPffZZZN2at6native31launch_logcumsumexp_cuda_kernelERKNSB_10TensorBaseESF_lENKUlvE_clEvENKUlvE0_clEvEUlffE_fEEDaPvRmT3_T4_T5_mT6_P12ihipStream_tbENKUlT_T0_E_clISt17integral_constantIbLb1EESV_IbLb0EEEEDaSR_SS_EUlSR_E0_NS1_11comp_targetILNS1_3genE5ELNS1_11target_archE942ELNS1_3gpuE9ELNS1_3repE0EEENS1_30default_config_static_selectorELNS0_4arch9wavefront6targetE1EEEvT1_
                                        ; -- End function
	.section	.AMDGPU.csdata,"",@progbits
; Kernel info:
; codeLenInByte = 0
; NumSgprs: 4
; NumVgprs: 0
; NumAgprs: 0
; TotalNumVgprs: 0
; ScratchSize: 0
; MemoryBound: 0
; FloatMode: 240
; IeeeMode: 1
; LDSByteSize: 0 bytes/workgroup (compile time only)
; SGPRBlocks: 0
; VGPRBlocks: 0
; NumSGPRsForWavesPerEU: 4
; NumVGPRsForWavesPerEU: 1
; AccumOffset: 4
; Occupancy: 8
; WaveLimiterHint : 0
; COMPUTE_PGM_RSRC2:SCRATCH_EN: 0
; COMPUTE_PGM_RSRC2:USER_SGPR: 6
; COMPUTE_PGM_RSRC2:TRAP_HANDLER: 0
; COMPUTE_PGM_RSRC2:TGID_X_EN: 1
; COMPUTE_PGM_RSRC2:TGID_Y_EN: 0
; COMPUTE_PGM_RSRC2:TGID_Z_EN: 0
; COMPUTE_PGM_RSRC2:TIDIG_COMP_CNT: 0
; COMPUTE_PGM_RSRC3_GFX90A:ACCUM_OFFSET: 0
; COMPUTE_PGM_RSRC3_GFX90A:TG_SPLIT: 0
	.section	.text._ZN7rocprim17ROCPRIM_400000_NS6detail17trampoline_kernelINS0_14default_configENS1_20scan_config_selectorIfEEZZNS1_9scan_implILNS1_25lookback_scan_determinismE0ELb0ELb0ES3_PKfPffZZZN2at6native31launch_logcumsumexp_cuda_kernelERKNSB_10TensorBaseESF_lENKUlvE_clEvENKUlvE0_clEvEUlffE_fEEDaPvRmT3_T4_T5_mT6_P12ihipStream_tbENKUlT_T0_E_clISt17integral_constantIbLb1EESV_IbLb0EEEEDaSR_SS_EUlSR_E0_NS1_11comp_targetILNS1_3genE4ELNS1_11target_archE910ELNS1_3gpuE8ELNS1_3repE0EEENS1_30default_config_static_selectorELNS0_4arch9wavefront6targetE1EEEvT1_,"axG",@progbits,_ZN7rocprim17ROCPRIM_400000_NS6detail17trampoline_kernelINS0_14default_configENS1_20scan_config_selectorIfEEZZNS1_9scan_implILNS1_25lookback_scan_determinismE0ELb0ELb0ES3_PKfPffZZZN2at6native31launch_logcumsumexp_cuda_kernelERKNSB_10TensorBaseESF_lENKUlvE_clEvENKUlvE0_clEvEUlffE_fEEDaPvRmT3_T4_T5_mT6_P12ihipStream_tbENKUlT_T0_E_clISt17integral_constantIbLb1EESV_IbLb0EEEEDaSR_SS_EUlSR_E0_NS1_11comp_targetILNS1_3genE4ELNS1_11target_archE910ELNS1_3gpuE8ELNS1_3repE0EEENS1_30default_config_static_selectorELNS0_4arch9wavefront6targetE1EEEvT1_,comdat
	.globl	_ZN7rocprim17ROCPRIM_400000_NS6detail17trampoline_kernelINS0_14default_configENS1_20scan_config_selectorIfEEZZNS1_9scan_implILNS1_25lookback_scan_determinismE0ELb0ELb0ES3_PKfPffZZZN2at6native31launch_logcumsumexp_cuda_kernelERKNSB_10TensorBaseESF_lENKUlvE_clEvENKUlvE0_clEvEUlffE_fEEDaPvRmT3_T4_T5_mT6_P12ihipStream_tbENKUlT_T0_E_clISt17integral_constantIbLb1EESV_IbLb0EEEEDaSR_SS_EUlSR_E0_NS1_11comp_targetILNS1_3genE4ELNS1_11target_archE910ELNS1_3gpuE8ELNS1_3repE0EEENS1_30default_config_static_selectorELNS0_4arch9wavefront6targetE1EEEvT1_ ; -- Begin function _ZN7rocprim17ROCPRIM_400000_NS6detail17trampoline_kernelINS0_14default_configENS1_20scan_config_selectorIfEEZZNS1_9scan_implILNS1_25lookback_scan_determinismE0ELb0ELb0ES3_PKfPffZZZN2at6native31launch_logcumsumexp_cuda_kernelERKNSB_10TensorBaseESF_lENKUlvE_clEvENKUlvE0_clEvEUlffE_fEEDaPvRmT3_T4_T5_mT6_P12ihipStream_tbENKUlT_T0_E_clISt17integral_constantIbLb1EESV_IbLb0EEEEDaSR_SS_EUlSR_E0_NS1_11comp_targetILNS1_3genE4ELNS1_11target_archE910ELNS1_3gpuE8ELNS1_3repE0EEENS1_30default_config_static_selectorELNS0_4arch9wavefront6targetE1EEEvT1_
	.p2align	8
	.type	_ZN7rocprim17ROCPRIM_400000_NS6detail17trampoline_kernelINS0_14default_configENS1_20scan_config_selectorIfEEZZNS1_9scan_implILNS1_25lookback_scan_determinismE0ELb0ELb0ES3_PKfPffZZZN2at6native31launch_logcumsumexp_cuda_kernelERKNSB_10TensorBaseESF_lENKUlvE_clEvENKUlvE0_clEvEUlffE_fEEDaPvRmT3_T4_T5_mT6_P12ihipStream_tbENKUlT_T0_E_clISt17integral_constantIbLb1EESV_IbLb0EEEEDaSR_SS_EUlSR_E0_NS1_11comp_targetILNS1_3genE4ELNS1_11target_archE910ELNS1_3gpuE8ELNS1_3repE0EEENS1_30default_config_static_selectorELNS0_4arch9wavefront6targetE1EEEvT1_,@function
_ZN7rocprim17ROCPRIM_400000_NS6detail17trampoline_kernelINS0_14default_configENS1_20scan_config_selectorIfEEZZNS1_9scan_implILNS1_25lookback_scan_determinismE0ELb0ELb0ES3_PKfPffZZZN2at6native31launch_logcumsumexp_cuda_kernelERKNSB_10TensorBaseESF_lENKUlvE_clEvENKUlvE0_clEvEUlffE_fEEDaPvRmT3_T4_T5_mT6_P12ihipStream_tbENKUlT_T0_E_clISt17integral_constantIbLb1EESV_IbLb0EEEEDaSR_SS_EUlSR_E0_NS1_11comp_targetILNS1_3genE4ELNS1_11target_archE910ELNS1_3gpuE8ELNS1_3repE0EEENS1_30default_config_static_selectorELNS0_4arch9wavefront6targetE1EEEvT1_: ; @_ZN7rocprim17ROCPRIM_400000_NS6detail17trampoline_kernelINS0_14default_configENS1_20scan_config_selectorIfEEZZNS1_9scan_implILNS1_25lookback_scan_determinismE0ELb0ELb0ES3_PKfPffZZZN2at6native31launch_logcumsumexp_cuda_kernelERKNSB_10TensorBaseESF_lENKUlvE_clEvENKUlvE0_clEvEUlffE_fEEDaPvRmT3_T4_T5_mT6_P12ihipStream_tbENKUlT_T0_E_clISt17integral_constantIbLb1EESV_IbLb0EEEEDaSR_SS_EUlSR_E0_NS1_11comp_targetILNS1_3genE4ELNS1_11target_archE910ELNS1_3gpuE8ELNS1_3repE0EEENS1_30default_config_static_selectorELNS0_4arch9wavefront6targetE1EEEvT1_
; %bb.0:
	s_load_dwordx4 s[28:31], s[4:5], 0x0
	v_lshlrev_b32_e32 v18, 2, v0
	s_waitcnt lgkmcnt(0)
	s_load_dword s26, s[28:29], 0x0
	v_cmp_gt_u32_e32 vcc, s30, v0
	s_waitcnt lgkmcnt(0)
	v_mov_b32_e32 v1, s26
	s_and_saveexec_b64 s[0:1], vcc
	s_cbranch_execz .LBB145_2
; %bb.1:
	global_load_dword v1, v18, s[28:29]
.LBB145_2:
	s_or_b64 exec, exec, s[0:1]
	v_or_b32_e32 v2, 0x80, v0
	v_cmp_gt_u32_e64 s[0:1], s30, v2
	v_mov_b32_e32 v2, s26
	s_and_saveexec_b64 s[2:3], s[0:1]
	s_cbranch_execz .LBB145_4
; %bb.3:
	global_load_dword v2, v18, s[28:29] offset:512
.LBB145_4:
	s_or_b64 exec, exec, s[2:3]
	v_or_b32_e32 v3, 0x100, v0
	v_cmp_gt_u32_e64 s[2:3], s30, v3
	v_mov_b32_e32 v3, s26
	s_and_saveexec_b64 s[6:7], s[2:3]
	s_cbranch_execz .LBB145_6
; %bb.5:
	global_load_dword v3, v18, s[28:29] offset:1024
.LBB145_6:
	;; [unrolled: 9-line block ×7, first 2 shown]
	s_or_b64 exec, exec, s[14:15]
	v_or_b32_e32 v10, 0x400, v0
	v_cmp_gt_u32_e64 s[14:15], s30, v10
	v_mov_b32_e32 v9, s26
	s_and_saveexec_b64 s[16:17], s[14:15]
	s_cbranch_execz .LBB145_18
; %bb.17:
	v_lshlrev_b32_e32 v9, 2, v10
	global_load_dword v9, v9, s[28:29]
.LBB145_18:
	s_or_b64 exec, exec, s[16:17]
	v_or_b32_e32 v11, 0x480, v0
	v_cmp_gt_u32_e64 s[16:17], s30, v11
	v_mov_b32_e32 v10, s26
	s_and_saveexec_b64 s[18:19], s[16:17]
	s_cbranch_execz .LBB145_20
; %bb.19:
	v_lshlrev_b32_e32 v10, 2, v11
	global_load_dword v10, v10, s[28:29]
.LBB145_20:
	;; [unrolled: 10-line block ×6, first 2 shown]
	s_or_b64 exec, exec, s[26:27]
	s_waitcnt vmcnt(0)
	ds_write2st64_b32 v18, v1, v2 offset1:2
	ds_write2st64_b32 v18, v3, v4 offset0:4 offset1:6
	ds_write2st64_b32 v18, v5, v6 offset0:8 offset1:10
	ds_write2st64_b32 v18, v7, v8 offset0:12 offset1:14
	ds_write2st64_b32 v18, v9, v10 offset0:16 offset1:18
	ds_write2st64_b32 v18, v11, v12 offset0:20 offset1:22
	ds_write2st64_b32 v18, v13, v14 offset0:24 offset1:26
	v_mad_u32_u24 v1, v0, 52, v18
	s_waitcnt lgkmcnt(0)
	s_barrier
	ds_read2_b64 v[2:5], v1 offset1:1
	ds_read2_b64 v[10:13], v1 offset0:2 offset1:3
	ds_read2_b64 v[6:9], v1 offset0:4 offset1:5
	ds_read_b64 v[14:15], v1 offset:48
	s_movk_i32 s33, 0x1f8
	s_waitcnt lgkmcnt(3)
	v_max_f32_e32 v24, v3, v3
	v_max_f32_e32 v33, v2, v2
	v_min_f32_e32 v31, v33, v24
	v_cmp_u_f32_e64 s[54:55], v2, v2
	v_cndmask_b32_e64 v1, v31, v2, s[54:55]
	v_cmp_u_f32_e64 s[26:27], v3, v3
	v_max_f32_e32 v32, v33, v24
	v_cndmask_b32_e64 v16, v1, v3, s[26:27]
	v_cndmask_b32_e64 v1, v32, v2, s[54:55]
	;; [unrolled: 1-line block ×3, first 2 shown]
	v_cmp_neq_f32_e64 s[28:29], v16, v1
	v_cmp_class_f32_e64 s[30:31], v16, s33
	s_or_b64 s[28:29], s[28:29], s[30:31]
	v_mov_b32_e32 v34, v2
	s_waitcnt lgkmcnt(0)
	s_barrier
	s_and_saveexec_b64 s[30:31], s[28:29]
	s_cbranch_execz .LBB145_30
; %bb.29:
	v_sub_f32_e32 v16, v16, v1
	s_mov_b32 s28, 0x3fb8aa3b
	v_mul_f32_e32 v17, 0x3fb8aa3b, v16
	v_fma_f32 v19, v16, s28, -v17
	v_rndne_f32_e32 v20, v17
	v_fmac_f32_e32 v19, 0x32a5705f, v16
	v_sub_f32_e32 v17, v17, v20
	v_add_f32_e32 v17, v17, v19
	v_exp_f32_e32 v17, v17
	v_cvt_i32_f32_e32 v19, v20
	s_mov_b32 s28, 0xc2ce8ed0
	v_cmp_ngt_f32_e64 s[28:29], s28, v16
	s_mov_b32 s34, 0x7f800000
	v_ldexp_f32 v17, v17, v19
	v_cndmask_b32_e64 v17, 0, v17, s[28:29]
	s_mov_b32 s28, 0x42b17218
	v_mov_b32_e32 v19, 0x7f800000
	v_cmp_nlt_f32_e64 s[28:29], s28, v16
	v_cndmask_b32_e64 v25, v19, v17, s[28:29]
	v_add_f32_e32 v19, 1.0, v25
	v_add_f32_e32 v16, -1.0, v19
	v_sub_f32_e32 v17, v16, v19
	v_add_f32_e32 v17, 1.0, v17
	v_sub_f32_e32 v16, v25, v16
	v_add_f32_e32 v20, v16, v17
	v_frexp_mant_f32_e32 v21, v19
	s_mov_b32 s28, 0x3f2aaaab
	v_cvt_f64_f32_e32 v[16:17], v19
	v_frexp_exp_i32_f64_e32 v16, v[16:17]
	v_cmp_gt_f32_e64 s[28:29], s28, v21
	v_subbrev_co_u32_e64 v28, s[28:29], 0, v16, s[28:29]
	v_sub_u32_e32 v16, 0, v28
	v_ldexp_f32 v17, v19, v16
	v_add_f32_e32 v19, -1.0, v17
	v_add_f32_e32 v21, 1.0, v17
	v_ldexp_f32 v16, v20, v16
	v_add_f32_e32 v20, 1.0, v19
	v_add_f32_e32 v22, -1.0, v21
	v_sub_f32_e32 v20, v17, v20
	v_sub_f32_e32 v17, v17, v22
	v_add_f32_e32 v20, v16, v20
	v_add_f32_e32 v16, v16, v17
	v_add_f32_e32 v29, v21, v16
	v_rcp_f32_e32 v34, v29
	v_sub_f32_e32 v17, v21, v29
	v_add_f32_e32 v30, v16, v17
	v_add_f32_e32 v17, v19, v20
	v_sub_f32_e32 v16, v19, v17
	v_mul_f32_e32 v35, v17, v34
	v_add_f32_e32 v19, v20, v16
	v_mul_f32_e32 v20, v29, v35
	v_fma_f32 v22, v35, v29, -v20
	v_fmac_f32_e32 v22, v35, v30
	v_add_f32_e32 v16, v20, v22
	v_sub_f32_e32 v21, v17, v16
	v_pk_add_f32 v[26:27], v[16:17], v[20:21] neg_lo:[0,1] neg_hi:[0,1]
	v_mov_b32_e32 v23, v16
	v_pk_add_f32 v[16:17], v[26:27], v[22:23] neg_lo:[0,1] neg_hi:[0,1]
	v_add_f32_e32 v17, v19, v17
	v_add_f32_e32 v16, v16, v17
	;; [unrolled: 1-line block ×3, first 2 shown]
	v_mul_f32_e32 v19, v34, v17
	v_mul_f32_e32 v20, v29, v19
	v_fma_f32 v22, v19, v29, -v20
	v_fmac_f32_e32 v22, v19, v30
	v_sub_f32_e32 v21, v21, v17
	v_add_f32_e32 v29, v16, v21
	v_add_f32_e32 v16, v20, v22
	v_sub_f32_e32 v21, v17, v16
	v_pk_add_f32 v[26:27], v[16:17], v[20:21] neg_lo:[0,1] neg_hi:[0,1]
	v_mov_b32_e32 v23, v16
	v_pk_add_f32 v[16:17], v[26:27], v[22:23] neg_lo:[0,1] neg_hi:[0,1]
	v_add_f32_e32 v17, v29, v17
	v_add_f32_e32 v16, v16, v17
	;; [unrolled: 1-line block ×4, first 2 shown]
	v_sub_f32_e32 v17, v21, v35
	v_mul_f32_e32 v16, v34, v16
	v_sub_f32_e32 v17, v19, v17
	v_add_f32_e32 v16, v17, v16
	v_add_f32_e32 v19, v21, v16
	v_mul_f32_e32 v22, v19, v19
	v_mov_b32_e32 v20, 0x3ecc95a3
	v_fmac_f32_e32 v20, 0x3e9b6dac, v22
	v_mov_b32_e32 v17, 0x3f2aaada
	v_fmac_f32_e32 v17, v22, v20
	v_cvt_f32_i32_e32 v20, v28
	v_sub_f32_e32 v21, v19, v21
	v_sub_f32_e32 v16, v16, v21
	v_ldexp_f32 v26, v16, 1
	v_mul_f32_e32 v21, v19, v22
	v_mov_b32_e32 v16, 0x3f317218
	s_mov_b32 s28, 0x3f317218
	v_pk_mul_f32 v[16:17], v[20:21], v[16:17]
	v_fma_f32 v22, v20, s28, -v16
	v_ldexp_f32 v23, v19, 1
	v_fmac_f32_e32 v22, 0xb102e308, v20
	v_pk_add_f32 v[20:21], v[16:17], v[22:23]
	v_sub_f32_e32 v19, v21, v23
	v_sub_f32_e32 v19, v17, v19
	v_add_f32_e32 v27, v26, v19
	v_mov_b32_e32 v26, v16
	v_pk_add_f32 v[16:17], v[20:21], v[16:17] neg_lo:[0,1] neg_hi:[0,1]
	v_pk_add_f32 v[28:29], v[20:21], v[26:27]
	v_mov_b32_e32 v17, v29
	v_mov_b32_e32 v23, v20
	v_pk_add_f32 v[34:35], v[22:23], v[16:17] neg_lo:[0,1] neg_hi:[0,1]
	v_pk_add_f32 v[16:17], v[22:23], v[16:17]
	v_mov_b32_e32 v22, v17
	v_pk_add_f32 v[36:37], v[22:23], v[20:21] neg_lo:[0,1] neg_hi:[0,1]
	v_mov_b32_e32 v19, v36
	v_pk_add_f32 v[38:39], v[28:29], v[18:19] neg_lo:[0,1] neg_hi:[0,1]
	v_mov_b32_e32 v16, v29
	v_mov_b32_e32 v28, v21
	;; [unrolled: 1-line block ×4, first 2 shown]
	v_pk_add_f32 v[16:17], v[16:17], v[28:29] neg_lo:[0,1] neg_hi:[0,1]
	v_mov_b32_e32 v26, v27
	v_mov_b32_e32 v27, v20
	v_pk_add_f32 v[16:17], v[26:27], v[16:17] neg_lo:[0,1] neg_hi:[0,1]
	v_mov_b32_e32 v38, v34
	v_pk_add_f32 v[20:21], v[38:39], v[16:17]
	v_mov_b32_e32 v26, v21
	v_pk_add_f32 v[26:27], v[20:21], v[26:27]
	v_pk_add_f32 v[22:23], v[22:23], v[26:27]
	v_mov_b32_e32 v21, v22
	v_pk_add_f32 v[28:29], v[20:21], v[34:35] neg_lo:[0,1] neg_hi:[0,1]
	v_mov_b32_e32 v17, v26
	v_sub_f32_e32 v19, v20, v28
	v_pk_add_f32 v[16:17], v[16:17], v[28:29] neg_lo:[0,1] neg_hi:[0,1]
	v_sub_f32_e32 v19, v34, v19
	v_add_f32_e32 v16, v16, v19
	v_cmp_eq_f32_e64 s[28:29], s34, v25
	s_mov_b32 s34, 0x33800000
	v_add_f32_e32 v16, v16, v17
	v_cmp_lt_f32_e64 s[34:35], |v25|, s34
	v_add_f32_e32 v16, v22, v16
	s_or_b64 s[28:29], s[28:29], s[34:35]
	v_cndmask_b32_e64 v16, v16, v25, s[28:29]
	v_add_f32_e32 v34, v1, v16
.LBB145_30:
	s_or_b64 exec, exec, s[30:31]
	v_max_f32_e32 v16, v34, v34
	v_max_f32_e32 v1, v4, v4
	v_min_f32_e32 v17, v16, v1
	v_cmp_u_f32_e64 s[30:31], v34, v34
	v_max_f32_e32 v16, v16, v1
	v_cndmask_b32_e64 v17, v17, v34, s[30:31]
	v_cmp_u_f32_e64 s[28:29], v4, v4
	v_cndmask_b32_e64 v16, v16, v34, s[30:31]
	v_cndmask_b32_e64 v17, v17, v4, s[28:29]
	;; [unrolled: 1-line block ×3, first 2 shown]
	v_cmp_neq_f32_e64 s[30:31], v17, v16
	v_cmp_class_f32_e64 s[34:35], v17, s33
	s_or_b64 s[30:31], s[30:31], s[34:35]
	s_and_saveexec_b64 s[34:35], s[30:31]
	s_cbranch_execz .LBB145_32
; %bb.31:
	v_sub_f32_e32 v17, v17, v16
	s_mov_b32 s30, 0x3fb8aa3b
	v_mul_f32_e32 v19, 0x3fb8aa3b, v17
	v_fma_f32 v20, v17, s30, -v19
	v_rndne_f32_e32 v21, v19
	v_fmac_f32_e32 v20, 0x32a5705f, v17
	v_sub_f32_e32 v19, v19, v21
	v_add_f32_e32 v19, v19, v20
	v_exp_f32_e32 v19, v19
	v_cvt_i32_f32_e32 v20, v21
	s_mov_b32 s30, 0xc2ce8ed0
	v_cmp_ngt_f32_e64 s[30:31], s30, v17
	s_mov_b32 s33, 0x7f800000
	v_ldexp_f32 v19, v19, v20
	v_cndmask_b32_e64 v19, 0, v19, s[30:31]
	s_mov_b32 s30, 0x42b17218
	v_mov_b32_e32 v20, 0x7f800000
	v_cmp_nlt_f32_e64 s[30:31], s30, v17
	v_cndmask_b32_e64 v19, v20, v19, s[30:31]
	v_add_f32_e32 v17, 1.0, v19
	v_add_f32_e32 v20, -1.0, v17
	v_sub_f32_e32 v21, v20, v17
	v_add_f32_e32 v21, 1.0, v21
	v_sub_f32_e32 v20, v19, v20
	v_add_f32_e32 v22, v20, v21
	v_frexp_mant_f32_e32 v23, v17
	s_mov_b32 s30, 0x3f2aaaab
	v_cvt_f64_f32_e32 v[20:21], v17
	v_frexp_exp_i32_f64_e32 v20, v[20:21]
	v_cmp_gt_f32_e64 s[30:31], s30, v23
	v_subbrev_co_u32_e64 v25, s[30:31], 0, v20, s[30:31]
	v_sub_u32_e32 v20, 0, v25
	v_ldexp_f32 v17, v17, v20
	v_ldexp_f32 v20, v22, v20
	v_add_f32_e32 v22, -1.0, v17
	v_add_f32_e32 v21, 1.0, v22
	v_sub_f32_e32 v21, v17, v21
	v_add_f32_e32 v23, v20, v21
	v_add_f32_e32 v21, 1.0, v17
	v_add_f32_e32 v26, -1.0, v21
	v_sub_f32_e32 v17, v17, v26
	v_add_f32_e32 v17, v20, v17
	v_add_f32_e32 v30, v21, v17
	v_rcp_f32_e32 v34, v30
	v_sub_f32_e32 v20, v21, v30
	v_add_f32_e32 v21, v22, v23
	v_add_f32_e32 v17, v17, v20
	v_mul_f32_e32 v36, v21, v34
	v_sub_f32_e32 v20, v22, v21
	v_mul_f32_e32 v22, v30, v36
	v_fma_f32 v26, v36, v30, -v22
	v_fmac_f32_e32 v26, v36, v17
	v_add_f32_e32 v35, v23, v20
	v_add_f32_e32 v20, v22, v26
	v_sub_f32_e32 v23, v21, v20
	v_pk_add_f32 v[28:29], v[20:21], v[22:23] neg_lo:[0,1] neg_hi:[0,1]
	v_mov_b32_e32 v27, v20
	v_pk_add_f32 v[20:21], v[28:29], v[26:27] neg_lo:[0,1] neg_hi:[0,1]
	v_add_f32_e32 v21, v35, v21
	v_add_f32_e32 v20, v20, v21
	;; [unrolled: 1-line block ×3, first 2 shown]
	v_mul_f32_e32 v35, v34, v21
	v_mul_f32_e32 v22, v30, v35
	v_fma_f32 v26, v35, v30, -v22
	v_fmac_f32_e32 v26, v35, v17
	v_sub_f32_e32 v17, v23, v21
	v_add_f32_e32 v17, v20, v17
	v_add_f32_e32 v20, v22, v26
	v_sub_f32_e32 v23, v21, v20
	v_pk_add_f32 v[28:29], v[20:21], v[22:23] neg_lo:[0,1] neg_hi:[0,1]
	v_mov_b32_e32 v27, v20
	v_pk_add_f32 v[20:21], v[28:29], v[26:27] neg_lo:[0,1] neg_hi:[0,1]
	v_add_f32_e32 v17, v17, v21
	v_add_f32_e32 v17, v20, v17
	;; [unrolled: 1-line block ×4, first 2 shown]
	v_sub_f32_e32 v21, v20, v36
	v_mul_f32_e32 v17, v34, v17
	v_sub_f32_e32 v21, v35, v21
	v_add_f32_e32 v17, v21, v17
	v_add_f32_e32 v23, v20, v17
	v_mul_f32_e32 v26, v23, v23
	v_mov_b32_e32 v22, 0x3ecc95a3
	v_fmac_f32_e32 v22, 0x3e9b6dac, v26
	v_mov_b32_e32 v21, 0x3f2aaada
	v_fmac_f32_e32 v21, v26, v22
	v_cvt_f32_i32_e32 v22, v25
	v_sub_f32_e32 v20, v23, v20
	v_sub_f32_e32 v17, v17, v20
	v_ldexp_f32 v27, v23, 1
	v_mul_f32_e32 v23, v23, v26
	v_mov_b32_e32 v20, 0x3f317218
	s_mov_b32 s30, 0x3f317218
	v_pk_mul_f32 v[20:21], v[22:23], v[20:21]
	v_fma_f32 v26, v22, s30, -v20
	v_fmac_f32_e32 v26, 0xb102e308, v22
	v_pk_add_f32 v[22:23], v[20:21], v[26:27]
	v_sub_f32_e32 v25, v23, v27
	v_ldexp_f32 v17, v17, 1
	v_sub_f32_e32 v25, v21, v25
	v_add_f32_e32 v29, v17, v25
	v_mov_b32_e32 v28, v20
	v_pk_add_f32 v[20:21], v[22:23], v[20:21] neg_lo:[0,1] neg_hi:[0,1]
	v_pk_add_f32 v[34:35], v[22:23], v[28:29]
	v_mov_b32_e32 v21, v35
	v_mov_b32_e32 v27, v22
	v_pk_add_f32 v[36:37], v[26:27], v[20:21] neg_lo:[0,1] neg_hi:[0,1]
	v_pk_add_f32 v[20:21], v[26:27], v[20:21]
	v_mov_b32_e32 v26, v21
	v_pk_add_f32 v[38:39], v[26:27], v[22:23] neg_lo:[0,1] neg_hi:[0,1]
	v_mov_b32_e32 v17, v38
	v_pk_add_f32 v[40:41], v[34:35], v[16:17] neg_lo:[0,1] neg_hi:[0,1]
	v_mov_b32_e32 v20, v35
	v_mov_b32_e32 v34, v23
	;; [unrolled: 1-line block ×4, first 2 shown]
	v_pk_add_f32 v[20:21], v[20:21], v[34:35] neg_lo:[0,1] neg_hi:[0,1]
	v_mov_b32_e32 v28, v29
	v_mov_b32_e32 v29, v22
	v_pk_add_f32 v[20:21], v[28:29], v[20:21] neg_lo:[0,1] neg_hi:[0,1]
	v_mov_b32_e32 v40, v36
	v_pk_add_f32 v[22:23], v[40:41], v[20:21]
	v_mov_b32_e32 v28, v23
	v_pk_add_f32 v[28:29], v[22:23], v[28:29]
	v_pk_add_f32 v[26:27], v[26:27], v[28:29]
	v_mov_b32_e32 v23, v26
	v_pk_add_f32 v[34:35], v[22:23], v[36:37] neg_lo:[0,1] neg_hi:[0,1]
	v_mov_b32_e32 v21, v28
	v_sub_f32_e32 v17, v22, v34
	v_pk_add_f32 v[20:21], v[20:21], v[34:35] neg_lo:[0,1] neg_hi:[0,1]
	v_sub_f32_e32 v17, v36, v17
	v_add_f32_e32 v17, v20, v17
	v_cmp_eq_f32_e64 s[30:31], s33, v19
	s_mov_b32 s33, 0x33800000
	v_add_f32_e32 v17, v17, v21
	v_cmp_lt_f32_e64 s[36:37], |v19|, s33
	v_add_f32_e32 v17, v26, v17
	s_or_b64 s[30:31], s[30:31], s[36:37]
	v_cndmask_b32_e64 v17, v17, v19, s[30:31]
	v_add_f32_e32 v34, v16, v17
.LBB145_32:
	s_or_b64 exec, exec, s[34:35]
	v_max_f32_e32 v16, v34, v34
	v_max_f32_e32 v19, v5, v5
	v_min_f32_e32 v17, v16, v19
	v_cmp_u_f32_e64 s[34:35], v34, v34
	v_max_f32_e32 v16, v16, v19
	v_cndmask_b32_e64 v17, v17, v34, s[34:35]
	v_cmp_u_f32_e64 s[30:31], v5, v5
	v_cndmask_b32_e64 v16, v16, v34, s[34:35]
	v_cndmask_b32_e64 v17, v17, v5, s[30:31]
	;; [unrolled: 1-line block ×3, first 2 shown]
	s_movk_i32 s33, 0x1f8
	v_cmp_neq_f32_e64 s[34:35], v17, v16
	v_cmp_class_f32_e64 s[36:37], v17, s33
	s_or_b64 s[34:35], s[34:35], s[36:37]
	s_and_saveexec_b64 s[36:37], s[34:35]
	s_cbranch_execz .LBB145_34
; %bb.33:
	v_sub_f32_e32 v17, v17, v16
	s_mov_b32 s34, 0x3fb8aa3b
	v_mul_f32_e32 v20, 0x3fb8aa3b, v17
	v_fma_f32 v21, v17, s34, -v20
	v_rndne_f32_e32 v22, v20
	v_fmac_f32_e32 v21, 0x32a5705f, v17
	v_sub_f32_e32 v20, v20, v22
	v_add_f32_e32 v20, v20, v21
	v_exp_f32_e32 v20, v20
	v_cvt_i32_f32_e32 v21, v22
	s_mov_b32 s34, 0xc2ce8ed0
	v_cmp_ngt_f32_e64 s[34:35], s34, v17
	s_mov_b32 s38, 0x7f800000
	v_ldexp_f32 v20, v20, v21
	v_cndmask_b32_e64 v20, 0, v20, s[34:35]
	s_mov_b32 s34, 0x42b17218
	v_mov_b32_e32 v21, 0x7f800000
	v_cmp_nlt_f32_e64 s[34:35], s34, v17
	v_cndmask_b32_e64 v25, v21, v20, s[34:35]
	v_add_f32_e32 v17, 1.0, v25
	v_add_f32_e32 v20, -1.0, v17
	v_sub_f32_e32 v21, v20, v17
	v_add_f32_e32 v21, 1.0, v21
	v_sub_f32_e32 v20, v25, v20
	v_add_f32_e32 v22, v20, v21
	v_frexp_mant_f32_e32 v23, v17
	s_mov_b32 s34, 0x3f2aaaab
	v_cvt_f64_f32_e32 v[20:21], v17
	v_frexp_exp_i32_f64_e32 v20, v[20:21]
	v_cmp_gt_f32_e64 s[34:35], s34, v23
	v_subbrev_co_u32_e64 v30, s[34:35], 0, v20, s[34:35]
	v_sub_u32_e32 v20, 0, v30
	v_ldexp_f32 v17, v17, v20
	v_ldexp_f32 v20, v22, v20
	v_add_f32_e32 v22, -1.0, v17
	v_add_f32_e32 v21, 1.0, v22
	v_sub_f32_e32 v21, v17, v21
	v_add_f32_e32 v23, v20, v21
	v_add_f32_e32 v21, 1.0, v17
	v_add_f32_e32 v26, -1.0, v21
	v_sub_f32_e32 v17, v17, v26
	v_add_f32_e32 v17, v20, v17
	v_add_f32_e32 v34, v21, v17
	v_rcp_f32_e32 v35, v34
	v_sub_f32_e32 v20, v21, v34
	v_add_f32_e32 v21, v22, v23
	v_add_f32_e32 v17, v17, v20
	v_mul_f32_e32 v37, v21, v35
	v_sub_f32_e32 v20, v22, v21
	v_mul_f32_e32 v22, v34, v37
	v_fma_f32 v26, v37, v34, -v22
	v_fmac_f32_e32 v26, v37, v17
	v_add_f32_e32 v36, v23, v20
	v_add_f32_e32 v20, v22, v26
	v_sub_f32_e32 v23, v21, v20
	v_pk_add_f32 v[28:29], v[20:21], v[22:23] neg_lo:[0,1] neg_hi:[0,1]
	v_mov_b32_e32 v27, v20
	v_pk_add_f32 v[20:21], v[28:29], v[26:27] neg_lo:[0,1] neg_hi:[0,1]
	v_add_f32_e32 v21, v36, v21
	v_add_f32_e32 v20, v20, v21
	;; [unrolled: 1-line block ×3, first 2 shown]
	v_mul_f32_e32 v36, v35, v21
	v_mul_f32_e32 v22, v34, v36
	v_fma_f32 v26, v36, v34, -v22
	v_fmac_f32_e32 v26, v36, v17
	v_sub_f32_e32 v17, v23, v21
	v_add_f32_e32 v17, v20, v17
	v_add_f32_e32 v20, v22, v26
	v_sub_f32_e32 v23, v21, v20
	v_pk_add_f32 v[28:29], v[20:21], v[22:23] neg_lo:[0,1] neg_hi:[0,1]
	v_mov_b32_e32 v27, v20
	v_pk_add_f32 v[20:21], v[28:29], v[26:27] neg_lo:[0,1] neg_hi:[0,1]
	v_add_f32_e32 v17, v17, v21
	v_add_f32_e32 v17, v20, v17
	;; [unrolled: 1-line block ×4, first 2 shown]
	v_sub_f32_e32 v21, v20, v37
	v_mul_f32_e32 v17, v35, v17
	v_sub_f32_e32 v21, v36, v21
	v_add_f32_e32 v17, v21, v17
	v_add_f32_e32 v23, v20, v17
	v_mul_f32_e32 v26, v23, v23
	v_mov_b32_e32 v22, 0x3ecc95a3
	v_fmac_f32_e32 v22, 0x3e9b6dac, v26
	v_mov_b32_e32 v21, 0x3f2aaada
	v_fmac_f32_e32 v21, v26, v22
	v_cvt_f32_i32_e32 v22, v30
	v_sub_f32_e32 v20, v23, v20
	v_sub_f32_e32 v17, v17, v20
	v_ldexp_f32 v27, v23, 1
	v_mul_f32_e32 v23, v23, v26
	v_mov_b32_e32 v20, 0x3f317218
	s_mov_b32 s34, 0x3f317218
	v_pk_mul_f32 v[20:21], v[22:23], v[20:21]
	v_fma_f32 v26, v22, s34, -v20
	v_fmac_f32_e32 v26, 0xb102e308, v22
	v_pk_add_f32 v[22:23], v[20:21], v[26:27]
	v_sub_f32_e32 v27, v23, v27
	v_ldexp_f32 v17, v17, 1
	v_sub_f32_e32 v27, v21, v27
	v_add_f32_e32 v29, v17, v27
	v_mov_b32_e32 v28, v20
	v_pk_add_f32 v[20:21], v[22:23], v[20:21] neg_lo:[0,1] neg_hi:[0,1]
	v_pk_add_f32 v[34:35], v[22:23], v[28:29]
	v_mov_b32_e32 v21, v35
	v_mov_b32_e32 v27, v22
	v_pk_add_f32 v[36:37], v[26:27], v[20:21] neg_lo:[0,1] neg_hi:[0,1]
	v_pk_add_f32 v[20:21], v[26:27], v[20:21]
	v_mov_b32_e32 v26, v21
	v_pk_add_f32 v[38:39], v[26:27], v[22:23] neg_lo:[0,1] neg_hi:[0,1]
	v_mov_b32_e32 v17, v38
	v_pk_add_f32 v[40:41], v[34:35], v[16:17] neg_lo:[0,1] neg_hi:[0,1]
	v_mov_b32_e32 v20, v35
	v_mov_b32_e32 v34, v23
	;; [unrolled: 1-line block ×4, first 2 shown]
	v_pk_add_f32 v[20:21], v[20:21], v[34:35] neg_lo:[0,1] neg_hi:[0,1]
	v_mov_b32_e32 v28, v29
	v_mov_b32_e32 v29, v22
	v_pk_add_f32 v[20:21], v[28:29], v[20:21] neg_lo:[0,1] neg_hi:[0,1]
	v_mov_b32_e32 v40, v36
	v_pk_add_f32 v[22:23], v[40:41], v[20:21]
	v_mov_b32_e32 v28, v23
	v_pk_add_f32 v[28:29], v[22:23], v[28:29]
	v_pk_add_f32 v[26:27], v[26:27], v[28:29]
	v_mov_b32_e32 v23, v26
	v_pk_add_f32 v[34:35], v[22:23], v[36:37] neg_lo:[0,1] neg_hi:[0,1]
	v_mov_b32_e32 v21, v28
	v_sub_f32_e32 v17, v22, v34
	v_pk_add_f32 v[20:21], v[20:21], v[34:35] neg_lo:[0,1] neg_hi:[0,1]
	v_sub_f32_e32 v17, v36, v17
	v_add_f32_e32 v17, v20, v17
	v_cmp_eq_f32_e64 s[34:35], s38, v25
	s_mov_b32 s38, 0x33800000
	v_add_f32_e32 v17, v17, v21
	v_cmp_lt_f32_e64 s[38:39], |v25|, s38
	v_add_f32_e32 v17, v26, v17
	s_or_b64 s[34:35], s[34:35], s[38:39]
	v_cndmask_b32_e64 v17, v17, v25, s[34:35]
	v_add_f32_e32 v34, v16, v17
.LBB145_34:
	s_or_b64 exec, exec, s[36:37]
	v_max_f32_e32 v16, v34, v34
	v_max_f32_e32 v20, v10, v10
	v_min_f32_e32 v17, v16, v20
	v_cmp_u_f32_e64 s[36:37], v34, v34
	v_max_f32_e32 v16, v16, v20
	v_cndmask_b32_e64 v17, v17, v34, s[36:37]
	v_cmp_u_f32_e64 s[34:35], v10, v10
	v_cndmask_b32_e64 v16, v16, v34, s[36:37]
	v_cndmask_b32_e64 v17, v17, v10, s[34:35]
	v_cndmask_b32_e64 v16, v16, v10, s[34:35]
	v_cmp_neq_f32_e64 s[36:37], v17, v16
	v_cmp_class_f32_e64 s[38:39], v17, s33
	s_or_b64 s[36:37], s[36:37], s[38:39]
	s_and_saveexec_b64 s[38:39], s[36:37]
	s_cbranch_execz .LBB145_36
; %bb.35:
	v_sub_f32_e32 v17, v17, v16
	s_mov_b32 s33, 0x3fb8aa3b
	v_mul_f32_e32 v21, 0x3fb8aa3b, v17
	v_fma_f32 v22, v17, s33, -v21
	v_rndne_f32_e32 v23, v21
	v_fmac_f32_e32 v22, 0x32a5705f, v17
	v_sub_f32_e32 v21, v21, v23
	v_add_f32_e32 v21, v21, v22
	v_exp_f32_e32 v21, v21
	v_cvt_i32_f32_e32 v22, v23
	s_mov_b32 s33, 0xc2ce8ed0
	v_cmp_ngt_f32_e64 s[36:37], s33, v17
	s_mov_b32 s33, 0x42b17218
	v_ldexp_f32 v21, v21, v22
	v_cndmask_b32_e64 v21, 0, v21, s[36:37]
	v_mov_b32_e32 v22, 0x7f800000
	v_cmp_nlt_f32_e64 s[36:37], s33, v17
	v_cndmask_b32_e64 v21, v22, v21, s[36:37]
	v_add_f32_e32 v17, 1.0, v21
	v_add_f32_e32 v22, -1.0, v17
	v_sub_f32_e32 v23, v22, v17
	v_add_f32_e32 v23, 1.0, v23
	v_sub_f32_e32 v22, v21, v22
	v_add_f32_e32 v25, v22, v23
	v_frexp_mant_f32_e32 v26, v17
	s_mov_b32 s33, 0x3f2aaaab
	v_cvt_f64_f32_e32 v[22:23], v17
	v_frexp_exp_i32_f64_e32 v22, v[22:23]
	v_cmp_gt_f32_e64 s[36:37], s33, v26
	v_subbrev_co_u32_e64 v30, s[36:37], 0, v22, s[36:37]
	v_sub_u32_e32 v22, 0, v30
	v_ldexp_f32 v17, v17, v22
	v_ldexp_f32 v22, v25, v22
	v_add_f32_e32 v25, -1.0, v17
	v_add_f32_e32 v23, 1.0, v25
	v_sub_f32_e32 v23, v17, v23
	v_add_f32_e32 v26, v22, v23
	v_add_f32_e32 v23, 1.0, v17
	v_add_f32_e32 v27, -1.0, v23
	v_sub_f32_e32 v17, v17, v27
	v_add_f32_e32 v17, v22, v17
	v_add_f32_e32 v36, v23, v17
	v_rcp_f32_e32 v37, v36
	v_sub_f32_e32 v22, v23, v36
	v_add_f32_e32 v23, v25, v26
	v_add_f32_e32 v17, v17, v22
	v_sub_f32_e32 v22, v25, v23
	v_mul_f32_e32 v38, v23, v37
	v_add_f32_e32 v25, v26, v22
	v_mul_f32_e32 v26, v36, v38
	v_fma_f32 v28, v38, v36, -v26
	v_fmac_f32_e32 v28, v38, v17
	v_add_f32_e32 v22, v26, v28
	v_sub_f32_e32 v27, v23, v22
	v_pk_add_f32 v[34:35], v[22:23], v[26:27] neg_lo:[0,1] neg_hi:[0,1]
	v_mov_b32_e32 v29, v22
	v_pk_add_f32 v[22:23], v[34:35], v[28:29] neg_lo:[0,1] neg_hi:[0,1]
	v_add_f32_e32 v23, v25, v23
	v_add_f32_e32 v22, v22, v23
	;; [unrolled: 1-line block ×3, first 2 shown]
	v_mul_f32_e32 v25, v37, v23
	v_mul_f32_e32 v26, v36, v25
	v_fma_f32 v28, v25, v36, -v26
	v_fmac_f32_e32 v28, v25, v17
	v_sub_f32_e32 v17, v27, v23
	v_add_f32_e32 v17, v22, v17
	v_add_f32_e32 v22, v26, v28
	v_sub_f32_e32 v27, v23, v22
	v_pk_add_f32 v[34:35], v[22:23], v[26:27] neg_lo:[0,1] neg_hi:[0,1]
	v_mov_b32_e32 v29, v22
	v_pk_add_f32 v[22:23], v[34:35], v[28:29] neg_lo:[0,1] neg_hi:[0,1]
	v_add_f32_e32 v17, v17, v23
	v_add_f32_e32 v17, v22, v17
	;; [unrolled: 1-line block ×4, first 2 shown]
	v_sub_f32_e32 v23, v22, v38
	v_mul_f32_e32 v17, v37, v17
	v_sub_f32_e32 v23, v25, v23
	v_add_f32_e32 v17, v23, v17
	v_add_f32_e32 v25, v22, v17
	v_mul_f32_e32 v27, v25, v25
	v_mov_b32_e32 v26, 0x3ecc95a3
	v_fmac_f32_e32 v26, 0x3e9b6dac, v27
	v_mov_b32_e32 v23, 0x3f2aaada
	v_fmac_f32_e32 v23, v27, v26
	v_cvt_f32_i32_e32 v26, v30
	v_sub_f32_e32 v22, v25, v22
	v_sub_f32_e32 v17, v17, v22
	v_mul_f32_e32 v27, v25, v27
	v_mov_b32_e32 v22, 0x3f317218
	s_mov_b32 s33, 0x3f317218
	v_pk_mul_f32 v[22:23], v[26:27], v[22:23]
	v_fma_f32 v28, v26, s33, -v22
	v_ldexp_f32 v29, v25, 1
	v_fmac_f32_e32 v28, 0xb102e308, v26
	v_pk_add_f32 v[26:27], v[22:23], v[28:29]
	v_sub_f32_e32 v25, v27, v29
	v_ldexp_f32 v17, v17, 1
	v_sub_f32_e32 v25, v23, v25
	v_add_f32_e32 v35, v17, v25
	v_mov_b32_e32 v34, v22
	v_pk_add_f32 v[22:23], v[26:27], v[22:23] neg_lo:[0,1] neg_hi:[0,1]
	v_pk_add_f32 v[36:37], v[26:27], v[34:35]
	v_mov_b32_e32 v23, v37
	v_mov_b32_e32 v29, v26
	v_pk_add_f32 v[38:39], v[28:29], v[22:23] neg_lo:[0,1] neg_hi:[0,1]
	v_pk_add_f32 v[22:23], v[28:29], v[22:23]
	v_mov_b32_e32 v28, v23
	v_pk_add_f32 v[40:41], v[28:29], v[26:27] neg_lo:[0,1] neg_hi:[0,1]
	v_mov_b32_e32 v17, v40
	v_pk_add_f32 v[42:43], v[36:37], v[16:17] neg_lo:[0,1] neg_hi:[0,1]
	v_mov_b32_e32 v22, v37
	v_mov_b32_e32 v36, v27
	;; [unrolled: 1-line block ×4, first 2 shown]
	v_pk_add_f32 v[22:23], v[22:23], v[36:37] neg_lo:[0,1] neg_hi:[0,1]
	v_mov_b32_e32 v34, v35
	v_mov_b32_e32 v35, v26
	v_pk_add_f32 v[22:23], v[34:35], v[22:23] neg_lo:[0,1] neg_hi:[0,1]
	v_mov_b32_e32 v42, v38
	v_pk_add_f32 v[26:27], v[42:43], v[22:23]
	v_mov_b32_e32 v30, v27
	v_pk_add_f32 v[34:35], v[26:27], v[30:31]
	v_pk_add_f32 v[28:29], v[28:29], v[34:35]
	v_mov_b32_e32 v27, v28
	v_pk_add_f32 v[36:37], v[26:27], v[38:39] neg_lo:[0,1] neg_hi:[0,1]
	v_mov_b32_e32 v23, v34
	v_sub_f32_e32 v17, v26, v36
	v_pk_add_f32 v[22:23], v[22:23], v[36:37] neg_lo:[0,1] neg_hi:[0,1]
	v_sub_f32_e32 v17, v38, v17
	s_mov_b32 s40, 0x7f800000
	v_add_f32_e32 v17, v22, v17
	s_mov_b32 s33, 0x33800000
	v_add_f32_e32 v17, v17, v23
	v_cmp_eq_f32_e64 s[36:37], s40, v21
	v_cmp_lt_f32_e64 s[40:41], |v21|, s33
	v_add_f32_e32 v17, v28, v17
	s_or_b64 s[36:37], s[36:37], s[40:41]
	v_cndmask_b32_e64 v17, v17, v21, s[36:37]
	v_add_f32_e32 v34, v16, v17
.LBB145_36:
	s_or_b64 exec, exec, s[38:39]
	v_max_f32_e32 v16, v34, v34
	v_max_f32_e32 v21, v11, v11
	v_min_f32_e32 v17, v16, v21
	v_cmp_u_f32_e64 s[38:39], v34, v34
	v_max_f32_e32 v16, v16, v21
	v_cndmask_b32_e64 v17, v17, v34, s[38:39]
	v_cmp_u_f32_e64 s[36:37], v11, v11
	v_cndmask_b32_e64 v16, v16, v34, s[38:39]
	v_cndmask_b32_e64 v17, v17, v11, s[36:37]
	;; [unrolled: 1-line block ×3, first 2 shown]
	s_movk_i32 s33, 0x1f8
	v_cmp_neq_f32_e64 s[38:39], v17, v16
	v_cmp_class_f32_e64 s[40:41], v17, s33
	s_or_b64 s[38:39], s[38:39], s[40:41]
	s_and_saveexec_b64 s[40:41], s[38:39]
	s_cbranch_execz .LBB145_38
; %bb.37:
	v_sub_f32_e32 v17, v17, v16
	s_mov_b32 s38, 0x3fb8aa3b
	v_mul_f32_e32 v22, 0x3fb8aa3b, v17
	v_fma_f32 v23, v17, s38, -v22
	v_rndne_f32_e32 v25, v22
	v_fmac_f32_e32 v23, 0x32a5705f, v17
	v_sub_f32_e32 v22, v22, v25
	v_add_f32_e32 v22, v22, v23
	v_exp_f32_e32 v22, v22
	v_cvt_i32_f32_e32 v23, v25
	s_mov_b32 s38, 0xc2ce8ed0
	v_cmp_ngt_f32_e64 s[38:39], s38, v17
	s_mov_b32 s42, 0x7f800000
	v_ldexp_f32 v22, v22, v23
	v_cndmask_b32_e64 v22, 0, v22, s[38:39]
	s_mov_b32 s38, 0x42b17218
	v_mov_b32_e32 v23, 0x7f800000
	v_cmp_nlt_f32_e64 s[38:39], s38, v17
	v_cndmask_b32_e64 v25, v23, v22, s[38:39]
	v_add_f32_e32 v17, 1.0, v25
	v_add_f32_e32 v22, -1.0, v17
	v_sub_f32_e32 v23, v22, v17
	v_add_f32_e32 v23, 1.0, v23
	v_sub_f32_e32 v22, v25, v22
	v_add_f32_e32 v26, v22, v23
	v_frexp_mant_f32_e32 v27, v17
	s_mov_b32 s38, 0x3f2aaaab
	v_cvt_f64_f32_e32 v[22:23], v17
	v_frexp_exp_i32_f64_e32 v22, v[22:23]
	v_cmp_gt_f32_e64 s[38:39], s38, v27
	v_subbrev_co_u32_e64 v30, s[38:39], 0, v22, s[38:39]
	v_sub_u32_e32 v22, 0, v30
	v_ldexp_f32 v17, v17, v22
	v_ldexp_f32 v22, v26, v22
	v_add_f32_e32 v26, -1.0, v17
	v_add_f32_e32 v23, 1.0, v26
	v_sub_f32_e32 v23, v17, v23
	v_add_f32_e32 v27, v22, v23
	v_add_f32_e32 v23, 1.0, v17
	v_add_f32_e32 v28, -1.0, v23
	v_sub_f32_e32 v17, v17, v28
	v_add_f32_e32 v17, v22, v17
	v_add_f32_e32 v36, v23, v17
	v_rcp_f32_e32 v37, v36
	v_sub_f32_e32 v22, v23, v36
	v_add_f32_e32 v23, v26, v27
	v_add_f32_e32 v17, v17, v22
	v_mul_f32_e32 v39, v23, v37
	v_sub_f32_e32 v22, v26, v23
	v_mul_f32_e32 v26, v36, v39
	v_fma_f32 v28, v39, v36, -v26
	v_fmac_f32_e32 v28, v39, v17
	v_add_f32_e32 v38, v27, v22
	v_add_f32_e32 v22, v26, v28
	v_sub_f32_e32 v27, v23, v22
	v_pk_add_f32 v[34:35], v[22:23], v[26:27] neg_lo:[0,1] neg_hi:[0,1]
	v_mov_b32_e32 v29, v22
	v_pk_add_f32 v[22:23], v[34:35], v[28:29] neg_lo:[0,1] neg_hi:[0,1]
	v_add_f32_e32 v23, v38, v23
	v_add_f32_e32 v22, v22, v23
	;; [unrolled: 1-line block ×3, first 2 shown]
	v_mul_f32_e32 v38, v37, v23
	v_mul_f32_e32 v26, v36, v38
	v_fma_f32 v28, v38, v36, -v26
	v_fmac_f32_e32 v28, v38, v17
	v_sub_f32_e32 v17, v27, v23
	v_add_f32_e32 v17, v22, v17
	v_add_f32_e32 v22, v26, v28
	v_sub_f32_e32 v27, v23, v22
	v_pk_add_f32 v[34:35], v[22:23], v[26:27] neg_lo:[0,1] neg_hi:[0,1]
	v_mov_b32_e32 v29, v22
	v_pk_add_f32 v[22:23], v[34:35], v[28:29] neg_lo:[0,1] neg_hi:[0,1]
	v_add_f32_e32 v17, v17, v23
	v_add_f32_e32 v17, v22, v17
	;; [unrolled: 1-line block ×4, first 2 shown]
	v_sub_f32_e32 v23, v22, v39
	v_mul_f32_e32 v17, v37, v17
	v_sub_f32_e32 v23, v38, v23
	v_add_f32_e32 v17, v23, v17
	v_add_f32_e32 v27, v22, v17
	v_mul_f32_e32 v28, v27, v27
	v_mov_b32_e32 v26, 0x3ecc95a3
	v_fmac_f32_e32 v26, 0x3e9b6dac, v28
	v_mov_b32_e32 v23, 0x3f2aaada
	v_fmac_f32_e32 v23, v28, v26
	v_cvt_f32_i32_e32 v26, v30
	v_sub_f32_e32 v22, v27, v22
	v_sub_f32_e32 v17, v17, v22
	v_ldexp_f32 v29, v27, 1
	v_mul_f32_e32 v27, v27, v28
	v_mov_b32_e32 v22, 0x3f317218
	s_mov_b32 s38, 0x3f317218
	v_pk_mul_f32 v[22:23], v[26:27], v[22:23]
	v_fma_f32 v28, v26, s38, -v22
	v_fmac_f32_e32 v28, 0xb102e308, v26
	v_pk_add_f32 v[26:27], v[22:23], v[28:29]
	v_sub_f32_e32 v29, v27, v29
	v_ldexp_f32 v17, v17, 1
	v_sub_f32_e32 v29, v23, v29
	v_add_f32_e32 v35, v17, v29
	v_mov_b32_e32 v34, v22
	v_pk_add_f32 v[22:23], v[26:27], v[22:23] neg_lo:[0,1] neg_hi:[0,1]
	v_pk_add_f32 v[36:37], v[26:27], v[34:35]
	v_mov_b32_e32 v23, v37
	v_mov_b32_e32 v29, v26
	v_pk_add_f32 v[38:39], v[28:29], v[22:23] neg_lo:[0,1] neg_hi:[0,1]
	v_pk_add_f32 v[22:23], v[28:29], v[22:23]
	v_mov_b32_e32 v28, v23
	v_pk_add_f32 v[40:41], v[28:29], v[26:27] neg_lo:[0,1] neg_hi:[0,1]
	v_mov_b32_e32 v17, v40
	v_pk_add_f32 v[42:43], v[36:37], v[16:17] neg_lo:[0,1] neg_hi:[0,1]
	v_mov_b32_e32 v22, v37
	v_mov_b32_e32 v36, v27
	;; [unrolled: 1-line block ×4, first 2 shown]
	v_pk_add_f32 v[22:23], v[22:23], v[36:37] neg_lo:[0,1] neg_hi:[0,1]
	v_mov_b32_e32 v34, v35
	v_mov_b32_e32 v35, v26
	v_pk_add_f32 v[22:23], v[34:35], v[22:23] neg_lo:[0,1] neg_hi:[0,1]
	v_mov_b32_e32 v42, v38
	v_pk_add_f32 v[26:27], v[42:43], v[22:23]
	v_mov_b32_e32 v30, v27
	v_pk_add_f32 v[34:35], v[26:27], v[30:31]
	v_pk_add_f32 v[28:29], v[28:29], v[34:35]
	v_mov_b32_e32 v27, v28
	v_pk_add_f32 v[36:37], v[26:27], v[38:39] neg_lo:[0,1] neg_hi:[0,1]
	v_mov_b32_e32 v23, v34
	v_sub_f32_e32 v17, v26, v36
	v_pk_add_f32 v[22:23], v[22:23], v[36:37] neg_lo:[0,1] neg_hi:[0,1]
	v_sub_f32_e32 v17, v38, v17
	v_add_f32_e32 v17, v22, v17
	v_cmp_eq_f32_e64 s[38:39], s42, v25
	s_mov_b32 s42, 0x33800000
	v_add_f32_e32 v17, v17, v23
	v_cmp_lt_f32_e64 s[42:43], |v25|, s42
	v_add_f32_e32 v17, v28, v17
	s_or_b64 s[38:39], s[38:39], s[42:43]
	v_cndmask_b32_e64 v17, v17, v25, s[38:39]
	v_add_f32_e32 v34, v16, v17
.LBB145_38:
	s_or_b64 exec, exec, s[40:41]
	v_max_f32_e32 v16, v34, v34
	v_max_f32_e32 v22, v12, v12
	v_min_f32_e32 v17, v16, v22
	v_cmp_u_f32_e64 s[40:41], v34, v34
	v_max_f32_e32 v16, v16, v22
	v_cndmask_b32_e64 v17, v17, v34, s[40:41]
	v_cmp_u_f32_e64 s[38:39], v12, v12
	v_cndmask_b32_e64 v16, v16, v34, s[40:41]
	v_cndmask_b32_e64 v17, v17, v12, s[38:39]
	;; [unrolled: 1-line block ×3, first 2 shown]
	v_cmp_neq_f32_e64 s[40:41], v17, v16
	v_cmp_class_f32_e64 s[42:43], v17, s33
	s_or_b64 s[40:41], s[40:41], s[42:43]
	s_and_saveexec_b64 s[42:43], s[40:41]
	s_cbranch_execz .LBB145_40
; %bb.39:
	v_sub_f32_e32 v17, v17, v16
	s_mov_b32 s33, 0x3fb8aa3b
	v_mul_f32_e32 v23, 0x3fb8aa3b, v17
	v_fma_f32 v25, v17, s33, -v23
	v_rndne_f32_e32 v26, v23
	v_fmac_f32_e32 v25, 0x32a5705f, v17
	v_sub_f32_e32 v23, v23, v26
	v_add_f32_e32 v23, v23, v25
	v_exp_f32_e32 v23, v23
	v_cvt_i32_f32_e32 v25, v26
	s_mov_b32 s33, 0xc2ce8ed0
	v_cmp_ngt_f32_e64 s[40:41], s33, v17
	s_mov_b32 s33, 0x42b17218
	v_ldexp_f32 v23, v23, v25
	v_cndmask_b32_e64 v23, 0, v23, s[40:41]
	v_mov_b32_e32 v25, 0x7f800000
	v_cmp_nlt_f32_e64 s[40:41], s33, v17
	v_cndmask_b32_e64 v23, v25, v23, s[40:41]
	v_add_f32_e32 v17, 1.0, v23
	v_add_f32_e32 v25, -1.0, v17
	v_sub_f32_e32 v26, v25, v17
	v_add_f32_e32 v26, 1.0, v26
	v_sub_f32_e32 v25, v23, v25
	v_add_f32_e32 v25, v25, v26
	v_frexp_mant_f32_e32 v28, v17
	s_mov_b32 s33, 0x3f2aaaab
	v_cvt_f64_f32_e32 v[26:27], v17
	v_frexp_exp_i32_f64_e32 v26, v[26:27]
	v_cmp_gt_f32_e64 s[40:41], s33, v28
	v_subbrev_co_u32_e64 v30, s[40:41], 0, v26, s[40:41]
	v_sub_u32_e32 v26, 0, v30
	v_ldexp_f32 v17, v17, v26
	v_ldexp_f32 v25, v25, v26
	v_add_f32_e32 v26, -1.0, v17
	v_add_f32_e32 v27, 1.0, v26
	v_sub_f32_e32 v27, v17, v27
	v_add_f32_e32 v28, v25, v27
	v_add_f32_e32 v27, 1.0, v17
	v_add_f32_e32 v29, -1.0, v27
	v_sub_f32_e32 v17, v17, v29
	v_add_f32_e32 v17, v25, v17
	v_add_f32_e32 v25, v27, v17
	v_rcp_f32_e32 v38, v25
	v_sub_f32_e32 v27, v27, v25
	v_add_f32_e32 v17, v17, v27
	v_add_f32_e32 v27, v26, v28
	v_sub_f32_e32 v26, v26, v27
	v_mul_f32_e32 v40, v27, v38
	v_add_f32_e32 v39, v28, v26
	v_mul_f32_e32 v28, v25, v40
	v_fma_f32 v34, v40, v25, -v28
	v_fmac_f32_e32 v34, v40, v17
	v_add_f32_e32 v26, v28, v34
	v_sub_f32_e32 v29, v27, v26
	v_pk_add_f32 v[36:37], v[26:27], v[28:29] neg_lo:[0,1] neg_hi:[0,1]
	v_mov_b32_e32 v35, v26
	v_pk_add_f32 v[26:27], v[36:37], v[34:35] neg_lo:[0,1] neg_hi:[0,1]
	v_add_f32_e32 v27, v39, v27
	v_add_f32_e32 v26, v26, v27
	;; [unrolled: 1-line block ×3, first 2 shown]
	v_mul_f32_e32 v39, v38, v27
	v_mul_f32_e32 v28, v25, v39
	v_fma_f32 v34, v39, v25, -v28
	v_fmac_f32_e32 v34, v39, v17
	v_sub_f32_e32 v17, v29, v27
	v_add_f32_e32 v17, v26, v17
	v_add_f32_e32 v26, v28, v34
	v_sub_f32_e32 v29, v27, v26
	v_pk_add_f32 v[36:37], v[26:27], v[28:29] neg_lo:[0,1] neg_hi:[0,1]
	v_mov_b32_e32 v35, v26
	v_pk_add_f32 v[26:27], v[36:37], v[34:35] neg_lo:[0,1] neg_hi:[0,1]
	v_add_f32_e32 v17, v17, v27
	v_add_f32_e32 v17, v26, v17
	;; [unrolled: 1-line block ×4, first 2 shown]
	v_sub_f32_e32 v26, v25, v40
	v_mul_f32_e32 v17, v38, v17
	v_sub_f32_e32 v26, v39, v26
	v_add_f32_e32 v17, v26, v17
	v_add_f32_e32 v26, v25, v17
	v_mul_f32_e32 v29, v26, v26
	v_mov_b32_e32 v28, 0x3ecc95a3
	v_fmac_f32_e32 v28, 0x3e9b6dac, v29
	v_mov_b32_e32 v27, 0x3f2aaada
	v_fmac_f32_e32 v27, v29, v28
	v_cvt_f32_i32_e32 v28, v30
	v_sub_f32_e32 v25, v26, v25
	v_ldexp_f32 v35, v26, 1
	v_mul_f32_e32 v29, v26, v29
	v_mov_b32_e32 v26, 0x3f317218
	s_mov_b32 s33, 0x3f317218
	v_pk_mul_f32 v[26:27], v[28:29], v[26:27]
	v_fma_f32 v34, v28, s33, -v26
	v_fmac_f32_e32 v34, 0xb102e308, v28
	v_pk_add_f32 v[28:29], v[26:27], v[34:35]
	v_sub_f32_e32 v17, v17, v25
	v_sub_f32_e32 v25, v29, v35
	v_ldexp_f32 v17, v17, 1
	v_sub_f32_e32 v25, v27, v25
	v_add_f32_e32 v37, v17, v25
	v_mov_b32_e32 v36, v26
	v_pk_add_f32 v[26:27], v[28:29], v[26:27] neg_lo:[0,1] neg_hi:[0,1]
	v_pk_add_f32 v[38:39], v[28:29], v[36:37]
	v_mov_b32_e32 v27, v39
	v_mov_b32_e32 v35, v28
	v_pk_add_f32 v[40:41], v[34:35], v[26:27] neg_lo:[0,1] neg_hi:[0,1]
	v_pk_add_f32 v[26:27], v[34:35], v[26:27]
	v_mov_b32_e32 v30, v27
	v_pk_add_f32 v[34:35], v[30:31], v[28:29] neg_lo:[0,1] neg_hi:[0,1]
	v_mov_b32_e32 v17, v34
	v_pk_add_f32 v[42:43], v[38:39], v[16:17] neg_lo:[0,1] neg_hi:[0,1]
	v_mov_b32_e32 v26, v39
	v_mov_b32_e32 v38, v29
	;; [unrolled: 1-line block ×4, first 2 shown]
	v_pk_add_f32 v[26:27], v[26:27], v[38:39] neg_lo:[0,1] neg_hi:[0,1]
	v_mov_b32_e32 v34, v37
	v_mov_b32_e32 v35, v28
	v_pk_add_f32 v[26:27], v[34:35], v[26:27] neg_lo:[0,1] neg_hi:[0,1]
	v_mov_b32_e32 v42, v40
	v_pk_add_f32 v[28:29], v[42:43], v[26:27]
	v_mov_b32_e32 v34, v29
	v_pk_add_f32 v[34:35], v[28:29], v[34:35]
	v_pk_add_f32 v[36:37], v[30:31], v[34:35]
	v_mov_b32_e32 v29, v36
	v_pk_add_f32 v[38:39], v[28:29], v[40:41] neg_lo:[0,1] neg_hi:[0,1]
	v_mov_b32_e32 v27, v34
	v_sub_f32_e32 v17, v28, v38
	v_pk_add_f32 v[26:27], v[26:27], v[38:39] neg_lo:[0,1] neg_hi:[0,1]
	v_sub_f32_e32 v17, v40, v17
	s_mov_b32 s44, 0x7f800000
	v_add_f32_e32 v17, v26, v17
	s_mov_b32 s33, 0x33800000
	v_add_f32_e32 v17, v17, v27
	v_cmp_eq_f32_e64 s[40:41], s44, v23
	v_cmp_lt_f32_e64 s[44:45], |v23|, s33
	v_add_f32_e32 v17, v36, v17
	s_or_b64 s[40:41], s[40:41], s[44:45]
	v_cndmask_b32_e64 v17, v17, v23, s[40:41]
	v_add_f32_e32 v34, v16, v17
.LBB145_40:
	s_or_b64 exec, exec, s[42:43]
	v_max_f32_e32 v16, v34, v34
	v_max_f32_e32 v23, v13, v13
	v_min_f32_e32 v17, v16, v23
	v_cmp_u_f32_e64 s[42:43], v34, v34
	v_max_f32_e32 v16, v16, v23
	v_cndmask_b32_e64 v17, v17, v34, s[42:43]
	v_cmp_u_f32_e64 s[40:41], v13, v13
	v_cndmask_b32_e64 v16, v16, v34, s[42:43]
	v_cndmask_b32_e64 v17, v17, v13, s[40:41]
	;; [unrolled: 1-line block ×3, first 2 shown]
	s_movk_i32 s33, 0x1f8
	v_cmp_neq_f32_e64 s[42:43], v17, v16
	v_cmp_class_f32_e64 s[44:45], v17, s33
	s_or_b64 s[42:43], s[42:43], s[44:45]
	s_and_saveexec_b64 s[44:45], s[42:43]
	s_cbranch_execz .LBB145_42
; %bb.41:
	v_sub_f32_e32 v17, v17, v16
	s_mov_b32 s42, 0x3fb8aa3b
	v_mul_f32_e32 v25, 0x3fb8aa3b, v17
	v_fma_f32 v26, v17, s42, -v25
	v_rndne_f32_e32 v27, v25
	v_fmac_f32_e32 v26, 0x32a5705f, v17
	v_sub_f32_e32 v25, v25, v27
	v_add_f32_e32 v25, v25, v26
	v_exp_f32_e32 v25, v25
	v_cvt_i32_f32_e32 v26, v27
	s_mov_b32 s42, 0xc2ce8ed0
	v_cmp_ngt_f32_e64 s[42:43], s42, v17
	s_mov_b32 s46, 0x7f800000
	v_ldexp_f32 v25, v25, v26
	v_cndmask_b32_e64 v25, 0, v25, s[42:43]
	s_mov_b32 s42, 0x42b17218
	v_mov_b32_e32 v26, 0x7f800000
	v_cmp_nlt_f32_e64 s[42:43], s42, v17
	v_cndmask_b32_e64 v25, v26, v25, s[42:43]
	v_add_f32_e32 v17, 1.0, v25
	v_add_f32_e32 v26, -1.0, v17
	v_sub_f32_e32 v27, v26, v17
	v_add_f32_e32 v27, 1.0, v27
	v_sub_f32_e32 v26, v25, v26
	v_add_f32_e32 v28, v26, v27
	v_frexp_mant_f32_e32 v29, v17
	s_mov_b32 s42, 0x3f2aaaab
	v_cvt_f64_f32_e32 v[26:27], v17
	v_frexp_exp_i32_f64_e32 v26, v[26:27]
	v_cmp_gt_f32_e64 s[42:43], s42, v29
	v_subbrev_co_u32_e64 v30, s[42:43], 0, v26, s[42:43]
	v_sub_u32_e32 v26, 0, v30
	v_ldexp_f32 v17, v17, v26
	v_ldexp_f32 v26, v28, v26
	v_add_f32_e32 v28, -1.0, v17
	v_add_f32_e32 v27, 1.0, v28
	v_sub_f32_e32 v27, v17, v27
	v_add_f32_e32 v29, v26, v27
	v_add_f32_e32 v27, 1.0, v17
	v_add_f32_e32 v34, -1.0, v27
	v_sub_f32_e32 v17, v17, v34
	v_add_f32_e32 v17, v26, v17
	v_add_f32_e32 v38, v27, v17
	v_rcp_f32_e32 v39, v38
	v_sub_f32_e32 v26, v27, v38
	v_add_f32_e32 v27, v28, v29
	v_add_f32_e32 v17, v17, v26
	v_mul_f32_e32 v41, v27, v39
	v_sub_f32_e32 v26, v28, v27
	v_mul_f32_e32 v28, v38, v41
	v_fma_f32 v34, v41, v38, -v28
	v_fmac_f32_e32 v34, v41, v17
	v_add_f32_e32 v40, v29, v26
	v_add_f32_e32 v26, v28, v34
	v_sub_f32_e32 v29, v27, v26
	v_pk_add_f32 v[36:37], v[26:27], v[28:29] neg_lo:[0,1] neg_hi:[0,1]
	v_mov_b32_e32 v35, v26
	v_pk_add_f32 v[26:27], v[36:37], v[34:35] neg_lo:[0,1] neg_hi:[0,1]
	v_add_f32_e32 v27, v40, v27
	v_add_f32_e32 v26, v26, v27
	;; [unrolled: 1-line block ×3, first 2 shown]
	v_mul_f32_e32 v40, v39, v27
	v_mul_f32_e32 v28, v38, v40
	v_fma_f32 v34, v40, v38, -v28
	v_fmac_f32_e32 v34, v40, v17
	v_sub_f32_e32 v17, v29, v27
	v_add_f32_e32 v17, v26, v17
	v_add_f32_e32 v26, v28, v34
	v_sub_f32_e32 v29, v27, v26
	v_pk_add_f32 v[36:37], v[26:27], v[28:29] neg_lo:[0,1] neg_hi:[0,1]
	v_mov_b32_e32 v35, v26
	v_pk_add_f32 v[26:27], v[36:37], v[34:35] neg_lo:[0,1] neg_hi:[0,1]
	v_add_f32_e32 v17, v17, v27
	v_add_f32_e32 v17, v26, v17
	;; [unrolled: 1-line block ×4, first 2 shown]
	v_sub_f32_e32 v27, v26, v41
	v_mul_f32_e32 v17, v39, v17
	v_sub_f32_e32 v27, v40, v27
	v_add_f32_e32 v17, v27, v17
	v_add_f32_e32 v29, v26, v17
	v_mul_f32_e32 v34, v29, v29
	v_mov_b32_e32 v28, 0x3ecc95a3
	v_fmac_f32_e32 v28, 0x3e9b6dac, v34
	v_mov_b32_e32 v27, 0x3f2aaada
	v_fmac_f32_e32 v27, v34, v28
	v_cvt_f32_i32_e32 v28, v30
	v_sub_f32_e32 v26, v29, v26
	v_sub_f32_e32 v17, v17, v26
	v_ldexp_f32 v35, v29, 1
	v_mul_f32_e32 v29, v29, v34
	v_mov_b32_e32 v26, 0x3f317218
	s_mov_b32 s42, 0x3f317218
	v_pk_mul_f32 v[26:27], v[28:29], v[26:27]
	v_fma_f32 v34, v28, s42, -v26
	v_fmac_f32_e32 v34, 0xb102e308, v28
	v_pk_add_f32 v[28:29], v[26:27], v[34:35]
	v_sub_f32_e32 v30, v29, v35
	v_ldexp_f32 v17, v17, 1
	v_sub_f32_e32 v30, v27, v30
	v_add_f32_e32 v37, v17, v30
	v_mov_b32_e32 v36, v26
	v_pk_add_f32 v[26:27], v[28:29], v[26:27] neg_lo:[0,1] neg_hi:[0,1]
	v_pk_add_f32 v[38:39], v[28:29], v[36:37]
	v_mov_b32_e32 v27, v39
	v_mov_b32_e32 v35, v28
	v_pk_add_f32 v[40:41], v[34:35], v[26:27] neg_lo:[0,1] neg_hi:[0,1]
	v_pk_add_f32 v[26:27], v[34:35], v[26:27]
	v_mov_b32_e32 v30, v27
	v_pk_add_f32 v[34:35], v[30:31], v[28:29] neg_lo:[0,1] neg_hi:[0,1]
	v_mov_b32_e32 v17, v34
	v_pk_add_f32 v[42:43], v[38:39], v[16:17] neg_lo:[0,1] neg_hi:[0,1]
	v_mov_b32_e32 v26, v39
	v_mov_b32_e32 v38, v29
	;; [unrolled: 1-line block ×4, first 2 shown]
	v_pk_add_f32 v[26:27], v[26:27], v[38:39] neg_lo:[0,1] neg_hi:[0,1]
	v_mov_b32_e32 v34, v37
	v_mov_b32_e32 v35, v28
	v_pk_add_f32 v[26:27], v[34:35], v[26:27] neg_lo:[0,1] neg_hi:[0,1]
	v_mov_b32_e32 v42, v40
	v_pk_add_f32 v[28:29], v[42:43], v[26:27]
	v_mov_b32_e32 v34, v29
	v_pk_add_f32 v[34:35], v[28:29], v[34:35]
	v_pk_add_f32 v[36:37], v[30:31], v[34:35]
	v_mov_b32_e32 v29, v36
	v_pk_add_f32 v[38:39], v[28:29], v[40:41] neg_lo:[0,1] neg_hi:[0,1]
	v_mov_b32_e32 v27, v34
	v_sub_f32_e32 v17, v28, v38
	v_pk_add_f32 v[26:27], v[26:27], v[38:39] neg_lo:[0,1] neg_hi:[0,1]
	v_sub_f32_e32 v17, v40, v17
	v_add_f32_e32 v17, v26, v17
	v_cmp_eq_f32_e64 s[42:43], s46, v25
	s_mov_b32 s46, 0x33800000
	v_add_f32_e32 v17, v17, v27
	v_cmp_lt_f32_e64 s[46:47], |v25|, s46
	v_add_f32_e32 v17, v36, v17
	s_or_b64 s[42:43], s[42:43], s[46:47]
	v_cndmask_b32_e64 v17, v17, v25, s[42:43]
	v_add_f32_e32 v34, v16, v17
.LBB145_42:
	s_or_b64 exec, exec, s[44:45]
	v_max_f32_e32 v16, v34, v34
	v_max_f32_e32 v25, v6, v6
	v_min_f32_e32 v17, v16, v25
	v_cmp_u_f32_e64 s[44:45], v34, v34
	v_max_f32_e32 v16, v16, v25
	v_cndmask_b32_e64 v17, v17, v34, s[44:45]
	v_cmp_u_f32_e64 s[42:43], v6, v6
	v_cndmask_b32_e64 v16, v16, v34, s[44:45]
	v_cndmask_b32_e64 v17, v17, v6, s[42:43]
	;; [unrolled: 1-line block ×3, first 2 shown]
	v_cmp_neq_f32_e64 s[44:45], v17, v16
	v_cmp_class_f32_e64 s[46:47], v17, s33
	s_or_b64 s[44:45], s[44:45], s[46:47]
	s_and_saveexec_b64 s[46:47], s[44:45]
	s_cbranch_execz .LBB145_44
; %bb.43:
	v_sub_f32_e32 v17, v17, v16
	s_mov_b32 s33, 0x3fb8aa3b
	v_mul_f32_e32 v26, 0x3fb8aa3b, v17
	v_fma_f32 v27, v17, s33, -v26
	v_rndne_f32_e32 v28, v26
	v_fmac_f32_e32 v27, 0x32a5705f, v17
	v_sub_f32_e32 v26, v26, v28
	v_add_f32_e32 v26, v26, v27
	v_exp_f32_e32 v26, v26
	v_cvt_i32_f32_e32 v27, v28
	s_mov_b32 s33, 0xc2ce8ed0
	v_cmp_ngt_f32_e64 s[44:45], s33, v17
	s_mov_b32 s33, 0x42b17218
	v_ldexp_f32 v26, v26, v27
	v_cndmask_b32_e64 v26, 0, v26, s[44:45]
	v_mov_b32_e32 v27, 0x7f800000
	v_cmp_nlt_f32_e64 s[44:45], s33, v17
	v_cndmask_b32_e64 v44, v27, v26, s[44:45]
	v_add_f32_e32 v17, 1.0, v44
	v_add_f32_e32 v26, -1.0, v17
	v_sub_f32_e32 v27, v26, v17
	v_add_f32_e32 v27, 1.0, v27
	v_sub_f32_e32 v26, v44, v26
	v_add_f32_e32 v28, v26, v27
	v_frexp_mant_f32_e32 v29, v17
	s_mov_b32 s33, 0x3f2aaaab
	v_cvt_f64_f32_e32 v[26:27], v17
	v_frexp_exp_i32_f64_e32 v26, v[26:27]
	v_cmp_gt_f32_e64 s[44:45], s33, v29
	v_subbrev_co_u32_e64 v30, s[44:45], 0, v26, s[44:45]
	v_sub_u32_e32 v26, 0, v30
	v_ldexp_f32 v17, v17, v26
	v_ldexp_f32 v26, v28, v26
	v_add_f32_e32 v28, -1.0, v17
	v_add_f32_e32 v27, 1.0, v28
	v_sub_f32_e32 v27, v17, v27
	v_add_f32_e32 v29, v26, v27
	v_add_f32_e32 v27, 1.0, v17
	v_add_f32_e32 v34, -1.0, v27
	v_sub_f32_e32 v17, v17, v34
	v_add_f32_e32 v17, v26, v17
	v_add_f32_e32 v38, v27, v17
	v_rcp_f32_e32 v39, v38
	v_sub_f32_e32 v26, v27, v38
	v_add_f32_e32 v27, v28, v29
	v_add_f32_e32 v17, v17, v26
	v_mul_f32_e32 v41, v27, v39
	v_sub_f32_e32 v26, v28, v27
	v_mul_f32_e32 v28, v38, v41
	v_fma_f32 v34, v41, v38, -v28
	v_fmac_f32_e32 v34, v41, v17
	v_add_f32_e32 v40, v29, v26
	v_add_f32_e32 v26, v28, v34
	v_sub_f32_e32 v29, v27, v26
	v_pk_add_f32 v[36:37], v[26:27], v[28:29] neg_lo:[0,1] neg_hi:[0,1]
	v_mov_b32_e32 v35, v26
	v_pk_add_f32 v[26:27], v[36:37], v[34:35] neg_lo:[0,1] neg_hi:[0,1]
	v_add_f32_e32 v27, v40, v27
	v_add_f32_e32 v26, v26, v27
	;; [unrolled: 1-line block ×3, first 2 shown]
	v_mul_f32_e32 v40, v39, v27
	v_mul_f32_e32 v28, v38, v40
	v_fma_f32 v34, v40, v38, -v28
	v_fmac_f32_e32 v34, v40, v17
	v_sub_f32_e32 v17, v29, v27
	v_add_f32_e32 v17, v26, v17
	v_add_f32_e32 v26, v28, v34
	v_sub_f32_e32 v29, v27, v26
	v_pk_add_f32 v[36:37], v[26:27], v[28:29] neg_lo:[0,1] neg_hi:[0,1]
	v_mov_b32_e32 v35, v26
	v_pk_add_f32 v[26:27], v[36:37], v[34:35] neg_lo:[0,1] neg_hi:[0,1]
	v_add_f32_e32 v17, v17, v27
	v_add_f32_e32 v17, v26, v17
	v_add_f32_e32 v26, v41, v40
	v_add_f32_e32 v17, v29, v17
	v_sub_f32_e32 v27, v26, v41
	v_mul_f32_e32 v17, v39, v17
	v_sub_f32_e32 v27, v40, v27
	v_add_f32_e32 v17, v27, v17
	v_add_f32_e32 v29, v26, v17
	v_mul_f32_e32 v34, v29, v29
	v_mov_b32_e32 v28, 0x3ecc95a3
	v_fmac_f32_e32 v28, 0x3e9b6dac, v34
	v_mov_b32_e32 v27, 0x3f2aaada
	v_fmac_f32_e32 v27, v34, v28
	v_cvt_f32_i32_e32 v28, v30
	v_sub_f32_e32 v26, v29, v26
	v_sub_f32_e32 v17, v17, v26
	v_ldexp_f32 v35, v29, 1
	v_mul_f32_e32 v29, v29, v34
	v_mov_b32_e32 v26, 0x3f317218
	s_mov_b32 s33, 0x3f317218
	v_pk_mul_f32 v[26:27], v[28:29], v[26:27]
	v_fma_f32 v34, v28, s33, -v26
	v_fmac_f32_e32 v34, 0xb102e308, v28
	v_pk_add_f32 v[28:29], v[26:27], v[34:35]
	v_sub_f32_e32 v30, v29, v35
	v_ldexp_f32 v17, v17, 1
	v_sub_f32_e32 v30, v27, v30
	v_add_f32_e32 v37, v17, v30
	v_mov_b32_e32 v36, v26
	v_pk_add_f32 v[26:27], v[28:29], v[26:27] neg_lo:[0,1] neg_hi:[0,1]
	v_pk_add_f32 v[38:39], v[28:29], v[36:37]
	v_mov_b32_e32 v27, v39
	v_mov_b32_e32 v35, v28
	v_pk_add_f32 v[40:41], v[34:35], v[26:27] neg_lo:[0,1] neg_hi:[0,1]
	v_pk_add_f32 v[26:27], v[34:35], v[26:27]
	v_mov_b32_e32 v30, v27
	v_pk_add_f32 v[34:35], v[30:31], v[28:29] neg_lo:[0,1] neg_hi:[0,1]
	v_mov_b32_e32 v17, v34
	v_pk_add_f32 v[42:43], v[38:39], v[16:17] neg_lo:[0,1] neg_hi:[0,1]
	v_mov_b32_e32 v26, v39
	v_mov_b32_e32 v38, v29
	;; [unrolled: 1-line block ×4, first 2 shown]
	v_pk_add_f32 v[26:27], v[26:27], v[38:39] neg_lo:[0,1] neg_hi:[0,1]
	v_mov_b32_e32 v34, v37
	v_mov_b32_e32 v35, v28
	v_pk_add_f32 v[26:27], v[34:35], v[26:27] neg_lo:[0,1] neg_hi:[0,1]
	v_mov_b32_e32 v42, v40
	v_pk_add_f32 v[28:29], v[42:43], v[26:27]
	v_mov_b32_e32 v34, v29
	v_pk_add_f32 v[34:35], v[28:29], v[34:35]
	v_pk_add_f32 v[36:37], v[30:31], v[34:35]
	v_mov_b32_e32 v29, v36
	v_pk_add_f32 v[38:39], v[28:29], v[40:41] neg_lo:[0,1] neg_hi:[0,1]
	v_mov_b32_e32 v27, v34
	v_sub_f32_e32 v17, v28, v38
	v_pk_add_f32 v[26:27], v[26:27], v[38:39] neg_lo:[0,1] neg_hi:[0,1]
	v_sub_f32_e32 v17, v40, v17
	s_mov_b32 s48, 0x7f800000
	v_add_f32_e32 v17, v26, v17
	s_mov_b32 s33, 0x33800000
	v_add_f32_e32 v17, v17, v27
	v_cmp_eq_f32_e64 s[44:45], s48, v44
	v_cmp_lt_f32_e64 s[48:49], |v44|, s33
	v_add_f32_e32 v17, v36, v17
	s_or_b64 s[44:45], s[44:45], s[48:49]
	v_cndmask_b32_e64 v17, v17, v44, s[44:45]
	v_add_f32_e32 v34, v16, v17
.LBB145_44:
	s_or_b64 exec, exec, s[46:47]
	v_max_f32_e32 v16, v34, v34
	v_max_f32_e32 v26, v7, v7
	v_min_f32_e32 v17, v16, v26
	v_cmp_u_f32_e64 s[46:47], v34, v34
	v_max_f32_e32 v16, v16, v26
	v_cndmask_b32_e64 v17, v17, v34, s[46:47]
	v_cmp_u_f32_e64 s[44:45], v7, v7
	v_cndmask_b32_e64 v16, v16, v34, s[46:47]
	v_cndmask_b32_e64 v17, v17, v7, s[44:45]
	;; [unrolled: 1-line block ×3, first 2 shown]
	s_movk_i32 s33, 0x1f8
	v_cmp_neq_f32_e64 s[46:47], v17, v16
	v_cmp_class_f32_e64 s[48:49], v17, s33
	s_or_b64 s[46:47], s[46:47], s[48:49]
	s_and_saveexec_b64 s[48:49], s[46:47]
	s_cbranch_execz .LBB145_46
; %bb.45:
	v_sub_f32_e32 v17, v17, v16
	s_mov_b32 s46, 0x3fb8aa3b
	v_mul_f32_e32 v27, 0x3fb8aa3b, v17
	v_fma_f32 v28, v17, s46, -v27
	v_rndne_f32_e32 v29, v27
	v_fmac_f32_e32 v28, 0x32a5705f, v17
	v_sub_f32_e32 v27, v27, v29
	v_add_f32_e32 v27, v27, v28
	v_exp_f32_e32 v27, v27
	v_cvt_i32_f32_e32 v28, v29
	s_mov_b32 s46, 0xc2ce8ed0
	v_cmp_ngt_f32_e64 s[46:47], s46, v17
	s_mov_b32 s50, 0x7f800000
	v_ldexp_f32 v27, v27, v28
	v_cndmask_b32_e64 v27, 0, v27, s[46:47]
	s_mov_b32 s46, 0x42b17218
	v_mov_b32_e32 v28, 0x7f800000
	v_cmp_nlt_f32_e64 s[46:47], s46, v17
	v_cndmask_b32_e64 v27, v28, v27, s[46:47]
	v_add_f32_e32 v17, 1.0, v27
	v_add_f32_e32 v28, -1.0, v17
	v_sub_f32_e32 v29, v28, v17
	v_add_f32_e32 v29, 1.0, v29
	v_sub_f32_e32 v28, v27, v28
	v_add_f32_e32 v30, v28, v29
	v_frexp_mant_f32_e32 v34, v17
	s_mov_b32 s46, 0x3f2aaaab
	v_cvt_f64_f32_e32 v[28:29], v17
	v_frexp_exp_i32_f64_e32 v28, v[28:29]
	v_cmp_gt_f32_e64 s[46:47], s46, v34
	v_subbrev_co_u32_e64 v40, s[46:47], 0, v28, s[46:47]
	v_sub_u32_e32 v28, 0, v40
	v_ldexp_f32 v17, v17, v28
	v_ldexp_f32 v28, v30, v28
	v_add_f32_e32 v30, -1.0, v17
	v_add_f32_e32 v29, 1.0, v30
	v_sub_f32_e32 v29, v17, v29
	v_add_f32_e32 v34, v28, v29
	v_add_f32_e32 v29, 1.0, v17
	v_add_f32_e32 v35, -1.0, v29
	v_sub_f32_e32 v17, v17, v35
	v_add_f32_e32 v17, v28, v17
	v_add_f32_e32 v41, v29, v17
	v_rcp_f32_e32 v42, v41
	v_sub_f32_e32 v28, v29, v41
	v_add_f32_e32 v29, v30, v34
	v_add_f32_e32 v17, v17, v28
	v_sub_f32_e32 v28, v30, v29
	v_mul_f32_e32 v43, v29, v42
	v_add_f32_e32 v30, v34, v28
	v_mul_f32_e32 v34, v41, v43
	v_fma_f32 v36, v43, v41, -v34
	v_fmac_f32_e32 v36, v43, v17
	v_add_f32_e32 v28, v34, v36
	v_sub_f32_e32 v35, v29, v28
	v_pk_add_f32 v[38:39], v[28:29], v[34:35] neg_lo:[0,1] neg_hi:[0,1]
	v_mov_b32_e32 v37, v28
	v_pk_add_f32 v[28:29], v[38:39], v[36:37] neg_lo:[0,1] neg_hi:[0,1]
	v_add_f32_e32 v29, v30, v29
	v_add_f32_e32 v28, v28, v29
	;; [unrolled: 1-line block ×3, first 2 shown]
	v_mul_f32_e32 v30, v42, v29
	v_mul_f32_e32 v34, v41, v30
	v_fma_f32 v36, v30, v41, -v34
	v_fmac_f32_e32 v36, v30, v17
	v_sub_f32_e32 v17, v35, v29
	v_add_f32_e32 v17, v28, v17
	v_add_f32_e32 v28, v34, v36
	v_sub_f32_e32 v35, v29, v28
	v_pk_add_f32 v[38:39], v[28:29], v[34:35] neg_lo:[0,1] neg_hi:[0,1]
	v_mov_b32_e32 v37, v28
	v_pk_add_f32 v[28:29], v[38:39], v[36:37] neg_lo:[0,1] neg_hi:[0,1]
	v_add_f32_e32 v17, v17, v29
	v_add_f32_e32 v17, v28, v17
	;; [unrolled: 1-line block ×4, first 2 shown]
	v_sub_f32_e32 v29, v28, v43
	v_mul_f32_e32 v17, v42, v17
	v_sub_f32_e32 v29, v30, v29
	v_add_f32_e32 v17, v29, v17
	v_add_f32_e32 v30, v28, v17
	v_mul_f32_e32 v35, v30, v30
	v_mov_b32_e32 v34, 0x3ecc95a3
	v_fmac_f32_e32 v34, 0x3e9b6dac, v35
	v_mov_b32_e32 v29, 0x3f2aaada
	v_fmac_f32_e32 v29, v35, v34
	v_cvt_f32_i32_e32 v34, v40
	v_sub_f32_e32 v28, v30, v28
	v_sub_f32_e32 v17, v17, v28
	v_mul_f32_e32 v35, v30, v35
	v_mov_b32_e32 v28, 0x3f317218
	s_mov_b32 s46, 0x3f317218
	v_pk_mul_f32 v[28:29], v[34:35], v[28:29]
	v_fma_f32 v36, v34, s46, -v28
	v_ldexp_f32 v37, v30, 1
	v_fmac_f32_e32 v36, 0xb102e308, v34
	v_pk_add_f32 v[34:35], v[28:29], v[36:37]
	v_sub_f32_e32 v30, v35, v37
	v_ldexp_f32 v17, v17, 1
	v_sub_f32_e32 v30, v29, v30
	v_add_f32_e32 v39, v17, v30
	v_mov_b32_e32 v38, v28
	v_pk_add_f32 v[28:29], v[34:35], v[28:29] neg_lo:[0,1] neg_hi:[0,1]
	v_pk_add_f32 v[40:41], v[34:35], v[38:39]
	v_mov_b32_e32 v29, v41
	v_mov_b32_e32 v37, v34
	v_pk_add_f32 v[42:43], v[36:37], v[28:29] neg_lo:[0,1] neg_hi:[0,1]
	v_pk_add_f32 v[28:29], v[36:37], v[28:29]
	v_mov_b32_e32 v30, v29
	v_pk_add_f32 v[36:37], v[30:31], v[34:35] neg_lo:[0,1] neg_hi:[0,1]
	v_mov_b32_e32 v17, v36
	v_pk_add_f32 v[44:45], v[40:41], v[16:17] neg_lo:[0,1] neg_hi:[0,1]
	v_mov_b32_e32 v28, v41
	v_mov_b32_e32 v40, v35
	;; [unrolled: 1-line block ×4, first 2 shown]
	v_pk_add_f32 v[28:29], v[28:29], v[40:41] neg_lo:[0,1] neg_hi:[0,1]
	v_mov_b32_e32 v36, v39
	v_mov_b32_e32 v37, v34
	v_pk_add_f32 v[28:29], v[36:37], v[28:29] neg_lo:[0,1] neg_hi:[0,1]
	v_mov_b32_e32 v44, v42
	v_pk_add_f32 v[34:35], v[44:45], v[28:29]
	v_mov_b32_e32 v36, v35
	v_pk_add_f32 v[36:37], v[34:35], v[36:37]
	v_pk_add_f32 v[38:39], v[30:31], v[36:37]
	v_mov_b32_e32 v35, v38
	v_pk_add_f32 v[40:41], v[34:35], v[42:43] neg_lo:[0,1] neg_hi:[0,1]
	v_mov_b32_e32 v29, v36
	v_sub_f32_e32 v17, v34, v40
	v_pk_add_f32 v[28:29], v[28:29], v[40:41] neg_lo:[0,1] neg_hi:[0,1]
	v_sub_f32_e32 v17, v42, v17
	v_add_f32_e32 v17, v28, v17
	v_cmp_eq_f32_e64 s[46:47], s50, v27
	s_mov_b32 s50, 0x33800000
	v_add_f32_e32 v17, v17, v29
	v_cmp_lt_f32_e64 s[50:51], |v27|, s50
	v_add_f32_e32 v17, v38, v17
	s_or_b64 s[46:47], s[46:47], s[50:51]
	v_cndmask_b32_e64 v17, v17, v27, s[46:47]
	v_add_f32_e32 v34, v16, v17
.LBB145_46:
	s_or_b64 exec, exec, s[48:49]
	v_max_f32_e32 v16, v34, v34
	v_max_f32_e32 v27, v8, v8
	v_min_f32_e32 v17, v16, v27
	v_cmp_u_f32_e64 s[48:49], v34, v34
	v_max_f32_e32 v16, v16, v27
	v_cndmask_b32_e64 v17, v17, v34, s[48:49]
	v_cmp_u_f32_e64 s[46:47], v8, v8
	v_cndmask_b32_e64 v16, v16, v34, s[48:49]
	v_cndmask_b32_e64 v17, v17, v8, s[46:47]
	;; [unrolled: 1-line block ×3, first 2 shown]
	v_cmp_neq_f32_e64 s[48:49], v17, v16
	v_cmp_class_f32_e64 s[50:51], v17, s33
	s_or_b64 s[48:49], s[48:49], s[50:51]
	s_and_saveexec_b64 s[50:51], s[48:49]
	s_cbranch_execz .LBB145_48
; %bb.47:
	v_sub_f32_e32 v17, v17, v16
	s_mov_b32 s33, 0x3fb8aa3b
	v_mul_f32_e32 v28, 0x3fb8aa3b, v17
	v_fma_f32 v29, v17, s33, -v28
	v_rndne_f32_e32 v30, v28
	v_fmac_f32_e32 v29, 0x32a5705f, v17
	v_sub_f32_e32 v28, v28, v30
	v_add_f32_e32 v28, v28, v29
	v_exp_f32_e32 v28, v28
	v_cvt_i32_f32_e32 v29, v30
	s_mov_b32 s33, 0xc2ce8ed0
	v_cmp_ngt_f32_e64 s[48:49], s33, v17
	s_mov_b32 s33, 0x42b17218
	v_ldexp_f32 v28, v28, v29
	v_cndmask_b32_e64 v28, 0, v28, s[48:49]
	v_mov_b32_e32 v29, 0x7f800000
	v_cmp_nlt_f32_e64 s[48:49], s33, v17
	v_cndmask_b32_e64 v46, v29, v28, s[48:49]
	v_add_f32_e32 v17, 1.0, v46
	v_add_f32_e32 v28, -1.0, v17
	v_sub_f32_e32 v29, v28, v17
	v_add_f32_e32 v29, 1.0, v29
	v_sub_f32_e32 v28, v46, v28
	v_add_f32_e32 v30, v28, v29
	v_frexp_mant_f32_e32 v34, v17
	s_mov_b32 s33, 0x3f2aaaab
	v_cvt_f64_f32_e32 v[28:29], v17
	v_frexp_exp_i32_f64_e32 v28, v[28:29]
	v_cmp_gt_f32_e64 s[48:49], s33, v34
	v_subbrev_co_u32_e64 v40, s[48:49], 0, v28, s[48:49]
	v_sub_u32_e32 v28, 0, v40
	v_ldexp_f32 v17, v17, v28
	v_ldexp_f32 v28, v30, v28
	v_add_f32_e32 v30, -1.0, v17
	v_add_f32_e32 v29, 1.0, v30
	v_sub_f32_e32 v29, v17, v29
	v_add_f32_e32 v34, v28, v29
	v_add_f32_e32 v29, 1.0, v17
	v_add_f32_e32 v35, -1.0, v29
	v_sub_f32_e32 v17, v17, v35
	v_add_f32_e32 v17, v28, v17
	v_add_f32_e32 v41, v29, v17
	v_rcp_f32_e32 v42, v41
	v_sub_f32_e32 v28, v29, v41
	v_add_f32_e32 v29, v30, v34
	v_add_f32_e32 v17, v17, v28
	v_sub_f32_e32 v28, v30, v29
	v_mul_f32_e32 v43, v29, v42
	v_add_f32_e32 v30, v34, v28
	v_mul_f32_e32 v34, v41, v43
	v_fma_f32 v36, v43, v41, -v34
	v_fmac_f32_e32 v36, v43, v17
	v_add_f32_e32 v28, v34, v36
	v_sub_f32_e32 v35, v29, v28
	v_pk_add_f32 v[38:39], v[28:29], v[34:35] neg_lo:[0,1] neg_hi:[0,1]
	v_mov_b32_e32 v37, v28
	v_pk_add_f32 v[28:29], v[38:39], v[36:37] neg_lo:[0,1] neg_hi:[0,1]
	v_add_f32_e32 v29, v30, v29
	v_add_f32_e32 v28, v28, v29
	;; [unrolled: 1-line block ×3, first 2 shown]
	v_mul_f32_e32 v30, v42, v29
	v_mul_f32_e32 v34, v41, v30
	v_fma_f32 v36, v30, v41, -v34
	v_fmac_f32_e32 v36, v30, v17
	v_sub_f32_e32 v17, v35, v29
	v_add_f32_e32 v17, v28, v17
	v_add_f32_e32 v28, v34, v36
	v_sub_f32_e32 v35, v29, v28
	v_pk_add_f32 v[38:39], v[28:29], v[34:35] neg_lo:[0,1] neg_hi:[0,1]
	v_mov_b32_e32 v37, v28
	v_pk_add_f32 v[28:29], v[38:39], v[36:37] neg_lo:[0,1] neg_hi:[0,1]
	v_add_f32_e32 v17, v17, v29
	v_add_f32_e32 v17, v28, v17
	;; [unrolled: 1-line block ×4, first 2 shown]
	v_sub_f32_e32 v29, v28, v43
	v_mul_f32_e32 v17, v42, v17
	v_sub_f32_e32 v29, v30, v29
	v_add_f32_e32 v17, v29, v17
	v_add_f32_e32 v30, v28, v17
	v_mul_f32_e32 v35, v30, v30
	v_mov_b32_e32 v34, 0x3ecc95a3
	v_fmac_f32_e32 v34, 0x3e9b6dac, v35
	v_mov_b32_e32 v29, 0x3f2aaada
	v_fmac_f32_e32 v29, v35, v34
	v_cvt_f32_i32_e32 v34, v40
	v_sub_f32_e32 v28, v30, v28
	v_sub_f32_e32 v17, v17, v28
	v_mul_f32_e32 v35, v30, v35
	v_mov_b32_e32 v28, 0x3f317218
	s_mov_b32 s33, 0x3f317218
	v_pk_mul_f32 v[28:29], v[34:35], v[28:29]
	v_fma_f32 v36, v34, s33, -v28
	v_ldexp_f32 v37, v30, 1
	v_fmac_f32_e32 v36, 0xb102e308, v34
	v_pk_add_f32 v[34:35], v[28:29], v[36:37]
	v_sub_f32_e32 v30, v35, v37
	v_ldexp_f32 v17, v17, 1
	v_sub_f32_e32 v30, v29, v30
	v_add_f32_e32 v39, v17, v30
	v_mov_b32_e32 v38, v28
	v_pk_add_f32 v[28:29], v[34:35], v[28:29] neg_lo:[0,1] neg_hi:[0,1]
	v_pk_add_f32 v[40:41], v[34:35], v[38:39]
	v_mov_b32_e32 v29, v41
	v_mov_b32_e32 v37, v34
	v_pk_add_f32 v[42:43], v[36:37], v[28:29] neg_lo:[0,1] neg_hi:[0,1]
	v_pk_add_f32 v[28:29], v[36:37], v[28:29]
	v_mov_b32_e32 v30, v29
	v_pk_add_f32 v[36:37], v[30:31], v[34:35] neg_lo:[0,1] neg_hi:[0,1]
	v_mov_b32_e32 v17, v36
	v_pk_add_f32 v[44:45], v[40:41], v[16:17] neg_lo:[0,1] neg_hi:[0,1]
	v_mov_b32_e32 v28, v41
	v_mov_b32_e32 v40, v35
	;; [unrolled: 1-line block ×4, first 2 shown]
	v_pk_add_f32 v[28:29], v[28:29], v[40:41] neg_lo:[0,1] neg_hi:[0,1]
	v_mov_b32_e32 v36, v39
	v_mov_b32_e32 v37, v34
	v_pk_add_f32 v[28:29], v[36:37], v[28:29] neg_lo:[0,1] neg_hi:[0,1]
	v_mov_b32_e32 v44, v42
	v_pk_add_f32 v[34:35], v[44:45], v[28:29]
	v_mov_b32_e32 v36, v35
	v_pk_add_f32 v[36:37], v[34:35], v[36:37]
	v_pk_add_f32 v[38:39], v[30:31], v[36:37]
	v_mov_b32_e32 v35, v38
	v_pk_add_f32 v[40:41], v[34:35], v[42:43] neg_lo:[0,1] neg_hi:[0,1]
	v_mov_b32_e32 v29, v36
	v_sub_f32_e32 v17, v34, v40
	v_pk_add_f32 v[28:29], v[28:29], v[40:41] neg_lo:[0,1] neg_hi:[0,1]
	v_sub_f32_e32 v17, v42, v17
	s_mov_b32 s52, 0x7f800000
	v_add_f32_e32 v17, v28, v17
	s_mov_b32 s33, 0x33800000
	v_add_f32_e32 v17, v17, v29
	v_cmp_eq_f32_e64 s[48:49], s52, v46
	v_cmp_lt_f32_e64 s[52:53], |v46|, s33
	v_add_f32_e32 v17, v38, v17
	s_or_b64 s[48:49], s[48:49], s[52:53]
	v_cndmask_b32_e64 v17, v17, v46, s[48:49]
	v_add_f32_e32 v34, v16, v17
.LBB145_48:
	s_or_b64 exec, exec, s[50:51]
	v_max_f32_e32 v16, v34, v34
	v_max_f32_e32 v28, v9, v9
	v_min_f32_e32 v17, v16, v28
	v_cmp_u_f32_e64 s[50:51], v34, v34
	v_max_f32_e32 v16, v16, v28
	v_cndmask_b32_e64 v17, v17, v34, s[50:51]
	v_cmp_u_f32_e64 s[48:49], v9, v9
	v_cndmask_b32_e64 v16, v16, v34, s[50:51]
	v_cndmask_b32_e64 v17, v17, v9, s[48:49]
	;; [unrolled: 1-line block ×3, first 2 shown]
	s_movk_i32 s33, 0x1f8
	v_cmp_neq_f32_e64 s[50:51], v17, v16
	v_cmp_class_f32_e64 s[52:53], v17, s33
	s_or_b64 s[50:51], s[50:51], s[52:53]
	s_and_saveexec_b64 s[52:53], s[50:51]
	s_cbranch_execz .LBB145_50
; %bb.49:
	v_sub_f32_e32 v17, v17, v16
	s_mov_b32 s50, 0x3fb8aa3b
	v_mul_f32_e32 v29, 0x3fb8aa3b, v17
	v_fma_f32 v30, v17, s50, -v29
	v_rndne_f32_e32 v34, v29
	v_fmac_f32_e32 v30, 0x32a5705f, v17
	v_sub_f32_e32 v29, v29, v34
	v_add_f32_e32 v29, v29, v30
	v_exp_f32_e32 v29, v29
	v_cvt_i32_f32_e32 v30, v34
	s_mov_b32 s50, 0xc2ce8ed0
	v_cmp_ngt_f32_e64 s[50:51], s50, v17
	s_mov_b32 s58, 0x7f800000
	v_ldexp_f32 v29, v29, v30
	v_cndmask_b32_e64 v29, 0, v29, s[50:51]
	s_mov_b32 s50, 0x42b17218
	v_mov_b32_e32 v30, 0x7f800000
	v_cmp_nlt_f32_e64 s[50:51], s50, v17
	v_cndmask_b32_e64 v29, v30, v29, s[50:51]
	v_add_f32_e32 v17, 1.0, v29
	v_add_f32_e32 v30, -1.0, v17
	v_sub_f32_e32 v34, v30, v17
	v_add_f32_e32 v34, 1.0, v34
	v_sub_f32_e32 v30, v29, v30
	v_add_f32_e32 v30, v30, v34
	v_frexp_mant_f32_e32 v36, v17
	s_mov_b32 s50, 0x3f2aaaab
	v_cvt_f64_f32_e32 v[34:35], v17
	v_frexp_exp_i32_f64_e32 v34, v[34:35]
	v_cmp_gt_f32_e64 s[50:51], s50, v36
	v_subbrev_co_u32_e64 v42, s[50:51], 0, v34, s[50:51]
	v_sub_u32_e32 v34, 0, v42
	v_ldexp_f32 v17, v17, v34
	v_ldexp_f32 v30, v30, v34
	v_add_f32_e32 v34, -1.0, v17
	v_add_f32_e32 v35, 1.0, v34
	v_sub_f32_e32 v35, v17, v35
	v_add_f32_e32 v36, v30, v35
	v_add_f32_e32 v35, 1.0, v17
	v_add_f32_e32 v37, -1.0, v35
	v_sub_f32_e32 v17, v17, v37
	v_add_f32_e32 v17, v30, v17
	v_add_f32_e32 v30, v35, v17
	v_rcp_f32_e32 v43, v30
	v_sub_f32_e32 v35, v35, v30
	v_add_f32_e32 v17, v17, v35
	v_add_f32_e32 v35, v34, v36
	v_sub_f32_e32 v34, v34, v35
	v_mul_f32_e32 v45, v35, v43
	v_add_f32_e32 v44, v36, v34
	v_mul_f32_e32 v36, v30, v45
	v_fma_f32 v38, v45, v30, -v36
	v_fmac_f32_e32 v38, v45, v17
	v_add_f32_e32 v34, v36, v38
	v_sub_f32_e32 v37, v35, v34
	v_pk_add_f32 v[40:41], v[34:35], v[36:37] neg_lo:[0,1] neg_hi:[0,1]
	v_mov_b32_e32 v39, v34
	v_pk_add_f32 v[34:35], v[40:41], v[38:39] neg_lo:[0,1] neg_hi:[0,1]
	v_add_f32_e32 v35, v44, v35
	v_add_f32_e32 v34, v34, v35
	;; [unrolled: 1-line block ×3, first 2 shown]
	v_mul_f32_e32 v44, v43, v35
	v_mul_f32_e32 v36, v30, v44
	v_fma_f32 v38, v44, v30, -v36
	v_fmac_f32_e32 v38, v44, v17
	v_sub_f32_e32 v17, v37, v35
	v_add_f32_e32 v17, v34, v17
	v_add_f32_e32 v34, v36, v38
	v_sub_f32_e32 v37, v35, v34
	v_pk_add_f32 v[40:41], v[34:35], v[36:37] neg_lo:[0,1] neg_hi:[0,1]
	v_mov_b32_e32 v39, v34
	v_pk_add_f32 v[34:35], v[40:41], v[38:39] neg_lo:[0,1] neg_hi:[0,1]
	v_add_f32_e32 v17, v17, v35
	v_add_f32_e32 v17, v34, v17
	;; [unrolled: 1-line block ×4, first 2 shown]
	v_sub_f32_e32 v34, v30, v45
	v_mul_f32_e32 v17, v43, v17
	v_sub_f32_e32 v34, v44, v34
	v_add_f32_e32 v17, v34, v17
	v_add_f32_e32 v34, v30, v17
	v_mul_f32_e32 v37, v34, v34
	v_mov_b32_e32 v36, 0x3ecc95a3
	v_fmac_f32_e32 v36, 0x3e9b6dac, v37
	v_mov_b32_e32 v35, 0x3f2aaada
	v_fmac_f32_e32 v35, v37, v36
	v_cvt_f32_i32_e32 v36, v42
	v_sub_f32_e32 v30, v34, v30
	v_ldexp_f32 v39, v34, 1
	v_mul_f32_e32 v37, v34, v37
	v_mov_b32_e32 v34, 0x3f317218
	s_mov_b32 s50, 0x3f317218
	v_pk_mul_f32 v[34:35], v[36:37], v[34:35]
	v_fma_f32 v38, v36, s50, -v34
	v_fmac_f32_e32 v38, 0xb102e308, v36
	v_pk_add_f32 v[36:37], v[34:35], v[38:39]
	v_sub_f32_e32 v17, v17, v30
	v_sub_f32_e32 v30, v37, v39
	v_ldexp_f32 v17, v17, 1
	v_sub_f32_e32 v30, v35, v30
	v_add_f32_e32 v41, v17, v30
	v_mov_b32_e32 v40, v34
	v_pk_add_f32 v[34:35], v[36:37], v[34:35] neg_lo:[0,1] neg_hi:[0,1]
	v_pk_add_f32 v[42:43], v[36:37], v[40:41]
	v_mov_b32_e32 v35, v43
	v_mov_b32_e32 v39, v36
	v_pk_add_f32 v[44:45], v[38:39], v[34:35] neg_lo:[0,1] neg_hi:[0,1]
	v_pk_add_f32 v[34:35], v[38:39], v[34:35]
	v_mov_b32_e32 v30, v35
	v_pk_add_f32 v[38:39], v[30:31], v[36:37] neg_lo:[0,1] neg_hi:[0,1]
	v_mov_b32_e32 v17, v38
	v_pk_add_f32 v[46:47], v[42:43], v[16:17] neg_lo:[0,1] neg_hi:[0,1]
	v_mov_b32_e32 v34, v43
	v_mov_b32_e32 v42, v37
	;; [unrolled: 1-line block ×4, first 2 shown]
	v_pk_add_f32 v[34:35], v[34:35], v[42:43] neg_lo:[0,1] neg_hi:[0,1]
	v_mov_b32_e32 v38, v41
	v_mov_b32_e32 v39, v36
	v_pk_add_f32 v[34:35], v[38:39], v[34:35] neg_lo:[0,1] neg_hi:[0,1]
	v_mov_b32_e32 v46, v44
	v_pk_add_f32 v[36:37], v[46:47], v[34:35]
	v_mov_b32_e32 v38, v37
	v_pk_add_f32 v[38:39], v[36:37], v[38:39]
	v_pk_add_f32 v[40:41], v[30:31], v[38:39]
	v_mov_b32_e32 v37, v40
	v_pk_add_f32 v[42:43], v[36:37], v[44:45] neg_lo:[0,1] neg_hi:[0,1]
	v_mov_b32_e32 v35, v38
	v_sub_f32_e32 v17, v36, v42
	v_pk_add_f32 v[34:35], v[34:35], v[42:43] neg_lo:[0,1] neg_hi:[0,1]
	v_sub_f32_e32 v17, v44, v17
	v_add_f32_e32 v17, v34, v17
	v_cmp_eq_f32_e64 s[50:51], s58, v29
	s_mov_b32 s58, 0x33800000
	v_add_f32_e32 v17, v17, v35
	v_cmp_lt_f32_e64 s[58:59], |v29|, s58
	v_add_f32_e32 v17, v40, v17
	s_or_b64 s[50:51], s[50:51], s[58:59]
	v_cndmask_b32_e64 v17, v17, v29, s[50:51]
	v_add_f32_e32 v34, v16, v17
.LBB145_50:
	s_or_b64 exec, exec, s[52:53]
	v_max_f32_e32 v16, v34, v34
	v_max_f32_e32 v29, v14, v14
	v_min_f32_e32 v17, v16, v29
	v_cmp_u_f32_e64 s[52:53], v34, v34
	v_max_f32_e32 v16, v16, v29
	v_cndmask_b32_e64 v17, v17, v34, s[52:53]
	v_cmp_u_f32_e64 s[50:51], v14, v14
	v_cndmask_b32_e64 v16, v16, v34, s[52:53]
	v_cndmask_b32_e64 v17, v17, v14, s[50:51]
	;; [unrolled: 1-line block ×3, first 2 shown]
	v_cmp_neq_f32_e64 s[52:53], v17, v16
	v_cmp_class_f32_e64 s[58:59], v17, s33
	s_or_b64 s[52:53], s[52:53], s[58:59]
	s_and_saveexec_b64 s[58:59], s[52:53]
	s_cbranch_execz .LBB145_52
; %bb.51:
	v_sub_f32_e32 v17, v17, v16
	s_mov_b32 s33, 0x3fb8aa3b
	v_mul_f32_e32 v30, 0x3fb8aa3b, v17
	v_fma_f32 v34, v17, s33, -v30
	v_rndne_f32_e32 v35, v30
	v_fmac_f32_e32 v34, 0x32a5705f, v17
	v_sub_f32_e32 v30, v30, v35
	v_add_f32_e32 v30, v30, v34
	v_exp_f32_e32 v30, v30
	v_cvt_i32_f32_e32 v34, v35
	s_mov_b32 s33, 0xc2ce8ed0
	v_cmp_ngt_f32_e64 s[52:53], s33, v17
	s_mov_b32 s33, 0x42b17218
	v_ldexp_f32 v30, v30, v34
	v_cndmask_b32_e64 v30, 0, v30, s[52:53]
	v_mov_b32_e32 v34, 0x7f800000
	v_cmp_nlt_f32_e64 s[52:53], s33, v17
	v_cndmask_b32_e64 v48, v34, v30, s[52:53]
	v_add_f32_e32 v17, 1.0, v48
	v_add_f32_e32 v30, -1.0, v17
	v_sub_f32_e32 v34, v30, v17
	v_add_f32_e32 v34, 1.0, v34
	v_sub_f32_e32 v30, v48, v30
	v_add_f32_e32 v30, v30, v34
	v_frexp_mant_f32_e32 v36, v17
	s_mov_b32 s33, 0x3f2aaaab
	v_cvt_f64_f32_e32 v[34:35], v17
	v_frexp_exp_i32_f64_e32 v34, v[34:35]
	v_cmp_gt_f32_e64 s[52:53], s33, v36
	v_subbrev_co_u32_e64 v42, s[52:53], 0, v34, s[52:53]
	v_sub_u32_e32 v34, 0, v42
	v_ldexp_f32 v17, v17, v34
	v_ldexp_f32 v30, v30, v34
	v_add_f32_e32 v34, -1.0, v17
	v_add_f32_e32 v35, 1.0, v34
	v_sub_f32_e32 v35, v17, v35
	v_add_f32_e32 v36, v30, v35
	v_add_f32_e32 v35, 1.0, v17
	v_add_f32_e32 v37, -1.0, v35
	v_sub_f32_e32 v17, v17, v37
	v_add_f32_e32 v17, v30, v17
	v_add_f32_e32 v30, v35, v17
	v_rcp_f32_e32 v43, v30
	v_sub_f32_e32 v35, v35, v30
	v_add_f32_e32 v17, v17, v35
	v_add_f32_e32 v35, v34, v36
	v_sub_f32_e32 v34, v34, v35
	v_mul_f32_e32 v45, v35, v43
	v_add_f32_e32 v44, v36, v34
	v_mul_f32_e32 v36, v30, v45
	v_fma_f32 v38, v45, v30, -v36
	v_fmac_f32_e32 v38, v45, v17
	v_add_f32_e32 v34, v36, v38
	v_sub_f32_e32 v37, v35, v34
	v_pk_add_f32 v[40:41], v[34:35], v[36:37] neg_lo:[0,1] neg_hi:[0,1]
	v_mov_b32_e32 v39, v34
	v_pk_add_f32 v[34:35], v[40:41], v[38:39] neg_lo:[0,1] neg_hi:[0,1]
	v_add_f32_e32 v35, v44, v35
	v_add_f32_e32 v34, v34, v35
	;; [unrolled: 1-line block ×3, first 2 shown]
	v_mul_f32_e32 v44, v43, v35
	v_mul_f32_e32 v36, v30, v44
	v_fma_f32 v38, v44, v30, -v36
	v_fmac_f32_e32 v38, v44, v17
	v_sub_f32_e32 v17, v37, v35
	v_add_f32_e32 v17, v34, v17
	v_add_f32_e32 v34, v36, v38
	v_sub_f32_e32 v37, v35, v34
	v_pk_add_f32 v[40:41], v[34:35], v[36:37] neg_lo:[0,1] neg_hi:[0,1]
	v_mov_b32_e32 v39, v34
	v_pk_add_f32 v[34:35], v[40:41], v[38:39] neg_lo:[0,1] neg_hi:[0,1]
	v_add_f32_e32 v17, v17, v35
	v_add_f32_e32 v17, v34, v17
	;; [unrolled: 1-line block ×4, first 2 shown]
	v_sub_f32_e32 v34, v30, v45
	v_mul_f32_e32 v17, v43, v17
	v_sub_f32_e32 v34, v44, v34
	v_add_f32_e32 v17, v34, v17
	v_add_f32_e32 v34, v30, v17
	v_mul_f32_e32 v37, v34, v34
	v_mov_b32_e32 v36, 0x3ecc95a3
	v_fmac_f32_e32 v36, 0x3e9b6dac, v37
	v_mov_b32_e32 v35, 0x3f2aaada
	v_fmac_f32_e32 v35, v37, v36
	v_cvt_f32_i32_e32 v36, v42
	v_sub_f32_e32 v30, v34, v30
	v_ldexp_f32 v39, v34, 1
	v_mul_f32_e32 v37, v34, v37
	v_mov_b32_e32 v34, 0x3f317218
	s_mov_b32 s33, 0x3f317218
	v_pk_mul_f32 v[34:35], v[36:37], v[34:35]
	v_fma_f32 v38, v36, s33, -v34
	v_fmac_f32_e32 v38, 0xb102e308, v36
	v_pk_add_f32 v[36:37], v[34:35], v[38:39]
	v_sub_f32_e32 v17, v17, v30
	v_sub_f32_e32 v30, v37, v39
	v_ldexp_f32 v17, v17, 1
	v_sub_f32_e32 v30, v35, v30
	v_add_f32_e32 v41, v17, v30
	v_mov_b32_e32 v40, v34
	v_pk_add_f32 v[34:35], v[36:37], v[34:35] neg_lo:[0,1] neg_hi:[0,1]
	v_pk_add_f32 v[42:43], v[36:37], v[40:41]
	v_mov_b32_e32 v35, v43
	v_mov_b32_e32 v39, v36
	v_pk_add_f32 v[44:45], v[38:39], v[34:35] neg_lo:[0,1] neg_hi:[0,1]
	v_pk_add_f32 v[34:35], v[38:39], v[34:35]
	v_mov_b32_e32 v30, v35
	v_pk_add_f32 v[38:39], v[30:31], v[36:37] neg_lo:[0,1] neg_hi:[0,1]
	v_mov_b32_e32 v17, v38
	v_pk_add_f32 v[46:47], v[42:43], v[16:17] neg_lo:[0,1] neg_hi:[0,1]
	v_mov_b32_e32 v34, v43
	v_mov_b32_e32 v42, v37
	;; [unrolled: 1-line block ×4, first 2 shown]
	v_pk_add_f32 v[34:35], v[34:35], v[42:43] neg_lo:[0,1] neg_hi:[0,1]
	v_mov_b32_e32 v38, v41
	v_mov_b32_e32 v39, v36
	v_pk_add_f32 v[34:35], v[38:39], v[34:35] neg_lo:[0,1] neg_hi:[0,1]
	v_mov_b32_e32 v46, v44
	v_pk_add_f32 v[36:37], v[46:47], v[34:35]
	v_mov_b32_e32 v38, v37
	v_pk_add_f32 v[38:39], v[36:37], v[38:39]
	v_pk_add_f32 v[40:41], v[30:31], v[38:39]
	v_mov_b32_e32 v37, v40
	v_pk_add_f32 v[42:43], v[36:37], v[44:45] neg_lo:[0,1] neg_hi:[0,1]
	v_mov_b32_e32 v35, v38
	v_sub_f32_e32 v17, v36, v42
	v_pk_add_f32 v[34:35], v[34:35], v[42:43] neg_lo:[0,1] neg_hi:[0,1]
	v_sub_f32_e32 v17, v44, v17
	s_mov_b32 s60, 0x7f800000
	v_add_f32_e32 v17, v34, v17
	s_mov_b32 s33, 0x33800000
	v_add_f32_e32 v17, v17, v35
	v_cmp_eq_f32_e64 s[52:53], s60, v48
	v_cmp_lt_f32_e64 s[60:61], |v48|, s33
	v_add_f32_e32 v17, v40, v17
	s_or_b64 s[52:53], s[52:53], s[60:61]
	v_cndmask_b32_e64 v17, v17, v48, s[52:53]
	v_add_f32_e32 v34, v16, v17
.LBB145_52:
	s_or_b64 exec, exec, s[58:59]
	v_max_f32_e32 v16, v34, v34
	v_max_f32_e32 v30, v15, v15
	v_min_f32_e32 v17, v16, v30
	v_cmp_u_f32_e64 s[58:59], v34, v34
	v_max_f32_e32 v16, v16, v30
	v_cndmask_b32_e64 v17, v17, v34, s[58:59]
	v_cmp_u_f32_e64 s[52:53], v15, v15
	v_cndmask_b32_e64 v16, v16, v34, s[58:59]
	v_cndmask_b32_e64 v17, v17, v15, s[52:53]
	;; [unrolled: 1-line block ×3, first 2 shown]
	s_movk_i32 s33, 0x1f8
	v_cmp_neq_f32_e64 s[58:59], v17, v16
	v_cmp_class_f32_e64 s[60:61], v17, s33
	s_or_b64 s[58:59], s[58:59], s[60:61]
	s_and_saveexec_b64 s[60:61], s[58:59]
	s_cbranch_execz .LBB145_54
; %bb.53:
	v_sub_f32_e32 v17, v17, v16
	s_mov_b32 s33, 0x3fb8aa3b
	v_mul_f32_e32 v34, 0x3fb8aa3b, v17
	v_fma_f32 v35, v17, s33, -v34
	v_rndne_f32_e32 v36, v34
	v_fmac_f32_e32 v35, 0x32a5705f, v17
	v_sub_f32_e32 v34, v34, v36
	v_add_f32_e32 v34, v34, v35
	v_exp_f32_e32 v34, v34
	v_cvt_i32_f32_e32 v35, v36
	s_mov_b32 s33, 0xc2ce8ed0
	v_cmp_ngt_f32_e64 s[58:59], s33, v17
	s_mov_b32 s33, 0x42b17218
	v_ldexp_f32 v34, v34, v35
	v_cndmask_b32_e64 v34, 0, v34, s[58:59]
	v_mov_b32_e32 v35, 0x7f800000
	v_cmp_nlt_f32_e64 s[58:59], s33, v17
	v_cndmask_b32_e64 v50, v35, v34, s[58:59]
	v_add_f32_e32 v17, 1.0, v50
	v_add_f32_e32 v34, -1.0, v17
	v_sub_f32_e32 v35, v34, v17
	v_add_f32_e32 v35, 1.0, v35
	v_sub_f32_e32 v34, v50, v34
	v_add_f32_e32 v36, v34, v35
	v_frexp_mant_f32_e32 v37, v17
	s_mov_b32 s33, 0x3f2aaaab
	v_cvt_f64_f32_e32 v[34:35], v17
	v_frexp_exp_i32_f64_e32 v34, v[34:35]
	v_cmp_gt_f32_e64 s[58:59], s33, v37
	v_subbrev_co_u32_e64 v42, s[58:59], 0, v34, s[58:59]
	v_sub_u32_e32 v34, 0, v42
	v_ldexp_f32 v17, v17, v34
	v_ldexp_f32 v34, v36, v34
	v_add_f32_e32 v36, -1.0, v17
	v_add_f32_e32 v35, 1.0, v36
	v_sub_f32_e32 v35, v17, v35
	v_add_f32_e32 v37, v34, v35
	v_add_f32_e32 v35, 1.0, v17
	v_add_f32_e32 v38, -1.0, v35
	v_sub_f32_e32 v17, v17, v38
	v_add_f32_e32 v17, v34, v17
	v_add_f32_e32 v43, v35, v17
	v_rcp_f32_e32 v44, v43
	v_sub_f32_e32 v34, v35, v43
	v_add_f32_e32 v35, v36, v37
	v_add_f32_e32 v17, v17, v34
	v_mul_f32_e32 v46, v35, v44
	v_sub_f32_e32 v34, v36, v35
	v_mul_f32_e32 v36, v43, v46
	v_fma_f32 v38, v46, v43, -v36
	v_fmac_f32_e32 v38, v46, v17
	v_add_f32_e32 v45, v37, v34
	v_add_f32_e32 v34, v36, v38
	v_sub_f32_e32 v37, v35, v34
	v_pk_add_f32 v[40:41], v[34:35], v[36:37] neg_lo:[0,1] neg_hi:[0,1]
	v_mov_b32_e32 v39, v34
	v_pk_add_f32 v[34:35], v[40:41], v[38:39] neg_lo:[0,1] neg_hi:[0,1]
	v_add_f32_e32 v35, v45, v35
	v_add_f32_e32 v34, v34, v35
	;; [unrolled: 1-line block ×3, first 2 shown]
	v_mul_f32_e32 v45, v44, v35
	v_mul_f32_e32 v36, v43, v45
	v_fma_f32 v38, v45, v43, -v36
	v_fmac_f32_e32 v38, v45, v17
	v_sub_f32_e32 v17, v37, v35
	v_add_f32_e32 v17, v34, v17
	v_add_f32_e32 v34, v36, v38
	v_sub_f32_e32 v37, v35, v34
	v_pk_add_f32 v[40:41], v[34:35], v[36:37] neg_lo:[0,1] neg_hi:[0,1]
	v_mov_b32_e32 v39, v34
	v_pk_add_f32 v[34:35], v[40:41], v[38:39] neg_lo:[0,1] neg_hi:[0,1]
	v_add_f32_e32 v17, v17, v35
	v_add_f32_e32 v17, v34, v17
	;; [unrolled: 1-line block ×4, first 2 shown]
	v_sub_f32_e32 v35, v34, v46
	v_mul_f32_e32 v17, v44, v17
	v_sub_f32_e32 v35, v45, v35
	v_add_f32_e32 v17, v35, v17
	v_add_f32_e32 v37, v34, v17
	v_mul_f32_e32 v38, v37, v37
	v_mov_b32_e32 v36, 0x3ecc95a3
	v_fmac_f32_e32 v36, 0x3e9b6dac, v38
	v_mov_b32_e32 v35, 0x3f2aaada
	v_fmac_f32_e32 v35, v38, v36
	v_cvt_f32_i32_e32 v36, v42
	v_sub_f32_e32 v34, v37, v34
	v_sub_f32_e32 v17, v17, v34
	v_ldexp_f32 v39, v37, 1
	v_mul_f32_e32 v37, v37, v38
	v_mov_b32_e32 v34, 0x3f317218
	s_mov_b32 s33, 0x3f317218
	v_pk_mul_f32 v[34:35], v[36:37], v[34:35]
	v_fma_f32 v38, v36, s33, -v34
	v_fmac_f32_e32 v38, 0xb102e308, v36
	v_pk_add_f32 v[36:37], v[34:35], v[38:39]
	v_sub_f32_e32 v39, v37, v39
	v_ldexp_f32 v17, v17, 1
	v_sub_f32_e32 v39, v35, v39
	v_add_f32_e32 v41, v17, v39
	v_mov_b32_e32 v40, v34
	v_pk_add_f32 v[34:35], v[36:37], v[34:35] neg_lo:[0,1] neg_hi:[0,1]
	v_pk_add_f32 v[42:43], v[36:37], v[40:41]
	v_mov_b32_e32 v35, v43
	v_mov_b32_e32 v39, v36
	v_pk_add_f32 v[44:45], v[38:39], v[34:35] neg_lo:[0,1] neg_hi:[0,1]
	v_pk_add_f32 v[34:35], v[38:39], v[34:35]
	v_mov_b32_e32 v38, v35
	v_pk_add_f32 v[46:47], v[38:39], v[36:37] neg_lo:[0,1] neg_hi:[0,1]
	v_mov_b32_e32 v17, v46
	v_pk_add_f32 v[48:49], v[42:43], v[16:17] neg_lo:[0,1] neg_hi:[0,1]
	v_mov_b32_e32 v34, v43
	v_mov_b32_e32 v42, v37
	;; [unrolled: 1-line block ×4, first 2 shown]
	v_pk_add_f32 v[34:35], v[34:35], v[42:43] neg_lo:[0,1] neg_hi:[0,1]
	v_mov_b32_e32 v40, v41
	v_mov_b32_e32 v41, v36
	v_pk_add_f32 v[34:35], v[40:41], v[34:35] neg_lo:[0,1] neg_hi:[0,1]
	v_mov_b32_e32 v48, v44
	v_pk_add_f32 v[36:37], v[48:49], v[34:35]
	v_mov_b32_e32 v40, v37
	v_pk_add_f32 v[40:41], v[36:37], v[40:41]
	v_pk_add_f32 v[38:39], v[38:39], v[40:41]
	v_mov_b32_e32 v37, v38
	v_pk_add_f32 v[42:43], v[36:37], v[44:45] neg_lo:[0,1] neg_hi:[0,1]
	v_mov_b32_e32 v35, v40
	v_sub_f32_e32 v17, v36, v42
	v_pk_add_f32 v[34:35], v[34:35], v[42:43] neg_lo:[0,1] neg_hi:[0,1]
	v_sub_f32_e32 v17, v44, v17
	s_mov_b32 s62, 0x7f800000
	v_add_f32_e32 v17, v34, v17
	s_mov_b32 s33, 0x33800000
	v_add_f32_e32 v17, v17, v35
	v_cmp_eq_f32_e64 s[58:59], s62, v50
	v_cmp_lt_f32_e64 s[62:63], |v50|, s33
	v_add_f32_e32 v17, v38, v17
	s_or_b64 s[58:59], s[58:59], s[62:63]
	v_cndmask_b32_e64 v17, v17, v50, s[58:59]
	v_add_f32_e32 v34, v16, v17
.LBB145_54:
	s_or_b64 exec, exec, s[60:61]
	s_load_dwordx2 s[62:63], s[4:5], 0x18
	v_lshrrev_b32_e32 v16, 3, v0
	v_and_b32_e32 v16, 12, v16
	v_add_u32_e32 v16, v18, v16
	v_cmp_gt_u32_e64 s[4:5], 64, v0
	ds_write_b32 v16, v34
	s_waitcnt lgkmcnt(0)
	s_barrier
	s_and_saveexec_b64 s[64:65], s[4:5]
	s_cbranch_execz .LBB145_86
; %bb.55:
	v_lshlrev_b32_e32 v16, 1, v0
	v_lshrrev_b32_e32 v17, 4, v0
	v_add_lshl_u32 v35, v17, v16, 2
	ds_read2_b32 v[16:17], v35 offset1:1
	s_movk_i32 s33, 0x1f8
	s_waitcnt lgkmcnt(0)
	v_max_f32_e32 v38, v17, v17
	v_max_f32_e32 v36, v16, v16
	v_min_f32_e32 v37, v36, v38
	v_cmp_u_f32_e64 s[4:5], v16, v16
	v_max_f32_e32 v38, v36, v38
	v_cndmask_b32_e64 v37, v37, v16, s[4:5]
	v_cmp_u_f32_e64 s[58:59], v17, v17
	v_cndmask_b32_e64 v38, v38, v16, s[4:5]
	v_cndmask_b32_e64 v37, v37, v17, s[58:59]
	;; [unrolled: 1-line block ×3, first 2 shown]
	v_cmp_neq_f32_e64 s[58:59], v37, v17
	v_cmp_class_f32_e64 s[60:61], v37, s33
	s_or_b64 s[58:59], s[58:59], s[60:61]
	v_mov_b32_e32 v38, v16
	s_and_saveexec_b64 s[60:61], s[58:59]
	s_cbranch_execz .LBB145_57
; %bb.56:
	v_sub_f32_e32 v37, v37, v17
	s_mov_b32 s33, 0x3fb8aa3b
	v_mul_f32_e32 v38, 0x3fb8aa3b, v37
	v_fma_f32 v39, v37, s33, -v38
	v_rndne_f32_e32 v40, v38
	v_fmac_f32_e32 v39, 0x32a5705f, v37
	v_sub_f32_e32 v38, v38, v40
	v_add_f32_e32 v38, v38, v39
	v_exp_f32_e32 v38, v38
	v_cvt_i32_f32_e32 v39, v40
	s_mov_b32 s33, 0xc2ce8ed0
	v_cmp_ngt_f32_e64 s[58:59], s33, v37
	s_mov_b32 s33, 0x42b17218
	v_ldexp_f32 v38, v38, v39
	v_cndmask_b32_e64 v38, 0, v38, s[58:59]
	v_mov_b32_e32 v39, 0x7f800000
	v_cmp_nlt_f32_e64 s[58:59], s33, v37
	v_cndmask_b32_e64 v54, v39, v38, s[58:59]
	v_add_f32_e32 v37, 1.0, v54
	v_add_f32_e32 v38, -1.0, v37
	v_sub_f32_e32 v39, v38, v37
	v_add_f32_e32 v39, 1.0, v39
	v_sub_f32_e32 v38, v54, v38
	v_add_f32_e32 v40, v38, v39
	v_frexp_mant_f32_e32 v41, v37
	s_mov_b32 s33, 0x3f2aaaab
	v_cvt_f64_f32_e32 v[38:39], v37
	v_frexp_exp_i32_f64_e32 v38, v[38:39]
	v_cmp_gt_f32_e64 s[58:59], s33, v41
	v_subbrev_co_u32_e64 v46, s[58:59], 0, v38, s[58:59]
	v_sub_u32_e32 v38, 0, v46
	v_ldexp_f32 v37, v37, v38
	v_ldexp_f32 v38, v40, v38
	v_add_f32_e32 v40, -1.0, v37
	v_add_f32_e32 v39, 1.0, v40
	v_sub_f32_e32 v39, v37, v39
	v_add_f32_e32 v41, v38, v39
	v_add_f32_e32 v39, 1.0, v37
	v_add_f32_e32 v42, -1.0, v39
	v_sub_f32_e32 v37, v37, v42
	v_add_f32_e32 v37, v38, v37
	v_add_f32_e32 v47, v39, v37
	v_rcp_f32_e32 v48, v47
	v_sub_f32_e32 v38, v39, v47
	v_add_f32_e32 v39, v40, v41
	v_add_f32_e32 v37, v37, v38
	v_mul_f32_e32 v50, v39, v48
	v_sub_f32_e32 v38, v40, v39
	v_mul_f32_e32 v40, v47, v50
	v_fma_f32 v42, v50, v47, -v40
	v_fmac_f32_e32 v42, v50, v37
	v_add_f32_e32 v49, v41, v38
	v_add_f32_e32 v38, v40, v42
	v_sub_f32_e32 v41, v39, v38
	v_pk_add_f32 v[44:45], v[38:39], v[40:41] neg_lo:[0,1] neg_hi:[0,1]
	v_mov_b32_e32 v43, v38
	v_pk_add_f32 v[38:39], v[44:45], v[42:43] neg_lo:[0,1] neg_hi:[0,1]
	v_add_f32_e32 v39, v49, v39
	v_add_f32_e32 v38, v38, v39
	;; [unrolled: 1-line block ×3, first 2 shown]
	v_mul_f32_e32 v49, v48, v39
	v_mul_f32_e32 v40, v47, v49
	v_fma_f32 v42, v49, v47, -v40
	v_fmac_f32_e32 v42, v49, v37
	v_sub_f32_e32 v37, v41, v39
	v_add_f32_e32 v37, v38, v37
	v_add_f32_e32 v38, v40, v42
	v_sub_f32_e32 v41, v39, v38
	v_pk_add_f32 v[44:45], v[38:39], v[40:41] neg_lo:[0,1] neg_hi:[0,1]
	v_mov_b32_e32 v43, v38
	v_pk_add_f32 v[38:39], v[44:45], v[42:43] neg_lo:[0,1] neg_hi:[0,1]
	v_add_f32_e32 v37, v37, v39
	v_add_f32_e32 v37, v38, v37
	;; [unrolled: 1-line block ×4, first 2 shown]
	v_sub_f32_e32 v39, v38, v50
	v_mul_f32_e32 v37, v48, v37
	v_sub_f32_e32 v39, v49, v39
	v_add_f32_e32 v37, v39, v37
	v_add_f32_e32 v41, v38, v37
	v_mul_f32_e32 v42, v41, v41
	v_mov_b32_e32 v40, 0x3ecc95a3
	v_fmac_f32_e32 v40, 0x3e9b6dac, v42
	v_mov_b32_e32 v39, 0x3f2aaada
	v_fmac_f32_e32 v39, v42, v40
	v_cvt_f32_i32_e32 v40, v46
	v_sub_f32_e32 v38, v41, v38
	v_sub_f32_e32 v37, v37, v38
	v_ldexp_f32 v43, v41, 1
	v_mul_f32_e32 v41, v41, v42
	v_mov_b32_e32 v38, 0x3f317218
	s_mov_b32 s33, 0x3f317218
	v_pk_mul_f32 v[38:39], v[40:41], v[38:39]
	v_fma_f32 v42, v40, s33, -v38
	v_fmac_f32_e32 v42, 0xb102e308, v40
	v_pk_add_f32 v[40:41], v[38:39], v[42:43]
	v_sub_f32_e32 v43, v41, v43
	v_ldexp_f32 v37, v37, 1
	v_sub_f32_e32 v43, v39, v43
	v_add_f32_e32 v45, v37, v43
	v_mov_b32_e32 v44, v38
	v_pk_add_f32 v[38:39], v[40:41], v[38:39] neg_lo:[0,1] neg_hi:[0,1]
	v_pk_add_f32 v[46:47], v[40:41], v[44:45]
	v_mov_b32_e32 v39, v47
	v_mov_b32_e32 v43, v40
	v_pk_add_f32 v[48:49], v[42:43], v[38:39] neg_lo:[0,1] neg_hi:[0,1]
	v_pk_add_f32 v[38:39], v[42:43], v[38:39]
	v_mov_b32_e32 v42, v39
	v_pk_add_f32 v[50:51], v[42:43], v[40:41] neg_lo:[0,1] neg_hi:[0,1]
	v_mov_b32_e32 v37, v50
	v_pk_add_f32 v[52:53], v[46:47], v[36:37] neg_lo:[0,1] neg_hi:[0,1]
	v_mov_b32_e32 v38, v47
	v_mov_b32_e32 v46, v41
	;; [unrolled: 1-line block ×4, first 2 shown]
	v_pk_add_f32 v[38:39], v[38:39], v[46:47] neg_lo:[0,1] neg_hi:[0,1]
	v_mov_b32_e32 v44, v45
	v_mov_b32_e32 v45, v40
	v_pk_add_f32 v[38:39], v[44:45], v[38:39] neg_lo:[0,1] neg_hi:[0,1]
	v_mov_b32_e32 v52, v48
	v_pk_add_f32 v[40:41], v[52:53], v[38:39]
	v_mov_b32_e32 v44, v41
	v_pk_add_f32 v[44:45], v[40:41], v[44:45]
	v_pk_add_f32 v[42:43], v[42:43], v[44:45]
	v_mov_b32_e32 v41, v42
	v_pk_add_f32 v[46:47], v[40:41], v[48:49] neg_lo:[0,1] neg_hi:[0,1]
	v_mov_b32_e32 v39, v44
	v_sub_f32_e32 v37, v40, v46
	v_pk_add_f32 v[38:39], v[38:39], v[46:47] neg_lo:[0,1] neg_hi:[0,1]
	v_sub_f32_e32 v37, v48, v37
	s_mov_b32 s66, 0x7f800000
	v_add_f32_e32 v37, v38, v37
	s_mov_b32 s33, 0x33800000
	v_add_f32_e32 v37, v37, v39
	v_cmp_eq_f32_e64 s[58:59], s66, v54
	v_cmp_lt_f32_e64 s[66:67], |v54|, s33
	v_add_f32_e32 v37, v42, v37
	s_or_b64 s[58:59], s[58:59], s[66:67]
	v_cndmask_b32_e64 v37, v37, v54, s[58:59]
	v_add_f32_e32 v38, v17, v37
.LBB145_57:
	s_or_b64 exec, exec, s[60:61]
	v_mbcnt_lo_u32_b32 v17, -1, 0
	v_mbcnt_hi_u32_b32 v17, -1, v17
	v_and_b32_e32 v37, 15, v17
	v_mov_b32_dpp v39, v38 row_shr:1 row_mask:0xf bank_mask:0xf
	v_cmp_ne_u32_e64 s[58:59], 0, v37
	s_and_saveexec_b64 s[66:67], s[58:59]
	s_cbranch_execz .LBB145_61
; %bb.58:
	v_max_f32_e32 v41, v38, v38
	v_max_f32_e32 v42, v39, v39
	v_min_f32_e32 v40, v42, v41
	v_cmp_u_f32_e64 s[58:59], v39, v39
	v_max_f32_e32 v41, v42, v41
	v_cndmask_b32_e64 v40, v40, v39, s[58:59]
	v_cmp_u_f32_e64 s[60:61], v38, v38
	v_cndmask_b32_e64 v41, v41, v39, s[58:59]
	v_cndmask_b32_e64 v40, v40, v38, s[60:61]
	;; [unrolled: 1-line block ×3, first 2 shown]
	s_movk_i32 s33, 0x1f8
	v_cmp_neq_f32_e64 s[58:59], v40, v38
	v_cmp_class_f32_e64 s[60:61], v40, s33
	s_or_b64 s[58:59], s[58:59], s[60:61]
	s_and_saveexec_b64 s[60:61], s[58:59]
	s_cbranch_execz .LBB145_60
; %bb.59:
	v_sub_f32_e32 v39, v40, v38
	s_mov_b32 s33, 0x3fb8aa3b
	v_mul_f32_e32 v40, 0x3fb8aa3b, v39
	v_fma_f32 v41, v39, s33, -v40
	v_rndne_f32_e32 v42, v40
	v_fmac_f32_e32 v41, 0x32a5705f, v39
	v_sub_f32_e32 v40, v40, v42
	v_add_f32_e32 v40, v40, v41
	v_exp_f32_e32 v40, v40
	v_cvt_i32_f32_e32 v41, v42
	s_mov_b32 s33, 0xc2ce8ed0
	v_cmp_ngt_f32_e64 s[58:59], s33, v39
	s_mov_b32 s33, 0x42b17218
	v_ldexp_f32 v40, v40, v41
	v_cndmask_b32_e64 v40, 0, v40, s[58:59]
	v_mov_b32_e32 v41, 0x7f800000
	v_cmp_nlt_f32_e64 s[58:59], s33, v39
	v_cndmask_b32_e64 v56, v41, v40, s[58:59]
	v_add_f32_e32 v39, 1.0, v56
	v_add_f32_e32 v40, -1.0, v39
	v_sub_f32_e32 v41, v40, v39
	v_add_f32_e32 v41, 1.0, v41
	v_sub_f32_e32 v40, v56, v40
	v_add_f32_e32 v42, v40, v41
	v_frexp_mant_f32_e32 v43, v39
	s_mov_b32 s33, 0x3f2aaaab
	v_cvt_f64_f32_e32 v[40:41], v39
	v_frexp_exp_i32_f64_e32 v40, v[40:41]
	v_cmp_gt_f32_e64 s[58:59], s33, v43
	v_subbrev_co_u32_e64 v48, s[58:59], 0, v40, s[58:59]
	v_sub_u32_e32 v40, 0, v48
	v_ldexp_f32 v39, v39, v40
	v_ldexp_f32 v40, v42, v40
	v_add_f32_e32 v42, -1.0, v39
	v_add_f32_e32 v41, 1.0, v42
	v_sub_f32_e32 v41, v39, v41
	v_add_f32_e32 v43, v40, v41
	v_add_f32_e32 v41, 1.0, v39
	v_add_f32_e32 v44, -1.0, v41
	v_sub_f32_e32 v39, v39, v44
	v_add_f32_e32 v39, v40, v39
	v_add_f32_e32 v49, v41, v39
	v_rcp_f32_e32 v50, v49
	v_sub_f32_e32 v40, v41, v49
	v_add_f32_e32 v41, v42, v43
	v_add_f32_e32 v39, v39, v40
	v_mul_f32_e32 v52, v41, v50
	v_sub_f32_e32 v40, v42, v41
	v_mul_f32_e32 v42, v49, v52
	v_fma_f32 v44, v52, v49, -v42
	v_fmac_f32_e32 v44, v52, v39
	v_add_f32_e32 v51, v43, v40
	v_add_f32_e32 v40, v42, v44
	v_sub_f32_e32 v43, v41, v40
	v_pk_add_f32 v[46:47], v[40:41], v[42:43] neg_lo:[0,1] neg_hi:[0,1]
	v_mov_b32_e32 v45, v40
	v_pk_add_f32 v[40:41], v[46:47], v[44:45] neg_lo:[0,1] neg_hi:[0,1]
	v_add_f32_e32 v41, v51, v41
	v_add_f32_e32 v40, v40, v41
	v_add_f32_e32 v41, v43, v40
	v_mul_f32_e32 v51, v50, v41
	v_mul_f32_e32 v42, v49, v51
	v_fma_f32 v44, v51, v49, -v42
	v_fmac_f32_e32 v44, v51, v39
	v_sub_f32_e32 v39, v43, v41
	v_add_f32_e32 v39, v40, v39
	v_add_f32_e32 v40, v42, v44
	v_sub_f32_e32 v43, v41, v40
	v_pk_add_f32 v[46:47], v[40:41], v[42:43] neg_lo:[0,1] neg_hi:[0,1]
	v_mov_b32_e32 v45, v40
	v_pk_add_f32 v[40:41], v[46:47], v[44:45] neg_lo:[0,1] neg_hi:[0,1]
	v_add_f32_e32 v39, v39, v41
	v_add_f32_e32 v39, v40, v39
	;; [unrolled: 1-line block ×4, first 2 shown]
	v_sub_f32_e32 v41, v40, v52
	v_mul_f32_e32 v39, v50, v39
	v_sub_f32_e32 v41, v51, v41
	v_add_f32_e32 v39, v41, v39
	v_add_f32_e32 v43, v40, v39
	v_mul_f32_e32 v44, v43, v43
	v_mov_b32_e32 v42, 0x3ecc95a3
	v_fmac_f32_e32 v42, 0x3e9b6dac, v44
	v_mov_b32_e32 v41, 0x3f2aaada
	v_fmac_f32_e32 v41, v44, v42
	v_cvt_f32_i32_e32 v42, v48
	v_sub_f32_e32 v40, v43, v40
	v_sub_f32_e32 v39, v39, v40
	v_ldexp_f32 v45, v43, 1
	v_mul_f32_e32 v43, v43, v44
	v_mov_b32_e32 v40, 0x3f317218
	s_mov_b32 s33, 0x3f317218
	v_pk_mul_f32 v[40:41], v[42:43], v[40:41]
	v_fma_f32 v44, v42, s33, -v40
	v_fmac_f32_e32 v44, 0xb102e308, v42
	v_pk_add_f32 v[42:43], v[40:41], v[44:45]
	v_sub_f32_e32 v45, v43, v45
	v_ldexp_f32 v39, v39, 1
	v_sub_f32_e32 v45, v41, v45
	v_add_f32_e32 v47, v39, v45
	v_mov_b32_e32 v46, v40
	v_pk_add_f32 v[40:41], v[42:43], v[40:41] neg_lo:[0,1] neg_hi:[0,1]
	v_pk_add_f32 v[48:49], v[42:43], v[46:47]
	v_mov_b32_e32 v41, v49
	v_mov_b32_e32 v45, v42
	v_pk_add_f32 v[50:51], v[44:45], v[40:41] neg_lo:[0,1] neg_hi:[0,1]
	v_pk_add_f32 v[40:41], v[44:45], v[40:41]
	v_mov_b32_e32 v44, v41
	v_pk_add_f32 v[52:53], v[44:45], v[42:43] neg_lo:[0,1] neg_hi:[0,1]
	v_mov_b32_e32 v39, v52
	v_pk_add_f32 v[54:55], v[48:49], v[38:39] neg_lo:[0,1] neg_hi:[0,1]
	v_mov_b32_e32 v40, v49
	v_mov_b32_e32 v48, v43
	;; [unrolled: 1-line block ×4, first 2 shown]
	v_pk_add_f32 v[40:41], v[40:41], v[48:49] neg_lo:[0,1] neg_hi:[0,1]
	v_mov_b32_e32 v46, v47
	v_mov_b32_e32 v47, v42
	v_pk_add_f32 v[40:41], v[46:47], v[40:41] neg_lo:[0,1] neg_hi:[0,1]
	v_mov_b32_e32 v54, v50
	v_pk_add_f32 v[42:43], v[54:55], v[40:41]
	v_mov_b32_e32 v46, v43
	v_pk_add_f32 v[46:47], v[42:43], v[46:47]
	v_pk_add_f32 v[44:45], v[44:45], v[46:47]
	v_mov_b32_e32 v43, v44
	v_pk_add_f32 v[48:49], v[42:43], v[50:51] neg_lo:[0,1] neg_hi:[0,1]
	v_mov_b32_e32 v41, v46
	v_sub_f32_e32 v39, v42, v48
	v_pk_add_f32 v[40:41], v[40:41], v[48:49] neg_lo:[0,1] neg_hi:[0,1]
	v_sub_f32_e32 v39, v50, v39
	s_mov_b32 s68, 0x7f800000
	v_add_f32_e32 v39, v40, v39
	s_mov_b32 s33, 0x33800000
	v_add_f32_e32 v39, v39, v41
	v_cmp_eq_f32_e64 s[58:59], s68, v56
	v_cmp_lt_f32_e64 s[68:69], |v56|, s33
	v_add_f32_e32 v39, v44, v39
	s_or_b64 s[58:59], s[58:59], s[68:69]
	v_cndmask_b32_e64 v39, v39, v56, s[58:59]
	v_add_f32_e32 v39, v38, v39
.LBB145_60:
	s_or_b64 exec, exec, s[60:61]
	v_mov_b32_e32 v38, v39
.LBB145_61:
	s_or_b64 exec, exec, s[66:67]
	s_nop 0
	v_mov_b32_dpp v39, v38 row_shr:2 row_mask:0xf bank_mask:0xf
	v_cmp_lt_u32_e64 s[58:59], 1, v37
	s_and_saveexec_b64 s[66:67], s[58:59]
	s_cbranch_execz .LBB145_65
; %bb.62:
	v_max_f32_e32 v41, v38, v38
	v_max_f32_e32 v42, v39, v39
	v_min_f32_e32 v40, v42, v41
	v_cmp_u_f32_e64 s[58:59], v39, v39
	v_max_f32_e32 v41, v42, v41
	v_cndmask_b32_e64 v40, v40, v39, s[58:59]
	v_cmp_u_f32_e64 s[60:61], v38, v38
	v_cndmask_b32_e64 v41, v41, v39, s[58:59]
	v_cndmask_b32_e64 v40, v40, v38, s[60:61]
	;; [unrolled: 1-line block ×3, first 2 shown]
	s_movk_i32 s33, 0x1f8
	v_cmp_neq_f32_e64 s[58:59], v40, v38
	v_cmp_class_f32_e64 s[60:61], v40, s33
	s_or_b64 s[58:59], s[58:59], s[60:61]
	s_and_saveexec_b64 s[60:61], s[58:59]
	s_cbranch_execz .LBB145_64
; %bb.63:
	v_sub_f32_e32 v39, v40, v38
	s_mov_b32 s33, 0x3fb8aa3b
	v_mul_f32_e32 v40, 0x3fb8aa3b, v39
	v_fma_f32 v41, v39, s33, -v40
	v_rndne_f32_e32 v42, v40
	v_fmac_f32_e32 v41, 0x32a5705f, v39
	v_sub_f32_e32 v40, v40, v42
	v_add_f32_e32 v40, v40, v41
	v_exp_f32_e32 v40, v40
	v_cvt_i32_f32_e32 v41, v42
	s_mov_b32 s33, 0xc2ce8ed0
	v_cmp_ngt_f32_e64 s[58:59], s33, v39
	s_mov_b32 s33, 0x42b17218
	v_ldexp_f32 v40, v40, v41
	v_cndmask_b32_e64 v40, 0, v40, s[58:59]
	v_mov_b32_e32 v41, 0x7f800000
	v_cmp_nlt_f32_e64 s[58:59], s33, v39
	v_cndmask_b32_e64 v56, v41, v40, s[58:59]
	v_add_f32_e32 v39, 1.0, v56
	v_add_f32_e32 v40, -1.0, v39
	v_sub_f32_e32 v41, v40, v39
	v_add_f32_e32 v41, 1.0, v41
	v_sub_f32_e32 v40, v56, v40
	v_add_f32_e32 v42, v40, v41
	v_frexp_mant_f32_e32 v43, v39
	s_mov_b32 s33, 0x3f2aaaab
	v_cvt_f64_f32_e32 v[40:41], v39
	v_frexp_exp_i32_f64_e32 v40, v[40:41]
	v_cmp_gt_f32_e64 s[58:59], s33, v43
	v_subbrev_co_u32_e64 v48, s[58:59], 0, v40, s[58:59]
	v_sub_u32_e32 v40, 0, v48
	v_ldexp_f32 v39, v39, v40
	v_ldexp_f32 v40, v42, v40
	v_add_f32_e32 v42, -1.0, v39
	v_add_f32_e32 v41, 1.0, v42
	v_sub_f32_e32 v41, v39, v41
	v_add_f32_e32 v43, v40, v41
	v_add_f32_e32 v41, 1.0, v39
	v_add_f32_e32 v44, -1.0, v41
	v_sub_f32_e32 v39, v39, v44
	v_add_f32_e32 v39, v40, v39
	v_add_f32_e32 v49, v41, v39
	v_rcp_f32_e32 v50, v49
	v_sub_f32_e32 v40, v41, v49
	v_add_f32_e32 v41, v42, v43
	v_add_f32_e32 v39, v39, v40
	v_mul_f32_e32 v52, v41, v50
	v_sub_f32_e32 v40, v42, v41
	v_mul_f32_e32 v42, v49, v52
	v_fma_f32 v44, v52, v49, -v42
	v_fmac_f32_e32 v44, v52, v39
	v_add_f32_e32 v51, v43, v40
	v_add_f32_e32 v40, v42, v44
	v_sub_f32_e32 v43, v41, v40
	v_pk_add_f32 v[46:47], v[40:41], v[42:43] neg_lo:[0,1] neg_hi:[0,1]
	v_mov_b32_e32 v45, v40
	v_pk_add_f32 v[40:41], v[46:47], v[44:45] neg_lo:[0,1] neg_hi:[0,1]
	v_add_f32_e32 v41, v51, v41
	v_add_f32_e32 v40, v40, v41
	v_add_f32_e32 v41, v43, v40
	v_mul_f32_e32 v51, v50, v41
	v_mul_f32_e32 v42, v49, v51
	v_fma_f32 v44, v51, v49, -v42
	v_fmac_f32_e32 v44, v51, v39
	v_sub_f32_e32 v39, v43, v41
	v_add_f32_e32 v39, v40, v39
	v_add_f32_e32 v40, v42, v44
	v_sub_f32_e32 v43, v41, v40
	v_pk_add_f32 v[46:47], v[40:41], v[42:43] neg_lo:[0,1] neg_hi:[0,1]
	v_mov_b32_e32 v45, v40
	v_pk_add_f32 v[40:41], v[46:47], v[44:45] neg_lo:[0,1] neg_hi:[0,1]
	v_add_f32_e32 v39, v39, v41
	v_add_f32_e32 v39, v40, v39
	;; [unrolled: 1-line block ×4, first 2 shown]
	v_sub_f32_e32 v41, v40, v52
	v_mul_f32_e32 v39, v50, v39
	v_sub_f32_e32 v41, v51, v41
	v_add_f32_e32 v39, v41, v39
	v_add_f32_e32 v43, v40, v39
	v_mul_f32_e32 v44, v43, v43
	v_mov_b32_e32 v42, 0x3ecc95a3
	v_fmac_f32_e32 v42, 0x3e9b6dac, v44
	v_mov_b32_e32 v41, 0x3f2aaada
	v_fmac_f32_e32 v41, v44, v42
	v_cvt_f32_i32_e32 v42, v48
	v_sub_f32_e32 v40, v43, v40
	v_sub_f32_e32 v39, v39, v40
	v_ldexp_f32 v45, v43, 1
	v_mul_f32_e32 v43, v43, v44
	v_mov_b32_e32 v40, 0x3f317218
	s_mov_b32 s33, 0x3f317218
	v_pk_mul_f32 v[40:41], v[42:43], v[40:41]
	v_fma_f32 v44, v42, s33, -v40
	v_fmac_f32_e32 v44, 0xb102e308, v42
	v_pk_add_f32 v[42:43], v[40:41], v[44:45]
	v_sub_f32_e32 v45, v43, v45
	v_ldexp_f32 v39, v39, 1
	v_sub_f32_e32 v45, v41, v45
	v_add_f32_e32 v47, v39, v45
	v_mov_b32_e32 v46, v40
	v_pk_add_f32 v[40:41], v[42:43], v[40:41] neg_lo:[0,1] neg_hi:[0,1]
	v_pk_add_f32 v[48:49], v[42:43], v[46:47]
	v_mov_b32_e32 v41, v49
	v_mov_b32_e32 v45, v42
	v_pk_add_f32 v[50:51], v[44:45], v[40:41] neg_lo:[0,1] neg_hi:[0,1]
	v_pk_add_f32 v[40:41], v[44:45], v[40:41]
	v_mov_b32_e32 v44, v41
	v_pk_add_f32 v[52:53], v[44:45], v[42:43] neg_lo:[0,1] neg_hi:[0,1]
	v_mov_b32_e32 v39, v52
	v_pk_add_f32 v[54:55], v[48:49], v[38:39] neg_lo:[0,1] neg_hi:[0,1]
	v_mov_b32_e32 v40, v49
	v_mov_b32_e32 v48, v43
	;; [unrolled: 1-line block ×4, first 2 shown]
	v_pk_add_f32 v[40:41], v[40:41], v[48:49] neg_lo:[0,1] neg_hi:[0,1]
	v_mov_b32_e32 v46, v47
	v_mov_b32_e32 v47, v42
	v_pk_add_f32 v[40:41], v[46:47], v[40:41] neg_lo:[0,1] neg_hi:[0,1]
	v_mov_b32_e32 v54, v50
	v_pk_add_f32 v[42:43], v[54:55], v[40:41]
	v_mov_b32_e32 v46, v43
	v_pk_add_f32 v[46:47], v[42:43], v[46:47]
	v_pk_add_f32 v[44:45], v[44:45], v[46:47]
	v_mov_b32_e32 v43, v44
	v_pk_add_f32 v[48:49], v[42:43], v[50:51] neg_lo:[0,1] neg_hi:[0,1]
	v_mov_b32_e32 v41, v46
	v_sub_f32_e32 v39, v42, v48
	v_pk_add_f32 v[40:41], v[40:41], v[48:49] neg_lo:[0,1] neg_hi:[0,1]
	v_sub_f32_e32 v39, v50, v39
	s_mov_b32 s68, 0x7f800000
	v_add_f32_e32 v39, v40, v39
	s_mov_b32 s33, 0x33800000
	v_add_f32_e32 v39, v39, v41
	v_cmp_eq_f32_e64 s[58:59], s68, v56
	v_cmp_lt_f32_e64 s[68:69], |v56|, s33
	v_add_f32_e32 v39, v44, v39
	s_or_b64 s[58:59], s[58:59], s[68:69]
	v_cndmask_b32_e64 v39, v39, v56, s[58:59]
	v_add_f32_e32 v39, v38, v39
.LBB145_64:
	s_or_b64 exec, exec, s[60:61]
	v_mov_b32_e32 v38, v39
.LBB145_65:
	s_or_b64 exec, exec, s[66:67]
	s_nop 0
	v_mov_b32_dpp v39, v38 row_shr:4 row_mask:0xf bank_mask:0xf
	v_cmp_lt_u32_e64 s[58:59], 3, v37
	s_and_saveexec_b64 s[66:67], s[58:59]
	s_cbranch_execz .LBB145_69
; %bb.66:
	v_max_f32_e32 v41, v38, v38
	v_max_f32_e32 v42, v39, v39
	v_min_f32_e32 v40, v42, v41
	v_cmp_u_f32_e64 s[58:59], v39, v39
	v_max_f32_e32 v41, v42, v41
	v_cndmask_b32_e64 v40, v40, v39, s[58:59]
	v_cmp_u_f32_e64 s[60:61], v38, v38
	v_cndmask_b32_e64 v41, v41, v39, s[58:59]
	v_cndmask_b32_e64 v40, v40, v38, s[60:61]
	;; [unrolled: 1-line block ×3, first 2 shown]
	s_movk_i32 s33, 0x1f8
	v_cmp_neq_f32_e64 s[58:59], v40, v38
	v_cmp_class_f32_e64 s[60:61], v40, s33
	s_or_b64 s[58:59], s[58:59], s[60:61]
	s_and_saveexec_b64 s[60:61], s[58:59]
	s_cbranch_execz .LBB145_68
; %bb.67:
	v_sub_f32_e32 v39, v40, v38
	s_mov_b32 s33, 0x3fb8aa3b
	v_mul_f32_e32 v40, 0x3fb8aa3b, v39
	v_fma_f32 v41, v39, s33, -v40
	v_rndne_f32_e32 v42, v40
	v_fmac_f32_e32 v41, 0x32a5705f, v39
	v_sub_f32_e32 v40, v40, v42
	v_add_f32_e32 v40, v40, v41
	v_exp_f32_e32 v40, v40
	v_cvt_i32_f32_e32 v41, v42
	s_mov_b32 s33, 0xc2ce8ed0
	v_cmp_ngt_f32_e64 s[58:59], s33, v39
	s_mov_b32 s33, 0x42b17218
	v_ldexp_f32 v40, v40, v41
	v_cndmask_b32_e64 v40, 0, v40, s[58:59]
	v_mov_b32_e32 v41, 0x7f800000
	v_cmp_nlt_f32_e64 s[58:59], s33, v39
	v_cndmask_b32_e64 v56, v41, v40, s[58:59]
	v_add_f32_e32 v39, 1.0, v56
	v_add_f32_e32 v40, -1.0, v39
	v_sub_f32_e32 v41, v40, v39
	v_add_f32_e32 v41, 1.0, v41
	v_sub_f32_e32 v40, v56, v40
	v_add_f32_e32 v42, v40, v41
	v_frexp_mant_f32_e32 v43, v39
	s_mov_b32 s33, 0x3f2aaaab
	v_cvt_f64_f32_e32 v[40:41], v39
	v_frexp_exp_i32_f64_e32 v40, v[40:41]
	v_cmp_gt_f32_e64 s[58:59], s33, v43
	v_subbrev_co_u32_e64 v48, s[58:59], 0, v40, s[58:59]
	v_sub_u32_e32 v40, 0, v48
	v_ldexp_f32 v39, v39, v40
	v_ldexp_f32 v40, v42, v40
	v_add_f32_e32 v42, -1.0, v39
	v_add_f32_e32 v41, 1.0, v42
	v_sub_f32_e32 v41, v39, v41
	v_add_f32_e32 v43, v40, v41
	v_add_f32_e32 v41, 1.0, v39
	v_add_f32_e32 v44, -1.0, v41
	v_sub_f32_e32 v39, v39, v44
	v_add_f32_e32 v39, v40, v39
	v_add_f32_e32 v49, v41, v39
	v_rcp_f32_e32 v50, v49
	v_sub_f32_e32 v40, v41, v49
	v_add_f32_e32 v41, v42, v43
	v_add_f32_e32 v39, v39, v40
	v_mul_f32_e32 v52, v41, v50
	v_sub_f32_e32 v40, v42, v41
	v_mul_f32_e32 v42, v49, v52
	v_fma_f32 v44, v52, v49, -v42
	v_fmac_f32_e32 v44, v52, v39
	v_add_f32_e32 v51, v43, v40
	v_add_f32_e32 v40, v42, v44
	v_sub_f32_e32 v43, v41, v40
	v_pk_add_f32 v[46:47], v[40:41], v[42:43] neg_lo:[0,1] neg_hi:[0,1]
	v_mov_b32_e32 v45, v40
	v_pk_add_f32 v[40:41], v[46:47], v[44:45] neg_lo:[0,1] neg_hi:[0,1]
	v_add_f32_e32 v41, v51, v41
	v_add_f32_e32 v40, v40, v41
	;; [unrolled: 1-line block ×3, first 2 shown]
	v_mul_f32_e32 v51, v50, v41
	v_mul_f32_e32 v42, v49, v51
	v_fma_f32 v44, v51, v49, -v42
	v_fmac_f32_e32 v44, v51, v39
	v_sub_f32_e32 v39, v43, v41
	v_add_f32_e32 v39, v40, v39
	v_add_f32_e32 v40, v42, v44
	v_sub_f32_e32 v43, v41, v40
	v_pk_add_f32 v[46:47], v[40:41], v[42:43] neg_lo:[0,1] neg_hi:[0,1]
	v_mov_b32_e32 v45, v40
	v_pk_add_f32 v[40:41], v[46:47], v[44:45] neg_lo:[0,1] neg_hi:[0,1]
	v_add_f32_e32 v39, v39, v41
	v_add_f32_e32 v39, v40, v39
	;; [unrolled: 1-line block ×4, first 2 shown]
	v_sub_f32_e32 v41, v40, v52
	v_mul_f32_e32 v39, v50, v39
	v_sub_f32_e32 v41, v51, v41
	v_add_f32_e32 v39, v41, v39
	v_add_f32_e32 v43, v40, v39
	v_mul_f32_e32 v44, v43, v43
	v_mov_b32_e32 v42, 0x3ecc95a3
	v_fmac_f32_e32 v42, 0x3e9b6dac, v44
	v_mov_b32_e32 v41, 0x3f2aaada
	v_fmac_f32_e32 v41, v44, v42
	v_cvt_f32_i32_e32 v42, v48
	v_sub_f32_e32 v40, v43, v40
	v_sub_f32_e32 v39, v39, v40
	v_ldexp_f32 v45, v43, 1
	v_mul_f32_e32 v43, v43, v44
	v_mov_b32_e32 v40, 0x3f317218
	s_mov_b32 s33, 0x3f317218
	v_pk_mul_f32 v[40:41], v[42:43], v[40:41]
	v_fma_f32 v44, v42, s33, -v40
	v_fmac_f32_e32 v44, 0xb102e308, v42
	v_pk_add_f32 v[42:43], v[40:41], v[44:45]
	v_sub_f32_e32 v45, v43, v45
	v_ldexp_f32 v39, v39, 1
	v_sub_f32_e32 v45, v41, v45
	v_add_f32_e32 v47, v39, v45
	v_mov_b32_e32 v46, v40
	v_pk_add_f32 v[40:41], v[42:43], v[40:41] neg_lo:[0,1] neg_hi:[0,1]
	v_pk_add_f32 v[48:49], v[42:43], v[46:47]
	v_mov_b32_e32 v41, v49
	v_mov_b32_e32 v45, v42
	v_pk_add_f32 v[50:51], v[44:45], v[40:41] neg_lo:[0,1] neg_hi:[0,1]
	v_pk_add_f32 v[40:41], v[44:45], v[40:41]
	v_mov_b32_e32 v44, v41
	v_pk_add_f32 v[52:53], v[44:45], v[42:43] neg_lo:[0,1] neg_hi:[0,1]
	v_mov_b32_e32 v39, v52
	v_pk_add_f32 v[54:55], v[48:49], v[38:39] neg_lo:[0,1] neg_hi:[0,1]
	v_mov_b32_e32 v40, v49
	v_mov_b32_e32 v48, v43
	;; [unrolled: 1-line block ×4, first 2 shown]
	v_pk_add_f32 v[40:41], v[40:41], v[48:49] neg_lo:[0,1] neg_hi:[0,1]
	v_mov_b32_e32 v46, v47
	v_mov_b32_e32 v47, v42
	v_pk_add_f32 v[40:41], v[46:47], v[40:41] neg_lo:[0,1] neg_hi:[0,1]
	v_mov_b32_e32 v54, v50
	v_pk_add_f32 v[42:43], v[54:55], v[40:41]
	v_mov_b32_e32 v46, v43
	v_pk_add_f32 v[46:47], v[42:43], v[46:47]
	v_pk_add_f32 v[44:45], v[44:45], v[46:47]
	v_mov_b32_e32 v43, v44
	v_pk_add_f32 v[48:49], v[42:43], v[50:51] neg_lo:[0,1] neg_hi:[0,1]
	v_mov_b32_e32 v41, v46
	v_sub_f32_e32 v39, v42, v48
	v_pk_add_f32 v[40:41], v[40:41], v[48:49] neg_lo:[0,1] neg_hi:[0,1]
	v_sub_f32_e32 v39, v50, v39
	s_mov_b32 s68, 0x7f800000
	v_add_f32_e32 v39, v40, v39
	s_mov_b32 s33, 0x33800000
	v_add_f32_e32 v39, v39, v41
	v_cmp_eq_f32_e64 s[58:59], s68, v56
	v_cmp_lt_f32_e64 s[68:69], |v56|, s33
	v_add_f32_e32 v39, v44, v39
	s_or_b64 s[58:59], s[58:59], s[68:69]
	v_cndmask_b32_e64 v39, v39, v56, s[58:59]
	v_add_f32_e32 v39, v38, v39
.LBB145_68:
	s_or_b64 exec, exec, s[60:61]
	v_mov_b32_e32 v38, v39
.LBB145_69:
	s_or_b64 exec, exec, s[66:67]
	s_nop 0
	v_mov_b32_dpp v39, v38 row_shr:8 row_mask:0xf bank_mask:0xf
	v_cmp_lt_u32_e64 s[58:59], 7, v37
	s_and_saveexec_b64 s[66:67], s[58:59]
	s_cbranch_execz .LBB145_73
; %bb.70:
	v_max_f32_e32 v37, v38, v38
	v_max_f32_e32 v41, v39, v39
	v_min_f32_e32 v40, v41, v37
	v_cmp_u_f32_e64 s[58:59], v39, v39
	v_max_f32_e32 v37, v41, v37
	v_cndmask_b32_e64 v40, v40, v39, s[58:59]
	v_cmp_u_f32_e64 s[60:61], v38, v38
	v_cndmask_b32_e64 v37, v37, v39, s[58:59]
	v_cndmask_b32_e64 v40, v40, v38, s[60:61]
	;; [unrolled: 1-line block ×3, first 2 shown]
	s_movk_i32 s33, 0x1f8
	v_cmp_neq_f32_e64 s[58:59], v40, v37
	v_cmp_class_f32_e64 s[60:61], v40, s33
	s_or_b64 s[58:59], s[58:59], s[60:61]
	s_and_saveexec_b64 s[60:61], s[58:59]
	s_cbranch_execz .LBB145_72
; %bb.71:
	v_sub_f32_e32 v38, v40, v37
	s_mov_b32 s33, 0x3fb8aa3b
	v_mul_f32_e32 v39, 0x3fb8aa3b, v38
	v_fma_f32 v40, v38, s33, -v39
	v_rndne_f32_e32 v41, v39
	v_fmac_f32_e32 v40, 0x32a5705f, v38
	v_sub_f32_e32 v39, v39, v41
	v_add_f32_e32 v39, v39, v40
	v_exp_f32_e32 v39, v39
	v_cvt_i32_f32_e32 v40, v41
	s_mov_b32 s33, 0xc2ce8ed0
	v_cmp_ngt_f32_e64 s[58:59], s33, v38
	s_mov_b32 s33, 0x42b17218
	v_ldexp_f32 v39, v39, v40
	v_cndmask_b32_e64 v39, 0, v39, s[58:59]
	v_mov_b32_e32 v40, 0x7f800000
	v_cmp_nlt_f32_e64 s[58:59], s33, v38
	v_cndmask_b32_e64 v54, v40, v39, s[58:59]
	v_add_f32_e32 v40, 1.0, v54
	v_add_f32_e32 v38, -1.0, v40
	v_sub_f32_e32 v39, v38, v40
	v_add_f32_e32 v39, 1.0, v39
	v_sub_f32_e32 v38, v54, v38
	v_add_f32_e32 v41, v38, v39
	v_frexp_mant_f32_e32 v42, v40
	s_mov_b32 s33, 0x3f2aaaab
	v_cvt_f64_f32_e32 v[38:39], v40
	v_frexp_exp_i32_f64_e32 v38, v[38:39]
	v_cmp_gt_f32_e64 s[58:59], s33, v42
	v_subbrev_co_u32_e64 v46, s[58:59], 0, v38, s[58:59]
	v_sub_u32_e32 v38, 0, v46
	v_ldexp_f32 v39, v40, v38
	v_add_f32_e32 v40, -1.0, v39
	v_add_f32_e32 v42, 1.0, v39
	v_ldexp_f32 v38, v41, v38
	v_add_f32_e32 v41, 1.0, v40
	v_add_f32_e32 v43, -1.0, v42
	v_sub_f32_e32 v41, v39, v41
	v_sub_f32_e32 v39, v39, v43
	v_add_f32_e32 v41, v38, v41
	v_add_f32_e32 v38, v38, v39
	;; [unrolled: 1-line block ×3, first 2 shown]
	v_rcp_f32_e32 v49, v47
	v_sub_f32_e32 v39, v42, v47
	v_add_f32_e32 v48, v38, v39
	v_add_f32_e32 v39, v40, v41
	v_mul_f32_e32 v51, v39, v49
	v_sub_f32_e32 v38, v40, v39
	v_mul_f32_e32 v40, v47, v51
	v_fma_f32 v42, v51, v47, -v40
	v_fmac_f32_e32 v42, v51, v48
	v_add_f32_e32 v50, v41, v38
	v_add_f32_e32 v38, v40, v42
	v_sub_f32_e32 v41, v39, v38
	v_pk_add_f32 v[44:45], v[38:39], v[40:41] neg_lo:[0,1] neg_hi:[0,1]
	v_mov_b32_e32 v43, v38
	v_pk_add_f32 v[38:39], v[44:45], v[42:43] neg_lo:[0,1] neg_hi:[0,1]
	v_add_f32_e32 v39, v50, v39
	v_add_f32_e32 v38, v38, v39
	v_add_f32_e32 v39, v41, v38
	v_mul_f32_e32 v50, v49, v39
	v_mul_f32_e32 v40, v47, v50
	v_fma_f32 v42, v50, v47, -v40
	v_fmac_f32_e32 v42, v50, v48
	v_sub_f32_e32 v41, v41, v39
	v_add_f32_e32 v47, v38, v41
	v_add_f32_e32 v38, v40, v42
	v_sub_f32_e32 v41, v39, v38
	v_pk_add_f32 v[44:45], v[38:39], v[40:41] neg_lo:[0,1] neg_hi:[0,1]
	v_mov_b32_e32 v43, v38
	v_pk_add_f32 v[38:39], v[44:45], v[42:43] neg_lo:[0,1] neg_hi:[0,1]
	v_add_f32_e32 v39, v47, v39
	v_add_f32_e32 v38, v38, v39
	;; [unrolled: 1-line block ×4, first 2 shown]
	v_sub_f32_e32 v39, v41, v51
	v_mul_f32_e32 v38, v49, v38
	v_sub_f32_e32 v39, v50, v39
	v_add_f32_e32 v38, v39, v38
	v_add_f32_e32 v42, v41, v38
	v_mul_f32_e32 v44, v42, v42
	v_mov_b32_e32 v40, 0x3ecc95a3
	v_fmac_f32_e32 v40, 0x3e9b6dac, v44
	v_mov_b32_e32 v39, 0x3f2aaada
	v_fmac_f32_e32 v39, v44, v40
	v_cvt_f32_i32_e32 v40, v46
	v_sub_f32_e32 v41, v42, v41
	v_sub_f32_e32 v38, v38, v41
	v_ldexp_f32 v45, v38, 1
	v_mul_f32_e32 v41, v42, v44
	v_mov_b32_e32 v38, 0x3f317218
	s_mov_b32 s33, 0x3f317218
	v_pk_mul_f32 v[38:39], v[40:41], v[38:39]
	v_ldexp_f32 v43, v42, 1
	v_fma_f32 v42, v40, s33, -v38
	v_fmac_f32_e32 v42, 0xb102e308, v40
	v_pk_add_f32 v[40:41], v[38:39], v[42:43]
	v_sub_f32_e32 v43, v41, v43
	v_sub_f32_e32 v43, v39, v43
	v_add_f32_e32 v45, v45, v43
	v_mov_b32_e32 v44, v38
	v_pk_add_f32 v[38:39], v[40:41], v[38:39] neg_lo:[0,1] neg_hi:[0,1]
	v_pk_add_f32 v[46:47], v[40:41], v[44:45]
	v_mov_b32_e32 v39, v47
	v_mov_b32_e32 v43, v40
	v_pk_add_f32 v[48:49], v[42:43], v[38:39] neg_lo:[0,1] neg_hi:[0,1]
	v_pk_add_f32 v[38:39], v[42:43], v[38:39]
	v_mov_b32_e32 v42, v39
	v_pk_add_f32 v[50:51], v[42:43], v[40:41] neg_lo:[0,1] neg_hi:[0,1]
	v_mov_b32_e32 v43, v50
	v_pk_add_f32 v[52:53], v[46:47], v[42:43] neg_lo:[0,1] neg_hi:[0,1]
	v_mov_b32_e32 v38, v47
	v_mov_b32_e32 v46, v41
	;; [unrolled: 1-line block ×4, first 2 shown]
	v_pk_add_f32 v[38:39], v[38:39], v[46:47] neg_lo:[0,1] neg_hi:[0,1]
	v_mov_b32_e32 v44, v45
	v_mov_b32_e32 v45, v40
	v_pk_add_f32 v[38:39], v[44:45], v[38:39] neg_lo:[0,1] neg_hi:[0,1]
	v_mov_b32_e32 v52, v48
	v_pk_add_f32 v[40:41], v[52:53], v[38:39]
	v_mov_b32_e32 v44, v41
	v_pk_add_f32 v[44:45], v[40:41], v[44:45]
	v_pk_add_f32 v[42:43], v[42:43], v[44:45]
	v_mov_b32_e32 v41, v42
	v_pk_add_f32 v[46:47], v[40:41], v[48:49] neg_lo:[0,1] neg_hi:[0,1]
	v_mov_b32_e32 v39, v44
	v_sub_f32_e32 v40, v40, v46
	v_pk_add_f32 v[38:39], v[38:39], v[46:47] neg_lo:[0,1] neg_hi:[0,1]
	v_sub_f32_e32 v40, v48, v40
	s_mov_b32 s68, 0x7f800000
	v_add_f32_e32 v38, v38, v40
	s_mov_b32 s33, 0x33800000
	v_add_f32_e32 v38, v38, v39
	v_cmp_eq_f32_e64 s[58:59], s68, v54
	v_cmp_lt_f32_e64 s[68:69], |v54|, s33
	v_add_f32_e32 v38, v42, v38
	s_or_b64 s[58:59], s[58:59], s[68:69]
	v_cndmask_b32_e64 v38, v38, v54, s[58:59]
	v_add_f32_e32 v39, v37, v38
.LBB145_72:
	s_or_b64 exec, exec, s[60:61]
	v_mov_b32_e32 v38, v39
.LBB145_73:
	s_or_b64 exec, exec, s[66:67]
	v_and_b32_e32 v37, 16, v17
	v_mov_b32_dpp v39, v38 row_bcast:15 row_mask:0xf bank_mask:0xf
	v_cmp_ne_u32_e64 s[58:59], 0, v37
	s_and_saveexec_b64 s[66:67], s[58:59]
	s_cbranch_execz .LBB145_77
; %bb.74:
	v_max_f32_e32 v37, v38, v38
	v_max_f32_e32 v41, v39, v39
	v_min_f32_e32 v40, v41, v37
	v_cmp_u_f32_e64 s[58:59], v39, v39
	v_max_f32_e32 v37, v41, v37
	v_cndmask_b32_e64 v40, v40, v39, s[58:59]
	v_cmp_u_f32_e64 s[60:61], v38, v38
	v_cndmask_b32_e64 v37, v37, v39, s[58:59]
	v_cndmask_b32_e64 v40, v40, v38, s[60:61]
	;; [unrolled: 1-line block ×3, first 2 shown]
	s_movk_i32 s33, 0x1f8
	v_cmp_neq_f32_e64 s[58:59], v40, v37
	v_cmp_class_f32_e64 s[60:61], v40, s33
	s_or_b64 s[58:59], s[58:59], s[60:61]
	s_and_saveexec_b64 s[60:61], s[58:59]
	s_cbranch_execz .LBB145_76
; %bb.75:
	v_sub_f32_e32 v38, v40, v37
	s_mov_b32 s33, 0x3fb8aa3b
	v_mul_f32_e32 v39, 0x3fb8aa3b, v38
	v_fma_f32 v40, v38, s33, -v39
	v_rndne_f32_e32 v41, v39
	v_fmac_f32_e32 v40, 0x32a5705f, v38
	v_sub_f32_e32 v39, v39, v41
	v_add_f32_e32 v39, v39, v40
	v_exp_f32_e32 v39, v39
	v_cvt_i32_f32_e32 v40, v41
	s_mov_b32 s33, 0xc2ce8ed0
	v_cmp_ngt_f32_e64 s[58:59], s33, v38
	s_mov_b32 s33, 0x42b17218
	v_ldexp_f32 v39, v39, v40
	v_cndmask_b32_e64 v39, 0, v39, s[58:59]
	v_mov_b32_e32 v40, 0x7f800000
	v_cmp_nlt_f32_e64 s[58:59], s33, v38
	v_cndmask_b32_e64 v54, v40, v39, s[58:59]
	v_add_f32_e32 v40, 1.0, v54
	v_add_f32_e32 v38, -1.0, v40
	v_sub_f32_e32 v39, v38, v40
	v_add_f32_e32 v39, 1.0, v39
	v_sub_f32_e32 v38, v54, v38
	v_add_f32_e32 v41, v38, v39
	v_frexp_mant_f32_e32 v42, v40
	s_mov_b32 s33, 0x3f2aaaab
	v_cvt_f64_f32_e32 v[38:39], v40
	v_frexp_exp_i32_f64_e32 v38, v[38:39]
	v_cmp_gt_f32_e64 s[58:59], s33, v42
	v_subbrev_co_u32_e64 v46, s[58:59], 0, v38, s[58:59]
	v_sub_u32_e32 v38, 0, v46
	v_ldexp_f32 v39, v40, v38
	v_add_f32_e32 v40, -1.0, v39
	v_add_f32_e32 v42, 1.0, v39
	v_ldexp_f32 v38, v41, v38
	v_add_f32_e32 v41, 1.0, v40
	v_add_f32_e32 v43, -1.0, v42
	v_sub_f32_e32 v41, v39, v41
	v_sub_f32_e32 v39, v39, v43
	v_add_f32_e32 v41, v38, v41
	v_add_f32_e32 v38, v38, v39
	;; [unrolled: 1-line block ×3, first 2 shown]
	v_rcp_f32_e32 v49, v47
	v_sub_f32_e32 v39, v42, v47
	v_add_f32_e32 v48, v38, v39
	v_add_f32_e32 v39, v40, v41
	v_mul_f32_e32 v51, v39, v49
	v_sub_f32_e32 v38, v40, v39
	v_mul_f32_e32 v40, v47, v51
	v_fma_f32 v42, v51, v47, -v40
	v_fmac_f32_e32 v42, v51, v48
	v_add_f32_e32 v50, v41, v38
	v_add_f32_e32 v38, v40, v42
	v_sub_f32_e32 v41, v39, v38
	v_pk_add_f32 v[44:45], v[38:39], v[40:41] neg_lo:[0,1] neg_hi:[0,1]
	v_mov_b32_e32 v43, v38
	v_pk_add_f32 v[38:39], v[44:45], v[42:43] neg_lo:[0,1] neg_hi:[0,1]
	v_add_f32_e32 v39, v50, v39
	v_add_f32_e32 v38, v38, v39
	;; [unrolled: 1-line block ×3, first 2 shown]
	v_mul_f32_e32 v50, v49, v39
	v_mul_f32_e32 v40, v47, v50
	v_fma_f32 v42, v50, v47, -v40
	v_fmac_f32_e32 v42, v50, v48
	v_sub_f32_e32 v41, v41, v39
	v_add_f32_e32 v47, v38, v41
	v_add_f32_e32 v38, v40, v42
	v_sub_f32_e32 v41, v39, v38
	v_pk_add_f32 v[44:45], v[38:39], v[40:41] neg_lo:[0,1] neg_hi:[0,1]
	v_mov_b32_e32 v43, v38
	v_pk_add_f32 v[38:39], v[44:45], v[42:43] neg_lo:[0,1] neg_hi:[0,1]
	v_add_f32_e32 v39, v47, v39
	v_add_f32_e32 v38, v38, v39
	;; [unrolled: 1-line block ×4, first 2 shown]
	v_sub_f32_e32 v39, v41, v51
	v_mul_f32_e32 v38, v49, v38
	v_sub_f32_e32 v39, v50, v39
	v_add_f32_e32 v38, v39, v38
	v_add_f32_e32 v42, v41, v38
	v_mul_f32_e32 v44, v42, v42
	v_mov_b32_e32 v40, 0x3ecc95a3
	v_fmac_f32_e32 v40, 0x3e9b6dac, v44
	v_mov_b32_e32 v39, 0x3f2aaada
	v_fmac_f32_e32 v39, v44, v40
	v_cvt_f32_i32_e32 v40, v46
	v_sub_f32_e32 v41, v42, v41
	v_sub_f32_e32 v38, v38, v41
	v_ldexp_f32 v45, v38, 1
	v_mul_f32_e32 v41, v42, v44
	v_mov_b32_e32 v38, 0x3f317218
	s_mov_b32 s33, 0x3f317218
	v_pk_mul_f32 v[38:39], v[40:41], v[38:39]
	v_ldexp_f32 v43, v42, 1
	v_fma_f32 v42, v40, s33, -v38
	v_fmac_f32_e32 v42, 0xb102e308, v40
	v_pk_add_f32 v[40:41], v[38:39], v[42:43]
	v_sub_f32_e32 v43, v41, v43
	v_sub_f32_e32 v43, v39, v43
	v_add_f32_e32 v45, v45, v43
	v_mov_b32_e32 v44, v38
	v_pk_add_f32 v[38:39], v[40:41], v[38:39] neg_lo:[0,1] neg_hi:[0,1]
	v_pk_add_f32 v[46:47], v[40:41], v[44:45]
	v_mov_b32_e32 v39, v47
	v_mov_b32_e32 v43, v40
	v_pk_add_f32 v[48:49], v[42:43], v[38:39] neg_lo:[0,1] neg_hi:[0,1]
	v_pk_add_f32 v[38:39], v[42:43], v[38:39]
	v_mov_b32_e32 v42, v39
	v_pk_add_f32 v[50:51], v[42:43], v[40:41] neg_lo:[0,1] neg_hi:[0,1]
	v_mov_b32_e32 v43, v50
	v_pk_add_f32 v[52:53], v[46:47], v[42:43] neg_lo:[0,1] neg_hi:[0,1]
	v_mov_b32_e32 v38, v47
	v_mov_b32_e32 v46, v41
	;; [unrolled: 1-line block ×4, first 2 shown]
	v_pk_add_f32 v[38:39], v[38:39], v[46:47] neg_lo:[0,1] neg_hi:[0,1]
	v_mov_b32_e32 v44, v45
	v_mov_b32_e32 v45, v40
	v_pk_add_f32 v[38:39], v[44:45], v[38:39] neg_lo:[0,1] neg_hi:[0,1]
	v_mov_b32_e32 v52, v48
	v_pk_add_f32 v[40:41], v[52:53], v[38:39]
	v_mov_b32_e32 v44, v41
	v_pk_add_f32 v[44:45], v[40:41], v[44:45]
	v_pk_add_f32 v[42:43], v[42:43], v[44:45]
	v_mov_b32_e32 v41, v42
	v_pk_add_f32 v[46:47], v[40:41], v[48:49] neg_lo:[0,1] neg_hi:[0,1]
	v_mov_b32_e32 v39, v44
	v_sub_f32_e32 v40, v40, v46
	v_pk_add_f32 v[38:39], v[38:39], v[46:47] neg_lo:[0,1] neg_hi:[0,1]
	v_sub_f32_e32 v40, v48, v40
	s_mov_b32 s68, 0x7f800000
	v_add_f32_e32 v38, v38, v40
	s_mov_b32 s33, 0x33800000
	v_add_f32_e32 v38, v38, v39
	v_cmp_eq_f32_e64 s[58:59], s68, v54
	v_cmp_lt_f32_e64 s[68:69], |v54|, s33
	v_add_f32_e32 v38, v42, v38
	s_or_b64 s[58:59], s[58:59], s[68:69]
	v_cndmask_b32_e64 v38, v38, v54, s[58:59]
	v_add_f32_e32 v39, v37, v38
.LBB145_76:
	s_or_b64 exec, exec, s[60:61]
	v_mov_b32_e32 v38, v39
.LBB145_77:
	s_or_b64 exec, exec, s[66:67]
	s_nop 0
	v_mov_b32_dpp v39, v38 row_bcast:31 row_mask:0xf bank_mask:0xf
	v_cmp_lt_u32_e64 s[58:59], 31, v17
	s_and_saveexec_b64 s[66:67], s[58:59]
	s_cbranch_execz .LBB145_81
; %bb.78:
	v_max_f32_e32 v37, v38, v38
	v_max_f32_e32 v41, v39, v39
	v_min_f32_e32 v40, v41, v37
	v_cmp_u_f32_e64 s[58:59], v39, v39
	v_max_f32_e32 v37, v41, v37
	v_cndmask_b32_e64 v40, v40, v39, s[58:59]
	v_cmp_u_f32_e64 s[60:61], v38, v38
	v_cndmask_b32_e64 v37, v37, v39, s[58:59]
	v_cndmask_b32_e64 v40, v40, v38, s[60:61]
	;; [unrolled: 1-line block ×3, first 2 shown]
	s_movk_i32 s33, 0x1f8
	v_cmp_neq_f32_e64 s[58:59], v40, v37
	v_cmp_class_f32_e64 s[60:61], v40, s33
	s_or_b64 s[58:59], s[58:59], s[60:61]
	s_and_saveexec_b64 s[60:61], s[58:59]
	s_cbranch_execz .LBB145_80
; %bb.79:
	v_sub_f32_e32 v38, v40, v37
	s_mov_b32 s33, 0x3fb8aa3b
	v_mul_f32_e32 v39, 0x3fb8aa3b, v38
	v_fma_f32 v40, v38, s33, -v39
	v_rndne_f32_e32 v41, v39
	v_fmac_f32_e32 v40, 0x32a5705f, v38
	v_sub_f32_e32 v39, v39, v41
	v_add_f32_e32 v39, v39, v40
	v_exp_f32_e32 v39, v39
	v_cvt_i32_f32_e32 v40, v41
	s_mov_b32 s33, 0xc2ce8ed0
	v_cmp_ngt_f32_e64 s[58:59], s33, v38
	s_mov_b32 s33, 0x42b17218
	v_ldexp_f32 v39, v39, v40
	v_cndmask_b32_e64 v39, 0, v39, s[58:59]
	v_mov_b32_e32 v40, 0x7f800000
	v_cmp_nlt_f32_e64 s[58:59], s33, v38
	v_cndmask_b32_e64 v54, v40, v39, s[58:59]
	v_add_f32_e32 v40, 1.0, v54
	v_add_f32_e32 v38, -1.0, v40
	v_sub_f32_e32 v39, v38, v40
	v_add_f32_e32 v39, 1.0, v39
	v_sub_f32_e32 v38, v54, v38
	v_add_f32_e32 v41, v38, v39
	v_frexp_mant_f32_e32 v42, v40
	s_mov_b32 s33, 0x3f2aaaab
	v_cvt_f64_f32_e32 v[38:39], v40
	v_frexp_exp_i32_f64_e32 v38, v[38:39]
	v_cmp_gt_f32_e64 s[58:59], s33, v42
	v_subbrev_co_u32_e64 v46, s[58:59], 0, v38, s[58:59]
	v_sub_u32_e32 v38, 0, v46
	v_ldexp_f32 v39, v40, v38
	v_add_f32_e32 v40, -1.0, v39
	v_add_f32_e32 v42, 1.0, v39
	v_ldexp_f32 v38, v41, v38
	v_add_f32_e32 v41, 1.0, v40
	v_add_f32_e32 v43, -1.0, v42
	v_sub_f32_e32 v41, v39, v41
	v_sub_f32_e32 v39, v39, v43
	v_add_f32_e32 v41, v38, v41
	v_add_f32_e32 v38, v38, v39
	;; [unrolled: 1-line block ×3, first 2 shown]
	v_rcp_f32_e32 v49, v47
	v_sub_f32_e32 v39, v42, v47
	v_add_f32_e32 v48, v38, v39
	v_add_f32_e32 v39, v40, v41
	v_mul_f32_e32 v51, v39, v49
	v_sub_f32_e32 v38, v40, v39
	v_mul_f32_e32 v40, v47, v51
	v_fma_f32 v42, v51, v47, -v40
	v_fmac_f32_e32 v42, v51, v48
	v_add_f32_e32 v50, v41, v38
	v_add_f32_e32 v38, v40, v42
	v_sub_f32_e32 v41, v39, v38
	v_pk_add_f32 v[44:45], v[38:39], v[40:41] neg_lo:[0,1] neg_hi:[0,1]
	v_mov_b32_e32 v43, v38
	v_pk_add_f32 v[38:39], v[44:45], v[42:43] neg_lo:[0,1] neg_hi:[0,1]
	v_add_f32_e32 v39, v50, v39
	v_add_f32_e32 v38, v38, v39
	;; [unrolled: 1-line block ×3, first 2 shown]
	v_mul_f32_e32 v50, v49, v39
	v_mul_f32_e32 v40, v47, v50
	v_fma_f32 v42, v50, v47, -v40
	v_fmac_f32_e32 v42, v50, v48
	v_sub_f32_e32 v41, v41, v39
	v_add_f32_e32 v47, v38, v41
	v_add_f32_e32 v38, v40, v42
	v_sub_f32_e32 v41, v39, v38
	v_pk_add_f32 v[44:45], v[38:39], v[40:41] neg_lo:[0,1] neg_hi:[0,1]
	v_mov_b32_e32 v43, v38
	v_pk_add_f32 v[38:39], v[44:45], v[42:43] neg_lo:[0,1] neg_hi:[0,1]
	v_add_f32_e32 v39, v47, v39
	v_add_f32_e32 v38, v38, v39
	;; [unrolled: 1-line block ×4, first 2 shown]
	v_sub_f32_e32 v39, v41, v51
	v_mul_f32_e32 v38, v49, v38
	v_sub_f32_e32 v39, v50, v39
	v_add_f32_e32 v38, v39, v38
	v_add_f32_e32 v42, v41, v38
	v_mul_f32_e32 v44, v42, v42
	v_mov_b32_e32 v40, 0x3ecc95a3
	v_fmac_f32_e32 v40, 0x3e9b6dac, v44
	v_mov_b32_e32 v39, 0x3f2aaada
	v_fmac_f32_e32 v39, v44, v40
	v_cvt_f32_i32_e32 v40, v46
	v_sub_f32_e32 v41, v42, v41
	v_sub_f32_e32 v38, v38, v41
	v_ldexp_f32 v45, v38, 1
	v_mul_f32_e32 v41, v42, v44
	v_mov_b32_e32 v38, 0x3f317218
	s_mov_b32 s33, 0x3f317218
	v_pk_mul_f32 v[38:39], v[40:41], v[38:39]
	v_ldexp_f32 v43, v42, 1
	v_fma_f32 v42, v40, s33, -v38
	v_fmac_f32_e32 v42, 0xb102e308, v40
	v_pk_add_f32 v[40:41], v[38:39], v[42:43]
	v_sub_f32_e32 v43, v41, v43
	v_sub_f32_e32 v43, v39, v43
	v_add_f32_e32 v45, v45, v43
	v_mov_b32_e32 v44, v38
	v_pk_add_f32 v[38:39], v[40:41], v[38:39] neg_lo:[0,1] neg_hi:[0,1]
	v_pk_add_f32 v[46:47], v[40:41], v[44:45]
	v_mov_b32_e32 v39, v47
	v_mov_b32_e32 v43, v40
	v_pk_add_f32 v[48:49], v[42:43], v[38:39] neg_lo:[0,1] neg_hi:[0,1]
	v_pk_add_f32 v[38:39], v[42:43], v[38:39]
	v_mov_b32_e32 v42, v39
	v_pk_add_f32 v[50:51], v[42:43], v[40:41] neg_lo:[0,1] neg_hi:[0,1]
	v_mov_b32_e32 v43, v50
	v_pk_add_f32 v[52:53], v[46:47], v[42:43] neg_lo:[0,1] neg_hi:[0,1]
	v_mov_b32_e32 v38, v47
	v_mov_b32_e32 v46, v41
	;; [unrolled: 1-line block ×4, first 2 shown]
	v_pk_add_f32 v[38:39], v[38:39], v[46:47] neg_lo:[0,1] neg_hi:[0,1]
	v_mov_b32_e32 v44, v45
	v_mov_b32_e32 v45, v40
	v_pk_add_f32 v[38:39], v[44:45], v[38:39] neg_lo:[0,1] neg_hi:[0,1]
	v_mov_b32_e32 v52, v48
	v_pk_add_f32 v[40:41], v[52:53], v[38:39]
	v_mov_b32_e32 v44, v41
	v_pk_add_f32 v[44:45], v[40:41], v[44:45]
	v_pk_add_f32 v[42:43], v[42:43], v[44:45]
	v_mov_b32_e32 v41, v42
	v_pk_add_f32 v[46:47], v[40:41], v[48:49] neg_lo:[0,1] neg_hi:[0,1]
	v_mov_b32_e32 v39, v44
	v_sub_f32_e32 v40, v40, v46
	v_pk_add_f32 v[38:39], v[38:39], v[46:47] neg_lo:[0,1] neg_hi:[0,1]
	v_sub_f32_e32 v40, v48, v40
	s_mov_b32 s68, 0x7f800000
	v_add_f32_e32 v38, v38, v40
	s_mov_b32 s33, 0x33800000
	v_add_f32_e32 v38, v38, v39
	v_cmp_eq_f32_e64 s[58:59], s68, v54
	v_cmp_lt_f32_e64 s[68:69], |v54|, s33
	v_add_f32_e32 v38, v42, v38
	s_or_b64 s[58:59], s[58:59], s[68:69]
	v_cndmask_b32_e64 v38, v38, v54, s[58:59]
	v_add_f32_e32 v39, v37, v38
.LBB145_80:
	s_or_b64 exec, exec, s[60:61]
	v_mov_b32_e32 v38, v39
.LBB145_81:
	s_or_b64 exec, exec, s[66:67]
	v_add_u32_e32 v37, -1, v17
	v_and_b32_e32 v39, 64, v17
	v_cmp_lt_i32_e64 s[58:59], v37, v39
	v_cndmask_b32_e64 v17, v37, v17, s[58:59]
	v_lshlrev_b32_e32 v17, 2, v17
	ds_bpermute_b32 v17, v17, v38
	s_movk_i32 s33, 0x1f8
	s_waitcnt lgkmcnt(0)
	v_max_f32_e32 v37, v17, v17
	v_min_f32_e32 v38, v37, v36
	v_max_f32_e32 v37, v37, v36
	v_cmp_u_f32_e64 s[58:59], v17, v17
	v_cndmask_b32_e64 v36, v38, v17, s[58:59]
	v_cndmask_b32_e64 v37, v37, v17, s[58:59]
	;; [unrolled: 1-line block ×4, first 2 shown]
	v_cmp_neq_f32_e64 s[4:5], v36, v16
	v_cmp_class_f32_e64 s[58:59], v36, s33
	s_or_b64 s[4:5], s[4:5], s[58:59]
	s_and_saveexec_b64 s[58:59], s[4:5]
	s_cbranch_execz .LBB145_83
; %bb.82:
	v_sub_f32_e32 v17, v36, v16
	s_mov_b32 s4, 0x3fb8aa3b
	v_mul_f32_e32 v36, 0x3fb8aa3b, v17
	v_fma_f32 v37, v17, s4, -v36
	v_rndne_f32_e32 v38, v36
	v_fmac_f32_e32 v37, 0x32a5705f, v17
	v_sub_f32_e32 v36, v36, v38
	v_add_f32_e32 v36, v36, v37
	v_exp_f32_e32 v36, v36
	v_cvt_i32_f32_e32 v37, v38
	s_mov_b32 s4, 0xc2ce8ed0
	v_cmp_ngt_f32_e64 s[4:5], s4, v17
	s_mov_b32 s60, 0x7f800000
	v_ldexp_f32 v36, v36, v37
	v_cndmask_b32_e64 v36, 0, v36, s[4:5]
	s_mov_b32 s4, 0x42b17218
	v_mov_b32_e32 v37, 0x7f800000
	v_cmp_nlt_f32_e64 s[4:5], s4, v17
	v_cndmask_b32_e64 v52, v37, v36, s[4:5]
	v_add_f32_e32 v17, 1.0, v52
	v_add_f32_e32 v36, -1.0, v17
	v_sub_f32_e32 v37, v36, v17
	v_add_f32_e32 v37, 1.0, v37
	v_sub_f32_e32 v36, v52, v36
	v_add_f32_e32 v38, v36, v37
	v_frexp_mant_f32_e32 v39, v17
	s_mov_b32 s4, 0x3f2aaaab
	v_cvt_f64_f32_e32 v[36:37], v17
	v_frexp_exp_i32_f64_e32 v36, v[36:37]
	v_cmp_gt_f32_e64 s[4:5], s4, v39
	v_subbrev_co_u32_e64 v44, s[4:5], 0, v36, s[4:5]
	v_sub_u32_e32 v36, 0, v44
	v_ldexp_f32 v17, v17, v36
	v_ldexp_f32 v36, v38, v36
	v_add_f32_e32 v38, -1.0, v17
	v_add_f32_e32 v37, 1.0, v38
	v_sub_f32_e32 v37, v17, v37
	v_add_f32_e32 v39, v36, v37
	v_add_f32_e32 v37, 1.0, v17
	v_add_f32_e32 v40, -1.0, v37
	v_sub_f32_e32 v17, v17, v40
	v_add_f32_e32 v17, v36, v17
	v_add_f32_e32 v45, v37, v17
	v_rcp_f32_e32 v46, v45
	v_sub_f32_e32 v36, v37, v45
	v_add_f32_e32 v37, v38, v39
	v_add_f32_e32 v17, v17, v36
	v_mul_f32_e32 v48, v37, v46
	v_sub_f32_e32 v36, v38, v37
	v_mul_f32_e32 v38, v45, v48
	v_fma_f32 v40, v48, v45, -v38
	v_fmac_f32_e32 v40, v48, v17
	v_add_f32_e32 v47, v39, v36
	v_add_f32_e32 v36, v38, v40
	v_sub_f32_e32 v39, v37, v36
	v_pk_add_f32 v[42:43], v[36:37], v[38:39] neg_lo:[0,1] neg_hi:[0,1]
	v_mov_b32_e32 v41, v36
	v_pk_add_f32 v[36:37], v[42:43], v[40:41] neg_lo:[0,1] neg_hi:[0,1]
	v_add_f32_e32 v37, v47, v37
	v_add_f32_e32 v36, v36, v37
	;; [unrolled: 1-line block ×3, first 2 shown]
	v_mul_f32_e32 v47, v46, v37
	v_mul_f32_e32 v38, v45, v47
	v_fma_f32 v40, v47, v45, -v38
	v_fmac_f32_e32 v40, v47, v17
	v_sub_f32_e32 v17, v39, v37
	v_add_f32_e32 v17, v36, v17
	v_add_f32_e32 v36, v38, v40
	v_sub_f32_e32 v39, v37, v36
	v_pk_add_f32 v[42:43], v[36:37], v[38:39] neg_lo:[0,1] neg_hi:[0,1]
	v_mov_b32_e32 v41, v36
	v_pk_add_f32 v[36:37], v[42:43], v[40:41] neg_lo:[0,1] neg_hi:[0,1]
	v_add_f32_e32 v17, v17, v37
	v_add_f32_e32 v17, v36, v17
	;; [unrolled: 1-line block ×4, first 2 shown]
	v_sub_f32_e32 v37, v36, v48
	v_mul_f32_e32 v17, v46, v17
	v_sub_f32_e32 v37, v47, v37
	v_add_f32_e32 v17, v37, v17
	v_add_f32_e32 v39, v36, v17
	v_mul_f32_e32 v40, v39, v39
	v_mov_b32_e32 v38, 0x3ecc95a3
	v_fmac_f32_e32 v38, 0x3e9b6dac, v40
	v_mov_b32_e32 v37, 0x3f2aaada
	v_fmac_f32_e32 v37, v40, v38
	v_cvt_f32_i32_e32 v38, v44
	v_sub_f32_e32 v36, v39, v36
	v_sub_f32_e32 v17, v17, v36
	v_ldexp_f32 v41, v39, 1
	v_mul_f32_e32 v39, v39, v40
	v_mov_b32_e32 v36, 0x3f317218
	s_mov_b32 s4, 0x3f317218
	v_pk_mul_f32 v[36:37], v[38:39], v[36:37]
	v_fma_f32 v40, v38, s4, -v36
	v_fmac_f32_e32 v40, 0xb102e308, v38
	v_pk_add_f32 v[38:39], v[36:37], v[40:41]
	v_sub_f32_e32 v41, v39, v41
	v_ldexp_f32 v17, v17, 1
	v_sub_f32_e32 v41, v37, v41
	v_add_f32_e32 v43, v17, v41
	v_mov_b32_e32 v42, v36
	v_pk_add_f32 v[36:37], v[38:39], v[36:37] neg_lo:[0,1] neg_hi:[0,1]
	v_pk_add_f32 v[44:45], v[38:39], v[42:43]
	v_mov_b32_e32 v37, v45
	v_mov_b32_e32 v41, v38
	v_pk_add_f32 v[46:47], v[40:41], v[36:37] neg_lo:[0,1] neg_hi:[0,1]
	v_pk_add_f32 v[36:37], v[40:41], v[36:37]
	v_mov_b32_e32 v40, v37
	v_pk_add_f32 v[48:49], v[40:41], v[38:39] neg_lo:[0,1] neg_hi:[0,1]
	v_mov_b32_e32 v17, v48
	v_pk_add_f32 v[50:51], v[44:45], v[16:17] neg_lo:[0,1] neg_hi:[0,1]
	v_mov_b32_e32 v36, v45
	v_mov_b32_e32 v44, v39
	v_mov_b32_e32 v45, v48
	v_mov_b32_e32 v47, v37
	v_pk_add_f32 v[36:37], v[36:37], v[44:45] neg_lo:[0,1] neg_hi:[0,1]
	v_mov_b32_e32 v42, v43
	v_mov_b32_e32 v43, v38
	v_pk_add_f32 v[36:37], v[42:43], v[36:37] neg_lo:[0,1] neg_hi:[0,1]
	v_mov_b32_e32 v50, v46
	v_pk_add_f32 v[38:39], v[50:51], v[36:37]
	v_mov_b32_e32 v42, v39
	v_pk_add_f32 v[42:43], v[38:39], v[42:43]
	v_pk_add_f32 v[40:41], v[40:41], v[42:43]
	v_mov_b32_e32 v39, v40
	v_pk_add_f32 v[44:45], v[38:39], v[46:47] neg_lo:[0,1] neg_hi:[0,1]
	v_mov_b32_e32 v37, v42
	v_sub_f32_e32 v17, v38, v44
	v_pk_add_f32 v[36:37], v[36:37], v[44:45] neg_lo:[0,1] neg_hi:[0,1]
	v_sub_f32_e32 v17, v46, v17
	v_add_f32_e32 v17, v36, v17
	v_cmp_eq_f32_e64 s[4:5], s60, v52
	s_mov_b32 s60, 0x33800000
	v_add_f32_e32 v17, v17, v37
	v_cmp_lt_f32_e64 s[60:61], |v52|, s60
	v_add_f32_e32 v17, v40, v17
	s_or_b64 s[4:5], s[4:5], s[60:61]
	v_cndmask_b32_e64 v17, v17, v52, s[4:5]
	v_add_f32_e32 v17, v16, v17
.LBB145_83:
	s_or_b64 exec, exec, s[58:59]
	v_cmp_eq_u32_e64 s[4:5], 0, v0
	v_cndmask_b32_e64 v17, v17, v34, s[4:5]
	; wave barrier
	ds_write_b32 v35, v17
	; wave barrier
	ds_read_b32 v16, v35 offset:4
	v_max_f32_e32 v37, v17, v17
	v_cmp_u_f32_e64 s[4:5], v17, v17
	s_waitcnt lgkmcnt(0)
	v_max_f32_e32 v38, v16, v16
	v_min_f32_e32 v36, v37, v38
	v_max_f32_e32 v37, v37, v38
	v_cndmask_b32_e64 v36, v36, v17, s[4:5]
	v_cmp_u_f32_e64 s[58:59], v16, v16
	v_cndmask_b32_e64 v37, v37, v17, s[4:5]
	v_cndmask_b32_e64 v36, v36, v16, s[58:59]
	v_cndmask_b32_e64 v16, v37, v16, s[58:59]
	v_cmp_neq_f32_e64 s[4:5], v36, v16
	v_cmp_class_f32_e64 s[58:59], v36, s33
	s_or_b64 s[4:5], s[4:5], s[58:59]
	s_and_saveexec_b64 s[58:59], s[4:5]
	s_cbranch_execz .LBB145_85
; %bb.84:
	v_sub_f32_e32 v17, v36, v16
	s_mov_b32 s4, 0x3fb8aa3b
	v_mul_f32_e32 v36, 0x3fb8aa3b, v17
	v_fma_f32 v37, v17, s4, -v36
	v_rndne_f32_e32 v38, v36
	v_fmac_f32_e32 v37, 0x32a5705f, v17
	v_sub_f32_e32 v36, v36, v38
	v_add_f32_e32 v36, v36, v37
	v_exp_f32_e32 v36, v36
	v_cvt_i32_f32_e32 v37, v38
	s_mov_b32 s4, 0xc2ce8ed0
	v_cmp_ngt_f32_e64 s[4:5], s4, v17
	s_mov_b32 s33, 0x7f800000
	v_ldexp_f32 v36, v36, v37
	v_cndmask_b32_e64 v36, 0, v36, s[4:5]
	s_mov_b32 s4, 0x42b17218
	v_mov_b32_e32 v37, 0x7f800000
	v_cmp_nlt_f32_e64 s[4:5], s4, v17
	v_cndmask_b32_e64 v52, v37, v36, s[4:5]
	v_add_f32_e32 v17, 1.0, v52
	v_add_f32_e32 v36, -1.0, v17
	v_sub_f32_e32 v37, v36, v17
	v_add_f32_e32 v37, 1.0, v37
	v_sub_f32_e32 v36, v52, v36
	v_add_f32_e32 v38, v36, v37
	v_frexp_mant_f32_e32 v39, v17
	s_mov_b32 s4, 0x3f2aaaab
	v_cvt_f64_f32_e32 v[36:37], v17
	v_frexp_exp_i32_f64_e32 v36, v[36:37]
	v_cmp_gt_f32_e64 s[4:5], s4, v39
	v_subbrev_co_u32_e64 v44, s[4:5], 0, v36, s[4:5]
	v_sub_u32_e32 v36, 0, v44
	v_ldexp_f32 v17, v17, v36
	v_ldexp_f32 v36, v38, v36
	v_add_f32_e32 v38, -1.0, v17
	v_add_f32_e32 v37, 1.0, v38
	v_sub_f32_e32 v37, v17, v37
	v_add_f32_e32 v39, v36, v37
	v_add_f32_e32 v37, 1.0, v17
	v_add_f32_e32 v40, -1.0, v37
	v_sub_f32_e32 v17, v17, v40
	v_add_f32_e32 v17, v36, v17
	v_add_f32_e32 v45, v37, v17
	v_rcp_f32_e32 v46, v45
	v_sub_f32_e32 v36, v37, v45
	v_add_f32_e32 v37, v38, v39
	v_add_f32_e32 v17, v17, v36
	v_mul_f32_e32 v48, v37, v46
	v_sub_f32_e32 v36, v38, v37
	v_mul_f32_e32 v38, v45, v48
	v_fma_f32 v40, v48, v45, -v38
	v_fmac_f32_e32 v40, v48, v17
	v_add_f32_e32 v47, v39, v36
	v_add_f32_e32 v36, v38, v40
	v_sub_f32_e32 v39, v37, v36
	v_pk_add_f32 v[42:43], v[36:37], v[38:39] neg_lo:[0,1] neg_hi:[0,1]
	v_mov_b32_e32 v41, v36
	v_pk_add_f32 v[36:37], v[42:43], v[40:41] neg_lo:[0,1] neg_hi:[0,1]
	v_add_f32_e32 v37, v47, v37
	v_add_f32_e32 v36, v36, v37
	;; [unrolled: 1-line block ×3, first 2 shown]
	v_mul_f32_e32 v47, v46, v37
	v_mul_f32_e32 v38, v45, v47
	v_fma_f32 v40, v47, v45, -v38
	v_fmac_f32_e32 v40, v47, v17
	v_sub_f32_e32 v17, v39, v37
	v_add_f32_e32 v17, v36, v17
	v_add_f32_e32 v36, v38, v40
	v_sub_f32_e32 v39, v37, v36
	v_pk_add_f32 v[42:43], v[36:37], v[38:39] neg_lo:[0,1] neg_hi:[0,1]
	v_mov_b32_e32 v41, v36
	v_pk_add_f32 v[36:37], v[42:43], v[40:41] neg_lo:[0,1] neg_hi:[0,1]
	v_add_f32_e32 v17, v17, v37
	v_add_f32_e32 v17, v36, v17
	v_add_f32_e32 v36, v48, v47
	v_add_f32_e32 v17, v39, v17
	v_sub_f32_e32 v37, v36, v48
	v_mul_f32_e32 v17, v46, v17
	v_sub_f32_e32 v37, v47, v37
	v_add_f32_e32 v17, v37, v17
	v_add_f32_e32 v39, v36, v17
	v_mul_f32_e32 v40, v39, v39
	v_mov_b32_e32 v38, 0x3ecc95a3
	v_fmac_f32_e32 v38, 0x3e9b6dac, v40
	v_mov_b32_e32 v37, 0x3f2aaada
	v_fmac_f32_e32 v37, v40, v38
	v_cvt_f32_i32_e32 v38, v44
	v_sub_f32_e32 v36, v39, v36
	v_sub_f32_e32 v17, v17, v36
	v_ldexp_f32 v41, v39, 1
	v_mul_f32_e32 v39, v39, v40
	v_mov_b32_e32 v36, 0x3f317218
	s_mov_b32 s4, 0x3f317218
	v_pk_mul_f32 v[36:37], v[38:39], v[36:37]
	v_fma_f32 v40, v38, s4, -v36
	v_fmac_f32_e32 v40, 0xb102e308, v38
	v_pk_add_f32 v[38:39], v[36:37], v[40:41]
	v_sub_f32_e32 v41, v39, v41
	v_ldexp_f32 v17, v17, 1
	v_sub_f32_e32 v41, v37, v41
	v_add_f32_e32 v43, v17, v41
	v_mov_b32_e32 v42, v36
	v_pk_add_f32 v[36:37], v[38:39], v[36:37] neg_lo:[0,1] neg_hi:[0,1]
	v_pk_add_f32 v[44:45], v[38:39], v[42:43]
	v_mov_b32_e32 v37, v45
	v_mov_b32_e32 v41, v38
	v_pk_add_f32 v[46:47], v[40:41], v[36:37] neg_lo:[0,1] neg_hi:[0,1]
	v_pk_add_f32 v[36:37], v[40:41], v[36:37]
	v_mov_b32_e32 v40, v37
	v_pk_add_f32 v[48:49], v[40:41], v[38:39] neg_lo:[0,1] neg_hi:[0,1]
	v_mov_b32_e32 v17, v48
	v_pk_add_f32 v[50:51], v[44:45], v[16:17] neg_lo:[0,1] neg_hi:[0,1]
	v_mov_b32_e32 v36, v45
	v_mov_b32_e32 v44, v39
	;; [unrolled: 1-line block ×4, first 2 shown]
	v_pk_add_f32 v[36:37], v[36:37], v[44:45] neg_lo:[0,1] neg_hi:[0,1]
	v_mov_b32_e32 v42, v43
	v_mov_b32_e32 v43, v38
	v_pk_add_f32 v[36:37], v[42:43], v[36:37] neg_lo:[0,1] neg_hi:[0,1]
	v_mov_b32_e32 v50, v46
	v_pk_add_f32 v[38:39], v[50:51], v[36:37]
	v_mov_b32_e32 v42, v39
	v_pk_add_f32 v[42:43], v[38:39], v[42:43]
	v_pk_add_f32 v[40:41], v[40:41], v[42:43]
	v_mov_b32_e32 v39, v40
	v_pk_add_f32 v[44:45], v[38:39], v[46:47] neg_lo:[0,1] neg_hi:[0,1]
	v_mov_b32_e32 v37, v42
	v_sub_f32_e32 v17, v38, v44
	v_pk_add_f32 v[36:37], v[36:37], v[44:45] neg_lo:[0,1] neg_hi:[0,1]
	v_sub_f32_e32 v17, v46, v17
	v_add_f32_e32 v17, v36, v17
	v_cmp_eq_f32_e64 s[4:5], s33, v52
	s_mov_b32 s33, 0x33800000
	v_add_f32_e32 v17, v17, v37
	v_cmp_lt_f32_e64 s[60:61], |v52|, s33
	v_add_f32_e32 v17, v40, v17
	s_or_b64 s[4:5], s[4:5], s[60:61]
	v_cndmask_b32_e64 v17, v17, v52, s[4:5]
	v_add_f32_e32 v17, v16, v17
.LBB145_85:
	s_or_b64 exec, exec, s[58:59]
	ds_write_b32 v35, v17 offset:4
.LBB145_86:
	s_or_b64 exec, exec, s[64:65]
	v_mul_u32_u24_e32 v16, 52, v0
	v_cmp_ne_u32_e64 s[4:5], 0, v0
	s_waitcnt lgkmcnt(0)
	s_barrier
	s_and_saveexec_b64 s[58:59], s[4:5]
	s_cbranch_execz .LBB145_88
; %bb.87:
	v_add_u32_e32 v0, -1, v0
	v_lshrrev_b32_e32 v17, 5, v0
	v_add_lshl_u32 v0, v17, v0, 2
	ds_read_b32 v34, v0
.LBB145_88:
	s_or_b64 exec, exec, s[58:59]
	s_and_saveexec_b64 s[58:59], s[4:5]
	s_cbranch_execz .LBB145_92
; %bb.89:
	s_waitcnt lgkmcnt(0)
	v_max_f32_e32 v0, v34, v34
	v_min_f32_e32 v17, v0, v33
	v_cmp_u_f32_e64 s[4:5], v34, v34
	v_max_f32_e32 v0, v0, v33
	v_cndmask_b32_e64 v17, v17, v34, s[4:5]
	v_cndmask_b32_e64 v0, v0, v34, s[4:5]
	;; [unrolled: 1-line block ×4, first 2 shown]
	s_movk_i32 s33, 0x1f8
	v_cmp_neq_f32_e64 s[4:5], v17, v0
	v_cmp_class_f32_e64 s[54:55], v17, s33
	s_or_b64 s[4:5], s[4:5], s[54:55]
	s_and_saveexec_b64 s[54:55], s[4:5]
	s_cbranch_execz .LBB145_91
; %bb.90:
	v_sub_f32_e32 v2, v17, v0
	s_mov_b32 s4, 0x3fb8aa3b
	v_mul_f32_e32 v17, 0x3fb8aa3b, v2
	v_fma_f32 v31, v2, s4, -v17
	v_rndne_f32_e32 v32, v17
	v_fmac_f32_e32 v31, 0x32a5705f, v2
	v_sub_f32_e32 v17, v17, v32
	v_add_f32_e32 v17, v17, v31
	v_exp_f32_e32 v17, v17
	v_cvt_i32_f32_e32 v31, v32
	s_mov_b32 s4, 0xc2ce8ed0
	v_cmp_ngt_f32_e64 s[4:5], s4, v2
	s_mov_b32 s33, 0x7f800000
	v_ldexp_f32 v17, v17, v31
	v_cndmask_b32_e64 v17, 0, v17, s[4:5]
	s_mov_b32 s4, 0x42b17218
	v_mov_b32_e32 v31, 0x7f800000
	v_cmp_nlt_f32_e64 s[4:5], s4, v2
	v_cndmask_b32_e64 v31, v31, v17, s[4:5]
	v_add_f32_e32 v2, 1.0, v31
	v_add_f32_e32 v17, -1.0, v2
	v_sub_f32_e32 v32, v17, v2
	v_add_f32_e32 v32, 1.0, v32
	v_sub_f32_e32 v17, v31, v17
	v_add_f32_e32 v17, v17, v32
	v_frexp_mant_f32_e32 v34, v2
	s_mov_b32 s4, 0x3f2aaaab
	v_cvt_f64_f32_e32 v[32:33], v2
	v_frexp_exp_i32_f64_e32 v32, v[32:33]
	v_cmp_gt_f32_e64 s[4:5], s4, v34
	v_subbrev_co_u32_e64 v40, s[4:5], 0, v32, s[4:5]
	v_sub_u32_e32 v32, 0, v40
	v_ldexp_f32 v2, v2, v32
	v_ldexp_f32 v17, v17, v32
	v_add_f32_e32 v32, -1.0, v2
	v_add_f32_e32 v33, 1.0, v32
	v_sub_f32_e32 v33, v2, v33
	v_add_f32_e32 v34, v17, v33
	v_add_f32_e32 v33, 1.0, v2
	v_add_f32_e32 v35, -1.0, v33
	v_sub_f32_e32 v2, v2, v35
	v_add_f32_e32 v2, v17, v2
	v_add_f32_e32 v17, v33, v2
	v_rcp_f32_e32 v41, v17
	v_sub_f32_e32 v33, v33, v17
	v_add_f32_e32 v2, v2, v33
	v_add_f32_e32 v33, v32, v34
	v_sub_f32_e32 v32, v32, v33
	v_mul_f32_e32 v43, v33, v41
	v_add_f32_e32 v42, v34, v32
	v_mul_f32_e32 v34, v17, v43
	v_fma_f32 v36, v43, v17, -v34
	v_fmac_f32_e32 v36, v43, v2
	v_add_f32_e32 v32, v34, v36
	v_sub_f32_e32 v35, v33, v32
	v_pk_add_f32 v[38:39], v[32:33], v[34:35] neg_lo:[0,1] neg_hi:[0,1]
	v_mov_b32_e32 v37, v32
	v_pk_add_f32 v[32:33], v[38:39], v[36:37] neg_lo:[0,1] neg_hi:[0,1]
	v_add_f32_e32 v33, v42, v33
	v_add_f32_e32 v32, v32, v33
	;; [unrolled: 1-line block ×3, first 2 shown]
	v_mul_f32_e32 v42, v41, v33
	v_mul_f32_e32 v34, v17, v42
	v_fma_f32 v36, v42, v17, -v34
	v_fmac_f32_e32 v36, v42, v2
	v_sub_f32_e32 v2, v35, v33
	v_add_f32_e32 v2, v32, v2
	v_add_f32_e32 v32, v34, v36
	v_sub_f32_e32 v35, v33, v32
	v_pk_add_f32 v[38:39], v[32:33], v[34:35] neg_lo:[0,1] neg_hi:[0,1]
	v_mov_b32_e32 v37, v32
	v_pk_add_f32 v[32:33], v[38:39], v[36:37] neg_lo:[0,1] neg_hi:[0,1]
	v_add_f32_e32 v2, v2, v33
	v_add_f32_e32 v2, v32, v2
	;; [unrolled: 1-line block ×4, first 2 shown]
	v_sub_f32_e32 v32, v17, v43
	v_mul_f32_e32 v2, v41, v2
	v_sub_f32_e32 v32, v42, v32
	v_add_f32_e32 v2, v32, v2
	v_add_f32_e32 v32, v17, v2
	v_mul_f32_e32 v35, v32, v32
	v_mov_b32_e32 v34, 0x3ecc95a3
	v_fmac_f32_e32 v34, 0x3e9b6dac, v35
	v_mov_b32_e32 v33, 0x3f2aaada
	v_fmac_f32_e32 v33, v35, v34
	v_cvt_f32_i32_e32 v34, v40
	v_sub_f32_e32 v17, v32, v17
	v_ldexp_f32 v37, v32, 1
	v_mul_f32_e32 v35, v32, v35
	v_mov_b32_e32 v32, 0x3f317218
	s_mov_b32 s4, 0x3f317218
	v_pk_mul_f32 v[32:33], v[34:35], v[32:33]
	v_fma_f32 v36, v34, s4, -v32
	v_fmac_f32_e32 v36, 0xb102e308, v34
	v_pk_add_f32 v[34:35], v[32:33], v[36:37]
	v_sub_f32_e32 v2, v2, v17
	v_sub_f32_e32 v17, v35, v37
	v_ldexp_f32 v2, v2, 1
	v_sub_f32_e32 v17, v33, v17
	v_add_f32_e32 v39, v2, v17
	v_mov_b32_e32 v38, v32
	v_pk_add_f32 v[32:33], v[34:35], v[32:33] neg_lo:[0,1] neg_hi:[0,1]
	v_pk_add_f32 v[40:41], v[34:35], v[38:39]
	v_mov_b32_e32 v33, v41
	v_mov_b32_e32 v37, v34
	v_pk_add_f32 v[42:43], v[36:37], v[32:33] neg_lo:[0,1] neg_hi:[0,1]
	v_pk_add_f32 v[32:33], v[36:37], v[32:33]
	v_mov_b32_e32 v2, v33
	v_pk_add_f32 v[36:37], v[2:3], v[34:35] neg_lo:[0,1] neg_hi:[0,1]
	v_mov_b32_e32 v17, v36
	v_pk_add_f32 v[44:45], v[40:41], v[16:17] neg_lo:[0,1] neg_hi:[0,1]
	v_mov_b32_e32 v32, v41
	v_mov_b32_e32 v40, v35
	;; [unrolled: 1-line block ×4, first 2 shown]
	v_pk_add_f32 v[32:33], v[32:33], v[40:41] neg_lo:[0,1] neg_hi:[0,1]
	v_mov_b32_e32 v36, v39
	v_mov_b32_e32 v37, v34
	v_pk_add_f32 v[32:33], v[36:37], v[32:33] neg_lo:[0,1] neg_hi:[0,1]
	v_mov_b32_e32 v44, v42
	v_pk_add_f32 v[34:35], v[44:45], v[32:33]
	v_mov_b32_e32 v36, v35
	v_pk_add_f32 v[36:37], v[34:35], v[36:37]
	v_pk_add_f32 v[38:39], v[2:3], v[36:37]
	v_mov_b32_e32 v35, v38
	v_pk_add_f32 v[40:41], v[34:35], v[42:43] neg_lo:[0,1] neg_hi:[0,1]
	v_mov_b32_e32 v33, v36
	v_sub_f32_e32 v2, v34, v40
	v_pk_add_f32 v[32:33], v[32:33], v[40:41] neg_lo:[0,1] neg_hi:[0,1]
	v_sub_f32_e32 v2, v42, v2
	v_add_f32_e32 v2, v32, v2
	v_cmp_eq_f32_e64 s[4:5], s33, v31
	s_mov_b32 s33, 0x33800000
	v_add_f32_e32 v2, v2, v33
	v_cmp_lt_f32_e64 s[60:61], |v31|, s33
	v_add_f32_e32 v2, v38, v2
	s_or_b64 s[4:5], s[4:5], s[60:61]
	v_cndmask_b32_e64 v2, v2, v31, s[4:5]
	v_add_f32_e32 v34, v0, v2
.LBB145_91:
	s_or_b64 exec, exec, s[54:55]
	v_max_f32_e32 v0, v34, v34
	v_min_f32_e32 v31, v0, v24
	v_max_f32_e32 v32, v0, v24
	v_mov_b32_e32 v2, v34
	;;#ASMSTART
	;;#ASMEND
.LBB145_92:
	s_or_b64 exec, exec, s[58:59]
	v_cmp_u_f32_e64 s[4:5], v2, v2
	v_cndmask_b32_e64 v0, v31, v2, s[4:5]
	v_cndmask_b32_e64 v17, v0, v3, s[26:27]
	v_cndmask_b32_e64 v0, v32, v2, s[4:5]
	v_cndmask_b32_e64 v0, v0, v3, s[26:27]
	s_movk_i32 s33, 0x1f8
	v_cmp_neq_f32_e64 s[4:5], v17, v0
	v_cmp_class_f32_e64 s[26:27], v17, s33
	s_or_b64 s[4:5], s[4:5], s[26:27]
	v_mov_b32_e32 v3, v2
	s_and_saveexec_b64 s[26:27], s[4:5]
	s_cbranch_execz .LBB145_94
; %bb.93:
	v_sub_f32_e32 v3, v17, v0
	s_mov_b32 s4, 0x3fb8aa3b
	v_mul_f32_e32 v17, 0x3fb8aa3b, v3
	v_fma_f32 v24, v3, s4, -v17
	v_rndne_f32_e32 v31, v17
	v_fmac_f32_e32 v24, 0x32a5705f, v3
	v_sub_f32_e32 v17, v17, v31
	v_add_f32_e32 v17, v17, v24
	v_exp_f32_e32 v17, v17
	v_cvt_i32_f32_e32 v24, v31
	s_mov_b32 s4, 0xc2ce8ed0
	v_cmp_ngt_f32_e64 s[4:5], s4, v3
	s_mov_b32 s54, 0x7f800000
	v_ldexp_f32 v17, v17, v24
	v_cndmask_b32_e64 v17, 0, v17, s[4:5]
	s_mov_b32 s4, 0x42b17218
	v_mov_b32_e32 v24, 0x7f800000
	v_cmp_nlt_f32_e64 s[4:5], s4, v3
	v_cndmask_b32_e64 v17, v24, v17, s[4:5]
	v_add_f32_e32 v3, 1.0, v17
	v_add_f32_e32 v24, -1.0, v3
	v_sub_f32_e32 v31, v24, v3
	v_add_f32_e32 v31, 1.0, v31
	v_sub_f32_e32 v24, v17, v24
	v_add_f32_e32 v24, v24, v31
	v_frexp_mant_f32_e32 v31, v3
	s_mov_b32 s4, 0x3f2aaaab
	v_cvt_f64_f32_e32 v[32:33], v3
	v_frexp_exp_i32_f64_e32 v32, v[32:33]
	v_cmp_gt_f32_e64 s[4:5], s4, v31
	v_subbrev_co_u32_e64 v31, s[4:5], 0, v32, s[4:5]
	v_sub_u32_e32 v32, 0, v31
	v_ldexp_f32 v3, v3, v32
	v_ldexp_f32 v24, v24, v32
	v_add_f32_e32 v32, -1.0, v3
	v_add_f32_e32 v33, 1.0, v32
	v_sub_f32_e32 v33, v3, v33
	s_waitcnt lgkmcnt(0)
	v_add_f32_e32 v34, v24, v33
	v_add_f32_e32 v33, 1.0, v3
	v_add_f32_e32 v35, -1.0, v33
	v_sub_f32_e32 v3, v3, v35
	v_add_f32_e32 v3, v24, v3
	v_add_f32_e32 v24, v33, v3
	v_rcp_f32_e32 v40, v24
	v_sub_f32_e32 v33, v33, v24
	v_add_f32_e32 v3, v3, v33
	v_add_f32_e32 v33, v32, v34
	v_sub_f32_e32 v32, v32, v33
	v_mul_f32_e32 v42, v33, v40
	v_add_f32_e32 v41, v34, v32
	v_mul_f32_e32 v34, v24, v42
	v_fma_f32 v36, v42, v24, -v34
	v_fmac_f32_e32 v36, v42, v3
	v_add_f32_e32 v32, v34, v36
	v_sub_f32_e32 v35, v33, v32
	v_pk_add_f32 v[38:39], v[32:33], v[34:35] neg_lo:[0,1] neg_hi:[0,1]
	v_mov_b32_e32 v37, v32
	v_pk_add_f32 v[32:33], v[38:39], v[36:37] neg_lo:[0,1] neg_hi:[0,1]
	v_add_f32_e32 v33, v41, v33
	v_add_f32_e32 v32, v32, v33
	;; [unrolled: 1-line block ×3, first 2 shown]
	v_mul_f32_e32 v41, v40, v33
	v_mul_f32_e32 v34, v24, v41
	v_fma_f32 v36, v41, v24, -v34
	v_fmac_f32_e32 v36, v41, v3
	v_sub_f32_e32 v3, v35, v33
	v_add_f32_e32 v3, v32, v3
	v_add_f32_e32 v32, v34, v36
	v_sub_f32_e32 v35, v33, v32
	v_pk_add_f32 v[38:39], v[32:33], v[34:35] neg_lo:[0,1] neg_hi:[0,1]
	v_mov_b32_e32 v37, v32
	v_pk_add_f32 v[32:33], v[38:39], v[36:37] neg_lo:[0,1] neg_hi:[0,1]
	v_add_f32_e32 v3, v3, v33
	v_add_f32_e32 v3, v32, v3
	;; [unrolled: 1-line block ×4, first 2 shown]
	v_sub_f32_e32 v32, v24, v42
	v_mul_f32_e32 v3, v40, v3
	v_sub_f32_e32 v32, v41, v32
	v_add_f32_e32 v3, v32, v3
	v_add_f32_e32 v32, v24, v3
	v_mul_f32_e32 v35, v32, v32
	v_mov_b32_e32 v34, 0x3ecc95a3
	v_fmac_f32_e32 v34, 0x3e9b6dac, v35
	v_mov_b32_e32 v33, 0x3f2aaada
	v_fmac_f32_e32 v33, v35, v34
	v_cvt_f32_i32_e32 v34, v31
	v_sub_f32_e32 v24, v32, v24
	v_ldexp_f32 v37, v32, 1
	v_mul_f32_e32 v35, v32, v35
	v_mov_b32_e32 v32, 0x3f317218
	s_mov_b32 s4, 0x3f317218
	v_pk_mul_f32 v[32:33], v[34:35], v[32:33]
	v_fma_f32 v36, v34, s4, -v32
	v_fmac_f32_e32 v36, 0xb102e308, v34
	v_pk_add_f32 v[34:35], v[32:33], v[36:37]
	v_sub_f32_e32 v3, v3, v24
	v_sub_f32_e32 v24, v35, v37
	v_ldexp_f32 v3, v3, 1
	v_sub_f32_e32 v24, v33, v24
	v_add_f32_e32 v39, v3, v24
	v_mov_b32_e32 v38, v32
	v_pk_add_f32 v[32:33], v[34:35], v[32:33] neg_lo:[0,1] neg_hi:[0,1]
	v_pk_add_f32 v[40:41], v[34:35], v[38:39]
	v_mov_b32_e32 v33, v41
	v_mov_b32_e32 v37, v34
	v_pk_add_f32 v[42:43], v[36:37], v[32:33] neg_lo:[0,1] neg_hi:[0,1]
	v_pk_add_f32 v[32:33], v[36:37], v[32:33]
	v_mov_b32_e32 v24, v33
	v_pk_add_f32 v[36:37], v[24:25], v[34:35] neg_lo:[0,1] neg_hi:[0,1]
	v_mov_b32_e32 v3, v36
	v_pk_add_f32 v[44:45], v[40:41], v[2:3] neg_lo:[0,1] neg_hi:[0,1]
	v_mov_b32_e32 v32, v41
	v_mov_b32_e32 v40, v35
	;; [unrolled: 1-line block ×4, first 2 shown]
	v_pk_add_f32 v[32:33], v[32:33], v[40:41] neg_lo:[0,1] neg_hi:[0,1]
	v_mov_b32_e32 v36, v39
	v_mov_b32_e32 v37, v34
	v_pk_add_f32 v[32:33], v[36:37], v[32:33] neg_lo:[0,1] neg_hi:[0,1]
	v_mov_b32_e32 v44, v42
	v_pk_add_f32 v[34:35], v[44:45], v[32:33]
	v_mov_b32_e32 v36, v35
	v_pk_add_f32 v[36:37], v[34:35], v[36:37]
	v_pk_add_f32 v[38:39], v[24:25], v[36:37]
	v_mov_b32_e32 v35, v38
	v_pk_add_f32 v[40:41], v[34:35], v[42:43] neg_lo:[0,1] neg_hi:[0,1]
	v_mov_b32_e32 v33, v36
	v_sub_f32_e32 v3, v34, v40
	v_pk_add_f32 v[32:33], v[32:33], v[40:41] neg_lo:[0,1] neg_hi:[0,1]
	v_sub_f32_e32 v3, v42, v3
	v_add_f32_e32 v3, v32, v3
	v_cmp_eq_f32_e64 s[4:5], s54, v17
	s_mov_b32 s54, 0x33800000
	v_add_f32_e32 v3, v3, v33
	v_cmp_lt_f32_e64 s[54:55], |v17|, s54
	v_add_f32_e32 v3, v38, v3
	s_or_b64 s[4:5], s[4:5], s[54:55]
	v_cndmask_b32_e64 v3, v3, v17, s[4:5]
	v_add_f32_e32 v3, v0, v3
.LBB145_94:
	s_or_b64 exec, exec, s[26:27]
	v_max_f32_e32 v0, v3, v3
	v_min_f32_e32 v17, v0, v1
	v_cmp_u_f32_e64 s[4:5], v3, v3
	v_max_f32_e32 v0, v0, v1
	v_cndmask_b32_e64 v17, v17, v3, s[4:5]
	v_cndmask_b32_e64 v0, v0, v3, s[4:5]
	;; [unrolled: 1-line block ×4, first 2 shown]
	v_cmp_neq_f32_e64 s[4:5], v17, v1
	v_cmp_class_f32_e64 s[26:27], v17, s33
	s_or_b64 s[4:5], s[4:5], s[26:27]
	v_mov_b32_e32 v0, v3
	s_and_saveexec_b64 s[26:27], s[4:5]
	s_cbranch_execz .LBB145_96
; %bb.95:
	v_sub_f32_e32 v0, v17, v1
	s_mov_b32 s4, 0x3fb8aa3b
	v_mul_f32_e32 v4, 0x3fb8aa3b, v0
	v_fma_f32 v17, v0, s4, -v4
	v_rndne_f32_e32 v24, v4
	v_fmac_f32_e32 v17, 0x32a5705f, v0
	v_sub_f32_e32 v4, v4, v24
	v_add_f32_e32 v4, v4, v17
	v_exp_f32_e32 v4, v4
	v_cvt_i32_f32_e32 v17, v24
	s_mov_b32 s4, 0xc2ce8ed0
	v_cmp_ngt_f32_e64 s[4:5], s4, v0
	s_mov_b32 s28, 0x7f800000
	v_ldexp_f32 v4, v4, v17
	v_cndmask_b32_e64 v4, 0, v4, s[4:5]
	s_mov_b32 s4, 0x42b17218
	v_mov_b32_e32 v17, 0x7f800000
	v_cmp_nlt_f32_e64 s[4:5], s4, v0
	v_cndmask_b32_e64 v24, v17, v4, s[4:5]
	v_add_f32_e32 v0, 1.0, v24
	v_add_f32_e32 v4, -1.0, v0
	v_sub_f32_e32 v17, v4, v0
	v_add_f32_e32 v17, 1.0, v17
	v_sub_f32_e32 v4, v24, v4
	v_add_f32_e32 v4, v4, v17
	v_frexp_mant_f32_e32 v17, v0
	s_mov_b32 s4, 0x3f2aaaab
	v_cvt_f64_f32_e32 v[32:33], v0
	v_frexp_exp_i32_f64_e32 v31, v[32:33]
	v_cmp_gt_f32_e64 s[4:5], s4, v17
	v_subbrev_co_u32_e64 v17, s[4:5], 0, v31, s[4:5]
	v_sub_u32_e32 v31, 0, v17
	v_ldexp_f32 v0, v0, v31
	v_ldexp_f32 v4, v4, v31
	v_add_f32_e32 v31, -1.0, v0
	v_add_f32_e32 v33, 1.0, v0
	v_add_f32_e32 v32, 1.0, v31
	s_waitcnt lgkmcnt(0)
	v_add_f32_e32 v34, -1.0, v33
	v_sub_f32_e32 v32, v0, v32
	v_sub_f32_e32 v0, v0, v34
	v_add_f32_e32 v0, v4, v0
	v_add_f32_e32 v32, v4, v32
	;; [unrolled: 1-line block ×3, first 2 shown]
	v_rcp_f32_e32 v40, v4
	v_sub_f32_e32 v33, v33, v4
	v_add_f32_e32 v0, v0, v33
	v_add_f32_e32 v33, v31, v32
	v_mul_f32_e32 v41, v33, v40
	v_mul_f32_e32 v34, v4, v41
	v_fma_f32 v36, v41, v4, -v34
	v_sub_f32_e32 v31, v31, v33
	v_fmac_f32_e32 v36, v41, v0
	v_add_f32_e32 v31, v32, v31
	v_add_f32_e32 v32, v34, v36
	v_sub_f32_e32 v35, v33, v32
	v_pk_add_f32 v[38:39], v[32:33], v[34:35] neg_lo:[0,1] neg_hi:[0,1]
	v_mov_b32_e32 v37, v32
	v_pk_add_f32 v[32:33], v[38:39], v[36:37] neg_lo:[0,1] neg_hi:[0,1]
	v_add_f32_e32 v31, v31, v33
	v_add_f32_e32 v31, v32, v31
	;; [unrolled: 1-line block ×3, first 2 shown]
	v_mul_f32_e32 v42, v40, v33
	v_mul_f32_e32 v34, v4, v42
	v_fma_f32 v36, v42, v4, -v34
	v_fmac_f32_e32 v36, v42, v0
	v_add_f32_e32 v32, v34, v36
	v_sub_f32_e32 v0, v35, v33
	v_sub_f32_e32 v35, v33, v32
	v_pk_add_f32 v[38:39], v[32:33], v[34:35] neg_lo:[0,1] neg_hi:[0,1]
	v_mov_b32_e32 v37, v32
	v_add_f32_e32 v0, v31, v0
	v_pk_add_f32 v[32:33], v[38:39], v[36:37] neg_lo:[0,1] neg_hi:[0,1]
	v_add_f32_e32 v0, v0, v33
	v_add_f32_e32 v0, v32, v0
	;; [unrolled: 1-line block ×4, first 2 shown]
	v_sub_f32_e32 v31, v4, v41
	v_mul_f32_e32 v0, v40, v0
	v_sub_f32_e32 v31, v42, v31
	v_add_f32_e32 v0, v31, v0
	v_add_f32_e32 v31, v4, v0
	v_mul_f32_e32 v32, v31, v31
	v_mov_b32_e32 v34, 0x3ecc95a3
	v_fmac_f32_e32 v34, 0x3e9b6dac, v32
	v_mov_b32_e32 v33, 0x3f2aaada
	v_fmac_f32_e32 v33, v32, v34
	v_cvt_f32_i32_e32 v34, v17
	v_mul_f32_e32 v35, v31, v32
	v_mov_b32_e32 v32, 0x3f317218
	s_mov_b32 s4, 0x3f317218
	v_pk_mul_f32 v[32:33], v[34:35], v[32:33]
	v_fma_f32 v36, v34, s4, -v32
	v_ldexp_f32 v37, v31, 1
	v_fmac_f32_e32 v36, 0xb102e308, v34
	v_sub_f32_e32 v4, v31, v4
	v_pk_add_f32 v[34:35], v[32:33], v[36:37]
	v_sub_f32_e32 v0, v0, v4
	v_sub_f32_e32 v4, v35, v37
	v_ldexp_f32 v0, v0, 1
	v_sub_f32_e32 v4, v33, v4
	v_add_f32_e32 v39, v0, v4
	v_mov_b32_e32 v38, v32
	v_pk_add_f32 v[32:33], v[34:35], v[32:33] neg_lo:[0,1] neg_hi:[0,1]
	v_pk_add_f32 v[40:41], v[34:35], v[38:39]
	v_mov_b32_e32 v33, v41
	v_mov_b32_e32 v37, v34
	v_pk_add_f32 v[42:43], v[36:37], v[32:33] neg_lo:[0,1] neg_hi:[0,1]
	v_pk_add_f32 v[32:33], v[36:37], v[32:33]
	v_mov_b32_e32 v0, v33
	v_pk_add_f32 v[36:37], v[0:1], v[34:35] neg_lo:[0,1] neg_hi:[0,1]
	v_mov_b32_e32 v17, v36
	v_pk_add_f32 v[44:45], v[40:41], v[16:17] neg_lo:[0,1] neg_hi:[0,1]
	v_mov_b32_e32 v32, v41
	v_mov_b32_e32 v40, v35
	;; [unrolled: 1-line block ×4, first 2 shown]
	v_pk_add_f32 v[32:33], v[32:33], v[40:41] neg_lo:[0,1] neg_hi:[0,1]
	v_mov_b32_e32 v36, v39
	v_mov_b32_e32 v37, v34
	v_pk_add_f32 v[32:33], v[36:37], v[32:33] neg_lo:[0,1] neg_hi:[0,1]
	v_mov_b32_e32 v44, v42
	v_pk_add_f32 v[34:35], v[44:45], v[32:33]
	v_mov_b32_e32 v4, v35
	v_pk_add_f32 v[36:37], v[34:35], v[4:5]
	v_pk_add_f32 v[38:39], v[0:1], v[36:37]
	v_mov_b32_e32 v35, v38
	v_pk_add_f32 v[40:41], v[34:35], v[42:43] neg_lo:[0,1] neg_hi:[0,1]
	v_mov_b32_e32 v33, v36
	v_sub_f32_e32 v0, v34, v40
	v_pk_add_f32 v[32:33], v[32:33], v[40:41] neg_lo:[0,1] neg_hi:[0,1]
	v_sub_f32_e32 v0, v42, v0
	v_add_f32_e32 v0, v32, v0
	v_cmp_eq_f32_e64 s[4:5], s28, v24
	s_mov_b32 s28, 0x33800000
	v_add_f32_e32 v0, v0, v33
	v_cmp_lt_f32_e64 s[28:29], |v24|, s28
	v_add_f32_e32 v0, v38, v0
	s_or_b64 s[4:5], s[4:5], s[28:29]
	v_cndmask_b32_e64 v0, v0, v24, s[4:5]
	v_add_f32_e32 v0, v1, v0
.LBB145_96:
	s_or_b64 exec, exec, s[26:27]
	v_max_f32_e32 v1, v0, v0
	v_min_f32_e32 v4, v1, v19
	v_cmp_u_f32_e64 s[4:5], v0, v0
	v_max_f32_e32 v1, v1, v19
	v_cndmask_b32_e64 v4, v4, v0, s[4:5]
	v_cndmask_b32_e64 v1, v1, v0, s[4:5]
	;; [unrolled: 1-line block ×4, first 2 shown]
	s_movk_i32 s28, 0x1f8
	v_cmp_neq_f32_e64 s[4:5], v17, v4
	v_cmp_class_f32_e64 s[26:27], v17, s28
	s_or_b64 s[4:5], s[4:5], s[26:27]
	v_mov_b32_e32 v1, v0
	s_and_saveexec_b64 s[26:27], s[4:5]
	s_cbranch_execz .LBB145_98
; %bb.97:
	v_sub_f32_e32 v1, v17, v4
	s_mov_b32 s4, 0x3fb8aa3b
	v_mul_f32_e32 v5, 0x3fb8aa3b, v1
	v_fma_f32 v17, v1, s4, -v5
	v_rndne_f32_e32 v19, v5
	v_fmac_f32_e32 v17, 0x32a5705f, v1
	v_sub_f32_e32 v5, v5, v19
	v_add_f32_e32 v5, v5, v17
	v_exp_f32_e32 v5, v5
	v_cvt_i32_f32_e32 v17, v19
	s_mov_b32 s4, 0xc2ce8ed0
	v_cmp_ngt_f32_e64 s[4:5], s4, v1
	s_mov_b32 s29, 0x7f800000
	v_ldexp_f32 v5, v5, v17
	v_cndmask_b32_e64 v5, 0, v5, s[4:5]
	s_mov_b32 s4, 0x42b17218
	v_mov_b32_e32 v17, 0x7f800000
	v_cmp_nlt_f32_e64 s[4:5], s4, v1
	v_cndmask_b32_e64 v5, v17, v5, s[4:5]
	v_add_f32_e32 v1, 1.0, v5
	v_add_f32_e32 v17, -1.0, v1
	v_sub_f32_e32 v19, v17, v1
	v_add_f32_e32 v19, 1.0, v19
	v_sub_f32_e32 v17, v5, v17
	v_add_f32_e32 v17, v17, v19
	v_frexp_mant_f32_e32 v19, v1
	s_mov_b32 s4, 0x3f2aaaab
	v_cvt_f64_f32_e32 v[32:33], v1
	v_frexp_exp_i32_f64_e32 v24, v[32:33]
	v_cmp_gt_f32_e64 s[4:5], s4, v19
	v_subbrev_co_u32_e64 v19, s[4:5], 0, v24, s[4:5]
	v_sub_u32_e32 v24, 0, v19
	v_ldexp_f32 v1, v1, v24
	v_ldexp_f32 v17, v17, v24
	v_add_f32_e32 v24, -1.0, v1
	v_add_f32_e32 v32, 1.0, v1
	v_add_f32_e32 v31, 1.0, v24
	v_add_f32_e32 v33, -1.0, v32
	v_sub_f32_e32 v31, v1, v31
	v_sub_f32_e32 v1, v1, v33
	v_add_f32_e32 v1, v17, v1
	v_add_f32_e32 v31, v17, v31
	;; [unrolled: 1-line block ×3, first 2 shown]
	v_rcp_f32_e32 v40, v17
	v_add_f32_e32 v33, v24, v31
	v_sub_f32_e32 v24, v24, v33
	v_add_f32_e32 v24, v31, v24
	v_mul_f32_e32 v31, v33, v40
	v_sub_f32_e32 v32, v32, v17
	s_waitcnt lgkmcnt(0)
	v_mul_f32_e32 v34, v17, v31
	v_add_f32_e32 v1, v1, v32
	v_fma_f32 v36, v31, v17, -v34
	v_fmac_f32_e32 v36, v31, v1
	v_add_f32_e32 v32, v34, v36
	v_sub_f32_e32 v35, v33, v32
	v_pk_add_f32 v[38:39], v[32:33], v[34:35] neg_lo:[0,1] neg_hi:[0,1]
	v_mov_b32_e32 v37, v32
	v_pk_add_f32 v[32:33], v[38:39], v[36:37] neg_lo:[0,1] neg_hi:[0,1]
	v_add_f32_e32 v24, v24, v33
	v_add_f32_e32 v24, v32, v24
	;; [unrolled: 1-line block ×3, first 2 shown]
	v_mul_f32_e32 v41, v40, v33
	v_mul_f32_e32 v34, v17, v41
	v_fma_f32 v36, v41, v17, -v34
	v_fmac_f32_e32 v36, v41, v1
	v_add_f32_e32 v32, v34, v36
	v_sub_f32_e32 v1, v35, v33
	v_sub_f32_e32 v35, v33, v32
	v_pk_add_f32 v[38:39], v[32:33], v[34:35] neg_lo:[0,1] neg_hi:[0,1]
	v_mov_b32_e32 v37, v32
	v_add_f32_e32 v1, v24, v1
	v_pk_add_f32 v[32:33], v[38:39], v[36:37] neg_lo:[0,1] neg_hi:[0,1]
	v_add_f32_e32 v1, v1, v33
	v_add_f32_e32 v1, v32, v1
	;; [unrolled: 1-line block ×4, first 2 shown]
	v_sub_f32_e32 v24, v17, v31
	v_mul_f32_e32 v1, v40, v1
	v_sub_f32_e32 v24, v41, v24
	v_add_f32_e32 v1, v24, v1
	v_add_f32_e32 v24, v17, v1
	v_cvt_f32_i32_e32 v34, v19
	v_mul_f32_e32 v31, v24, v24
	v_mov_b32_e32 v32, 0x3ecc95a3
	v_fmac_f32_e32 v32, 0x3e9b6dac, v31
	v_mov_b32_e32 v33, 0x3f2aaada
	v_fmac_f32_e32 v33, v31, v32
	v_mul_f32_e32 v35, v24, v31
	v_mov_b32_e32 v32, 0x3f317218
	s_mov_b32 s4, 0x3f317218
	v_pk_mul_f32 v[32:33], v[34:35], v[32:33]
	v_fma_f32 v36, v34, s4, -v32
	v_ldexp_f32 v37, v24, 1
	v_fmac_f32_e32 v36, 0xb102e308, v34
	v_sub_f32_e32 v17, v24, v17
	v_pk_add_f32 v[34:35], v[32:33], v[36:37]
	v_sub_f32_e32 v1, v1, v17
	v_sub_f32_e32 v17, v35, v37
	v_ldexp_f32 v1, v1, 1
	v_sub_f32_e32 v17, v33, v17
	v_add_f32_e32 v39, v1, v17
	v_mov_b32_e32 v38, v32
	v_pk_add_f32 v[32:33], v[34:35], v[32:33] neg_lo:[0,1] neg_hi:[0,1]
	v_pk_add_f32 v[40:41], v[34:35], v[38:39]
	v_mov_b32_e32 v33, v41
	v_mov_b32_e32 v37, v34
	v_pk_add_f32 v[42:43], v[36:37], v[32:33] neg_lo:[0,1] neg_hi:[0,1]
	v_pk_add_f32 v[32:33], v[36:37], v[32:33]
	v_mov_b32_e32 v24, v33
	v_pk_add_f32 v[36:37], v[24:25], v[34:35] neg_lo:[0,1] neg_hi:[0,1]
	v_mov_b32_e32 v1, v36
	v_pk_add_f32 v[44:45], v[40:41], v[0:1] neg_lo:[0,1] neg_hi:[0,1]
	v_mov_b32_e32 v32, v41
	v_mov_b32_e32 v40, v35
	;; [unrolled: 1-line block ×4, first 2 shown]
	v_pk_add_f32 v[32:33], v[32:33], v[40:41] neg_lo:[0,1] neg_hi:[0,1]
	v_mov_b32_e32 v36, v39
	v_mov_b32_e32 v37, v34
	v_pk_add_f32 v[32:33], v[36:37], v[32:33] neg_lo:[0,1] neg_hi:[0,1]
	v_mov_b32_e32 v44, v42
	v_pk_add_f32 v[34:35], v[44:45], v[32:33]
	v_mov_b32_e32 v36, v35
	v_pk_add_f32 v[36:37], v[34:35], v[36:37]
	v_pk_add_f32 v[38:39], v[24:25], v[36:37]
	v_mov_b32_e32 v35, v38
	v_pk_add_f32 v[40:41], v[34:35], v[42:43] neg_lo:[0,1] neg_hi:[0,1]
	v_mov_b32_e32 v33, v36
	v_sub_f32_e32 v1, v34, v40
	v_pk_add_f32 v[32:33], v[32:33], v[40:41] neg_lo:[0,1] neg_hi:[0,1]
	v_sub_f32_e32 v1, v42, v1
	v_add_f32_e32 v1, v32, v1
	v_cmp_eq_f32_e64 s[4:5], s29, v5
	s_mov_b32 s29, 0x33800000
	v_add_f32_e32 v1, v1, v33
	v_cmp_lt_f32_e64 s[30:31], |v5|, s29
	v_add_f32_e32 v1, v38, v1
	s_or_b64 s[4:5], s[4:5], s[30:31]
	v_cndmask_b32_e64 v1, v1, v5, s[4:5]
	v_add_f32_e32 v1, v4, v1
.LBB145_98:
	s_or_b64 exec, exec, s[26:27]
	v_max_f32_e32 v4, v1, v1
	v_min_f32_e32 v5, v4, v20
	v_cmp_u_f32_e64 s[4:5], v1, v1
	v_max_f32_e32 v4, v4, v20
	v_cndmask_b32_e64 v5, v5, v1, s[4:5]
	v_cndmask_b32_e64 v4, v4, v1, s[4:5]
	;; [unrolled: 1-line block ×4, first 2 shown]
	v_cmp_neq_f32_e64 s[4:5], v17, v5
	v_cmp_class_f32_e64 s[26:27], v17, s28
	s_or_b64 s[4:5], s[4:5], s[26:27]
	v_mov_b32_e32 v4, v1
	s_and_saveexec_b64 s[26:27], s[4:5]
	s_cbranch_execz .LBB145_100
; %bb.99:
	v_sub_f32_e32 v4, v17, v5
	s_mov_b32 s4, 0x3fb8aa3b
	v_mul_f32_e32 v10, 0x3fb8aa3b, v4
	v_fma_f32 v17, v4, s4, -v10
	v_rndne_f32_e32 v19, v10
	v_fmac_f32_e32 v17, 0x32a5705f, v4
	v_sub_f32_e32 v10, v10, v19
	v_add_f32_e32 v10, v10, v17
	v_exp_f32_e32 v10, v10
	v_cvt_i32_f32_e32 v17, v19
	s_mov_b32 s4, 0xc2ce8ed0
	v_cmp_ngt_f32_e64 s[4:5], s4, v4
	s_mov_b32 s28, 0x7f800000
	v_ldexp_f32 v10, v10, v17
	v_cndmask_b32_e64 v10, 0, v10, s[4:5]
	s_mov_b32 s4, 0x42b17218
	v_mov_b32_e32 v17, 0x7f800000
	v_cmp_nlt_f32_e64 s[4:5], s4, v4
	v_cndmask_b32_e64 v19, v17, v10, s[4:5]
	v_add_f32_e32 v4, 1.0, v19
	v_add_f32_e32 v10, -1.0, v4
	v_sub_f32_e32 v17, v10, v4
	v_add_f32_e32 v17, 1.0, v17
	v_sub_f32_e32 v10, v19, v10
	v_add_f32_e32 v10, v10, v17
	v_frexp_mant_f32_e32 v17, v4
	s_mov_b32 s4, 0x3f2aaaab
	v_cvt_f64_f32_e32 v[32:33], v4
	v_frexp_exp_i32_f64_e32 v20, v[32:33]
	v_cmp_gt_f32_e64 s[4:5], s4, v17
	v_subbrev_co_u32_e64 v17, s[4:5], 0, v20, s[4:5]
	v_sub_u32_e32 v20, 0, v17
	v_ldexp_f32 v4, v4, v20
	v_ldexp_f32 v10, v10, v20
	v_add_f32_e32 v20, -1.0, v4
	v_add_f32_e32 v31, 1.0, v4
	v_add_f32_e32 v24, 1.0, v20
	v_add_f32_e32 v32, -1.0, v31
	v_sub_f32_e32 v24, v4, v24
	v_sub_f32_e32 v4, v4, v32
	v_add_f32_e32 v4, v10, v4
	v_add_f32_e32 v24, v10, v24
	;; [unrolled: 1-line block ×3, first 2 shown]
	v_sub_f32_e32 v31, v31, v10
	v_add_f32_e32 v4, v4, v31
	v_rcp_f32_e32 v31, v10
	v_add_f32_e32 v33, v20, v24
	v_sub_f32_e32 v20, v20, v33
	v_add_f32_e32 v20, v24, v20
	v_mul_f32_e32 v24, v33, v31
	s_waitcnt lgkmcnt(0)
	v_mul_f32_e32 v34, v10, v24
	v_fma_f32 v36, v24, v10, -v34
	v_fmac_f32_e32 v36, v24, v4
	v_add_f32_e32 v32, v34, v36
	v_sub_f32_e32 v35, v33, v32
	v_pk_add_f32 v[38:39], v[32:33], v[34:35] neg_lo:[0,1] neg_hi:[0,1]
	v_mov_b32_e32 v37, v32
	v_pk_add_f32 v[32:33], v[38:39], v[36:37] neg_lo:[0,1] neg_hi:[0,1]
	v_add_f32_e32 v20, v20, v33
	v_add_f32_e32 v20, v32, v20
	;; [unrolled: 1-line block ×3, first 2 shown]
	v_mul_f32_e32 v40, v31, v33
	v_mul_f32_e32 v34, v10, v40
	v_fma_f32 v36, v40, v10, -v34
	v_fmac_f32_e32 v36, v40, v4
	v_add_f32_e32 v32, v34, v36
	v_sub_f32_e32 v4, v35, v33
	v_sub_f32_e32 v35, v33, v32
	v_pk_add_f32 v[38:39], v[32:33], v[34:35] neg_lo:[0,1] neg_hi:[0,1]
	v_mov_b32_e32 v37, v32
	v_add_f32_e32 v4, v20, v4
	v_pk_add_f32 v[32:33], v[38:39], v[36:37] neg_lo:[0,1] neg_hi:[0,1]
	v_add_f32_e32 v4, v4, v33
	v_add_f32_e32 v4, v32, v4
	;; [unrolled: 1-line block ×4, first 2 shown]
	v_sub_f32_e32 v20, v10, v24
	v_mul_f32_e32 v4, v31, v4
	v_sub_f32_e32 v20, v40, v20
	v_add_f32_e32 v4, v20, v4
	v_add_f32_e32 v20, v10, v4
	v_cvt_f32_i32_e32 v34, v17
	v_mul_f32_e32 v24, v20, v20
	v_mov_b32_e32 v31, 0x3ecc95a3
	v_fmac_f32_e32 v31, 0x3e9b6dac, v24
	v_mov_b32_e32 v33, 0x3f2aaada
	v_fmac_f32_e32 v33, v24, v31
	v_mul_f32_e32 v35, v20, v24
	v_mov_b32_e32 v32, 0x3f317218
	s_mov_b32 s4, 0x3f317218
	v_pk_mul_f32 v[32:33], v[34:35], v[32:33]
	v_fma_f32 v36, v34, s4, -v32
	v_ldexp_f32 v37, v20, 1
	v_fmac_f32_e32 v36, 0xb102e308, v34
	v_sub_f32_e32 v10, v20, v10
	v_pk_add_f32 v[34:35], v[32:33], v[36:37]
	v_sub_f32_e32 v4, v4, v10
	v_sub_f32_e32 v10, v35, v37
	v_ldexp_f32 v4, v4, 1
	v_sub_f32_e32 v10, v33, v10
	v_add_f32_e32 v39, v4, v10
	v_mov_b32_e32 v38, v32
	v_pk_add_f32 v[32:33], v[34:35], v[32:33] neg_lo:[0,1] neg_hi:[0,1]
	v_pk_add_f32 v[40:41], v[34:35], v[38:39]
	v_mov_b32_e32 v33, v41
	v_mov_b32_e32 v37, v34
	v_pk_add_f32 v[42:43], v[36:37], v[32:33] neg_lo:[0,1] neg_hi:[0,1]
	v_pk_add_f32 v[32:33], v[36:37], v[32:33]
	v_mov_b32_e32 v4, v33
	v_pk_add_f32 v[36:37], v[4:5], v[34:35] neg_lo:[0,1] neg_hi:[0,1]
	v_mov_b32_e32 v17, v36
	v_pk_add_f32 v[44:45], v[40:41], v[16:17] neg_lo:[0,1] neg_hi:[0,1]
	v_mov_b32_e32 v32, v41
	v_mov_b32_e32 v40, v35
	;; [unrolled: 1-line block ×4, first 2 shown]
	v_pk_add_f32 v[32:33], v[32:33], v[40:41] neg_lo:[0,1] neg_hi:[0,1]
	v_mov_b32_e32 v36, v39
	v_mov_b32_e32 v37, v34
	v_pk_add_f32 v[32:33], v[36:37], v[32:33] neg_lo:[0,1] neg_hi:[0,1]
	v_mov_b32_e32 v44, v42
	v_pk_add_f32 v[34:35], v[44:45], v[32:33]
	v_mov_b32_e32 v10, v35
	v_pk_add_f32 v[36:37], v[34:35], v[10:11]
	v_pk_add_f32 v[38:39], v[4:5], v[36:37]
	v_mov_b32_e32 v35, v38
	v_pk_add_f32 v[40:41], v[34:35], v[42:43] neg_lo:[0,1] neg_hi:[0,1]
	v_mov_b32_e32 v33, v36
	v_sub_f32_e32 v4, v34, v40
	v_pk_add_f32 v[32:33], v[32:33], v[40:41] neg_lo:[0,1] neg_hi:[0,1]
	v_sub_f32_e32 v4, v42, v4
	v_add_f32_e32 v4, v32, v4
	v_cmp_eq_f32_e64 s[4:5], s28, v19
	s_mov_b32 s28, 0x33800000
	v_add_f32_e32 v4, v4, v33
	v_cmp_lt_f32_e64 s[28:29], |v19|, s28
	v_add_f32_e32 v4, v38, v4
	s_or_b64 s[4:5], s[4:5], s[28:29]
	v_cndmask_b32_e64 v4, v4, v19, s[4:5]
	v_add_f32_e32 v4, v5, v4
.LBB145_100:
	s_or_b64 exec, exec, s[26:27]
	v_max_f32_e32 v5, v4, v4
	v_min_f32_e32 v10, v5, v21
	v_cmp_u_f32_e64 s[4:5], v4, v4
	v_max_f32_e32 v5, v5, v21
	v_cndmask_b32_e64 v10, v10, v4, s[4:5]
	v_cndmask_b32_e64 v5, v5, v4, s[4:5]
	;; [unrolled: 1-line block ×4, first 2 shown]
	s_movk_i32 s28, 0x1f8
	v_cmp_neq_f32_e64 s[4:5], v17, v10
	v_cmp_class_f32_e64 s[26:27], v17, s28
	s_or_b64 s[4:5], s[4:5], s[26:27]
	v_mov_b32_e32 v5, v4
	s_and_saveexec_b64 s[26:27], s[4:5]
	s_cbranch_execz .LBB145_102
; %bb.101:
	v_sub_f32_e32 v5, v17, v10
	s_mov_b32 s4, 0x3fb8aa3b
	v_mul_f32_e32 v11, 0x3fb8aa3b, v5
	v_fma_f32 v17, v5, s4, -v11
	v_rndne_f32_e32 v19, v11
	v_fmac_f32_e32 v17, 0x32a5705f, v5
	v_sub_f32_e32 v11, v11, v19
	v_add_f32_e32 v11, v11, v17
	v_exp_f32_e32 v11, v11
	v_cvt_i32_f32_e32 v17, v19
	s_mov_b32 s4, 0xc2ce8ed0
	v_cmp_ngt_f32_e64 s[4:5], s4, v5
	s_mov_b32 s29, 0x7f800000
	v_ldexp_f32 v11, v11, v17
	v_cndmask_b32_e64 v11, 0, v11, s[4:5]
	s_mov_b32 s4, 0x42b17218
	v_mov_b32_e32 v17, 0x7f800000
	v_cmp_nlt_f32_e64 s[4:5], s4, v5
	v_cndmask_b32_e64 v11, v17, v11, s[4:5]
	v_add_f32_e32 v5, 1.0, v11
	v_add_f32_e32 v17, -1.0, v5
	v_sub_f32_e32 v19, v17, v5
	v_add_f32_e32 v19, 1.0, v19
	v_sub_f32_e32 v17, v11, v17
	v_add_f32_e32 v17, v17, v19
	v_frexp_mant_f32_e32 v19, v5
	s_mov_b32 s4, 0x3f2aaaab
	v_cvt_f64_f32_e32 v[20:21], v5
	v_frexp_exp_i32_f64_e32 v20, v[20:21]
	v_cmp_gt_f32_e64 s[4:5], s4, v19
	v_subbrev_co_u32_e64 v19, s[4:5], 0, v20, s[4:5]
	v_sub_u32_e32 v20, 0, v19
	v_ldexp_f32 v5, v5, v20
	v_ldexp_f32 v17, v17, v20
	v_add_f32_e32 v20, -1.0, v5
	v_add_f32_e32 v21, 1.0, v20
	v_sub_f32_e32 v21, v5, v21
	v_add_f32_e32 v24, v17, v21
	v_add_f32_e32 v21, 1.0, v5
	v_add_f32_e32 v31, -1.0, v21
	v_sub_f32_e32 v5, v5, v31
	v_add_f32_e32 v5, v17, v5
	v_add_f32_e32 v17, v21, v5
	v_rcp_f32_e32 v31, v17
	v_sub_f32_e32 v21, v21, v17
	v_add_f32_e32 v5, v5, v21
	v_add_f32_e32 v21, v20, v24
	v_mul_f32_e32 v38, v21, v31
	v_mul_f32_e32 v32, v17, v38
	s_waitcnt lgkmcnt(0)
	v_fma_f32 v34, v38, v17, -v32
	v_sub_f32_e32 v20, v20, v21
	v_fmac_f32_e32 v34, v38, v5
	v_add_f32_e32 v24, v24, v20
	v_add_f32_e32 v20, v32, v34
	v_sub_f32_e32 v33, v21, v20
	v_pk_add_f32 v[36:37], v[20:21], v[32:33] neg_lo:[0,1] neg_hi:[0,1]
	v_mov_b32_e32 v35, v20
	v_pk_add_f32 v[20:21], v[36:37], v[34:35] neg_lo:[0,1] neg_hi:[0,1]
	v_add_f32_e32 v21, v24, v21
	v_add_f32_e32 v20, v20, v21
	;; [unrolled: 1-line block ×3, first 2 shown]
	v_mul_f32_e32 v24, v31, v21
	v_mul_f32_e32 v32, v17, v24
	v_fma_f32 v34, v24, v17, -v32
	v_fmac_f32_e32 v34, v24, v5
	v_sub_f32_e32 v5, v33, v21
	v_add_f32_e32 v5, v20, v5
	v_add_f32_e32 v20, v32, v34
	v_sub_f32_e32 v33, v21, v20
	v_pk_add_f32 v[36:37], v[20:21], v[32:33] neg_lo:[0,1] neg_hi:[0,1]
	v_mov_b32_e32 v35, v20
	v_pk_add_f32 v[20:21], v[36:37], v[34:35] neg_lo:[0,1] neg_hi:[0,1]
	v_add_f32_e32 v5, v5, v21
	v_add_f32_e32 v5, v20, v5
	;; [unrolled: 1-line block ×4, first 2 shown]
	v_sub_f32_e32 v20, v17, v38
	v_mul_f32_e32 v5, v31, v5
	v_sub_f32_e32 v20, v24, v20
	v_add_f32_e32 v5, v20, v5
	v_add_f32_e32 v20, v17, v5
	v_cvt_f32_i32_e32 v32, v19
	v_mul_f32_e32 v24, v20, v20
	v_mov_b32_e32 v31, 0x3ecc95a3
	v_fmac_f32_e32 v31, 0x3e9b6dac, v24
	v_mov_b32_e32 v21, 0x3f2aaada
	v_fmac_f32_e32 v21, v24, v31
	v_sub_f32_e32 v17, v20, v17
	v_ldexp_f32 v35, v20, 1
	v_mul_f32_e32 v33, v20, v24
	v_mov_b32_e32 v20, 0x3f317218
	s_mov_b32 s4, 0x3f317218
	v_pk_mul_f32 v[20:21], v[32:33], v[20:21]
	v_fma_f32 v34, v32, s4, -v20
	v_fmac_f32_e32 v34, 0xb102e308, v32
	v_pk_add_f32 v[32:33], v[20:21], v[34:35]
	v_sub_f32_e32 v5, v5, v17
	v_sub_f32_e32 v17, v33, v35
	v_ldexp_f32 v5, v5, 1
	v_sub_f32_e32 v17, v21, v17
	v_add_f32_e32 v37, v5, v17
	v_mov_b32_e32 v36, v20
	v_pk_add_f32 v[20:21], v[32:33], v[20:21] neg_lo:[0,1] neg_hi:[0,1]
	v_pk_add_f32 v[38:39], v[32:33], v[36:37]
	v_mov_b32_e32 v21, v39
	v_mov_b32_e32 v35, v32
	v_pk_add_f32 v[40:41], v[34:35], v[20:21] neg_lo:[0,1] neg_hi:[0,1]
	v_pk_add_f32 v[20:21], v[34:35], v[20:21]
	v_mov_b32_e32 v24, v21
	v_pk_add_f32 v[34:35], v[24:25], v[32:33] neg_lo:[0,1] neg_hi:[0,1]
	v_mov_b32_e32 v5, v34
	v_pk_add_f32 v[42:43], v[38:39], v[4:5] neg_lo:[0,1] neg_hi:[0,1]
	v_mov_b32_e32 v20, v39
	v_mov_b32_e32 v38, v33
	;; [unrolled: 1-line block ×4, first 2 shown]
	v_pk_add_f32 v[20:21], v[20:21], v[38:39] neg_lo:[0,1] neg_hi:[0,1]
	v_mov_b32_e32 v34, v37
	v_mov_b32_e32 v35, v32
	v_pk_add_f32 v[20:21], v[34:35], v[20:21] neg_lo:[0,1] neg_hi:[0,1]
	v_mov_b32_e32 v42, v40
	v_pk_add_f32 v[32:33], v[42:43], v[20:21]
	v_mov_b32_e32 v34, v33
	v_pk_add_f32 v[34:35], v[32:33], v[34:35]
	v_pk_add_f32 v[36:37], v[24:25], v[34:35]
	v_mov_b32_e32 v33, v36
	v_pk_add_f32 v[38:39], v[32:33], v[40:41] neg_lo:[0,1] neg_hi:[0,1]
	v_mov_b32_e32 v21, v34
	v_sub_f32_e32 v5, v32, v38
	v_pk_add_f32 v[20:21], v[20:21], v[38:39] neg_lo:[0,1] neg_hi:[0,1]
	v_sub_f32_e32 v5, v40, v5
	v_add_f32_e32 v5, v20, v5
	v_cmp_eq_f32_e64 s[4:5], s29, v11
	s_mov_b32 s29, 0x33800000
	v_add_f32_e32 v5, v5, v21
	v_cmp_lt_f32_e64 s[30:31], |v11|, s29
	v_add_f32_e32 v5, v36, v5
	s_or_b64 s[4:5], s[4:5], s[30:31]
	v_cndmask_b32_e64 v5, v5, v11, s[4:5]
	v_add_f32_e32 v5, v10, v5
.LBB145_102:
	s_or_b64 exec, exec, s[26:27]
	v_max_f32_e32 v10, v5, v5
	v_min_f32_e32 v11, v10, v22
	v_cmp_u_f32_e64 s[4:5], v5, v5
	v_max_f32_e32 v10, v10, v22
	v_cndmask_b32_e64 v11, v11, v5, s[4:5]
	v_cndmask_b32_e64 v10, v10, v5, s[4:5]
	;; [unrolled: 1-line block ×4, first 2 shown]
	v_cmp_neq_f32_e64 s[4:5], v17, v11
	v_cmp_class_f32_e64 s[26:27], v17, s28
	s_or_b64 s[4:5], s[4:5], s[26:27]
	v_mov_b32_e32 v10, v5
	s_and_saveexec_b64 s[26:27], s[4:5]
	s_cbranch_execz .LBB145_104
; %bb.103:
	v_sub_f32_e32 v10, v17, v11
	s_mov_b32 s4, 0x3fb8aa3b
	v_mul_f32_e32 v12, 0x3fb8aa3b, v10
	v_fma_f32 v17, v10, s4, -v12
	v_rndne_f32_e32 v19, v12
	v_fmac_f32_e32 v17, 0x32a5705f, v10
	v_sub_f32_e32 v12, v12, v19
	v_add_f32_e32 v12, v12, v17
	v_exp_f32_e32 v12, v12
	v_cvt_i32_f32_e32 v17, v19
	s_mov_b32 s4, 0xc2ce8ed0
	v_cmp_ngt_f32_e64 s[4:5], s4, v10
	s_mov_b32 s28, 0x7f800000
	v_ldexp_f32 v12, v12, v17
	v_cndmask_b32_e64 v12, 0, v12, s[4:5]
	s_mov_b32 s4, 0x42b17218
	v_mov_b32_e32 v17, 0x7f800000
	v_cmp_nlt_f32_e64 s[4:5], s4, v10
	v_cndmask_b32_e64 v19, v17, v12, s[4:5]
	v_add_f32_e32 v10, 1.0, v19
	v_add_f32_e32 v12, -1.0, v10
	v_sub_f32_e32 v17, v12, v10
	v_add_f32_e32 v17, 1.0, v17
	v_sub_f32_e32 v12, v19, v12
	v_add_f32_e32 v12, v12, v17
	v_frexp_mant_f32_e32 v17, v10
	s_mov_b32 s4, 0x3f2aaaab
	v_cvt_f64_f32_e32 v[20:21], v10
	v_frexp_exp_i32_f64_e32 v20, v[20:21]
	v_cmp_gt_f32_e64 s[4:5], s4, v17
	v_subbrev_co_u32_e64 v17, s[4:5], 0, v20, s[4:5]
	v_sub_u32_e32 v20, 0, v17
	v_ldexp_f32 v10, v10, v20
	v_ldexp_f32 v12, v12, v20
	v_add_f32_e32 v20, -1.0, v10
	v_add_f32_e32 v21, 1.0, v20
	v_sub_f32_e32 v21, v10, v21
	v_add_f32_e32 v22, v12, v21
	v_add_f32_e32 v21, 1.0, v10
	v_add_f32_e32 v24, -1.0, v21
	v_sub_f32_e32 v10, v10, v24
	v_add_f32_e32 v10, v12, v10
	v_add_f32_e32 v12, v21, v10
	v_rcp_f32_e32 v24, v12
	v_sub_f32_e32 v21, v21, v12
	v_add_f32_e32 v10, v10, v21
	v_add_f32_e32 v21, v20, v22
	v_mul_f32_e32 v31, v21, v24
	v_mul_f32_e32 v32, v12, v31
	s_waitcnt lgkmcnt(0)
	v_fma_f32 v34, v31, v12, -v32
	v_sub_f32_e32 v20, v20, v21
	v_fmac_f32_e32 v34, v31, v10
	v_add_f32_e32 v22, v22, v20
	v_add_f32_e32 v20, v32, v34
	v_sub_f32_e32 v33, v21, v20
	v_pk_add_f32 v[36:37], v[20:21], v[32:33] neg_lo:[0,1] neg_hi:[0,1]
	v_mov_b32_e32 v35, v20
	v_pk_add_f32 v[20:21], v[36:37], v[34:35] neg_lo:[0,1] neg_hi:[0,1]
	v_add_f32_e32 v21, v22, v21
	v_add_f32_e32 v20, v20, v21
	;; [unrolled: 1-line block ×3, first 2 shown]
	v_mul_f32_e32 v22, v24, v21
	v_mul_f32_e32 v32, v12, v22
	v_fma_f32 v34, v22, v12, -v32
	v_fmac_f32_e32 v34, v22, v10
	v_sub_f32_e32 v10, v33, v21
	v_add_f32_e32 v10, v20, v10
	v_add_f32_e32 v20, v32, v34
	v_sub_f32_e32 v33, v21, v20
	v_pk_add_f32 v[36:37], v[20:21], v[32:33] neg_lo:[0,1] neg_hi:[0,1]
	v_mov_b32_e32 v35, v20
	v_pk_add_f32 v[20:21], v[36:37], v[34:35] neg_lo:[0,1] neg_hi:[0,1]
	v_add_f32_e32 v10, v10, v21
	v_add_f32_e32 v10, v20, v10
	v_add_f32_e32 v12, v31, v22
	v_add_f32_e32 v10, v33, v10
	v_sub_f32_e32 v20, v12, v31
	v_mul_f32_e32 v10, v24, v10
	v_sub_f32_e32 v20, v22, v20
	v_add_f32_e32 v10, v20, v10
	v_add_f32_e32 v20, v12, v10
	v_cvt_f32_i32_e32 v32, v17
	v_mul_f32_e32 v22, v20, v20
	v_mov_b32_e32 v24, 0x3ecc95a3
	v_fmac_f32_e32 v24, 0x3e9b6dac, v22
	v_mov_b32_e32 v21, 0x3f2aaada
	v_fmac_f32_e32 v21, v22, v24
	v_sub_f32_e32 v12, v20, v12
	v_ldexp_f32 v35, v20, 1
	v_mul_f32_e32 v33, v20, v22
	v_mov_b32_e32 v20, 0x3f317218
	s_mov_b32 s4, 0x3f317218
	v_pk_mul_f32 v[20:21], v[32:33], v[20:21]
	v_fma_f32 v34, v32, s4, -v20
	v_fmac_f32_e32 v34, 0xb102e308, v32
	v_pk_add_f32 v[32:33], v[20:21], v[34:35]
	v_sub_f32_e32 v10, v10, v12
	v_sub_f32_e32 v12, v33, v35
	v_ldexp_f32 v10, v10, 1
	v_sub_f32_e32 v12, v21, v12
	v_add_f32_e32 v37, v10, v12
	v_mov_b32_e32 v36, v20
	v_pk_add_f32 v[20:21], v[32:33], v[20:21] neg_lo:[0,1] neg_hi:[0,1]
	v_pk_add_f32 v[38:39], v[32:33], v[36:37]
	v_mov_b32_e32 v21, v39
	v_mov_b32_e32 v35, v32
	v_pk_add_f32 v[40:41], v[34:35], v[20:21] neg_lo:[0,1] neg_hi:[0,1]
	v_pk_add_f32 v[20:21], v[34:35], v[20:21]
	v_mov_b32_e32 v10, v21
	v_pk_add_f32 v[34:35], v[10:11], v[32:33] neg_lo:[0,1] neg_hi:[0,1]
	v_mov_b32_e32 v17, v34
	v_pk_add_f32 v[42:43], v[38:39], v[16:17] neg_lo:[0,1] neg_hi:[0,1]
	v_mov_b32_e32 v20, v39
	v_mov_b32_e32 v38, v33
	;; [unrolled: 1-line block ×4, first 2 shown]
	v_pk_add_f32 v[20:21], v[20:21], v[38:39] neg_lo:[0,1] neg_hi:[0,1]
	v_mov_b32_e32 v34, v37
	v_mov_b32_e32 v35, v32
	v_pk_add_f32 v[20:21], v[34:35], v[20:21] neg_lo:[0,1] neg_hi:[0,1]
	v_mov_b32_e32 v42, v40
	v_pk_add_f32 v[32:33], v[42:43], v[20:21]
	v_mov_b32_e32 v12, v33
	v_pk_add_f32 v[34:35], v[32:33], v[12:13]
	v_pk_add_f32 v[36:37], v[10:11], v[34:35]
	v_mov_b32_e32 v33, v36
	v_pk_add_f32 v[38:39], v[32:33], v[40:41] neg_lo:[0,1] neg_hi:[0,1]
	v_mov_b32_e32 v21, v34
	v_sub_f32_e32 v10, v32, v38
	v_pk_add_f32 v[20:21], v[20:21], v[38:39] neg_lo:[0,1] neg_hi:[0,1]
	v_sub_f32_e32 v10, v40, v10
	v_add_f32_e32 v10, v20, v10
	v_cmp_eq_f32_e64 s[4:5], s28, v19
	s_mov_b32 s28, 0x33800000
	v_add_f32_e32 v10, v10, v21
	v_cmp_lt_f32_e64 s[28:29], |v19|, s28
	v_add_f32_e32 v10, v36, v10
	s_or_b64 s[4:5], s[4:5], s[28:29]
	v_cndmask_b32_e64 v10, v10, v19, s[4:5]
	v_add_f32_e32 v10, v11, v10
.LBB145_104:
	s_or_b64 exec, exec, s[26:27]
	v_max_f32_e32 v11, v10, v10
	v_min_f32_e32 v12, v11, v23
	v_cmp_u_f32_e64 s[4:5], v10, v10
	v_max_f32_e32 v11, v11, v23
	v_cndmask_b32_e64 v12, v12, v10, s[4:5]
	v_cndmask_b32_e64 v11, v11, v10, s[4:5]
	;; [unrolled: 1-line block ×4, first 2 shown]
	s_movk_i32 s28, 0x1f8
	v_cmp_neq_f32_e64 s[4:5], v17, v12
	v_cmp_class_f32_e64 s[26:27], v17, s28
	s_or_b64 s[4:5], s[4:5], s[26:27]
	v_mov_b32_e32 v11, v10
	s_and_saveexec_b64 s[26:27], s[4:5]
	s_cbranch_execz .LBB145_106
; %bb.105:
	v_sub_f32_e32 v11, v17, v12
	s_mov_b32 s4, 0x3fb8aa3b
	v_mul_f32_e32 v13, 0x3fb8aa3b, v11
	v_fma_f32 v17, v11, s4, -v13
	v_rndne_f32_e32 v19, v13
	v_fmac_f32_e32 v17, 0x32a5705f, v11
	v_sub_f32_e32 v13, v13, v19
	v_add_f32_e32 v13, v13, v17
	v_exp_f32_e32 v13, v13
	v_cvt_i32_f32_e32 v17, v19
	s_mov_b32 s4, 0xc2ce8ed0
	v_cmp_ngt_f32_e64 s[4:5], s4, v11
	s_mov_b32 s29, 0x7f800000
	v_ldexp_f32 v13, v13, v17
	v_cndmask_b32_e64 v13, 0, v13, s[4:5]
	s_mov_b32 s4, 0x42b17218
	v_mov_b32_e32 v17, 0x7f800000
	v_cmp_nlt_f32_e64 s[4:5], s4, v11
	v_cndmask_b32_e64 v13, v17, v13, s[4:5]
	v_add_f32_e32 v11, 1.0, v13
	v_add_f32_e32 v17, -1.0, v11
	v_sub_f32_e32 v19, v17, v11
	v_add_f32_e32 v19, 1.0, v19
	v_sub_f32_e32 v17, v13, v17
	v_add_f32_e32 v17, v17, v19
	v_frexp_mant_f32_e32 v19, v11
	s_mov_b32 s4, 0x3f2aaaab
	v_cvt_f64_f32_e32 v[20:21], v11
	v_frexp_exp_i32_f64_e32 v20, v[20:21]
	v_cmp_gt_f32_e64 s[4:5], s4, v19
	v_subbrev_co_u32_e64 v19, s[4:5], 0, v20, s[4:5]
	v_sub_u32_e32 v20, 0, v19
	v_ldexp_f32 v11, v11, v20
	v_ldexp_f32 v17, v17, v20
	v_add_f32_e32 v20, -1.0, v11
	v_add_f32_e32 v21, 1.0, v20
	v_sub_f32_e32 v21, v11, v21
	v_add_f32_e32 v22, v17, v21
	v_add_f32_e32 v21, 1.0, v11
	v_add_f32_e32 v23, -1.0, v21
	v_sub_f32_e32 v11, v11, v23
	v_add_f32_e32 v11, v17, v11
	v_add_f32_e32 v17, v21, v11
	v_rcp_f32_e32 v24, v17
	v_sub_f32_e32 v21, v21, v17
	v_add_f32_e32 v11, v11, v21
	v_add_f32_e32 v21, v20, v22
	v_sub_f32_e32 v20, v20, v21
	v_mul_f32_e32 v36, v21, v24
	v_add_f32_e32 v31, v22, v20
	v_mul_f32_e32 v22, v17, v36
	v_fma_f32 v32, v36, v17, -v22
	v_fmac_f32_e32 v32, v36, v11
	v_add_f32_e32 v20, v22, v32
	v_sub_f32_e32 v23, v21, v20
	s_waitcnt lgkmcnt(0)
	v_pk_add_f32 v[34:35], v[20:21], v[22:23] neg_lo:[0,1] neg_hi:[0,1]
	v_mov_b32_e32 v33, v20
	v_pk_add_f32 v[20:21], v[34:35], v[32:33] neg_lo:[0,1] neg_hi:[0,1]
	v_add_f32_e32 v21, v31, v21
	v_add_f32_e32 v20, v20, v21
	v_add_f32_e32 v21, v23, v20
	v_mul_f32_e32 v31, v24, v21
	v_mul_f32_e32 v22, v17, v31
	v_fma_f32 v32, v31, v17, -v22
	v_fmac_f32_e32 v32, v31, v11
	v_sub_f32_e32 v11, v23, v21
	v_add_f32_e32 v11, v20, v11
	v_add_f32_e32 v20, v22, v32
	v_sub_f32_e32 v23, v21, v20
	v_pk_add_f32 v[34:35], v[20:21], v[22:23] neg_lo:[0,1] neg_hi:[0,1]
	v_mov_b32_e32 v33, v20
	v_pk_add_f32 v[20:21], v[34:35], v[32:33] neg_lo:[0,1] neg_hi:[0,1]
	v_add_f32_e32 v11, v11, v21
	v_add_f32_e32 v11, v20, v11
	;; [unrolled: 1-line block ×4, first 2 shown]
	v_sub_f32_e32 v20, v17, v36
	v_mul_f32_e32 v11, v24, v11
	v_sub_f32_e32 v20, v31, v20
	v_add_f32_e32 v11, v20, v11
	v_add_f32_e32 v20, v17, v11
	v_mul_f32_e32 v23, v20, v20
	v_mov_b32_e32 v22, 0x3ecc95a3
	v_fmac_f32_e32 v22, 0x3e9b6dac, v23
	v_mov_b32_e32 v21, 0x3f2aaada
	v_fmac_f32_e32 v21, v23, v22
	v_cvt_f32_i32_e32 v22, v19
	v_sub_f32_e32 v17, v20, v17
	v_ldexp_f32 v33, v20, 1
	v_mul_f32_e32 v23, v20, v23
	v_mov_b32_e32 v20, 0x3f317218
	s_mov_b32 s4, 0x3f317218
	v_pk_mul_f32 v[20:21], v[22:23], v[20:21]
	v_fma_f32 v32, v22, s4, -v20
	v_fmac_f32_e32 v32, 0xb102e308, v22
	v_pk_add_f32 v[22:23], v[20:21], v[32:33]
	v_sub_f32_e32 v11, v11, v17
	v_sub_f32_e32 v17, v23, v33
	v_ldexp_f32 v11, v11, 1
	v_sub_f32_e32 v17, v21, v17
	v_add_f32_e32 v35, v11, v17
	v_mov_b32_e32 v34, v20
	v_pk_add_f32 v[20:21], v[22:23], v[20:21] neg_lo:[0,1] neg_hi:[0,1]
	v_pk_add_f32 v[36:37], v[22:23], v[34:35]
	v_mov_b32_e32 v21, v37
	v_mov_b32_e32 v33, v22
	v_pk_add_f32 v[38:39], v[32:33], v[20:21] neg_lo:[0,1] neg_hi:[0,1]
	v_pk_add_f32 v[20:21], v[32:33], v[20:21]
	v_mov_b32_e32 v24, v21
	v_pk_add_f32 v[32:33], v[24:25], v[22:23] neg_lo:[0,1] neg_hi:[0,1]
	v_mov_b32_e32 v11, v32
	v_pk_add_f32 v[40:41], v[36:37], v[10:11] neg_lo:[0,1] neg_hi:[0,1]
	v_mov_b32_e32 v20, v37
	v_mov_b32_e32 v36, v23
	;; [unrolled: 1-line block ×4, first 2 shown]
	v_pk_add_f32 v[20:21], v[20:21], v[36:37] neg_lo:[0,1] neg_hi:[0,1]
	v_mov_b32_e32 v32, v35
	v_mov_b32_e32 v33, v22
	v_pk_add_f32 v[20:21], v[32:33], v[20:21] neg_lo:[0,1] neg_hi:[0,1]
	v_mov_b32_e32 v40, v38
	v_pk_add_f32 v[22:23], v[40:41], v[20:21]
	v_mov_b32_e32 v32, v23
	v_pk_add_f32 v[32:33], v[22:23], v[32:33]
	v_pk_add_f32 v[34:35], v[24:25], v[32:33]
	v_mov_b32_e32 v23, v34
	v_pk_add_f32 v[36:37], v[22:23], v[38:39] neg_lo:[0,1] neg_hi:[0,1]
	v_mov_b32_e32 v21, v32
	v_sub_f32_e32 v11, v22, v36
	v_pk_add_f32 v[20:21], v[20:21], v[36:37] neg_lo:[0,1] neg_hi:[0,1]
	v_sub_f32_e32 v11, v38, v11
	v_add_f32_e32 v11, v20, v11
	v_cmp_eq_f32_e64 s[4:5], s29, v13
	s_mov_b32 s29, 0x33800000
	v_add_f32_e32 v11, v11, v21
	v_cmp_lt_f32_e64 s[30:31], |v13|, s29
	v_add_f32_e32 v11, v34, v11
	s_or_b64 s[4:5], s[4:5], s[30:31]
	v_cndmask_b32_e64 v11, v11, v13, s[4:5]
	v_add_f32_e32 v11, v12, v11
.LBB145_106:
	s_or_b64 exec, exec, s[26:27]
	v_max_f32_e32 v12, v11, v11
	v_min_f32_e32 v13, v12, v25
	v_cmp_u_f32_e64 s[4:5], v11, v11
	v_max_f32_e32 v12, v12, v25
	v_cndmask_b32_e64 v13, v13, v11, s[4:5]
	v_cndmask_b32_e64 v12, v12, v11, s[4:5]
	;; [unrolled: 1-line block ×4, first 2 shown]
	v_cmp_neq_f32_e64 s[4:5], v13, v12
	v_cmp_class_f32_e64 s[26:27], v13, s28
	s_or_b64 s[4:5], s[4:5], s[26:27]
	v_mov_b32_e32 v6, v11
	s_and_saveexec_b64 s[26:27], s[4:5]
	s_cbranch_execz .LBB145_108
; %bb.107:
	v_sub_f32_e32 v6, v13, v12
	s_mov_b32 s4, 0x3fb8aa3b
	v_mul_f32_e32 v13, 0x3fb8aa3b, v6
	v_fma_f32 v17, v6, s4, -v13
	v_rndne_f32_e32 v19, v13
	v_fmac_f32_e32 v17, 0x32a5705f, v6
	v_sub_f32_e32 v13, v13, v19
	v_add_f32_e32 v13, v13, v17
	v_exp_f32_e32 v13, v13
	v_cvt_i32_f32_e32 v17, v19
	s_mov_b32 s4, 0xc2ce8ed0
	v_cmp_ngt_f32_e64 s[4:5], s4, v6
	s_mov_b32 s28, 0x7f800000
	v_ldexp_f32 v13, v13, v17
	v_cndmask_b32_e64 v13, 0, v13, s[4:5]
	s_mov_b32 s4, 0x42b17218
	v_mov_b32_e32 v17, 0x7f800000
	v_cmp_nlt_f32_e64 s[4:5], s4, v6
	v_cndmask_b32_e64 v17, v17, v13, s[4:5]
	v_add_f32_e32 v6, 1.0, v17
	v_add_f32_e32 v13, -1.0, v6
	v_sub_f32_e32 v19, v13, v6
	v_add_f32_e32 v19, 1.0, v19
	v_sub_f32_e32 v13, v17, v13
	v_add_f32_e32 v13, v13, v19
	v_frexp_mant_f32_e32 v19, v6
	s_mov_b32 s4, 0x3f2aaaab
	v_cvt_f64_f32_e32 v[20:21], v6
	v_frexp_exp_i32_f64_e32 v20, v[20:21]
	v_cmp_gt_f32_e64 s[4:5], s4, v19
	v_subbrev_co_u32_e64 v19, s[4:5], 0, v20, s[4:5]
	v_sub_u32_e32 v20, 0, v19
	v_ldexp_f32 v6, v6, v20
	v_ldexp_f32 v13, v13, v20
	v_add_f32_e32 v20, -1.0, v6
	v_add_f32_e32 v21, 1.0, v20
	v_sub_f32_e32 v21, v6, v21
	v_add_f32_e32 v22, v13, v21
	v_add_f32_e32 v21, 1.0, v6
	v_add_f32_e32 v23, -1.0, v21
	v_sub_f32_e32 v6, v6, v23
	v_add_f32_e32 v6, v13, v6
	v_add_f32_e32 v13, v21, v6
	v_rcp_f32_e32 v31, v13
	v_sub_f32_e32 v21, v21, v13
	v_add_f32_e32 v6, v6, v21
	v_add_f32_e32 v21, v20, v22
	v_sub_f32_e32 v20, v20, v21
	v_mul_f32_e32 v35, v21, v31
	s_waitcnt lgkmcnt(0)
	v_add_f32_e32 v34, v22, v20
	v_mul_f32_e32 v22, v13, v35
	v_fma_f32 v24, v35, v13, -v22
	v_fmac_f32_e32 v24, v35, v6
	v_add_f32_e32 v20, v22, v24
	v_sub_f32_e32 v23, v21, v20
	v_pk_add_f32 v[32:33], v[20:21], v[22:23] neg_lo:[0,1] neg_hi:[0,1]
	v_mov_b32_e32 v25, v20
	v_pk_add_f32 v[20:21], v[32:33], v[24:25] neg_lo:[0,1] neg_hi:[0,1]
	v_add_f32_e32 v21, v34, v21
	v_add_f32_e32 v20, v20, v21
	;; [unrolled: 1-line block ×3, first 2 shown]
	v_mul_f32_e32 v34, v31, v21
	v_mul_f32_e32 v22, v13, v34
	v_fma_f32 v24, v34, v13, -v22
	v_fmac_f32_e32 v24, v34, v6
	v_sub_f32_e32 v6, v23, v21
	v_add_f32_e32 v6, v20, v6
	v_add_f32_e32 v20, v22, v24
	v_sub_f32_e32 v23, v21, v20
	v_pk_add_f32 v[32:33], v[20:21], v[22:23] neg_lo:[0,1] neg_hi:[0,1]
	v_mov_b32_e32 v25, v20
	v_pk_add_f32 v[20:21], v[32:33], v[24:25] neg_lo:[0,1] neg_hi:[0,1]
	v_add_f32_e32 v6, v6, v21
	v_add_f32_e32 v6, v20, v6
	;; [unrolled: 1-line block ×4, first 2 shown]
	v_sub_f32_e32 v20, v13, v35
	v_mul_f32_e32 v6, v31, v6
	v_sub_f32_e32 v20, v34, v20
	v_add_f32_e32 v6, v20, v6
	v_add_f32_e32 v20, v13, v6
	v_mul_f32_e32 v23, v20, v20
	v_mov_b32_e32 v22, 0x3ecc95a3
	v_fmac_f32_e32 v22, 0x3e9b6dac, v23
	v_mov_b32_e32 v21, 0x3f2aaada
	v_fmac_f32_e32 v21, v23, v22
	v_cvt_f32_i32_e32 v22, v19
	v_sub_f32_e32 v13, v20, v13
	v_ldexp_f32 v25, v20, 1
	v_mul_f32_e32 v23, v20, v23
	v_mov_b32_e32 v20, 0x3f317218
	s_mov_b32 s4, 0x3f317218
	v_pk_mul_f32 v[20:21], v[22:23], v[20:21]
	v_fma_f32 v24, v22, s4, -v20
	v_fmac_f32_e32 v24, 0xb102e308, v22
	v_pk_add_f32 v[22:23], v[20:21], v[24:25]
	v_sub_f32_e32 v6, v6, v13
	v_sub_f32_e32 v13, v23, v25
	v_ldexp_f32 v6, v6, 1
	v_sub_f32_e32 v13, v21, v13
	v_add_f32_e32 v33, v6, v13
	v_mov_b32_e32 v32, v20
	v_pk_add_f32 v[20:21], v[22:23], v[20:21] neg_lo:[0,1] neg_hi:[0,1]
	v_pk_add_f32 v[34:35], v[22:23], v[32:33]
	v_mov_b32_e32 v21, v35
	v_mov_b32_e32 v25, v22
	v_pk_add_f32 v[36:37], v[24:25], v[20:21] neg_lo:[0,1] neg_hi:[0,1]
	v_pk_add_f32 v[20:21], v[24:25], v[20:21]
	v_mov_b32_e32 v6, v21
	v_pk_add_f32 v[24:25], v[6:7], v[22:23] neg_lo:[0,1] neg_hi:[0,1]
	v_mov_b32_e32 v13, v24
	v_pk_add_f32 v[38:39], v[34:35], v[12:13] neg_lo:[0,1] neg_hi:[0,1]
	v_mov_b32_e32 v20, v35
	v_mov_b32_e32 v34, v23
	;; [unrolled: 1-line block ×4, first 2 shown]
	v_pk_add_f32 v[20:21], v[20:21], v[34:35] neg_lo:[0,1] neg_hi:[0,1]
	v_mov_b32_e32 v24, v33
	v_mov_b32_e32 v25, v22
	v_pk_add_f32 v[20:21], v[24:25], v[20:21] neg_lo:[0,1] neg_hi:[0,1]
	v_mov_b32_e32 v38, v36
	v_pk_add_f32 v[22:23], v[38:39], v[20:21]
	v_mov_b32_e32 v24, v23
	v_pk_add_f32 v[24:25], v[22:23], v[24:25]
	v_pk_add_f32 v[32:33], v[6:7], v[24:25]
	v_mov_b32_e32 v23, v32
	v_pk_add_f32 v[34:35], v[22:23], v[36:37] neg_lo:[0,1] neg_hi:[0,1]
	v_mov_b32_e32 v21, v24
	v_sub_f32_e32 v6, v22, v34
	v_pk_add_f32 v[20:21], v[20:21], v[34:35] neg_lo:[0,1] neg_hi:[0,1]
	v_sub_f32_e32 v6, v36, v6
	v_add_f32_e32 v6, v20, v6
	v_cmp_eq_f32_e64 s[4:5], s28, v17
	s_mov_b32 s28, 0x33800000
	v_add_f32_e32 v6, v6, v21
	v_cmp_lt_f32_e64 s[28:29], |v17|, s28
	v_add_f32_e32 v6, v32, v6
	s_or_b64 s[4:5], s[4:5], s[28:29]
	v_cndmask_b32_e64 v6, v6, v17, s[4:5]
	v_add_f32_e32 v6, v12, v6
.LBB145_108:
	s_or_b64 exec, exec, s[26:27]
	v_max_f32_e32 v12, v6, v6
	v_min_f32_e32 v13, v12, v26
	v_cmp_u_f32_e64 s[4:5], v6, v6
	v_max_f32_e32 v12, v12, v26
	v_cndmask_b32_e64 v13, v13, v6, s[4:5]
	v_cndmask_b32_e64 v12, v12, v6, s[4:5]
	;; [unrolled: 1-line block ×4, first 2 shown]
	s_movk_i32 s28, 0x1f8
	v_cmp_neq_f32_e64 s[4:5], v13, v12
	v_cmp_class_f32_e64 s[26:27], v13, s28
	s_or_b64 s[4:5], s[4:5], s[26:27]
	v_mov_b32_e32 v7, v6
	s_and_saveexec_b64 s[26:27], s[4:5]
	s_cbranch_execz .LBB145_110
; %bb.109:
	v_sub_f32_e32 v7, v13, v12
	s_mov_b32 s4, 0x3fb8aa3b
	v_mul_f32_e32 v13, 0x3fb8aa3b, v7
	v_fma_f32 v17, v7, s4, -v13
	v_rndne_f32_e32 v19, v13
	v_fmac_f32_e32 v17, 0x32a5705f, v7
	v_sub_f32_e32 v13, v13, v19
	v_add_f32_e32 v13, v13, v17
	v_exp_f32_e32 v13, v13
	v_cvt_i32_f32_e32 v17, v19
	s_mov_b32 s4, 0xc2ce8ed0
	v_cmp_ngt_f32_e64 s[4:5], s4, v7
	s_mov_b32 s29, 0x7f800000
	v_ldexp_f32 v13, v13, v17
	v_cndmask_b32_e64 v13, 0, v13, s[4:5]
	s_mov_b32 s4, 0x42b17218
	v_mov_b32_e32 v17, 0x7f800000
	v_cmp_nlt_f32_e64 s[4:5], s4, v7
	v_cndmask_b32_e64 v13, v17, v13, s[4:5]
	v_add_f32_e32 v7, 1.0, v13
	v_add_f32_e32 v17, -1.0, v7
	v_sub_f32_e32 v19, v17, v7
	v_add_f32_e32 v19, 1.0, v19
	v_sub_f32_e32 v17, v13, v17
	v_add_f32_e32 v17, v17, v19
	v_frexp_mant_f32_e32 v19, v7
	s_mov_b32 s4, 0x3f2aaaab
	v_cvt_f64_f32_e32 v[20:21], v7
	v_frexp_exp_i32_f64_e32 v20, v[20:21]
	v_cmp_gt_f32_e64 s[4:5], s4, v19
	v_subbrev_co_u32_e64 v19, s[4:5], 0, v20, s[4:5]
	v_sub_u32_e32 v20, 0, v19
	v_ldexp_f32 v7, v7, v20
	v_ldexp_f32 v17, v17, v20
	v_add_f32_e32 v20, -1.0, v7
	v_add_f32_e32 v21, 1.0, v20
	v_sub_f32_e32 v21, v7, v21
	v_add_f32_e32 v22, v17, v21
	v_add_f32_e32 v21, 1.0, v7
	v_add_f32_e32 v23, -1.0, v21
	v_sub_f32_e32 v7, v7, v23
	v_add_f32_e32 v7, v17, v7
	v_add_f32_e32 v17, v21, v7
	v_rcp_f32_e32 v26, v17
	v_sub_f32_e32 v21, v21, v17
	v_add_f32_e32 v7, v7, v21
	v_add_f32_e32 v21, v20, v22
	v_sub_f32_e32 v20, v20, v21
	s_waitcnt lgkmcnt(0)
	v_mul_f32_e32 v34, v21, v26
	v_add_f32_e32 v31, v22, v20
	v_mul_f32_e32 v22, v17, v34
	v_fma_f32 v24, v34, v17, -v22
	v_fmac_f32_e32 v24, v34, v7
	v_add_f32_e32 v20, v22, v24
	v_sub_f32_e32 v23, v21, v20
	v_pk_add_f32 v[32:33], v[20:21], v[22:23] neg_lo:[0,1] neg_hi:[0,1]
	v_mov_b32_e32 v25, v20
	v_pk_add_f32 v[20:21], v[32:33], v[24:25] neg_lo:[0,1] neg_hi:[0,1]
	v_add_f32_e32 v21, v31, v21
	v_add_f32_e32 v20, v20, v21
	;; [unrolled: 1-line block ×3, first 2 shown]
	v_mul_f32_e32 v31, v26, v21
	v_mul_f32_e32 v22, v17, v31
	v_fma_f32 v24, v31, v17, -v22
	v_fmac_f32_e32 v24, v31, v7
	v_sub_f32_e32 v7, v23, v21
	v_add_f32_e32 v7, v20, v7
	v_add_f32_e32 v20, v22, v24
	v_sub_f32_e32 v23, v21, v20
	v_pk_add_f32 v[32:33], v[20:21], v[22:23] neg_lo:[0,1] neg_hi:[0,1]
	v_mov_b32_e32 v25, v20
	v_pk_add_f32 v[20:21], v[32:33], v[24:25] neg_lo:[0,1] neg_hi:[0,1]
	v_add_f32_e32 v7, v7, v21
	v_add_f32_e32 v7, v20, v7
	;; [unrolled: 1-line block ×4, first 2 shown]
	v_sub_f32_e32 v20, v17, v34
	v_mul_f32_e32 v7, v26, v7
	v_sub_f32_e32 v20, v31, v20
	v_add_f32_e32 v7, v20, v7
	v_add_f32_e32 v20, v17, v7
	v_mul_f32_e32 v23, v20, v20
	v_mov_b32_e32 v22, 0x3ecc95a3
	v_fmac_f32_e32 v22, 0x3e9b6dac, v23
	v_mov_b32_e32 v21, 0x3f2aaada
	v_fmac_f32_e32 v21, v23, v22
	v_cvt_f32_i32_e32 v22, v19
	v_sub_f32_e32 v17, v20, v17
	v_ldexp_f32 v25, v20, 1
	v_mul_f32_e32 v23, v20, v23
	v_mov_b32_e32 v20, 0x3f317218
	s_mov_b32 s4, 0x3f317218
	v_pk_mul_f32 v[20:21], v[22:23], v[20:21]
	v_fma_f32 v24, v22, s4, -v20
	v_fmac_f32_e32 v24, 0xb102e308, v22
	v_pk_add_f32 v[22:23], v[20:21], v[24:25]
	v_sub_f32_e32 v7, v7, v17
	v_sub_f32_e32 v17, v23, v25
	v_ldexp_f32 v7, v7, 1
	v_sub_f32_e32 v17, v21, v17
	v_add_f32_e32 v33, v7, v17
	v_mov_b32_e32 v32, v20
	v_pk_add_f32 v[20:21], v[22:23], v[20:21] neg_lo:[0,1] neg_hi:[0,1]
	v_pk_add_f32 v[34:35], v[22:23], v[32:33]
	v_mov_b32_e32 v21, v35
	v_mov_b32_e32 v25, v22
	v_pk_add_f32 v[36:37], v[24:25], v[20:21] neg_lo:[0,1] neg_hi:[0,1]
	v_pk_add_f32 v[20:21], v[24:25], v[20:21]
	v_mov_b32_e32 v24, v21
	v_pk_add_f32 v[38:39], v[24:25], v[22:23] neg_lo:[0,1] neg_hi:[0,1]
	v_mov_b32_e32 v7, v38
	v_pk_add_f32 v[40:41], v[34:35], v[6:7] neg_lo:[0,1] neg_hi:[0,1]
	v_mov_b32_e32 v20, v35
	v_mov_b32_e32 v34, v23
	;; [unrolled: 1-line block ×4, first 2 shown]
	v_pk_add_f32 v[20:21], v[20:21], v[34:35] neg_lo:[0,1] neg_hi:[0,1]
	v_mov_b32_e32 v32, v33
	v_mov_b32_e32 v33, v22
	v_pk_add_f32 v[20:21], v[32:33], v[20:21] neg_lo:[0,1] neg_hi:[0,1]
	v_mov_b32_e32 v40, v36
	v_pk_add_f32 v[22:23], v[40:41], v[20:21]
	v_mov_b32_e32 v26, v23
	v_pk_add_f32 v[32:33], v[22:23], v[26:27]
	v_pk_add_f32 v[24:25], v[24:25], v[32:33]
	v_mov_b32_e32 v23, v24
	v_pk_add_f32 v[34:35], v[22:23], v[36:37] neg_lo:[0,1] neg_hi:[0,1]
	v_mov_b32_e32 v21, v32
	v_sub_f32_e32 v7, v22, v34
	v_pk_add_f32 v[20:21], v[20:21], v[34:35] neg_lo:[0,1] neg_hi:[0,1]
	v_sub_f32_e32 v7, v36, v7
	v_add_f32_e32 v7, v20, v7
	v_cmp_eq_f32_e64 s[4:5], s29, v13
	s_mov_b32 s29, 0x33800000
	v_add_f32_e32 v7, v7, v21
	v_cmp_lt_f32_e64 s[30:31], |v13|, s29
	v_add_f32_e32 v7, v24, v7
	s_or_b64 s[4:5], s[4:5], s[30:31]
	v_cndmask_b32_e64 v7, v7, v13, s[4:5]
	v_add_f32_e32 v7, v12, v7
.LBB145_110:
	s_or_b64 exec, exec, s[26:27]
	v_max_f32_e32 v12, v7, v7
	v_min_f32_e32 v13, v12, v27
	v_cmp_u_f32_e64 s[4:5], v7, v7
	v_max_f32_e32 v12, v12, v27
	v_cndmask_b32_e64 v13, v13, v7, s[4:5]
	v_cndmask_b32_e64 v12, v12, v7, s[4:5]
	;; [unrolled: 1-line block ×4, first 2 shown]
	v_cmp_neq_f32_e64 s[4:5], v13, v12
	v_cmp_class_f32_e64 s[26:27], v13, s28
	s_or_b64 s[4:5], s[4:5], s[26:27]
	v_mov_b32_e32 v8, v7
	s_and_saveexec_b64 s[26:27], s[4:5]
	s_cbranch_execz .LBB145_112
; %bb.111:
	v_sub_f32_e32 v8, v13, v12
	s_mov_b32 s4, 0x3fb8aa3b
	v_mul_f32_e32 v13, 0x3fb8aa3b, v8
	v_fma_f32 v17, v8, s4, -v13
	v_rndne_f32_e32 v19, v13
	v_fmac_f32_e32 v17, 0x32a5705f, v8
	v_sub_f32_e32 v13, v13, v19
	v_add_f32_e32 v13, v13, v17
	v_exp_f32_e32 v13, v13
	v_cvt_i32_f32_e32 v17, v19
	s_mov_b32 s4, 0xc2ce8ed0
	v_cmp_ngt_f32_e64 s[4:5], s4, v8
	s_mov_b32 s28, 0x7f800000
	v_ldexp_f32 v13, v13, v17
	v_cndmask_b32_e64 v13, 0, v13, s[4:5]
	s_mov_b32 s4, 0x42b17218
	v_mov_b32_e32 v17, 0x7f800000
	v_cmp_nlt_f32_e64 s[4:5], s4, v8
	v_cndmask_b32_e64 v17, v17, v13, s[4:5]
	v_add_f32_e32 v8, 1.0, v17
	v_add_f32_e32 v13, -1.0, v8
	v_sub_f32_e32 v19, v13, v8
	v_add_f32_e32 v19, 1.0, v19
	v_sub_f32_e32 v13, v17, v13
	v_add_f32_e32 v13, v13, v19
	v_frexp_mant_f32_e32 v19, v8
	s_mov_b32 s4, 0x3f2aaaab
	v_cvt_f64_f32_e32 v[20:21], v8
	v_frexp_exp_i32_f64_e32 v20, v[20:21]
	v_cmp_gt_f32_e64 s[4:5], s4, v19
	v_subbrev_co_u32_e64 v19, s[4:5], 0, v20, s[4:5]
	v_sub_u32_e32 v20, 0, v19
	v_ldexp_f32 v8, v8, v20
	v_ldexp_f32 v13, v13, v20
	v_add_f32_e32 v20, -1.0, v8
	v_add_f32_e32 v21, 1.0, v20
	v_sub_f32_e32 v21, v8, v21
	v_add_f32_e32 v22, v13, v21
	v_add_f32_e32 v21, 1.0, v8
	v_add_f32_e32 v23, -1.0, v21
	v_sub_f32_e32 v8, v8, v23
	v_add_f32_e32 v8, v13, v8
	v_add_f32_e32 v13, v21, v8
	v_rcp_f32_e32 v31, v13
	v_sub_f32_e32 v21, v21, v13
	v_add_f32_e32 v8, v8, v21
	v_add_f32_e32 v21, v20, v22
	v_sub_f32_e32 v20, v20, v21
	v_mul_f32_e32 v33, v21, v31
	v_add_f32_e32 v32, v22, v20
	v_mul_f32_e32 v22, v13, v33
	v_fma_f32 v24, v33, v13, -v22
	v_fmac_f32_e32 v24, v33, v8
	v_add_f32_e32 v20, v22, v24
	v_sub_f32_e32 v23, v21, v20
	v_pk_add_f32 v[26:27], v[20:21], v[22:23] neg_lo:[0,1] neg_hi:[0,1]
	v_mov_b32_e32 v25, v20
	v_pk_add_f32 v[20:21], v[26:27], v[24:25] neg_lo:[0,1] neg_hi:[0,1]
	v_add_f32_e32 v21, v32, v21
	v_add_f32_e32 v20, v20, v21
	;; [unrolled: 1-line block ×3, first 2 shown]
	v_mul_f32_e32 v32, v31, v21
	v_mul_f32_e32 v22, v13, v32
	v_fma_f32 v24, v32, v13, -v22
	v_fmac_f32_e32 v24, v32, v8
	v_sub_f32_e32 v8, v23, v21
	v_add_f32_e32 v8, v20, v8
	v_add_f32_e32 v20, v22, v24
	v_sub_f32_e32 v23, v21, v20
	v_pk_add_f32 v[26:27], v[20:21], v[22:23] neg_lo:[0,1] neg_hi:[0,1]
	v_mov_b32_e32 v25, v20
	v_pk_add_f32 v[20:21], v[26:27], v[24:25] neg_lo:[0,1] neg_hi:[0,1]
	v_add_f32_e32 v8, v8, v21
	v_add_f32_e32 v8, v20, v8
	;; [unrolled: 1-line block ×4, first 2 shown]
	v_sub_f32_e32 v20, v13, v33
	v_mul_f32_e32 v8, v31, v8
	v_sub_f32_e32 v20, v32, v20
	v_add_f32_e32 v8, v20, v8
	v_add_f32_e32 v20, v13, v8
	v_mul_f32_e32 v23, v20, v20
	v_mov_b32_e32 v22, 0x3ecc95a3
	v_fmac_f32_e32 v22, 0x3e9b6dac, v23
	v_mov_b32_e32 v21, 0x3f2aaada
	v_fmac_f32_e32 v21, v23, v22
	v_cvt_f32_i32_e32 v22, v19
	v_sub_f32_e32 v13, v20, v13
	v_ldexp_f32 v25, v20, 1
	v_mul_f32_e32 v23, v20, v23
	v_mov_b32_e32 v20, 0x3f317218
	s_mov_b32 s4, 0x3f317218
	v_pk_mul_f32 v[20:21], v[22:23], v[20:21]
	v_fma_f32 v24, v22, s4, -v20
	v_fmac_f32_e32 v24, 0xb102e308, v22
	v_pk_add_f32 v[22:23], v[20:21], v[24:25]
	v_sub_f32_e32 v8, v8, v13
	v_sub_f32_e32 v13, v23, v25
	v_ldexp_f32 v8, v8, 1
	v_sub_f32_e32 v13, v21, v13
	v_add_f32_e32 v27, v8, v13
	v_mov_b32_e32 v26, v20
	v_pk_add_f32 v[20:21], v[22:23], v[20:21] neg_lo:[0,1] neg_hi:[0,1]
	v_pk_add_f32 v[32:33], v[22:23], v[26:27]
	v_mov_b32_e32 v21, v33
	v_mov_b32_e32 v25, v22
	s_waitcnt lgkmcnt(0)
	v_pk_add_f32 v[34:35], v[24:25], v[20:21] neg_lo:[0,1] neg_hi:[0,1]
	v_pk_add_f32 v[20:21], v[24:25], v[20:21]
	v_mov_b32_e32 v8, v21
	v_pk_add_f32 v[24:25], v[8:9], v[22:23] neg_lo:[0,1] neg_hi:[0,1]
	v_mov_b32_e32 v13, v24
	v_pk_add_f32 v[36:37], v[32:33], v[12:13] neg_lo:[0,1] neg_hi:[0,1]
	v_mov_b32_e32 v20, v33
	v_mov_b32_e32 v32, v23
	;; [unrolled: 1-line block ×4, first 2 shown]
	v_pk_add_f32 v[20:21], v[20:21], v[32:33] neg_lo:[0,1] neg_hi:[0,1]
	v_mov_b32_e32 v24, v27
	v_mov_b32_e32 v25, v22
	v_pk_add_f32 v[20:21], v[24:25], v[20:21] neg_lo:[0,1] neg_hi:[0,1]
	v_mov_b32_e32 v36, v34
	v_pk_add_f32 v[22:23], v[36:37], v[20:21]
	v_mov_b32_e32 v24, v23
	v_pk_add_f32 v[24:25], v[22:23], v[24:25]
	v_pk_add_f32 v[26:27], v[8:9], v[24:25]
	v_mov_b32_e32 v23, v26
	v_pk_add_f32 v[32:33], v[22:23], v[34:35] neg_lo:[0,1] neg_hi:[0,1]
	v_mov_b32_e32 v21, v24
	v_sub_f32_e32 v8, v22, v32
	v_pk_add_f32 v[20:21], v[20:21], v[32:33] neg_lo:[0,1] neg_hi:[0,1]
	v_sub_f32_e32 v8, v34, v8
	v_add_f32_e32 v8, v20, v8
	v_cmp_eq_f32_e64 s[4:5], s28, v17
	s_mov_b32 s28, 0x33800000
	v_add_f32_e32 v8, v8, v21
	v_cmp_lt_f32_e64 s[28:29], |v17|, s28
	v_add_f32_e32 v8, v26, v8
	s_or_b64 s[4:5], s[4:5], s[28:29]
	v_cndmask_b32_e64 v8, v8, v17, s[4:5]
	v_add_f32_e32 v8, v12, v8
.LBB145_112:
	s_or_b64 exec, exec, s[26:27]
	v_max_f32_e32 v12, v8, v8
	v_min_f32_e32 v13, v12, v28
	v_cmp_u_f32_e64 s[4:5], v8, v8
	v_max_f32_e32 v12, v12, v28
	v_cndmask_b32_e64 v13, v13, v8, s[4:5]
	v_cndmask_b32_e64 v12, v12, v8, s[4:5]
	;; [unrolled: 1-line block ×4, first 2 shown]
	s_movk_i32 s28, 0x1f8
	v_cmp_neq_f32_e64 s[4:5], v13, v12
	v_cmp_class_f32_e64 s[26:27], v13, s28
	s_or_b64 s[4:5], s[4:5], s[26:27]
	v_mov_b32_e32 v9, v8
	s_and_saveexec_b64 s[26:27], s[4:5]
	s_cbranch_execz .LBB145_114
; %bb.113:
	v_sub_f32_e32 v9, v13, v12
	s_mov_b32 s4, 0x3fb8aa3b
	v_mul_f32_e32 v13, 0x3fb8aa3b, v9
	v_fma_f32 v17, v9, s4, -v13
	v_rndne_f32_e32 v19, v13
	v_fmac_f32_e32 v17, 0x32a5705f, v9
	v_sub_f32_e32 v13, v13, v19
	v_add_f32_e32 v13, v13, v17
	v_exp_f32_e32 v13, v13
	v_cvt_i32_f32_e32 v17, v19
	s_mov_b32 s4, 0xc2ce8ed0
	v_cmp_ngt_f32_e64 s[4:5], s4, v9
	s_mov_b32 s29, 0x7f800000
	v_ldexp_f32 v13, v13, v17
	v_cndmask_b32_e64 v13, 0, v13, s[4:5]
	s_mov_b32 s4, 0x42b17218
	v_mov_b32_e32 v17, 0x7f800000
	v_cmp_nlt_f32_e64 s[4:5], s4, v9
	v_cndmask_b32_e64 v13, v17, v13, s[4:5]
	v_add_f32_e32 v9, 1.0, v13
	v_add_f32_e32 v17, -1.0, v9
	v_sub_f32_e32 v19, v17, v9
	v_add_f32_e32 v19, 1.0, v19
	v_sub_f32_e32 v17, v13, v17
	v_add_f32_e32 v17, v17, v19
	v_frexp_mant_f32_e32 v19, v9
	s_mov_b32 s4, 0x3f2aaaab
	v_cvt_f64_f32_e32 v[20:21], v9
	v_frexp_exp_i32_f64_e32 v20, v[20:21]
	v_cmp_gt_f32_e64 s[4:5], s4, v19
	v_subbrev_co_u32_e64 v19, s[4:5], 0, v20, s[4:5]
	v_sub_u32_e32 v20, 0, v19
	v_ldexp_f32 v9, v9, v20
	v_ldexp_f32 v17, v17, v20
	v_add_f32_e32 v20, -1.0, v9
	v_add_f32_e32 v21, 1.0, v20
	v_sub_f32_e32 v21, v9, v21
	v_add_f32_e32 v22, v17, v21
	v_add_f32_e32 v21, 1.0, v9
	v_add_f32_e32 v23, -1.0, v21
	v_sub_f32_e32 v9, v9, v23
	v_add_f32_e32 v9, v17, v9
	v_add_f32_e32 v17, v21, v9
	v_rcp_f32_e32 v28, v17
	v_sub_f32_e32 v21, v21, v17
	v_add_f32_e32 v9, v9, v21
	v_add_f32_e32 v21, v20, v22
	v_sub_f32_e32 v20, v20, v21
	v_mul_f32_e32 v32, v21, v28
	v_add_f32_e32 v31, v22, v20
	v_mul_f32_e32 v22, v17, v32
	v_fma_f32 v24, v32, v17, -v22
	v_fmac_f32_e32 v24, v32, v9
	v_add_f32_e32 v20, v22, v24
	v_sub_f32_e32 v23, v21, v20
	v_pk_add_f32 v[26:27], v[20:21], v[22:23] neg_lo:[0,1] neg_hi:[0,1]
	v_mov_b32_e32 v25, v20
	v_pk_add_f32 v[20:21], v[26:27], v[24:25] neg_lo:[0,1] neg_hi:[0,1]
	v_add_f32_e32 v21, v31, v21
	v_add_f32_e32 v20, v20, v21
	;; [unrolled: 1-line block ×3, first 2 shown]
	v_mul_f32_e32 v31, v28, v21
	v_mul_f32_e32 v22, v17, v31
	v_fma_f32 v24, v31, v17, -v22
	v_fmac_f32_e32 v24, v31, v9
	v_sub_f32_e32 v9, v23, v21
	v_add_f32_e32 v9, v20, v9
	v_add_f32_e32 v20, v22, v24
	v_sub_f32_e32 v23, v21, v20
	v_pk_add_f32 v[26:27], v[20:21], v[22:23] neg_lo:[0,1] neg_hi:[0,1]
	v_mov_b32_e32 v25, v20
	v_pk_add_f32 v[20:21], v[26:27], v[24:25] neg_lo:[0,1] neg_hi:[0,1]
	v_add_f32_e32 v9, v9, v21
	v_add_f32_e32 v9, v20, v9
	;; [unrolled: 1-line block ×4, first 2 shown]
	v_sub_f32_e32 v20, v17, v32
	v_mul_f32_e32 v9, v28, v9
	v_sub_f32_e32 v20, v31, v20
	v_add_f32_e32 v9, v20, v9
	v_add_f32_e32 v20, v17, v9
	v_mul_f32_e32 v23, v20, v20
	v_mov_b32_e32 v22, 0x3ecc95a3
	v_fmac_f32_e32 v22, 0x3e9b6dac, v23
	v_mov_b32_e32 v21, 0x3f2aaada
	v_fmac_f32_e32 v21, v23, v22
	v_cvt_f32_i32_e32 v22, v19
	v_sub_f32_e32 v17, v20, v17
	v_ldexp_f32 v25, v20, 1
	v_mul_f32_e32 v23, v20, v23
	v_mov_b32_e32 v20, 0x3f317218
	s_mov_b32 s4, 0x3f317218
	v_pk_mul_f32 v[20:21], v[22:23], v[20:21]
	v_fma_f32 v24, v22, s4, -v20
	v_fmac_f32_e32 v24, 0xb102e308, v22
	v_pk_add_f32 v[22:23], v[20:21], v[24:25]
	v_sub_f32_e32 v9, v9, v17
	v_sub_f32_e32 v17, v23, v25
	v_ldexp_f32 v9, v9, 1
	v_sub_f32_e32 v17, v21, v17
	v_add_f32_e32 v27, v9, v17
	v_mov_b32_e32 v26, v20
	v_pk_add_f32 v[20:21], v[22:23], v[20:21] neg_lo:[0,1] neg_hi:[0,1]
	v_pk_add_f32 v[32:33], v[22:23], v[26:27]
	v_mov_b32_e32 v21, v33
	v_mov_b32_e32 v25, v22
	s_waitcnt lgkmcnt(0)
	v_pk_add_f32 v[34:35], v[24:25], v[20:21] neg_lo:[0,1] neg_hi:[0,1]
	v_pk_add_f32 v[20:21], v[24:25], v[20:21]
	v_mov_b32_e32 v24, v21
	v_pk_add_f32 v[36:37], v[24:25], v[22:23] neg_lo:[0,1] neg_hi:[0,1]
	v_mov_b32_e32 v9, v36
	v_pk_add_f32 v[38:39], v[32:33], v[8:9] neg_lo:[0,1] neg_hi:[0,1]
	v_mov_b32_e32 v20, v33
	v_mov_b32_e32 v32, v23
	;; [unrolled: 1-line block ×4, first 2 shown]
	v_pk_add_f32 v[20:21], v[20:21], v[32:33] neg_lo:[0,1] neg_hi:[0,1]
	v_mov_b32_e32 v26, v27
	v_mov_b32_e32 v27, v22
	v_pk_add_f32 v[20:21], v[26:27], v[20:21] neg_lo:[0,1] neg_hi:[0,1]
	v_mov_b32_e32 v38, v34
	v_pk_add_f32 v[22:23], v[38:39], v[20:21]
	v_mov_b32_e32 v26, v23
	v_pk_add_f32 v[26:27], v[22:23], v[26:27]
	v_pk_add_f32 v[24:25], v[24:25], v[26:27]
	v_mov_b32_e32 v23, v24
	v_pk_add_f32 v[32:33], v[22:23], v[34:35] neg_lo:[0,1] neg_hi:[0,1]
	v_mov_b32_e32 v21, v26
	v_sub_f32_e32 v9, v22, v32
	v_pk_add_f32 v[20:21], v[20:21], v[32:33] neg_lo:[0,1] neg_hi:[0,1]
	v_sub_f32_e32 v9, v34, v9
	v_add_f32_e32 v9, v20, v9
	v_cmp_eq_f32_e64 s[4:5], s29, v13
	s_mov_b32 s29, 0x33800000
	v_add_f32_e32 v9, v9, v21
	v_cmp_lt_f32_e64 s[30:31], |v13|, s29
	v_add_f32_e32 v9, v24, v9
	s_or_b64 s[4:5], s[4:5], s[30:31]
	v_cndmask_b32_e64 v9, v9, v13, s[4:5]
	v_add_f32_e32 v9, v12, v9
.LBB145_114:
	s_or_b64 exec, exec, s[26:27]
	v_max_f32_e32 v12, v9, v9
	v_min_f32_e32 v13, v12, v29
	v_cmp_u_f32_e64 s[4:5], v9, v9
	v_max_f32_e32 v12, v12, v29
	v_cndmask_b32_e64 v13, v13, v9, s[4:5]
	v_cndmask_b32_e64 v12, v12, v9, s[4:5]
	v_cndmask_b32_e64 v17, v13, v14, s[50:51]
	v_cndmask_b32_e64 v13, v12, v14, s[50:51]
	v_cmp_neq_f32_e64 s[4:5], v17, v13
	v_cmp_class_f32_e64 s[26:27], v17, s28
	s_or_b64 s[4:5], s[4:5], s[26:27]
	v_mov_b32_e32 v12, v9
	s_and_saveexec_b64 s[26:27], s[4:5]
	s_cbranch_execz .LBB145_116
; %bb.115:
	v_sub_f32_e32 v12, v17, v13
	s_mov_b32 s4, 0x3fb8aa3b
	v_mul_f32_e32 v14, 0x3fb8aa3b, v12
	v_fma_f32 v17, v12, s4, -v14
	v_rndne_f32_e32 v19, v14
	v_fmac_f32_e32 v17, 0x32a5705f, v12
	v_sub_f32_e32 v14, v14, v19
	v_add_f32_e32 v14, v14, v17
	v_exp_f32_e32 v14, v14
	v_cvt_i32_f32_e32 v17, v19
	s_mov_b32 s4, 0xc2ce8ed0
	v_cmp_ngt_f32_e64 s[4:5], s4, v12
	s_mov_b32 s28, 0x7f800000
	v_ldexp_f32 v14, v14, v17
	v_cndmask_b32_e64 v14, 0, v14, s[4:5]
	s_mov_b32 s4, 0x42b17218
	v_mov_b32_e32 v17, 0x7f800000
	v_cmp_nlt_f32_e64 s[4:5], s4, v12
	v_cndmask_b32_e64 v19, v17, v14, s[4:5]
	v_add_f32_e32 v12, 1.0, v19
	v_add_f32_e32 v14, -1.0, v12
	v_sub_f32_e32 v17, v14, v12
	v_add_f32_e32 v17, 1.0, v17
	v_sub_f32_e32 v14, v19, v14
	v_add_f32_e32 v14, v14, v17
	v_frexp_mant_f32_e32 v17, v12
	s_mov_b32 s4, 0x3f2aaaab
	v_cvt_f64_f32_e32 v[20:21], v12
	v_frexp_exp_i32_f64_e32 v20, v[20:21]
	v_cmp_gt_f32_e64 s[4:5], s4, v17
	v_subbrev_co_u32_e64 v17, s[4:5], 0, v20, s[4:5]
	v_sub_u32_e32 v20, 0, v17
	v_ldexp_f32 v12, v12, v20
	v_ldexp_f32 v14, v14, v20
	v_add_f32_e32 v20, -1.0, v12
	v_add_f32_e32 v21, 1.0, v20
	v_sub_f32_e32 v21, v12, v21
	v_add_f32_e32 v22, v14, v21
	v_add_f32_e32 v21, 1.0, v12
	v_add_f32_e32 v23, -1.0, v21
	v_sub_f32_e32 v12, v12, v23
	v_add_f32_e32 v12, v14, v12
	v_add_f32_e32 v14, v21, v12
	v_rcp_f32_e32 v28, v14
	v_sub_f32_e32 v21, v21, v14
	v_add_f32_e32 v12, v12, v21
	v_add_f32_e32 v21, v20, v22
	v_sub_f32_e32 v20, v20, v21
	v_mul_f32_e32 v31, v21, v28
	v_add_f32_e32 v29, v22, v20
	v_mul_f32_e32 v22, v14, v31
	v_fma_f32 v24, v31, v14, -v22
	v_fmac_f32_e32 v24, v31, v12
	v_add_f32_e32 v20, v22, v24
	v_sub_f32_e32 v23, v21, v20
	v_pk_add_f32 v[26:27], v[20:21], v[22:23] neg_lo:[0,1] neg_hi:[0,1]
	v_mov_b32_e32 v25, v20
	v_pk_add_f32 v[20:21], v[26:27], v[24:25] neg_lo:[0,1] neg_hi:[0,1]
	v_add_f32_e32 v21, v29, v21
	v_add_f32_e32 v20, v20, v21
	v_add_f32_e32 v21, v23, v20
	v_mul_f32_e32 v29, v28, v21
	v_mul_f32_e32 v22, v14, v29
	v_fma_f32 v24, v29, v14, -v22
	v_fmac_f32_e32 v24, v29, v12
	v_sub_f32_e32 v12, v23, v21
	v_add_f32_e32 v12, v20, v12
	v_add_f32_e32 v20, v22, v24
	v_sub_f32_e32 v23, v21, v20
	v_pk_add_f32 v[26:27], v[20:21], v[22:23] neg_lo:[0,1] neg_hi:[0,1]
	v_mov_b32_e32 v25, v20
	v_pk_add_f32 v[20:21], v[26:27], v[24:25] neg_lo:[0,1] neg_hi:[0,1]
	v_add_f32_e32 v12, v12, v21
	v_add_f32_e32 v12, v20, v12
	;; [unrolled: 1-line block ×4, first 2 shown]
	v_sub_f32_e32 v20, v14, v31
	v_mul_f32_e32 v12, v28, v12
	v_sub_f32_e32 v20, v29, v20
	v_add_f32_e32 v12, v20, v12
	v_add_f32_e32 v20, v14, v12
	v_mul_f32_e32 v23, v20, v20
	v_mov_b32_e32 v22, 0x3ecc95a3
	v_fmac_f32_e32 v22, 0x3e9b6dac, v23
	v_mov_b32_e32 v21, 0x3f2aaada
	v_fmac_f32_e32 v21, v23, v22
	v_cvt_f32_i32_e32 v22, v17
	v_sub_f32_e32 v14, v20, v14
	v_ldexp_f32 v25, v20, 1
	v_mul_f32_e32 v23, v20, v23
	v_mov_b32_e32 v20, 0x3f317218
	s_mov_b32 s4, 0x3f317218
	v_pk_mul_f32 v[20:21], v[22:23], v[20:21]
	v_fma_f32 v24, v22, s4, -v20
	v_fmac_f32_e32 v24, 0xb102e308, v22
	v_pk_add_f32 v[22:23], v[20:21], v[24:25]
	v_sub_f32_e32 v12, v12, v14
	v_sub_f32_e32 v14, v23, v25
	v_ldexp_f32 v12, v12, 1
	v_sub_f32_e32 v14, v21, v14
	v_add_f32_e32 v27, v12, v14
	v_mov_b32_e32 v26, v20
	v_pk_add_f32 v[20:21], v[22:23], v[20:21] neg_lo:[0,1] neg_hi:[0,1]
	v_pk_add_f32 v[28:29], v[22:23], v[26:27]
	v_mov_b32_e32 v21, v29
	v_mov_b32_e32 v25, v22
	v_pk_add_f32 v[32:33], v[24:25], v[20:21] neg_lo:[0,1] neg_hi:[0,1]
	v_pk_add_f32 v[20:21], v[24:25], v[20:21]
	v_mov_b32_e32 v12, v21
	v_pk_add_f32 v[24:25], v[12:13], v[22:23] neg_lo:[0,1] neg_hi:[0,1]
	v_mov_b32_e32 v17, v24
	s_waitcnt lgkmcnt(0)
	v_pk_add_f32 v[34:35], v[28:29], v[16:17] neg_lo:[0,1] neg_hi:[0,1]
	v_mov_b32_e32 v20, v29
	v_mov_b32_e32 v28, v23
	;; [unrolled: 1-line block ×4, first 2 shown]
	v_pk_add_f32 v[20:21], v[20:21], v[28:29] neg_lo:[0,1] neg_hi:[0,1]
	v_mov_b32_e32 v24, v27
	v_mov_b32_e32 v25, v22
	v_pk_add_f32 v[20:21], v[24:25], v[20:21] neg_lo:[0,1] neg_hi:[0,1]
	v_mov_b32_e32 v34, v32
	v_pk_add_f32 v[22:23], v[34:35], v[20:21]
	v_mov_b32_e32 v14, v23
	v_pk_add_f32 v[24:25], v[22:23], v[14:15]
	v_pk_add_f32 v[26:27], v[12:13], v[24:25]
	v_mov_b32_e32 v23, v26
	v_pk_add_f32 v[28:29], v[22:23], v[32:33] neg_lo:[0,1] neg_hi:[0,1]
	v_mov_b32_e32 v21, v24
	v_sub_f32_e32 v12, v22, v28
	v_pk_add_f32 v[20:21], v[20:21], v[28:29] neg_lo:[0,1] neg_hi:[0,1]
	v_sub_f32_e32 v12, v32, v12
	v_add_f32_e32 v12, v20, v12
	v_cmp_eq_f32_e64 s[4:5], s28, v19
	s_mov_b32 s28, 0x33800000
	v_add_f32_e32 v12, v12, v21
	v_cmp_lt_f32_e64 s[28:29], |v19|, s28
	v_add_f32_e32 v12, v26, v12
	s_or_b64 s[4:5], s[4:5], s[28:29]
	v_cndmask_b32_e64 v12, v12, v19, s[4:5]
	v_add_f32_e32 v12, v13, v12
.LBB145_116:
	s_or_b64 exec, exec, s[26:27]
	v_max_f32_e32 v13, v12, v12
	v_min_f32_e32 v14, v13, v30
	v_cmp_u_f32_e64 s[4:5], v12, v12
	v_max_f32_e32 v13, v13, v30
	v_cndmask_b32_e64 v14, v14, v12, s[4:5]
	v_cndmask_b32_e64 v13, v13, v12, s[4:5]
	;; [unrolled: 1-line block ×4, first 2 shown]
	s_movk_i32 s26, 0x1f8
	v_cmp_neq_f32_e64 s[4:5], v17, v14
	v_cmp_class_f32_e64 s[26:27], v17, s26
	s_or_b64 s[4:5], s[4:5], s[26:27]
	v_mov_b32_e32 v13, v12
	s_and_saveexec_b64 s[26:27], s[4:5]
	s_cbranch_execz .LBB145_118
; %bb.117:
	v_sub_f32_e32 v13, v17, v14
	s_mov_b32 s4, 0x3fb8aa3b
	v_mul_f32_e32 v15, 0x3fb8aa3b, v13
	v_fma_f32 v17, v13, s4, -v15
	v_rndne_f32_e32 v19, v15
	v_fmac_f32_e32 v17, 0x32a5705f, v13
	v_sub_f32_e32 v15, v15, v19
	v_add_f32_e32 v15, v15, v17
	v_exp_f32_e32 v15, v15
	v_cvt_i32_f32_e32 v17, v19
	s_mov_b32 s4, 0xc2ce8ed0
	v_cmp_ngt_f32_e64 s[4:5], s4, v13
	s_mov_b32 s28, 0x7f800000
	v_ldexp_f32 v15, v15, v17
	v_cndmask_b32_e64 v15, 0, v15, s[4:5]
	s_mov_b32 s4, 0x42b17218
	v_mov_b32_e32 v17, 0x7f800000
	v_cmp_nlt_f32_e64 s[4:5], s4, v13
	v_cndmask_b32_e64 v15, v17, v15, s[4:5]
	v_add_f32_e32 v13, 1.0, v15
	v_add_f32_e32 v17, -1.0, v13
	v_sub_f32_e32 v19, v17, v13
	v_add_f32_e32 v19, 1.0, v19
	v_sub_f32_e32 v17, v15, v17
	v_add_f32_e32 v17, v17, v19
	v_frexp_mant_f32_e32 v19, v13
	s_mov_b32 s4, 0x3f2aaaab
	v_cvt_f64_f32_e32 v[20:21], v13
	v_frexp_exp_i32_f64_e32 v20, v[20:21]
	v_cmp_gt_f32_e64 s[4:5], s4, v19
	v_subbrev_co_u32_e64 v19, s[4:5], 0, v20, s[4:5]
	v_sub_u32_e32 v20, 0, v19
	v_ldexp_f32 v13, v13, v20
	v_ldexp_f32 v17, v17, v20
	v_add_f32_e32 v20, -1.0, v13
	v_add_f32_e32 v21, 1.0, v20
	v_sub_f32_e32 v21, v13, v21
	v_add_f32_e32 v22, v17, v21
	v_add_f32_e32 v21, 1.0, v13
	v_add_f32_e32 v23, -1.0, v21
	v_sub_f32_e32 v13, v13, v23
	v_add_f32_e32 v13, v17, v13
	v_add_f32_e32 v17, v21, v13
	v_rcp_f32_e32 v28, v17
	v_sub_f32_e32 v21, v21, v17
	v_add_f32_e32 v13, v13, v21
	v_add_f32_e32 v21, v20, v22
	v_sub_f32_e32 v20, v20, v21
	v_mul_f32_e32 v30, v21, v28
	v_add_f32_e32 v29, v22, v20
	v_mul_f32_e32 v22, v17, v30
	v_fma_f32 v24, v30, v17, -v22
	v_fmac_f32_e32 v24, v30, v13
	v_add_f32_e32 v20, v22, v24
	v_sub_f32_e32 v23, v21, v20
	v_pk_add_f32 v[26:27], v[20:21], v[22:23] neg_lo:[0,1] neg_hi:[0,1]
	v_mov_b32_e32 v25, v20
	v_pk_add_f32 v[20:21], v[26:27], v[24:25] neg_lo:[0,1] neg_hi:[0,1]
	v_add_f32_e32 v21, v29, v21
	v_add_f32_e32 v20, v20, v21
	;; [unrolled: 1-line block ×3, first 2 shown]
	v_mul_f32_e32 v29, v28, v21
	v_mul_f32_e32 v22, v17, v29
	v_fma_f32 v24, v29, v17, -v22
	v_fmac_f32_e32 v24, v29, v13
	v_sub_f32_e32 v13, v23, v21
	v_add_f32_e32 v13, v20, v13
	v_add_f32_e32 v20, v22, v24
	v_sub_f32_e32 v23, v21, v20
	v_pk_add_f32 v[26:27], v[20:21], v[22:23] neg_lo:[0,1] neg_hi:[0,1]
	v_mov_b32_e32 v25, v20
	v_pk_add_f32 v[20:21], v[26:27], v[24:25] neg_lo:[0,1] neg_hi:[0,1]
	v_add_f32_e32 v13, v13, v21
	v_add_f32_e32 v13, v20, v13
	;; [unrolled: 1-line block ×4, first 2 shown]
	v_sub_f32_e32 v20, v17, v30
	v_mul_f32_e32 v13, v28, v13
	v_sub_f32_e32 v20, v29, v20
	v_add_f32_e32 v13, v20, v13
	v_add_f32_e32 v20, v17, v13
	v_mul_f32_e32 v23, v20, v20
	v_mov_b32_e32 v22, 0x3ecc95a3
	v_fmac_f32_e32 v22, 0x3e9b6dac, v23
	v_mov_b32_e32 v21, 0x3f2aaada
	v_fmac_f32_e32 v21, v23, v22
	v_cvt_f32_i32_e32 v22, v19
	v_sub_f32_e32 v17, v20, v17
	v_ldexp_f32 v25, v20, 1
	v_mul_f32_e32 v23, v20, v23
	v_mov_b32_e32 v20, 0x3f317218
	s_mov_b32 s4, 0x3f317218
	v_pk_mul_f32 v[20:21], v[22:23], v[20:21]
	v_fma_f32 v24, v22, s4, -v20
	v_fmac_f32_e32 v24, 0xb102e308, v22
	v_pk_add_f32 v[22:23], v[20:21], v[24:25]
	v_sub_f32_e32 v13, v13, v17
	v_sub_f32_e32 v17, v23, v25
	v_ldexp_f32 v13, v13, 1
	v_sub_f32_e32 v17, v21, v17
	v_add_f32_e32 v27, v13, v17
	v_mov_b32_e32 v26, v20
	v_pk_add_f32 v[20:21], v[22:23], v[20:21] neg_lo:[0,1] neg_hi:[0,1]
	v_pk_add_f32 v[28:29], v[22:23], v[26:27]
	v_mov_b32_e32 v21, v29
	v_mov_b32_e32 v25, v22
	v_pk_add_f32 v[30:31], v[24:25], v[20:21] neg_lo:[0,1] neg_hi:[0,1]
	v_pk_add_f32 v[20:21], v[24:25], v[20:21]
	v_mov_b32_e32 v24, v21
	v_pk_add_f32 v[32:33], v[24:25], v[22:23] neg_lo:[0,1] neg_hi:[0,1]
	v_mov_b32_e32 v13, v32
	s_waitcnt lgkmcnt(0)
	v_pk_add_f32 v[34:35], v[28:29], v[12:13] neg_lo:[0,1] neg_hi:[0,1]
	v_mov_b32_e32 v20, v29
	v_mov_b32_e32 v28, v23
	;; [unrolled: 1-line block ×4, first 2 shown]
	v_pk_add_f32 v[20:21], v[20:21], v[28:29] neg_lo:[0,1] neg_hi:[0,1]
	v_mov_b32_e32 v26, v27
	v_mov_b32_e32 v27, v22
	v_pk_add_f32 v[20:21], v[26:27], v[20:21] neg_lo:[0,1] neg_hi:[0,1]
	v_mov_b32_e32 v34, v30
	v_pk_add_f32 v[22:23], v[34:35], v[20:21]
	v_mov_b32_e32 v26, v23
	v_pk_add_f32 v[26:27], v[22:23], v[26:27]
	v_pk_add_f32 v[24:25], v[24:25], v[26:27]
	v_mov_b32_e32 v23, v24
	v_pk_add_f32 v[28:29], v[22:23], v[30:31] neg_lo:[0,1] neg_hi:[0,1]
	v_mov_b32_e32 v21, v26
	v_sub_f32_e32 v13, v22, v28
	v_pk_add_f32 v[20:21], v[20:21], v[28:29] neg_lo:[0,1] neg_hi:[0,1]
	v_sub_f32_e32 v13, v30, v13
	v_add_f32_e32 v13, v20, v13
	v_cmp_eq_f32_e64 s[4:5], s28, v15
	s_mov_b32 s28, 0x33800000
	v_add_f32_e32 v13, v13, v21
	v_cmp_lt_f32_e64 s[28:29], |v15|, s28
	v_add_f32_e32 v13, v24, v13
	s_or_b64 s[4:5], s[4:5], s[28:29]
	v_cndmask_b32_e64 v13, v13, v15, s[4:5]
	v_add_f32_e32 v13, v14, v13
.LBB145_118:
	s_or_b64 exec, exec, s[26:27]
	v_add_u32_e32 v14, v18, v16
	s_waitcnt lgkmcnt(0)
	s_barrier
	ds_write2_b64 v14, v[2:3], v[0:1] offset1:1
	ds_write2_b64 v14, v[4:5], v[10:11] offset0:2 offset1:3
	ds_write2_b64 v14, v[6:7], v[8:9] offset0:4 offset1:5
	ds_write_b64 v14, v[12:13] offset:48
	s_waitcnt lgkmcnt(0)
	s_barrier
	ds_read2st64_b32 v[12:13], v18 offset0:2 offset1:4
	ds_read2st64_b32 v[10:11], v18 offset0:6 offset1:8
	;; [unrolled: 1-line block ×6, first 2 shown]
	ds_read_b32 v14, v18 offset:6656
	v_mov_b32_e32 v1, s63
	v_add_co_u32_e64 v0, s[4:5], s62, v18
	v_addc_co_u32_e64 v1, s[4:5], 0, v1, s[4:5]
	s_and_saveexec_b64 s[4:5], vcc
	s_cbranch_execnz .LBB145_133
; %bb.119:
	s_or_b64 exec, exec, s[4:5]
	s_and_saveexec_b64 s[4:5], s[0:1]
	s_cbranch_execnz .LBB145_134
.LBB145_120:
	s_or_b64 exec, exec, s[4:5]
	s_and_saveexec_b64 s[0:1], s[2:3]
	s_cbranch_execnz .LBB145_135
.LBB145_121:
	s_or_b64 exec, exec, s[0:1]
	s_and_saveexec_b64 s[0:1], s[56:57]
	s_cbranch_execnz .LBB145_136
.LBB145_122:
	s_or_b64 exec, exec, s[0:1]
	s_and_saveexec_b64 s[0:1], s[6:7]
	s_cbranch_execnz .LBB145_137
.LBB145_123:
	s_or_b64 exec, exec, s[0:1]
	s_and_saveexec_b64 s[0:1], s[8:9]
	s_cbranch_execnz .LBB145_138
.LBB145_124:
	s_or_b64 exec, exec, s[0:1]
	s_and_saveexec_b64 s[0:1], s[10:11]
	s_cbranch_execnz .LBB145_139
.LBB145_125:
	s_or_b64 exec, exec, s[0:1]
	s_and_saveexec_b64 s[0:1], s[12:13]
	s_cbranch_execnz .LBB145_140
.LBB145_126:
	s_or_b64 exec, exec, s[0:1]
	s_and_saveexec_b64 s[0:1], s[14:15]
	s_cbranch_execnz .LBB145_141
.LBB145_127:
	s_or_b64 exec, exec, s[0:1]
	s_and_saveexec_b64 s[0:1], s[16:17]
	s_cbranch_execnz .LBB145_142
.LBB145_128:
	s_or_b64 exec, exec, s[0:1]
	s_and_saveexec_b64 s[0:1], s[18:19]
	s_cbranch_execnz .LBB145_143
.LBB145_129:
	s_or_b64 exec, exec, s[0:1]
	s_and_saveexec_b64 s[0:1], s[20:21]
	s_cbranch_execnz .LBB145_144
.LBB145_130:
	s_or_b64 exec, exec, s[0:1]
	s_and_saveexec_b64 s[0:1], s[22:23]
	s_cbranch_execnz .LBB145_145
.LBB145_131:
	s_or_b64 exec, exec, s[0:1]
	s_and_saveexec_b64 s[0:1], s[24:25]
	s_cbranch_execnz .LBB145_146
.LBB145_132:
	s_endpgm
.LBB145_133:
	ds_read_b32 v15, v18
	s_waitcnt lgkmcnt(0)
	global_store_dword v[0:1], v15, off
	s_or_b64 exec, exec, s[4:5]
	s_and_saveexec_b64 s[4:5], s[0:1]
	s_cbranch_execz .LBB145_120
.LBB145_134:
	s_waitcnt lgkmcnt(6)
	global_store_dword v[0:1], v12, off offset:512
	s_or_b64 exec, exec, s[4:5]
	s_and_saveexec_b64 s[0:1], s[2:3]
	s_cbranch_execz .LBB145_121
.LBB145_135:
	s_waitcnt lgkmcnt(6)
	global_store_dword v[0:1], v13, off offset:1024
	s_or_b64 exec, exec, s[0:1]
	s_and_saveexec_b64 s[0:1], s[56:57]
	s_cbranch_execz .LBB145_122
.LBB145_136:
	s_waitcnt lgkmcnt(5)
	global_store_dword v[0:1], v10, off offset:1536
	s_or_b64 exec, exec, s[0:1]
	s_and_saveexec_b64 s[0:1], s[6:7]
	s_cbranch_execz .LBB145_123
.LBB145_137:
	s_waitcnt lgkmcnt(5)
	global_store_dword v[0:1], v11, off offset:2048
	s_or_b64 exec, exec, s[0:1]
	s_and_saveexec_b64 s[0:1], s[8:9]
	s_cbranch_execz .LBB145_124
.LBB145_138:
	s_waitcnt lgkmcnt(4)
	global_store_dword v[0:1], v8, off offset:2560
	s_or_b64 exec, exec, s[0:1]
	s_and_saveexec_b64 s[0:1], s[10:11]
	s_cbranch_execz .LBB145_125
.LBB145_139:
	s_waitcnt lgkmcnt(4)
	global_store_dword v[0:1], v9, off offset:3072
	s_or_b64 exec, exec, s[0:1]
	s_and_saveexec_b64 s[0:1], s[12:13]
	s_cbranch_execz .LBB145_126
.LBB145_140:
	s_waitcnt lgkmcnt(3)
	global_store_dword v[0:1], v6, off offset:3584
	s_or_b64 exec, exec, s[0:1]
	s_and_saveexec_b64 s[0:1], s[14:15]
	s_cbranch_execz .LBB145_127
.LBB145_141:
	s_waitcnt lgkmcnt(4)
	v_add_co_u32_e32 v8, vcc, 0x1000, v0
	v_addc_co_u32_e32 v9, vcc, 0, v1, vcc
	s_waitcnt lgkmcnt(3)
	global_store_dword v[8:9], v7, off
	s_or_b64 exec, exec, s[0:1]
	s_and_saveexec_b64 s[0:1], s[16:17]
	s_cbranch_execz .LBB145_128
.LBB145_142:
	s_waitcnt lgkmcnt(3)
	v_add_co_u32_e32 v6, vcc, 0x1000, v0
	v_addc_co_u32_e32 v7, vcc, 0, v1, vcc
	s_waitcnt lgkmcnt(2)
	global_store_dword v[6:7], v4, off offset:512
	s_or_b64 exec, exec, s[0:1]
	s_and_saveexec_b64 s[0:1], s[18:19]
	s_cbranch_execz .LBB145_129
.LBB145_143:
	s_waitcnt lgkmcnt(3)
	v_add_co_u32_e32 v6, vcc, 0x1000, v0
	v_addc_co_u32_e32 v7, vcc, 0, v1, vcc
	s_waitcnt lgkmcnt(2)
	global_store_dword v[6:7], v5, off offset:1024
	s_or_b64 exec, exec, s[0:1]
	s_and_saveexec_b64 s[0:1], s[20:21]
	s_cbranch_execz .LBB145_130
.LBB145_144:
	s_waitcnt lgkmcnt(2)
	v_add_co_u32_e32 v4, vcc, 0x1000, v0
	v_addc_co_u32_e32 v5, vcc, 0, v1, vcc
	s_waitcnt lgkmcnt(1)
	global_store_dword v[4:5], v2, off offset:1536
	s_or_b64 exec, exec, s[0:1]
	s_and_saveexec_b64 s[0:1], s[22:23]
	s_cbranch_execz .LBB145_131
.LBB145_145:
	s_waitcnt lgkmcnt(2)
	v_add_co_u32_e32 v4, vcc, 0x1000, v0
	v_addc_co_u32_e32 v5, vcc, 0, v1, vcc
	s_waitcnt lgkmcnt(1)
	global_store_dword v[4:5], v3, off offset:2048
	s_or_b64 exec, exec, s[0:1]
	s_and_saveexec_b64 s[0:1], s[24:25]
	s_cbranch_execz .LBB145_132
.LBB145_146:
	v_add_co_u32_e32 v0, vcc, 0x1000, v0
	v_addc_co_u32_e32 v1, vcc, 0, v1, vcc
	s_waitcnt lgkmcnt(0)
	global_store_dword v[0:1], v14, off offset:2560
	s_endpgm
	.section	.rodata,"a",@progbits
	.p2align	6, 0x0
	.amdhsa_kernel _ZN7rocprim17ROCPRIM_400000_NS6detail17trampoline_kernelINS0_14default_configENS1_20scan_config_selectorIfEEZZNS1_9scan_implILNS1_25lookback_scan_determinismE0ELb0ELb0ES3_PKfPffZZZN2at6native31launch_logcumsumexp_cuda_kernelERKNSB_10TensorBaseESF_lENKUlvE_clEvENKUlvE0_clEvEUlffE_fEEDaPvRmT3_T4_T5_mT6_P12ihipStream_tbENKUlT_T0_E_clISt17integral_constantIbLb1EESV_IbLb0EEEEDaSR_SS_EUlSR_E0_NS1_11comp_targetILNS1_3genE4ELNS1_11target_archE910ELNS1_3gpuE8ELNS1_3repE0EEENS1_30default_config_static_selectorELNS0_4arch9wavefront6targetE1EEEvT1_
		.amdhsa_group_segment_fixed_size 7168
		.amdhsa_private_segment_fixed_size 0
		.amdhsa_kernarg_size 32
		.amdhsa_user_sgpr_count 6
		.amdhsa_user_sgpr_private_segment_buffer 1
		.amdhsa_user_sgpr_dispatch_ptr 0
		.amdhsa_user_sgpr_queue_ptr 0
		.amdhsa_user_sgpr_kernarg_segment_ptr 1
		.amdhsa_user_sgpr_dispatch_id 0
		.amdhsa_user_sgpr_flat_scratch_init 0
		.amdhsa_user_sgpr_kernarg_preload_length 0
		.amdhsa_user_sgpr_kernarg_preload_offset 0
		.amdhsa_user_sgpr_private_segment_size 0
		.amdhsa_uses_dynamic_stack 0
		.amdhsa_system_sgpr_private_segment_wavefront_offset 0
		.amdhsa_system_sgpr_workgroup_id_x 1
		.amdhsa_system_sgpr_workgroup_id_y 0
		.amdhsa_system_sgpr_workgroup_id_z 0
		.amdhsa_system_sgpr_workgroup_info 0
		.amdhsa_system_vgpr_workitem_id 0
		.amdhsa_next_free_vgpr 57
		.amdhsa_next_free_sgpr 70
		.amdhsa_accum_offset 60
		.amdhsa_reserve_vcc 1
		.amdhsa_reserve_flat_scratch 0
		.amdhsa_float_round_mode_32 0
		.amdhsa_float_round_mode_16_64 0
		.amdhsa_float_denorm_mode_32 3
		.amdhsa_float_denorm_mode_16_64 3
		.amdhsa_dx10_clamp 1
		.amdhsa_ieee_mode 1
		.amdhsa_fp16_overflow 0
		.amdhsa_tg_split 0
		.amdhsa_exception_fp_ieee_invalid_op 0
		.amdhsa_exception_fp_denorm_src 0
		.amdhsa_exception_fp_ieee_div_zero 0
		.amdhsa_exception_fp_ieee_overflow 0
		.amdhsa_exception_fp_ieee_underflow 0
		.amdhsa_exception_fp_ieee_inexact 0
		.amdhsa_exception_int_div_zero 0
	.end_amdhsa_kernel
	.section	.text._ZN7rocprim17ROCPRIM_400000_NS6detail17trampoline_kernelINS0_14default_configENS1_20scan_config_selectorIfEEZZNS1_9scan_implILNS1_25lookback_scan_determinismE0ELb0ELb0ES3_PKfPffZZZN2at6native31launch_logcumsumexp_cuda_kernelERKNSB_10TensorBaseESF_lENKUlvE_clEvENKUlvE0_clEvEUlffE_fEEDaPvRmT3_T4_T5_mT6_P12ihipStream_tbENKUlT_T0_E_clISt17integral_constantIbLb1EESV_IbLb0EEEEDaSR_SS_EUlSR_E0_NS1_11comp_targetILNS1_3genE4ELNS1_11target_archE910ELNS1_3gpuE8ELNS1_3repE0EEENS1_30default_config_static_selectorELNS0_4arch9wavefront6targetE1EEEvT1_,"axG",@progbits,_ZN7rocprim17ROCPRIM_400000_NS6detail17trampoline_kernelINS0_14default_configENS1_20scan_config_selectorIfEEZZNS1_9scan_implILNS1_25lookback_scan_determinismE0ELb0ELb0ES3_PKfPffZZZN2at6native31launch_logcumsumexp_cuda_kernelERKNSB_10TensorBaseESF_lENKUlvE_clEvENKUlvE0_clEvEUlffE_fEEDaPvRmT3_T4_T5_mT6_P12ihipStream_tbENKUlT_T0_E_clISt17integral_constantIbLb1EESV_IbLb0EEEEDaSR_SS_EUlSR_E0_NS1_11comp_targetILNS1_3genE4ELNS1_11target_archE910ELNS1_3gpuE8ELNS1_3repE0EEENS1_30default_config_static_selectorELNS0_4arch9wavefront6targetE1EEEvT1_,comdat
.Lfunc_end145:
	.size	_ZN7rocprim17ROCPRIM_400000_NS6detail17trampoline_kernelINS0_14default_configENS1_20scan_config_selectorIfEEZZNS1_9scan_implILNS1_25lookback_scan_determinismE0ELb0ELb0ES3_PKfPffZZZN2at6native31launch_logcumsumexp_cuda_kernelERKNSB_10TensorBaseESF_lENKUlvE_clEvENKUlvE0_clEvEUlffE_fEEDaPvRmT3_T4_T5_mT6_P12ihipStream_tbENKUlT_T0_E_clISt17integral_constantIbLb1EESV_IbLb0EEEEDaSR_SS_EUlSR_E0_NS1_11comp_targetILNS1_3genE4ELNS1_11target_archE910ELNS1_3gpuE8ELNS1_3repE0EEENS1_30default_config_static_selectorELNS0_4arch9wavefront6targetE1EEEvT1_, .Lfunc_end145-_ZN7rocprim17ROCPRIM_400000_NS6detail17trampoline_kernelINS0_14default_configENS1_20scan_config_selectorIfEEZZNS1_9scan_implILNS1_25lookback_scan_determinismE0ELb0ELb0ES3_PKfPffZZZN2at6native31launch_logcumsumexp_cuda_kernelERKNSB_10TensorBaseESF_lENKUlvE_clEvENKUlvE0_clEvEUlffE_fEEDaPvRmT3_T4_T5_mT6_P12ihipStream_tbENKUlT_T0_E_clISt17integral_constantIbLb1EESV_IbLb0EEEEDaSR_SS_EUlSR_E0_NS1_11comp_targetILNS1_3genE4ELNS1_11target_archE910ELNS1_3gpuE8ELNS1_3repE0EEENS1_30default_config_static_selectorELNS0_4arch9wavefront6targetE1EEEvT1_
                                        ; -- End function
	.section	.AMDGPU.csdata,"",@progbits
; Kernel info:
; codeLenInByte = 33048
; NumSgprs: 74
; NumVgprs: 57
; NumAgprs: 0
; TotalNumVgprs: 57
; ScratchSize: 0
; MemoryBound: 0
; FloatMode: 240
; IeeeMode: 1
; LDSByteSize: 7168 bytes/workgroup (compile time only)
; SGPRBlocks: 9
; VGPRBlocks: 7
; NumSGPRsForWavesPerEU: 74
; NumVGPRsForWavesPerEU: 57
; AccumOffset: 60
; Occupancy: 5
; WaveLimiterHint : 0
; COMPUTE_PGM_RSRC2:SCRATCH_EN: 0
; COMPUTE_PGM_RSRC2:USER_SGPR: 6
; COMPUTE_PGM_RSRC2:TRAP_HANDLER: 0
; COMPUTE_PGM_RSRC2:TGID_X_EN: 1
; COMPUTE_PGM_RSRC2:TGID_Y_EN: 0
; COMPUTE_PGM_RSRC2:TGID_Z_EN: 0
; COMPUTE_PGM_RSRC2:TIDIG_COMP_CNT: 0
; COMPUTE_PGM_RSRC3_GFX90A:ACCUM_OFFSET: 14
; COMPUTE_PGM_RSRC3_GFX90A:TG_SPLIT: 0
	.section	.text._ZN7rocprim17ROCPRIM_400000_NS6detail17trampoline_kernelINS0_14default_configENS1_20scan_config_selectorIfEEZZNS1_9scan_implILNS1_25lookback_scan_determinismE0ELb0ELb0ES3_PKfPffZZZN2at6native31launch_logcumsumexp_cuda_kernelERKNSB_10TensorBaseESF_lENKUlvE_clEvENKUlvE0_clEvEUlffE_fEEDaPvRmT3_T4_T5_mT6_P12ihipStream_tbENKUlT_T0_E_clISt17integral_constantIbLb1EESV_IbLb0EEEEDaSR_SS_EUlSR_E0_NS1_11comp_targetILNS1_3genE3ELNS1_11target_archE908ELNS1_3gpuE7ELNS1_3repE0EEENS1_30default_config_static_selectorELNS0_4arch9wavefront6targetE1EEEvT1_,"axG",@progbits,_ZN7rocprim17ROCPRIM_400000_NS6detail17trampoline_kernelINS0_14default_configENS1_20scan_config_selectorIfEEZZNS1_9scan_implILNS1_25lookback_scan_determinismE0ELb0ELb0ES3_PKfPffZZZN2at6native31launch_logcumsumexp_cuda_kernelERKNSB_10TensorBaseESF_lENKUlvE_clEvENKUlvE0_clEvEUlffE_fEEDaPvRmT3_T4_T5_mT6_P12ihipStream_tbENKUlT_T0_E_clISt17integral_constantIbLb1EESV_IbLb0EEEEDaSR_SS_EUlSR_E0_NS1_11comp_targetILNS1_3genE3ELNS1_11target_archE908ELNS1_3gpuE7ELNS1_3repE0EEENS1_30default_config_static_selectorELNS0_4arch9wavefront6targetE1EEEvT1_,comdat
	.globl	_ZN7rocprim17ROCPRIM_400000_NS6detail17trampoline_kernelINS0_14default_configENS1_20scan_config_selectorIfEEZZNS1_9scan_implILNS1_25lookback_scan_determinismE0ELb0ELb0ES3_PKfPffZZZN2at6native31launch_logcumsumexp_cuda_kernelERKNSB_10TensorBaseESF_lENKUlvE_clEvENKUlvE0_clEvEUlffE_fEEDaPvRmT3_T4_T5_mT6_P12ihipStream_tbENKUlT_T0_E_clISt17integral_constantIbLb1EESV_IbLb0EEEEDaSR_SS_EUlSR_E0_NS1_11comp_targetILNS1_3genE3ELNS1_11target_archE908ELNS1_3gpuE7ELNS1_3repE0EEENS1_30default_config_static_selectorELNS0_4arch9wavefront6targetE1EEEvT1_ ; -- Begin function _ZN7rocprim17ROCPRIM_400000_NS6detail17trampoline_kernelINS0_14default_configENS1_20scan_config_selectorIfEEZZNS1_9scan_implILNS1_25lookback_scan_determinismE0ELb0ELb0ES3_PKfPffZZZN2at6native31launch_logcumsumexp_cuda_kernelERKNSB_10TensorBaseESF_lENKUlvE_clEvENKUlvE0_clEvEUlffE_fEEDaPvRmT3_T4_T5_mT6_P12ihipStream_tbENKUlT_T0_E_clISt17integral_constantIbLb1EESV_IbLb0EEEEDaSR_SS_EUlSR_E0_NS1_11comp_targetILNS1_3genE3ELNS1_11target_archE908ELNS1_3gpuE7ELNS1_3repE0EEENS1_30default_config_static_selectorELNS0_4arch9wavefront6targetE1EEEvT1_
	.p2align	8
	.type	_ZN7rocprim17ROCPRIM_400000_NS6detail17trampoline_kernelINS0_14default_configENS1_20scan_config_selectorIfEEZZNS1_9scan_implILNS1_25lookback_scan_determinismE0ELb0ELb0ES3_PKfPffZZZN2at6native31launch_logcumsumexp_cuda_kernelERKNSB_10TensorBaseESF_lENKUlvE_clEvENKUlvE0_clEvEUlffE_fEEDaPvRmT3_T4_T5_mT6_P12ihipStream_tbENKUlT_T0_E_clISt17integral_constantIbLb1EESV_IbLb0EEEEDaSR_SS_EUlSR_E0_NS1_11comp_targetILNS1_3genE3ELNS1_11target_archE908ELNS1_3gpuE7ELNS1_3repE0EEENS1_30default_config_static_selectorELNS0_4arch9wavefront6targetE1EEEvT1_,@function
_ZN7rocprim17ROCPRIM_400000_NS6detail17trampoline_kernelINS0_14default_configENS1_20scan_config_selectorIfEEZZNS1_9scan_implILNS1_25lookback_scan_determinismE0ELb0ELb0ES3_PKfPffZZZN2at6native31launch_logcumsumexp_cuda_kernelERKNSB_10TensorBaseESF_lENKUlvE_clEvENKUlvE0_clEvEUlffE_fEEDaPvRmT3_T4_T5_mT6_P12ihipStream_tbENKUlT_T0_E_clISt17integral_constantIbLb1EESV_IbLb0EEEEDaSR_SS_EUlSR_E0_NS1_11comp_targetILNS1_3genE3ELNS1_11target_archE908ELNS1_3gpuE7ELNS1_3repE0EEENS1_30default_config_static_selectorELNS0_4arch9wavefront6targetE1EEEvT1_: ; @_ZN7rocprim17ROCPRIM_400000_NS6detail17trampoline_kernelINS0_14default_configENS1_20scan_config_selectorIfEEZZNS1_9scan_implILNS1_25lookback_scan_determinismE0ELb0ELb0ES3_PKfPffZZZN2at6native31launch_logcumsumexp_cuda_kernelERKNSB_10TensorBaseESF_lENKUlvE_clEvENKUlvE0_clEvEUlffE_fEEDaPvRmT3_T4_T5_mT6_P12ihipStream_tbENKUlT_T0_E_clISt17integral_constantIbLb1EESV_IbLb0EEEEDaSR_SS_EUlSR_E0_NS1_11comp_targetILNS1_3genE3ELNS1_11target_archE908ELNS1_3gpuE7ELNS1_3repE0EEENS1_30default_config_static_selectorELNS0_4arch9wavefront6targetE1EEEvT1_
; %bb.0:
	.section	.rodata,"a",@progbits
	.p2align	6, 0x0
	.amdhsa_kernel _ZN7rocprim17ROCPRIM_400000_NS6detail17trampoline_kernelINS0_14default_configENS1_20scan_config_selectorIfEEZZNS1_9scan_implILNS1_25lookback_scan_determinismE0ELb0ELb0ES3_PKfPffZZZN2at6native31launch_logcumsumexp_cuda_kernelERKNSB_10TensorBaseESF_lENKUlvE_clEvENKUlvE0_clEvEUlffE_fEEDaPvRmT3_T4_T5_mT6_P12ihipStream_tbENKUlT_T0_E_clISt17integral_constantIbLb1EESV_IbLb0EEEEDaSR_SS_EUlSR_E0_NS1_11comp_targetILNS1_3genE3ELNS1_11target_archE908ELNS1_3gpuE7ELNS1_3repE0EEENS1_30default_config_static_selectorELNS0_4arch9wavefront6targetE1EEEvT1_
		.amdhsa_group_segment_fixed_size 0
		.amdhsa_private_segment_fixed_size 0
		.amdhsa_kernarg_size 32
		.amdhsa_user_sgpr_count 6
		.amdhsa_user_sgpr_private_segment_buffer 1
		.amdhsa_user_sgpr_dispatch_ptr 0
		.amdhsa_user_sgpr_queue_ptr 0
		.amdhsa_user_sgpr_kernarg_segment_ptr 1
		.amdhsa_user_sgpr_dispatch_id 0
		.amdhsa_user_sgpr_flat_scratch_init 0
		.amdhsa_user_sgpr_kernarg_preload_length 0
		.amdhsa_user_sgpr_kernarg_preload_offset 0
		.amdhsa_user_sgpr_private_segment_size 0
		.amdhsa_uses_dynamic_stack 0
		.amdhsa_system_sgpr_private_segment_wavefront_offset 0
		.amdhsa_system_sgpr_workgroup_id_x 1
		.amdhsa_system_sgpr_workgroup_id_y 0
		.amdhsa_system_sgpr_workgroup_id_z 0
		.amdhsa_system_sgpr_workgroup_info 0
		.amdhsa_system_vgpr_workitem_id 0
		.amdhsa_next_free_vgpr 1
		.amdhsa_next_free_sgpr 0
		.amdhsa_accum_offset 4
		.amdhsa_reserve_vcc 0
		.amdhsa_reserve_flat_scratch 0
		.amdhsa_float_round_mode_32 0
		.amdhsa_float_round_mode_16_64 0
		.amdhsa_float_denorm_mode_32 3
		.amdhsa_float_denorm_mode_16_64 3
		.amdhsa_dx10_clamp 1
		.amdhsa_ieee_mode 1
		.amdhsa_fp16_overflow 0
		.amdhsa_tg_split 0
		.amdhsa_exception_fp_ieee_invalid_op 0
		.amdhsa_exception_fp_denorm_src 0
		.amdhsa_exception_fp_ieee_div_zero 0
		.amdhsa_exception_fp_ieee_overflow 0
		.amdhsa_exception_fp_ieee_underflow 0
		.amdhsa_exception_fp_ieee_inexact 0
		.amdhsa_exception_int_div_zero 0
	.end_amdhsa_kernel
	.section	.text._ZN7rocprim17ROCPRIM_400000_NS6detail17trampoline_kernelINS0_14default_configENS1_20scan_config_selectorIfEEZZNS1_9scan_implILNS1_25lookback_scan_determinismE0ELb0ELb0ES3_PKfPffZZZN2at6native31launch_logcumsumexp_cuda_kernelERKNSB_10TensorBaseESF_lENKUlvE_clEvENKUlvE0_clEvEUlffE_fEEDaPvRmT3_T4_T5_mT6_P12ihipStream_tbENKUlT_T0_E_clISt17integral_constantIbLb1EESV_IbLb0EEEEDaSR_SS_EUlSR_E0_NS1_11comp_targetILNS1_3genE3ELNS1_11target_archE908ELNS1_3gpuE7ELNS1_3repE0EEENS1_30default_config_static_selectorELNS0_4arch9wavefront6targetE1EEEvT1_,"axG",@progbits,_ZN7rocprim17ROCPRIM_400000_NS6detail17trampoline_kernelINS0_14default_configENS1_20scan_config_selectorIfEEZZNS1_9scan_implILNS1_25lookback_scan_determinismE0ELb0ELb0ES3_PKfPffZZZN2at6native31launch_logcumsumexp_cuda_kernelERKNSB_10TensorBaseESF_lENKUlvE_clEvENKUlvE0_clEvEUlffE_fEEDaPvRmT3_T4_T5_mT6_P12ihipStream_tbENKUlT_T0_E_clISt17integral_constantIbLb1EESV_IbLb0EEEEDaSR_SS_EUlSR_E0_NS1_11comp_targetILNS1_3genE3ELNS1_11target_archE908ELNS1_3gpuE7ELNS1_3repE0EEENS1_30default_config_static_selectorELNS0_4arch9wavefront6targetE1EEEvT1_,comdat
.Lfunc_end146:
	.size	_ZN7rocprim17ROCPRIM_400000_NS6detail17trampoline_kernelINS0_14default_configENS1_20scan_config_selectorIfEEZZNS1_9scan_implILNS1_25lookback_scan_determinismE0ELb0ELb0ES3_PKfPffZZZN2at6native31launch_logcumsumexp_cuda_kernelERKNSB_10TensorBaseESF_lENKUlvE_clEvENKUlvE0_clEvEUlffE_fEEDaPvRmT3_T4_T5_mT6_P12ihipStream_tbENKUlT_T0_E_clISt17integral_constantIbLb1EESV_IbLb0EEEEDaSR_SS_EUlSR_E0_NS1_11comp_targetILNS1_3genE3ELNS1_11target_archE908ELNS1_3gpuE7ELNS1_3repE0EEENS1_30default_config_static_selectorELNS0_4arch9wavefront6targetE1EEEvT1_, .Lfunc_end146-_ZN7rocprim17ROCPRIM_400000_NS6detail17trampoline_kernelINS0_14default_configENS1_20scan_config_selectorIfEEZZNS1_9scan_implILNS1_25lookback_scan_determinismE0ELb0ELb0ES3_PKfPffZZZN2at6native31launch_logcumsumexp_cuda_kernelERKNSB_10TensorBaseESF_lENKUlvE_clEvENKUlvE0_clEvEUlffE_fEEDaPvRmT3_T4_T5_mT6_P12ihipStream_tbENKUlT_T0_E_clISt17integral_constantIbLb1EESV_IbLb0EEEEDaSR_SS_EUlSR_E0_NS1_11comp_targetILNS1_3genE3ELNS1_11target_archE908ELNS1_3gpuE7ELNS1_3repE0EEENS1_30default_config_static_selectorELNS0_4arch9wavefront6targetE1EEEvT1_
                                        ; -- End function
	.section	.AMDGPU.csdata,"",@progbits
; Kernel info:
; codeLenInByte = 0
; NumSgprs: 4
; NumVgprs: 0
; NumAgprs: 0
; TotalNumVgprs: 0
; ScratchSize: 0
; MemoryBound: 0
; FloatMode: 240
; IeeeMode: 1
; LDSByteSize: 0 bytes/workgroup (compile time only)
; SGPRBlocks: 0
; VGPRBlocks: 0
; NumSGPRsForWavesPerEU: 4
; NumVGPRsForWavesPerEU: 1
; AccumOffset: 4
; Occupancy: 8
; WaveLimiterHint : 0
; COMPUTE_PGM_RSRC2:SCRATCH_EN: 0
; COMPUTE_PGM_RSRC2:USER_SGPR: 6
; COMPUTE_PGM_RSRC2:TRAP_HANDLER: 0
; COMPUTE_PGM_RSRC2:TGID_X_EN: 1
; COMPUTE_PGM_RSRC2:TGID_Y_EN: 0
; COMPUTE_PGM_RSRC2:TGID_Z_EN: 0
; COMPUTE_PGM_RSRC2:TIDIG_COMP_CNT: 0
; COMPUTE_PGM_RSRC3_GFX90A:ACCUM_OFFSET: 0
; COMPUTE_PGM_RSRC3_GFX90A:TG_SPLIT: 0
	.section	.text._ZN7rocprim17ROCPRIM_400000_NS6detail17trampoline_kernelINS0_14default_configENS1_20scan_config_selectorIfEEZZNS1_9scan_implILNS1_25lookback_scan_determinismE0ELb0ELb0ES3_PKfPffZZZN2at6native31launch_logcumsumexp_cuda_kernelERKNSB_10TensorBaseESF_lENKUlvE_clEvENKUlvE0_clEvEUlffE_fEEDaPvRmT3_T4_T5_mT6_P12ihipStream_tbENKUlT_T0_E_clISt17integral_constantIbLb1EESV_IbLb0EEEEDaSR_SS_EUlSR_E0_NS1_11comp_targetILNS1_3genE2ELNS1_11target_archE906ELNS1_3gpuE6ELNS1_3repE0EEENS1_30default_config_static_selectorELNS0_4arch9wavefront6targetE1EEEvT1_,"axG",@progbits,_ZN7rocprim17ROCPRIM_400000_NS6detail17trampoline_kernelINS0_14default_configENS1_20scan_config_selectorIfEEZZNS1_9scan_implILNS1_25lookback_scan_determinismE0ELb0ELb0ES3_PKfPffZZZN2at6native31launch_logcumsumexp_cuda_kernelERKNSB_10TensorBaseESF_lENKUlvE_clEvENKUlvE0_clEvEUlffE_fEEDaPvRmT3_T4_T5_mT6_P12ihipStream_tbENKUlT_T0_E_clISt17integral_constantIbLb1EESV_IbLb0EEEEDaSR_SS_EUlSR_E0_NS1_11comp_targetILNS1_3genE2ELNS1_11target_archE906ELNS1_3gpuE6ELNS1_3repE0EEENS1_30default_config_static_selectorELNS0_4arch9wavefront6targetE1EEEvT1_,comdat
	.globl	_ZN7rocprim17ROCPRIM_400000_NS6detail17trampoline_kernelINS0_14default_configENS1_20scan_config_selectorIfEEZZNS1_9scan_implILNS1_25lookback_scan_determinismE0ELb0ELb0ES3_PKfPffZZZN2at6native31launch_logcumsumexp_cuda_kernelERKNSB_10TensorBaseESF_lENKUlvE_clEvENKUlvE0_clEvEUlffE_fEEDaPvRmT3_T4_T5_mT6_P12ihipStream_tbENKUlT_T0_E_clISt17integral_constantIbLb1EESV_IbLb0EEEEDaSR_SS_EUlSR_E0_NS1_11comp_targetILNS1_3genE2ELNS1_11target_archE906ELNS1_3gpuE6ELNS1_3repE0EEENS1_30default_config_static_selectorELNS0_4arch9wavefront6targetE1EEEvT1_ ; -- Begin function _ZN7rocprim17ROCPRIM_400000_NS6detail17trampoline_kernelINS0_14default_configENS1_20scan_config_selectorIfEEZZNS1_9scan_implILNS1_25lookback_scan_determinismE0ELb0ELb0ES3_PKfPffZZZN2at6native31launch_logcumsumexp_cuda_kernelERKNSB_10TensorBaseESF_lENKUlvE_clEvENKUlvE0_clEvEUlffE_fEEDaPvRmT3_T4_T5_mT6_P12ihipStream_tbENKUlT_T0_E_clISt17integral_constantIbLb1EESV_IbLb0EEEEDaSR_SS_EUlSR_E0_NS1_11comp_targetILNS1_3genE2ELNS1_11target_archE906ELNS1_3gpuE6ELNS1_3repE0EEENS1_30default_config_static_selectorELNS0_4arch9wavefront6targetE1EEEvT1_
	.p2align	8
	.type	_ZN7rocprim17ROCPRIM_400000_NS6detail17trampoline_kernelINS0_14default_configENS1_20scan_config_selectorIfEEZZNS1_9scan_implILNS1_25lookback_scan_determinismE0ELb0ELb0ES3_PKfPffZZZN2at6native31launch_logcumsumexp_cuda_kernelERKNSB_10TensorBaseESF_lENKUlvE_clEvENKUlvE0_clEvEUlffE_fEEDaPvRmT3_T4_T5_mT6_P12ihipStream_tbENKUlT_T0_E_clISt17integral_constantIbLb1EESV_IbLb0EEEEDaSR_SS_EUlSR_E0_NS1_11comp_targetILNS1_3genE2ELNS1_11target_archE906ELNS1_3gpuE6ELNS1_3repE0EEENS1_30default_config_static_selectorELNS0_4arch9wavefront6targetE1EEEvT1_,@function
_ZN7rocprim17ROCPRIM_400000_NS6detail17trampoline_kernelINS0_14default_configENS1_20scan_config_selectorIfEEZZNS1_9scan_implILNS1_25lookback_scan_determinismE0ELb0ELb0ES3_PKfPffZZZN2at6native31launch_logcumsumexp_cuda_kernelERKNSB_10TensorBaseESF_lENKUlvE_clEvENKUlvE0_clEvEUlffE_fEEDaPvRmT3_T4_T5_mT6_P12ihipStream_tbENKUlT_T0_E_clISt17integral_constantIbLb1EESV_IbLb0EEEEDaSR_SS_EUlSR_E0_NS1_11comp_targetILNS1_3genE2ELNS1_11target_archE906ELNS1_3gpuE6ELNS1_3repE0EEENS1_30default_config_static_selectorELNS0_4arch9wavefront6targetE1EEEvT1_: ; @_ZN7rocprim17ROCPRIM_400000_NS6detail17trampoline_kernelINS0_14default_configENS1_20scan_config_selectorIfEEZZNS1_9scan_implILNS1_25lookback_scan_determinismE0ELb0ELb0ES3_PKfPffZZZN2at6native31launch_logcumsumexp_cuda_kernelERKNSB_10TensorBaseESF_lENKUlvE_clEvENKUlvE0_clEvEUlffE_fEEDaPvRmT3_T4_T5_mT6_P12ihipStream_tbENKUlT_T0_E_clISt17integral_constantIbLb1EESV_IbLb0EEEEDaSR_SS_EUlSR_E0_NS1_11comp_targetILNS1_3genE2ELNS1_11target_archE906ELNS1_3gpuE6ELNS1_3repE0EEENS1_30default_config_static_selectorELNS0_4arch9wavefront6targetE1EEEvT1_
; %bb.0:
	.section	.rodata,"a",@progbits
	.p2align	6, 0x0
	.amdhsa_kernel _ZN7rocprim17ROCPRIM_400000_NS6detail17trampoline_kernelINS0_14default_configENS1_20scan_config_selectorIfEEZZNS1_9scan_implILNS1_25lookback_scan_determinismE0ELb0ELb0ES3_PKfPffZZZN2at6native31launch_logcumsumexp_cuda_kernelERKNSB_10TensorBaseESF_lENKUlvE_clEvENKUlvE0_clEvEUlffE_fEEDaPvRmT3_T4_T5_mT6_P12ihipStream_tbENKUlT_T0_E_clISt17integral_constantIbLb1EESV_IbLb0EEEEDaSR_SS_EUlSR_E0_NS1_11comp_targetILNS1_3genE2ELNS1_11target_archE906ELNS1_3gpuE6ELNS1_3repE0EEENS1_30default_config_static_selectorELNS0_4arch9wavefront6targetE1EEEvT1_
		.amdhsa_group_segment_fixed_size 0
		.amdhsa_private_segment_fixed_size 0
		.amdhsa_kernarg_size 32
		.amdhsa_user_sgpr_count 6
		.amdhsa_user_sgpr_private_segment_buffer 1
		.amdhsa_user_sgpr_dispatch_ptr 0
		.amdhsa_user_sgpr_queue_ptr 0
		.amdhsa_user_sgpr_kernarg_segment_ptr 1
		.amdhsa_user_sgpr_dispatch_id 0
		.amdhsa_user_sgpr_flat_scratch_init 0
		.amdhsa_user_sgpr_kernarg_preload_length 0
		.amdhsa_user_sgpr_kernarg_preload_offset 0
		.amdhsa_user_sgpr_private_segment_size 0
		.amdhsa_uses_dynamic_stack 0
		.amdhsa_system_sgpr_private_segment_wavefront_offset 0
		.amdhsa_system_sgpr_workgroup_id_x 1
		.amdhsa_system_sgpr_workgroup_id_y 0
		.amdhsa_system_sgpr_workgroup_id_z 0
		.amdhsa_system_sgpr_workgroup_info 0
		.amdhsa_system_vgpr_workitem_id 0
		.amdhsa_next_free_vgpr 1
		.amdhsa_next_free_sgpr 0
		.amdhsa_accum_offset 4
		.amdhsa_reserve_vcc 0
		.amdhsa_reserve_flat_scratch 0
		.amdhsa_float_round_mode_32 0
		.amdhsa_float_round_mode_16_64 0
		.amdhsa_float_denorm_mode_32 3
		.amdhsa_float_denorm_mode_16_64 3
		.amdhsa_dx10_clamp 1
		.amdhsa_ieee_mode 1
		.amdhsa_fp16_overflow 0
		.amdhsa_tg_split 0
		.amdhsa_exception_fp_ieee_invalid_op 0
		.amdhsa_exception_fp_denorm_src 0
		.amdhsa_exception_fp_ieee_div_zero 0
		.amdhsa_exception_fp_ieee_overflow 0
		.amdhsa_exception_fp_ieee_underflow 0
		.amdhsa_exception_fp_ieee_inexact 0
		.amdhsa_exception_int_div_zero 0
	.end_amdhsa_kernel
	.section	.text._ZN7rocprim17ROCPRIM_400000_NS6detail17trampoline_kernelINS0_14default_configENS1_20scan_config_selectorIfEEZZNS1_9scan_implILNS1_25lookback_scan_determinismE0ELb0ELb0ES3_PKfPffZZZN2at6native31launch_logcumsumexp_cuda_kernelERKNSB_10TensorBaseESF_lENKUlvE_clEvENKUlvE0_clEvEUlffE_fEEDaPvRmT3_T4_T5_mT6_P12ihipStream_tbENKUlT_T0_E_clISt17integral_constantIbLb1EESV_IbLb0EEEEDaSR_SS_EUlSR_E0_NS1_11comp_targetILNS1_3genE2ELNS1_11target_archE906ELNS1_3gpuE6ELNS1_3repE0EEENS1_30default_config_static_selectorELNS0_4arch9wavefront6targetE1EEEvT1_,"axG",@progbits,_ZN7rocprim17ROCPRIM_400000_NS6detail17trampoline_kernelINS0_14default_configENS1_20scan_config_selectorIfEEZZNS1_9scan_implILNS1_25lookback_scan_determinismE0ELb0ELb0ES3_PKfPffZZZN2at6native31launch_logcumsumexp_cuda_kernelERKNSB_10TensorBaseESF_lENKUlvE_clEvENKUlvE0_clEvEUlffE_fEEDaPvRmT3_T4_T5_mT6_P12ihipStream_tbENKUlT_T0_E_clISt17integral_constantIbLb1EESV_IbLb0EEEEDaSR_SS_EUlSR_E0_NS1_11comp_targetILNS1_3genE2ELNS1_11target_archE906ELNS1_3gpuE6ELNS1_3repE0EEENS1_30default_config_static_selectorELNS0_4arch9wavefront6targetE1EEEvT1_,comdat
.Lfunc_end147:
	.size	_ZN7rocprim17ROCPRIM_400000_NS6detail17trampoline_kernelINS0_14default_configENS1_20scan_config_selectorIfEEZZNS1_9scan_implILNS1_25lookback_scan_determinismE0ELb0ELb0ES3_PKfPffZZZN2at6native31launch_logcumsumexp_cuda_kernelERKNSB_10TensorBaseESF_lENKUlvE_clEvENKUlvE0_clEvEUlffE_fEEDaPvRmT3_T4_T5_mT6_P12ihipStream_tbENKUlT_T0_E_clISt17integral_constantIbLb1EESV_IbLb0EEEEDaSR_SS_EUlSR_E0_NS1_11comp_targetILNS1_3genE2ELNS1_11target_archE906ELNS1_3gpuE6ELNS1_3repE0EEENS1_30default_config_static_selectorELNS0_4arch9wavefront6targetE1EEEvT1_, .Lfunc_end147-_ZN7rocprim17ROCPRIM_400000_NS6detail17trampoline_kernelINS0_14default_configENS1_20scan_config_selectorIfEEZZNS1_9scan_implILNS1_25lookback_scan_determinismE0ELb0ELb0ES3_PKfPffZZZN2at6native31launch_logcumsumexp_cuda_kernelERKNSB_10TensorBaseESF_lENKUlvE_clEvENKUlvE0_clEvEUlffE_fEEDaPvRmT3_T4_T5_mT6_P12ihipStream_tbENKUlT_T0_E_clISt17integral_constantIbLb1EESV_IbLb0EEEEDaSR_SS_EUlSR_E0_NS1_11comp_targetILNS1_3genE2ELNS1_11target_archE906ELNS1_3gpuE6ELNS1_3repE0EEENS1_30default_config_static_selectorELNS0_4arch9wavefront6targetE1EEEvT1_
                                        ; -- End function
	.section	.AMDGPU.csdata,"",@progbits
; Kernel info:
; codeLenInByte = 0
; NumSgprs: 4
; NumVgprs: 0
; NumAgprs: 0
; TotalNumVgprs: 0
; ScratchSize: 0
; MemoryBound: 0
; FloatMode: 240
; IeeeMode: 1
; LDSByteSize: 0 bytes/workgroup (compile time only)
; SGPRBlocks: 0
; VGPRBlocks: 0
; NumSGPRsForWavesPerEU: 4
; NumVGPRsForWavesPerEU: 1
; AccumOffset: 4
; Occupancy: 8
; WaveLimiterHint : 0
; COMPUTE_PGM_RSRC2:SCRATCH_EN: 0
; COMPUTE_PGM_RSRC2:USER_SGPR: 6
; COMPUTE_PGM_RSRC2:TRAP_HANDLER: 0
; COMPUTE_PGM_RSRC2:TGID_X_EN: 1
; COMPUTE_PGM_RSRC2:TGID_Y_EN: 0
; COMPUTE_PGM_RSRC2:TGID_Z_EN: 0
; COMPUTE_PGM_RSRC2:TIDIG_COMP_CNT: 0
; COMPUTE_PGM_RSRC3_GFX90A:ACCUM_OFFSET: 0
; COMPUTE_PGM_RSRC3_GFX90A:TG_SPLIT: 0
	.section	.text._ZN7rocprim17ROCPRIM_400000_NS6detail17trampoline_kernelINS0_14default_configENS1_20scan_config_selectorIfEEZZNS1_9scan_implILNS1_25lookback_scan_determinismE0ELb0ELb0ES3_PKfPffZZZN2at6native31launch_logcumsumexp_cuda_kernelERKNSB_10TensorBaseESF_lENKUlvE_clEvENKUlvE0_clEvEUlffE_fEEDaPvRmT3_T4_T5_mT6_P12ihipStream_tbENKUlT_T0_E_clISt17integral_constantIbLb1EESV_IbLb0EEEEDaSR_SS_EUlSR_E0_NS1_11comp_targetILNS1_3genE10ELNS1_11target_archE1201ELNS1_3gpuE5ELNS1_3repE0EEENS1_30default_config_static_selectorELNS0_4arch9wavefront6targetE1EEEvT1_,"axG",@progbits,_ZN7rocprim17ROCPRIM_400000_NS6detail17trampoline_kernelINS0_14default_configENS1_20scan_config_selectorIfEEZZNS1_9scan_implILNS1_25lookback_scan_determinismE0ELb0ELb0ES3_PKfPffZZZN2at6native31launch_logcumsumexp_cuda_kernelERKNSB_10TensorBaseESF_lENKUlvE_clEvENKUlvE0_clEvEUlffE_fEEDaPvRmT3_T4_T5_mT6_P12ihipStream_tbENKUlT_T0_E_clISt17integral_constantIbLb1EESV_IbLb0EEEEDaSR_SS_EUlSR_E0_NS1_11comp_targetILNS1_3genE10ELNS1_11target_archE1201ELNS1_3gpuE5ELNS1_3repE0EEENS1_30default_config_static_selectorELNS0_4arch9wavefront6targetE1EEEvT1_,comdat
	.globl	_ZN7rocprim17ROCPRIM_400000_NS6detail17trampoline_kernelINS0_14default_configENS1_20scan_config_selectorIfEEZZNS1_9scan_implILNS1_25lookback_scan_determinismE0ELb0ELb0ES3_PKfPffZZZN2at6native31launch_logcumsumexp_cuda_kernelERKNSB_10TensorBaseESF_lENKUlvE_clEvENKUlvE0_clEvEUlffE_fEEDaPvRmT3_T4_T5_mT6_P12ihipStream_tbENKUlT_T0_E_clISt17integral_constantIbLb1EESV_IbLb0EEEEDaSR_SS_EUlSR_E0_NS1_11comp_targetILNS1_3genE10ELNS1_11target_archE1201ELNS1_3gpuE5ELNS1_3repE0EEENS1_30default_config_static_selectorELNS0_4arch9wavefront6targetE1EEEvT1_ ; -- Begin function _ZN7rocprim17ROCPRIM_400000_NS6detail17trampoline_kernelINS0_14default_configENS1_20scan_config_selectorIfEEZZNS1_9scan_implILNS1_25lookback_scan_determinismE0ELb0ELb0ES3_PKfPffZZZN2at6native31launch_logcumsumexp_cuda_kernelERKNSB_10TensorBaseESF_lENKUlvE_clEvENKUlvE0_clEvEUlffE_fEEDaPvRmT3_T4_T5_mT6_P12ihipStream_tbENKUlT_T0_E_clISt17integral_constantIbLb1EESV_IbLb0EEEEDaSR_SS_EUlSR_E0_NS1_11comp_targetILNS1_3genE10ELNS1_11target_archE1201ELNS1_3gpuE5ELNS1_3repE0EEENS1_30default_config_static_selectorELNS0_4arch9wavefront6targetE1EEEvT1_
	.p2align	8
	.type	_ZN7rocprim17ROCPRIM_400000_NS6detail17trampoline_kernelINS0_14default_configENS1_20scan_config_selectorIfEEZZNS1_9scan_implILNS1_25lookback_scan_determinismE0ELb0ELb0ES3_PKfPffZZZN2at6native31launch_logcumsumexp_cuda_kernelERKNSB_10TensorBaseESF_lENKUlvE_clEvENKUlvE0_clEvEUlffE_fEEDaPvRmT3_T4_T5_mT6_P12ihipStream_tbENKUlT_T0_E_clISt17integral_constantIbLb1EESV_IbLb0EEEEDaSR_SS_EUlSR_E0_NS1_11comp_targetILNS1_3genE10ELNS1_11target_archE1201ELNS1_3gpuE5ELNS1_3repE0EEENS1_30default_config_static_selectorELNS0_4arch9wavefront6targetE1EEEvT1_,@function
_ZN7rocprim17ROCPRIM_400000_NS6detail17trampoline_kernelINS0_14default_configENS1_20scan_config_selectorIfEEZZNS1_9scan_implILNS1_25lookback_scan_determinismE0ELb0ELb0ES3_PKfPffZZZN2at6native31launch_logcumsumexp_cuda_kernelERKNSB_10TensorBaseESF_lENKUlvE_clEvENKUlvE0_clEvEUlffE_fEEDaPvRmT3_T4_T5_mT6_P12ihipStream_tbENKUlT_T0_E_clISt17integral_constantIbLb1EESV_IbLb0EEEEDaSR_SS_EUlSR_E0_NS1_11comp_targetILNS1_3genE10ELNS1_11target_archE1201ELNS1_3gpuE5ELNS1_3repE0EEENS1_30default_config_static_selectorELNS0_4arch9wavefront6targetE1EEEvT1_: ; @_ZN7rocprim17ROCPRIM_400000_NS6detail17trampoline_kernelINS0_14default_configENS1_20scan_config_selectorIfEEZZNS1_9scan_implILNS1_25lookback_scan_determinismE0ELb0ELb0ES3_PKfPffZZZN2at6native31launch_logcumsumexp_cuda_kernelERKNSB_10TensorBaseESF_lENKUlvE_clEvENKUlvE0_clEvEUlffE_fEEDaPvRmT3_T4_T5_mT6_P12ihipStream_tbENKUlT_T0_E_clISt17integral_constantIbLb1EESV_IbLb0EEEEDaSR_SS_EUlSR_E0_NS1_11comp_targetILNS1_3genE10ELNS1_11target_archE1201ELNS1_3gpuE5ELNS1_3repE0EEENS1_30default_config_static_selectorELNS0_4arch9wavefront6targetE1EEEvT1_
; %bb.0:
	.section	.rodata,"a",@progbits
	.p2align	6, 0x0
	.amdhsa_kernel _ZN7rocprim17ROCPRIM_400000_NS6detail17trampoline_kernelINS0_14default_configENS1_20scan_config_selectorIfEEZZNS1_9scan_implILNS1_25lookback_scan_determinismE0ELb0ELb0ES3_PKfPffZZZN2at6native31launch_logcumsumexp_cuda_kernelERKNSB_10TensorBaseESF_lENKUlvE_clEvENKUlvE0_clEvEUlffE_fEEDaPvRmT3_T4_T5_mT6_P12ihipStream_tbENKUlT_T0_E_clISt17integral_constantIbLb1EESV_IbLb0EEEEDaSR_SS_EUlSR_E0_NS1_11comp_targetILNS1_3genE10ELNS1_11target_archE1201ELNS1_3gpuE5ELNS1_3repE0EEENS1_30default_config_static_selectorELNS0_4arch9wavefront6targetE1EEEvT1_
		.amdhsa_group_segment_fixed_size 0
		.amdhsa_private_segment_fixed_size 0
		.amdhsa_kernarg_size 32
		.amdhsa_user_sgpr_count 6
		.amdhsa_user_sgpr_private_segment_buffer 1
		.amdhsa_user_sgpr_dispatch_ptr 0
		.amdhsa_user_sgpr_queue_ptr 0
		.amdhsa_user_sgpr_kernarg_segment_ptr 1
		.amdhsa_user_sgpr_dispatch_id 0
		.amdhsa_user_sgpr_flat_scratch_init 0
		.amdhsa_user_sgpr_kernarg_preload_length 0
		.amdhsa_user_sgpr_kernarg_preload_offset 0
		.amdhsa_user_sgpr_private_segment_size 0
		.amdhsa_uses_dynamic_stack 0
		.amdhsa_system_sgpr_private_segment_wavefront_offset 0
		.amdhsa_system_sgpr_workgroup_id_x 1
		.amdhsa_system_sgpr_workgroup_id_y 0
		.amdhsa_system_sgpr_workgroup_id_z 0
		.amdhsa_system_sgpr_workgroup_info 0
		.amdhsa_system_vgpr_workitem_id 0
		.amdhsa_next_free_vgpr 1
		.amdhsa_next_free_sgpr 0
		.amdhsa_accum_offset 4
		.amdhsa_reserve_vcc 0
		.amdhsa_reserve_flat_scratch 0
		.amdhsa_float_round_mode_32 0
		.amdhsa_float_round_mode_16_64 0
		.amdhsa_float_denorm_mode_32 3
		.amdhsa_float_denorm_mode_16_64 3
		.amdhsa_dx10_clamp 1
		.amdhsa_ieee_mode 1
		.amdhsa_fp16_overflow 0
		.amdhsa_tg_split 0
		.amdhsa_exception_fp_ieee_invalid_op 0
		.amdhsa_exception_fp_denorm_src 0
		.amdhsa_exception_fp_ieee_div_zero 0
		.amdhsa_exception_fp_ieee_overflow 0
		.amdhsa_exception_fp_ieee_underflow 0
		.amdhsa_exception_fp_ieee_inexact 0
		.amdhsa_exception_int_div_zero 0
	.end_amdhsa_kernel
	.section	.text._ZN7rocprim17ROCPRIM_400000_NS6detail17trampoline_kernelINS0_14default_configENS1_20scan_config_selectorIfEEZZNS1_9scan_implILNS1_25lookback_scan_determinismE0ELb0ELb0ES3_PKfPffZZZN2at6native31launch_logcumsumexp_cuda_kernelERKNSB_10TensorBaseESF_lENKUlvE_clEvENKUlvE0_clEvEUlffE_fEEDaPvRmT3_T4_T5_mT6_P12ihipStream_tbENKUlT_T0_E_clISt17integral_constantIbLb1EESV_IbLb0EEEEDaSR_SS_EUlSR_E0_NS1_11comp_targetILNS1_3genE10ELNS1_11target_archE1201ELNS1_3gpuE5ELNS1_3repE0EEENS1_30default_config_static_selectorELNS0_4arch9wavefront6targetE1EEEvT1_,"axG",@progbits,_ZN7rocprim17ROCPRIM_400000_NS6detail17trampoline_kernelINS0_14default_configENS1_20scan_config_selectorIfEEZZNS1_9scan_implILNS1_25lookback_scan_determinismE0ELb0ELb0ES3_PKfPffZZZN2at6native31launch_logcumsumexp_cuda_kernelERKNSB_10TensorBaseESF_lENKUlvE_clEvENKUlvE0_clEvEUlffE_fEEDaPvRmT3_T4_T5_mT6_P12ihipStream_tbENKUlT_T0_E_clISt17integral_constantIbLb1EESV_IbLb0EEEEDaSR_SS_EUlSR_E0_NS1_11comp_targetILNS1_3genE10ELNS1_11target_archE1201ELNS1_3gpuE5ELNS1_3repE0EEENS1_30default_config_static_selectorELNS0_4arch9wavefront6targetE1EEEvT1_,comdat
.Lfunc_end148:
	.size	_ZN7rocprim17ROCPRIM_400000_NS6detail17trampoline_kernelINS0_14default_configENS1_20scan_config_selectorIfEEZZNS1_9scan_implILNS1_25lookback_scan_determinismE0ELb0ELb0ES3_PKfPffZZZN2at6native31launch_logcumsumexp_cuda_kernelERKNSB_10TensorBaseESF_lENKUlvE_clEvENKUlvE0_clEvEUlffE_fEEDaPvRmT3_T4_T5_mT6_P12ihipStream_tbENKUlT_T0_E_clISt17integral_constantIbLb1EESV_IbLb0EEEEDaSR_SS_EUlSR_E0_NS1_11comp_targetILNS1_3genE10ELNS1_11target_archE1201ELNS1_3gpuE5ELNS1_3repE0EEENS1_30default_config_static_selectorELNS0_4arch9wavefront6targetE1EEEvT1_, .Lfunc_end148-_ZN7rocprim17ROCPRIM_400000_NS6detail17trampoline_kernelINS0_14default_configENS1_20scan_config_selectorIfEEZZNS1_9scan_implILNS1_25lookback_scan_determinismE0ELb0ELb0ES3_PKfPffZZZN2at6native31launch_logcumsumexp_cuda_kernelERKNSB_10TensorBaseESF_lENKUlvE_clEvENKUlvE0_clEvEUlffE_fEEDaPvRmT3_T4_T5_mT6_P12ihipStream_tbENKUlT_T0_E_clISt17integral_constantIbLb1EESV_IbLb0EEEEDaSR_SS_EUlSR_E0_NS1_11comp_targetILNS1_3genE10ELNS1_11target_archE1201ELNS1_3gpuE5ELNS1_3repE0EEENS1_30default_config_static_selectorELNS0_4arch9wavefront6targetE1EEEvT1_
                                        ; -- End function
	.section	.AMDGPU.csdata,"",@progbits
; Kernel info:
; codeLenInByte = 0
; NumSgprs: 4
; NumVgprs: 0
; NumAgprs: 0
; TotalNumVgprs: 0
; ScratchSize: 0
; MemoryBound: 0
; FloatMode: 240
; IeeeMode: 1
; LDSByteSize: 0 bytes/workgroup (compile time only)
; SGPRBlocks: 0
; VGPRBlocks: 0
; NumSGPRsForWavesPerEU: 4
; NumVGPRsForWavesPerEU: 1
; AccumOffset: 4
; Occupancy: 8
; WaveLimiterHint : 0
; COMPUTE_PGM_RSRC2:SCRATCH_EN: 0
; COMPUTE_PGM_RSRC2:USER_SGPR: 6
; COMPUTE_PGM_RSRC2:TRAP_HANDLER: 0
; COMPUTE_PGM_RSRC2:TGID_X_EN: 1
; COMPUTE_PGM_RSRC2:TGID_Y_EN: 0
; COMPUTE_PGM_RSRC2:TGID_Z_EN: 0
; COMPUTE_PGM_RSRC2:TIDIG_COMP_CNT: 0
; COMPUTE_PGM_RSRC3_GFX90A:ACCUM_OFFSET: 0
; COMPUTE_PGM_RSRC3_GFX90A:TG_SPLIT: 0
	.section	.text._ZN7rocprim17ROCPRIM_400000_NS6detail17trampoline_kernelINS0_14default_configENS1_20scan_config_selectorIfEEZZNS1_9scan_implILNS1_25lookback_scan_determinismE0ELb0ELb0ES3_PKfPffZZZN2at6native31launch_logcumsumexp_cuda_kernelERKNSB_10TensorBaseESF_lENKUlvE_clEvENKUlvE0_clEvEUlffE_fEEDaPvRmT3_T4_T5_mT6_P12ihipStream_tbENKUlT_T0_E_clISt17integral_constantIbLb1EESV_IbLb0EEEEDaSR_SS_EUlSR_E0_NS1_11comp_targetILNS1_3genE10ELNS1_11target_archE1200ELNS1_3gpuE4ELNS1_3repE0EEENS1_30default_config_static_selectorELNS0_4arch9wavefront6targetE1EEEvT1_,"axG",@progbits,_ZN7rocprim17ROCPRIM_400000_NS6detail17trampoline_kernelINS0_14default_configENS1_20scan_config_selectorIfEEZZNS1_9scan_implILNS1_25lookback_scan_determinismE0ELb0ELb0ES3_PKfPffZZZN2at6native31launch_logcumsumexp_cuda_kernelERKNSB_10TensorBaseESF_lENKUlvE_clEvENKUlvE0_clEvEUlffE_fEEDaPvRmT3_T4_T5_mT6_P12ihipStream_tbENKUlT_T0_E_clISt17integral_constantIbLb1EESV_IbLb0EEEEDaSR_SS_EUlSR_E0_NS1_11comp_targetILNS1_3genE10ELNS1_11target_archE1200ELNS1_3gpuE4ELNS1_3repE0EEENS1_30default_config_static_selectorELNS0_4arch9wavefront6targetE1EEEvT1_,comdat
	.globl	_ZN7rocprim17ROCPRIM_400000_NS6detail17trampoline_kernelINS0_14default_configENS1_20scan_config_selectorIfEEZZNS1_9scan_implILNS1_25lookback_scan_determinismE0ELb0ELb0ES3_PKfPffZZZN2at6native31launch_logcumsumexp_cuda_kernelERKNSB_10TensorBaseESF_lENKUlvE_clEvENKUlvE0_clEvEUlffE_fEEDaPvRmT3_T4_T5_mT6_P12ihipStream_tbENKUlT_T0_E_clISt17integral_constantIbLb1EESV_IbLb0EEEEDaSR_SS_EUlSR_E0_NS1_11comp_targetILNS1_3genE10ELNS1_11target_archE1200ELNS1_3gpuE4ELNS1_3repE0EEENS1_30default_config_static_selectorELNS0_4arch9wavefront6targetE1EEEvT1_ ; -- Begin function _ZN7rocprim17ROCPRIM_400000_NS6detail17trampoline_kernelINS0_14default_configENS1_20scan_config_selectorIfEEZZNS1_9scan_implILNS1_25lookback_scan_determinismE0ELb0ELb0ES3_PKfPffZZZN2at6native31launch_logcumsumexp_cuda_kernelERKNSB_10TensorBaseESF_lENKUlvE_clEvENKUlvE0_clEvEUlffE_fEEDaPvRmT3_T4_T5_mT6_P12ihipStream_tbENKUlT_T0_E_clISt17integral_constantIbLb1EESV_IbLb0EEEEDaSR_SS_EUlSR_E0_NS1_11comp_targetILNS1_3genE10ELNS1_11target_archE1200ELNS1_3gpuE4ELNS1_3repE0EEENS1_30default_config_static_selectorELNS0_4arch9wavefront6targetE1EEEvT1_
	.p2align	8
	.type	_ZN7rocprim17ROCPRIM_400000_NS6detail17trampoline_kernelINS0_14default_configENS1_20scan_config_selectorIfEEZZNS1_9scan_implILNS1_25lookback_scan_determinismE0ELb0ELb0ES3_PKfPffZZZN2at6native31launch_logcumsumexp_cuda_kernelERKNSB_10TensorBaseESF_lENKUlvE_clEvENKUlvE0_clEvEUlffE_fEEDaPvRmT3_T4_T5_mT6_P12ihipStream_tbENKUlT_T0_E_clISt17integral_constantIbLb1EESV_IbLb0EEEEDaSR_SS_EUlSR_E0_NS1_11comp_targetILNS1_3genE10ELNS1_11target_archE1200ELNS1_3gpuE4ELNS1_3repE0EEENS1_30default_config_static_selectorELNS0_4arch9wavefront6targetE1EEEvT1_,@function
_ZN7rocprim17ROCPRIM_400000_NS6detail17trampoline_kernelINS0_14default_configENS1_20scan_config_selectorIfEEZZNS1_9scan_implILNS1_25lookback_scan_determinismE0ELb0ELb0ES3_PKfPffZZZN2at6native31launch_logcumsumexp_cuda_kernelERKNSB_10TensorBaseESF_lENKUlvE_clEvENKUlvE0_clEvEUlffE_fEEDaPvRmT3_T4_T5_mT6_P12ihipStream_tbENKUlT_T0_E_clISt17integral_constantIbLb1EESV_IbLb0EEEEDaSR_SS_EUlSR_E0_NS1_11comp_targetILNS1_3genE10ELNS1_11target_archE1200ELNS1_3gpuE4ELNS1_3repE0EEENS1_30default_config_static_selectorELNS0_4arch9wavefront6targetE1EEEvT1_: ; @_ZN7rocprim17ROCPRIM_400000_NS6detail17trampoline_kernelINS0_14default_configENS1_20scan_config_selectorIfEEZZNS1_9scan_implILNS1_25lookback_scan_determinismE0ELb0ELb0ES3_PKfPffZZZN2at6native31launch_logcumsumexp_cuda_kernelERKNSB_10TensorBaseESF_lENKUlvE_clEvENKUlvE0_clEvEUlffE_fEEDaPvRmT3_T4_T5_mT6_P12ihipStream_tbENKUlT_T0_E_clISt17integral_constantIbLb1EESV_IbLb0EEEEDaSR_SS_EUlSR_E0_NS1_11comp_targetILNS1_3genE10ELNS1_11target_archE1200ELNS1_3gpuE4ELNS1_3repE0EEENS1_30default_config_static_selectorELNS0_4arch9wavefront6targetE1EEEvT1_
; %bb.0:
	.section	.rodata,"a",@progbits
	.p2align	6, 0x0
	.amdhsa_kernel _ZN7rocprim17ROCPRIM_400000_NS6detail17trampoline_kernelINS0_14default_configENS1_20scan_config_selectorIfEEZZNS1_9scan_implILNS1_25lookback_scan_determinismE0ELb0ELb0ES3_PKfPffZZZN2at6native31launch_logcumsumexp_cuda_kernelERKNSB_10TensorBaseESF_lENKUlvE_clEvENKUlvE0_clEvEUlffE_fEEDaPvRmT3_T4_T5_mT6_P12ihipStream_tbENKUlT_T0_E_clISt17integral_constantIbLb1EESV_IbLb0EEEEDaSR_SS_EUlSR_E0_NS1_11comp_targetILNS1_3genE10ELNS1_11target_archE1200ELNS1_3gpuE4ELNS1_3repE0EEENS1_30default_config_static_selectorELNS0_4arch9wavefront6targetE1EEEvT1_
		.amdhsa_group_segment_fixed_size 0
		.amdhsa_private_segment_fixed_size 0
		.amdhsa_kernarg_size 32
		.amdhsa_user_sgpr_count 6
		.amdhsa_user_sgpr_private_segment_buffer 1
		.amdhsa_user_sgpr_dispatch_ptr 0
		.amdhsa_user_sgpr_queue_ptr 0
		.amdhsa_user_sgpr_kernarg_segment_ptr 1
		.amdhsa_user_sgpr_dispatch_id 0
		.amdhsa_user_sgpr_flat_scratch_init 0
		.amdhsa_user_sgpr_kernarg_preload_length 0
		.amdhsa_user_sgpr_kernarg_preload_offset 0
		.amdhsa_user_sgpr_private_segment_size 0
		.amdhsa_uses_dynamic_stack 0
		.amdhsa_system_sgpr_private_segment_wavefront_offset 0
		.amdhsa_system_sgpr_workgroup_id_x 1
		.amdhsa_system_sgpr_workgroup_id_y 0
		.amdhsa_system_sgpr_workgroup_id_z 0
		.amdhsa_system_sgpr_workgroup_info 0
		.amdhsa_system_vgpr_workitem_id 0
		.amdhsa_next_free_vgpr 1
		.amdhsa_next_free_sgpr 0
		.amdhsa_accum_offset 4
		.amdhsa_reserve_vcc 0
		.amdhsa_reserve_flat_scratch 0
		.amdhsa_float_round_mode_32 0
		.amdhsa_float_round_mode_16_64 0
		.amdhsa_float_denorm_mode_32 3
		.amdhsa_float_denorm_mode_16_64 3
		.amdhsa_dx10_clamp 1
		.amdhsa_ieee_mode 1
		.amdhsa_fp16_overflow 0
		.amdhsa_tg_split 0
		.amdhsa_exception_fp_ieee_invalid_op 0
		.amdhsa_exception_fp_denorm_src 0
		.amdhsa_exception_fp_ieee_div_zero 0
		.amdhsa_exception_fp_ieee_overflow 0
		.amdhsa_exception_fp_ieee_underflow 0
		.amdhsa_exception_fp_ieee_inexact 0
		.amdhsa_exception_int_div_zero 0
	.end_amdhsa_kernel
	.section	.text._ZN7rocprim17ROCPRIM_400000_NS6detail17trampoline_kernelINS0_14default_configENS1_20scan_config_selectorIfEEZZNS1_9scan_implILNS1_25lookback_scan_determinismE0ELb0ELb0ES3_PKfPffZZZN2at6native31launch_logcumsumexp_cuda_kernelERKNSB_10TensorBaseESF_lENKUlvE_clEvENKUlvE0_clEvEUlffE_fEEDaPvRmT3_T4_T5_mT6_P12ihipStream_tbENKUlT_T0_E_clISt17integral_constantIbLb1EESV_IbLb0EEEEDaSR_SS_EUlSR_E0_NS1_11comp_targetILNS1_3genE10ELNS1_11target_archE1200ELNS1_3gpuE4ELNS1_3repE0EEENS1_30default_config_static_selectorELNS0_4arch9wavefront6targetE1EEEvT1_,"axG",@progbits,_ZN7rocprim17ROCPRIM_400000_NS6detail17trampoline_kernelINS0_14default_configENS1_20scan_config_selectorIfEEZZNS1_9scan_implILNS1_25lookback_scan_determinismE0ELb0ELb0ES3_PKfPffZZZN2at6native31launch_logcumsumexp_cuda_kernelERKNSB_10TensorBaseESF_lENKUlvE_clEvENKUlvE0_clEvEUlffE_fEEDaPvRmT3_T4_T5_mT6_P12ihipStream_tbENKUlT_T0_E_clISt17integral_constantIbLb1EESV_IbLb0EEEEDaSR_SS_EUlSR_E0_NS1_11comp_targetILNS1_3genE10ELNS1_11target_archE1200ELNS1_3gpuE4ELNS1_3repE0EEENS1_30default_config_static_selectorELNS0_4arch9wavefront6targetE1EEEvT1_,comdat
.Lfunc_end149:
	.size	_ZN7rocprim17ROCPRIM_400000_NS6detail17trampoline_kernelINS0_14default_configENS1_20scan_config_selectorIfEEZZNS1_9scan_implILNS1_25lookback_scan_determinismE0ELb0ELb0ES3_PKfPffZZZN2at6native31launch_logcumsumexp_cuda_kernelERKNSB_10TensorBaseESF_lENKUlvE_clEvENKUlvE0_clEvEUlffE_fEEDaPvRmT3_T4_T5_mT6_P12ihipStream_tbENKUlT_T0_E_clISt17integral_constantIbLb1EESV_IbLb0EEEEDaSR_SS_EUlSR_E0_NS1_11comp_targetILNS1_3genE10ELNS1_11target_archE1200ELNS1_3gpuE4ELNS1_3repE0EEENS1_30default_config_static_selectorELNS0_4arch9wavefront6targetE1EEEvT1_, .Lfunc_end149-_ZN7rocprim17ROCPRIM_400000_NS6detail17trampoline_kernelINS0_14default_configENS1_20scan_config_selectorIfEEZZNS1_9scan_implILNS1_25lookback_scan_determinismE0ELb0ELb0ES3_PKfPffZZZN2at6native31launch_logcumsumexp_cuda_kernelERKNSB_10TensorBaseESF_lENKUlvE_clEvENKUlvE0_clEvEUlffE_fEEDaPvRmT3_T4_T5_mT6_P12ihipStream_tbENKUlT_T0_E_clISt17integral_constantIbLb1EESV_IbLb0EEEEDaSR_SS_EUlSR_E0_NS1_11comp_targetILNS1_3genE10ELNS1_11target_archE1200ELNS1_3gpuE4ELNS1_3repE0EEENS1_30default_config_static_selectorELNS0_4arch9wavefront6targetE1EEEvT1_
                                        ; -- End function
	.section	.AMDGPU.csdata,"",@progbits
; Kernel info:
; codeLenInByte = 0
; NumSgprs: 4
; NumVgprs: 0
; NumAgprs: 0
; TotalNumVgprs: 0
; ScratchSize: 0
; MemoryBound: 0
; FloatMode: 240
; IeeeMode: 1
; LDSByteSize: 0 bytes/workgroup (compile time only)
; SGPRBlocks: 0
; VGPRBlocks: 0
; NumSGPRsForWavesPerEU: 4
; NumVGPRsForWavesPerEU: 1
; AccumOffset: 4
; Occupancy: 8
; WaveLimiterHint : 0
; COMPUTE_PGM_RSRC2:SCRATCH_EN: 0
; COMPUTE_PGM_RSRC2:USER_SGPR: 6
; COMPUTE_PGM_RSRC2:TRAP_HANDLER: 0
; COMPUTE_PGM_RSRC2:TGID_X_EN: 1
; COMPUTE_PGM_RSRC2:TGID_Y_EN: 0
; COMPUTE_PGM_RSRC2:TGID_Z_EN: 0
; COMPUTE_PGM_RSRC2:TIDIG_COMP_CNT: 0
; COMPUTE_PGM_RSRC3_GFX90A:ACCUM_OFFSET: 0
; COMPUTE_PGM_RSRC3_GFX90A:TG_SPLIT: 0
	.section	.text._ZN7rocprim17ROCPRIM_400000_NS6detail17trampoline_kernelINS0_14default_configENS1_20scan_config_selectorIfEEZZNS1_9scan_implILNS1_25lookback_scan_determinismE0ELb0ELb0ES3_PKfPffZZZN2at6native31launch_logcumsumexp_cuda_kernelERKNSB_10TensorBaseESF_lENKUlvE_clEvENKUlvE0_clEvEUlffE_fEEDaPvRmT3_T4_T5_mT6_P12ihipStream_tbENKUlT_T0_E_clISt17integral_constantIbLb1EESV_IbLb0EEEEDaSR_SS_EUlSR_E0_NS1_11comp_targetILNS1_3genE9ELNS1_11target_archE1100ELNS1_3gpuE3ELNS1_3repE0EEENS1_30default_config_static_selectorELNS0_4arch9wavefront6targetE1EEEvT1_,"axG",@progbits,_ZN7rocprim17ROCPRIM_400000_NS6detail17trampoline_kernelINS0_14default_configENS1_20scan_config_selectorIfEEZZNS1_9scan_implILNS1_25lookback_scan_determinismE0ELb0ELb0ES3_PKfPffZZZN2at6native31launch_logcumsumexp_cuda_kernelERKNSB_10TensorBaseESF_lENKUlvE_clEvENKUlvE0_clEvEUlffE_fEEDaPvRmT3_T4_T5_mT6_P12ihipStream_tbENKUlT_T0_E_clISt17integral_constantIbLb1EESV_IbLb0EEEEDaSR_SS_EUlSR_E0_NS1_11comp_targetILNS1_3genE9ELNS1_11target_archE1100ELNS1_3gpuE3ELNS1_3repE0EEENS1_30default_config_static_selectorELNS0_4arch9wavefront6targetE1EEEvT1_,comdat
	.globl	_ZN7rocprim17ROCPRIM_400000_NS6detail17trampoline_kernelINS0_14default_configENS1_20scan_config_selectorIfEEZZNS1_9scan_implILNS1_25lookback_scan_determinismE0ELb0ELb0ES3_PKfPffZZZN2at6native31launch_logcumsumexp_cuda_kernelERKNSB_10TensorBaseESF_lENKUlvE_clEvENKUlvE0_clEvEUlffE_fEEDaPvRmT3_T4_T5_mT6_P12ihipStream_tbENKUlT_T0_E_clISt17integral_constantIbLb1EESV_IbLb0EEEEDaSR_SS_EUlSR_E0_NS1_11comp_targetILNS1_3genE9ELNS1_11target_archE1100ELNS1_3gpuE3ELNS1_3repE0EEENS1_30default_config_static_selectorELNS0_4arch9wavefront6targetE1EEEvT1_ ; -- Begin function _ZN7rocprim17ROCPRIM_400000_NS6detail17trampoline_kernelINS0_14default_configENS1_20scan_config_selectorIfEEZZNS1_9scan_implILNS1_25lookback_scan_determinismE0ELb0ELb0ES3_PKfPffZZZN2at6native31launch_logcumsumexp_cuda_kernelERKNSB_10TensorBaseESF_lENKUlvE_clEvENKUlvE0_clEvEUlffE_fEEDaPvRmT3_T4_T5_mT6_P12ihipStream_tbENKUlT_T0_E_clISt17integral_constantIbLb1EESV_IbLb0EEEEDaSR_SS_EUlSR_E0_NS1_11comp_targetILNS1_3genE9ELNS1_11target_archE1100ELNS1_3gpuE3ELNS1_3repE0EEENS1_30default_config_static_selectorELNS0_4arch9wavefront6targetE1EEEvT1_
	.p2align	8
	.type	_ZN7rocprim17ROCPRIM_400000_NS6detail17trampoline_kernelINS0_14default_configENS1_20scan_config_selectorIfEEZZNS1_9scan_implILNS1_25lookback_scan_determinismE0ELb0ELb0ES3_PKfPffZZZN2at6native31launch_logcumsumexp_cuda_kernelERKNSB_10TensorBaseESF_lENKUlvE_clEvENKUlvE0_clEvEUlffE_fEEDaPvRmT3_T4_T5_mT6_P12ihipStream_tbENKUlT_T0_E_clISt17integral_constantIbLb1EESV_IbLb0EEEEDaSR_SS_EUlSR_E0_NS1_11comp_targetILNS1_3genE9ELNS1_11target_archE1100ELNS1_3gpuE3ELNS1_3repE0EEENS1_30default_config_static_selectorELNS0_4arch9wavefront6targetE1EEEvT1_,@function
_ZN7rocprim17ROCPRIM_400000_NS6detail17trampoline_kernelINS0_14default_configENS1_20scan_config_selectorIfEEZZNS1_9scan_implILNS1_25lookback_scan_determinismE0ELb0ELb0ES3_PKfPffZZZN2at6native31launch_logcumsumexp_cuda_kernelERKNSB_10TensorBaseESF_lENKUlvE_clEvENKUlvE0_clEvEUlffE_fEEDaPvRmT3_T4_T5_mT6_P12ihipStream_tbENKUlT_T0_E_clISt17integral_constantIbLb1EESV_IbLb0EEEEDaSR_SS_EUlSR_E0_NS1_11comp_targetILNS1_3genE9ELNS1_11target_archE1100ELNS1_3gpuE3ELNS1_3repE0EEENS1_30default_config_static_selectorELNS0_4arch9wavefront6targetE1EEEvT1_: ; @_ZN7rocprim17ROCPRIM_400000_NS6detail17trampoline_kernelINS0_14default_configENS1_20scan_config_selectorIfEEZZNS1_9scan_implILNS1_25lookback_scan_determinismE0ELb0ELb0ES3_PKfPffZZZN2at6native31launch_logcumsumexp_cuda_kernelERKNSB_10TensorBaseESF_lENKUlvE_clEvENKUlvE0_clEvEUlffE_fEEDaPvRmT3_T4_T5_mT6_P12ihipStream_tbENKUlT_T0_E_clISt17integral_constantIbLb1EESV_IbLb0EEEEDaSR_SS_EUlSR_E0_NS1_11comp_targetILNS1_3genE9ELNS1_11target_archE1100ELNS1_3gpuE3ELNS1_3repE0EEENS1_30default_config_static_selectorELNS0_4arch9wavefront6targetE1EEEvT1_
; %bb.0:
	.section	.rodata,"a",@progbits
	.p2align	6, 0x0
	.amdhsa_kernel _ZN7rocprim17ROCPRIM_400000_NS6detail17trampoline_kernelINS0_14default_configENS1_20scan_config_selectorIfEEZZNS1_9scan_implILNS1_25lookback_scan_determinismE0ELb0ELb0ES3_PKfPffZZZN2at6native31launch_logcumsumexp_cuda_kernelERKNSB_10TensorBaseESF_lENKUlvE_clEvENKUlvE0_clEvEUlffE_fEEDaPvRmT3_T4_T5_mT6_P12ihipStream_tbENKUlT_T0_E_clISt17integral_constantIbLb1EESV_IbLb0EEEEDaSR_SS_EUlSR_E0_NS1_11comp_targetILNS1_3genE9ELNS1_11target_archE1100ELNS1_3gpuE3ELNS1_3repE0EEENS1_30default_config_static_selectorELNS0_4arch9wavefront6targetE1EEEvT1_
		.amdhsa_group_segment_fixed_size 0
		.amdhsa_private_segment_fixed_size 0
		.amdhsa_kernarg_size 32
		.amdhsa_user_sgpr_count 6
		.amdhsa_user_sgpr_private_segment_buffer 1
		.amdhsa_user_sgpr_dispatch_ptr 0
		.amdhsa_user_sgpr_queue_ptr 0
		.amdhsa_user_sgpr_kernarg_segment_ptr 1
		.amdhsa_user_sgpr_dispatch_id 0
		.amdhsa_user_sgpr_flat_scratch_init 0
		.amdhsa_user_sgpr_kernarg_preload_length 0
		.amdhsa_user_sgpr_kernarg_preload_offset 0
		.amdhsa_user_sgpr_private_segment_size 0
		.amdhsa_uses_dynamic_stack 0
		.amdhsa_system_sgpr_private_segment_wavefront_offset 0
		.amdhsa_system_sgpr_workgroup_id_x 1
		.amdhsa_system_sgpr_workgroup_id_y 0
		.amdhsa_system_sgpr_workgroup_id_z 0
		.amdhsa_system_sgpr_workgroup_info 0
		.amdhsa_system_vgpr_workitem_id 0
		.amdhsa_next_free_vgpr 1
		.amdhsa_next_free_sgpr 0
		.amdhsa_accum_offset 4
		.amdhsa_reserve_vcc 0
		.amdhsa_reserve_flat_scratch 0
		.amdhsa_float_round_mode_32 0
		.amdhsa_float_round_mode_16_64 0
		.amdhsa_float_denorm_mode_32 3
		.amdhsa_float_denorm_mode_16_64 3
		.amdhsa_dx10_clamp 1
		.amdhsa_ieee_mode 1
		.amdhsa_fp16_overflow 0
		.amdhsa_tg_split 0
		.amdhsa_exception_fp_ieee_invalid_op 0
		.amdhsa_exception_fp_denorm_src 0
		.amdhsa_exception_fp_ieee_div_zero 0
		.amdhsa_exception_fp_ieee_overflow 0
		.amdhsa_exception_fp_ieee_underflow 0
		.amdhsa_exception_fp_ieee_inexact 0
		.amdhsa_exception_int_div_zero 0
	.end_amdhsa_kernel
	.section	.text._ZN7rocprim17ROCPRIM_400000_NS6detail17trampoline_kernelINS0_14default_configENS1_20scan_config_selectorIfEEZZNS1_9scan_implILNS1_25lookback_scan_determinismE0ELb0ELb0ES3_PKfPffZZZN2at6native31launch_logcumsumexp_cuda_kernelERKNSB_10TensorBaseESF_lENKUlvE_clEvENKUlvE0_clEvEUlffE_fEEDaPvRmT3_T4_T5_mT6_P12ihipStream_tbENKUlT_T0_E_clISt17integral_constantIbLb1EESV_IbLb0EEEEDaSR_SS_EUlSR_E0_NS1_11comp_targetILNS1_3genE9ELNS1_11target_archE1100ELNS1_3gpuE3ELNS1_3repE0EEENS1_30default_config_static_selectorELNS0_4arch9wavefront6targetE1EEEvT1_,"axG",@progbits,_ZN7rocprim17ROCPRIM_400000_NS6detail17trampoline_kernelINS0_14default_configENS1_20scan_config_selectorIfEEZZNS1_9scan_implILNS1_25lookback_scan_determinismE0ELb0ELb0ES3_PKfPffZZZN2at6native31launch_logcumsumexp_cuda_kernelERKNSB_10TensorBaseESF_lENKUlvE_clEvENKUlvE0_clEvEUlffE_fEEDaPvRmT3_T4_T5_mT6_P12ihipStream_tbENKUlT_T0_E_clISt17integral_constantIbLb1EESV_IbLb0EEEEDaSR_SS_EUlSR_E0_NS1_11comp_targetILNS1_3genE9ELNS1_11target_archE1100ELNS1_3gpuE3ELNS1_3repE0EEENS1_30default_config_static_selectorELNS0_4arch9wavefront6targetE1EEEvT1_,comdat
.Lfunc_end150:
	.size	_ZN7rocprim17ROCPRIM_400000_NS6detail17trampoline_kernelINS0_14default_configENS1_20scan_config_selectorIfEEZZNS1_9scan_implILNS1_25lookback_scan_determinismE0ELb0ELb0ES3_PKfPffZZZN2at6native31launch_logcumsumexp_cuda_kernelERKNSB_10TensorBaseESF_lENKUlvE_clEvENKUlvE0_clEvEUlffE_fEEDaPvRmT3_T4_T5_mT6_P12ihipStream_tbENKUlT_T0_E_clISt17integral_constantIbLb1EESV_IbLb0EEEEDaSR_SS_EUlSR_E0_NS1_11comp_targetILNS1_3genE9ELNS1_11target_archE1100ELNS1_3gpuE3ELNS1_3repE0EEENS1_30default_config_static_selectorELNS0_4arch9wavefront6targetE1EEEvT1_, .Lfunc_end150-_ZN7rocprim17ROCPRIM_400000_NS6detail17trampoline_kernelINS0_14default_configENS1_20scan_config_selectorIfEEZZNS1_9scan_implILNS1_25lookback_scan_determinismE0ELb0ELb0ES3_PKfPffZZZN2at6native31launch_logcumsumexp_cuda_kernelERKNSB_10TensorBaseESF_lENKUlvE_clEvENKUlvE0_clEvEUlffE_fEEDaPvRmT3_T4_T5_mT6_P12ihipStream_tbENKUlT_T0_E_clISt17integral_constantIbLb1EESV_IbLb0EEEEDaSR_SS_EUlSR_E0_NS1_11comp_targetILNS1_3genE9ELNS1_11target_archE1100ELNS1_3gpuE3ELNS1_3repE0EEENS1_30default_config_static_selectorELNS0_4arch9wavefront6targetE1EEEvT1_
                                        ; -- End function
	.section	.AMDGPU.csdata,"",@progbits
; Kernel info:
; codeLenInByte = 0
; NumSgprs: 4
; NumVgprs: 0
; NumAgprs: 0
; TotalNumVgprs: 0
; ScratchSize: 0
; MemoryBound: 0
; FloatMode: 240
; IeeeMode: 1
; LDSByteSize: 0 bytes/workgroup (compile time only)
; SGPRBlocks: 0
; VGPRBlocks: 0
; NumSGPRsForWavesPerEU: 4
; NumVGPRsForWavesPerEU: 1
; AccumOffset: 4
; Occupancy: 8
; WaveLimiterHint : 0
; COMPUTE_PGM_RSRC2:SCRATCH_EN: 0
; COMPUTE_PGM_RSRC2:USER_SGPR: 6
; COMPUTE_PGM_RSRC2:TRAP_HANDLER: 0
; COMPUTE_PGM_RSRC2:TGID_X_EN: 1
; COMPUTE_PGM_RSRC2:TGID_Y_EN: 0
; COMPUTE_PGM_RSRC2:TGID_Z_EN: 0
; COMPUTE_PGM_RSRC2:TIDIG_COMP_CNT: 0
; COMPUTE_PGM_RSRC3_GFX90A:ACCUM_OFFSET: 0
; COMPUTE_PGM_RSRC3_GFX90A:TG_SPLIT: 0
	.section	.text._ZN7rocprim17ROCPRIM_400000_NS6detail17trampoline_kernelINS0_14default_configENS1_20scan_config_selectorIfEEZZNS1_9scan_implILNS1_25lookback_scan_determinismE0ELb0ELb0ES3_PKfPffZZZN2at6native31launch_logcumsumexp_cuda_kernelERKNSB_10TensorBaseESF_lENKUlvE_clEvENKUlvE0_clEvEUlffE_fEEDaPvRmT3_T4_T5_mT6_P12ihipStream_tbENKUlT_T0_E_clISt17integral_constantIbLb1EESV_IbLb0EEEEDaSR_SS_EUlSR_E0_NS1_11comp_targetILNS1_3genE8ELNS1_11target_archE1030ELNS1_3gpuE2ELNS1_3repE0EEENS1_30default_config_static_selectorELNS0_4arch9wavefront6targetE1EEEvT1_,"axG",@progbits,_ZN7rocprim17ROCPRIM_400000_NS6detail17trampoline_kernelINS0_14default_configENS1_20scan_config_selectorIfEEZZNS1_9scan_implILNS1_25lookback_scan_determinismE0ELb0ELb0ES3_PKfPffZZZN2at6native31launch_logcumsumexp_cuda_kernelERKNSB_10TensorBaseESF_lENKUlvE_clEvENKUlvE0_clEvEUlffE_fEEDaPvRmT3_T4_T5_mT6_P12ihipStream_tbENKUlT_T0_E_clISt17integral_constantIbLb1EESV_IbLb0EEEEDaSR_SS_EUlSR_E0_NS1_11comp_targetILNS1_3genE8ELNS1_11target_archE1030ELNS1_3gpuE2ELNS1_3repE0EEENS1_30default_config_static_selectorELNS0_4arch9wavefront6targetE1EEEvT1_,comdat
	.globl	_ZN7rocprim17ROCPRIM_400000_NS6detail17trampoline_kernelINS0_14default_configENS1_20scan_config_selectorIfEEZZNS1_9scan_implILNS1_25lookback_scan_determinismE0ELb0ELb0ES3_PKfPffZZZN2at6native31launch_logcumsumexp_cuda_kernelERKNSB_10TensorBaseESF_lENKUlvE_clEvENKUlvE0_clEvEUlffE_fEEDaPvRmT3_T4_T5_mT6_P12ihipStream_tbENKUlT_T0_E_clISt17integral_constantIbLb1EESV_IbLb0EEEEDaSR_SS_EUlSR_E0_NS1_11comp_targetILNS1_3genE8ELNS1_11target_archE1030ELNS1_3gpuE2ELNS1_3repE0EEENS1_30default_config_static_selectorELNS0_4arch9wavefront6targetE1EEEvT1_ ; -- Begin function _ZN7rocprim17ROCPRIM_400000_NS6detail17trampoline_kernelINS0_14default_configENS1_20scan_config_selectorIfEEZZNS1_9scan_implILNS1_25lookback_scan_determinismE0ELb0ELb0ES3_PKfPffZZZN2at6native31launch_logcumsumexp_cuda_kernelERKNSB_10TensorBaseESF_lENKUlvE_clEvENKUlvE0_clEvEUlffE_fEEDaPvRmT3_T4_T5_mT6_P12ihipStream_tbENKUlT_T0_E_clISt17integral_constantIbLb1EESV_IbLb0EEEEDaSR_SS_EUlSR_E0_NS1_11comp_targetILNS1_3genE8ELNS1_11target_archE1030ELNS1_3gpuE2ELNS1_3repE0EEENS1_30default_config_static_selectorELNS0_4arch9wavefront6targetE1EEEvT1_
	.p2align	8
	.type	_ZN7rocprim17ROCPRIM_400000_NS6detail17trampoline_kernelINS0_14default_configENS1_20scan_config_selectorIfEEZZNS1_9scan_implILNS1_25lookback_scan_determinismE0ELb0ELb0ES3_PKfPffZZZN2at6native31launch_logcumsumexp_cuda_kernelERKNSB_10TensorBaseESF_lENKUlvE_clEvENKUlvE0_clEvEUlffE_fEEDaPvRmT3_T4_T5_mT6_P12ihipStream_tbENKUlT_T0_E_clISt17integral_constantIbLb1EESV_IbLb0EEEEDaSR_SS_EUlSR_E0_NS1_11comp_targetILNS1_3genE8ELNS1_11target_archE1030ELNS1_3gpuE2ELNS1_3repE0EEENS1_30default_config_static_selectorELNS0_4arch9wavefront6targetE1EEEvT1_,@function
_ZN7rocprim17ROCPRIM_400000_NS6detail17trampoline_kernelINS0_14default_configENS1_20scan_config_selectorIfEEZZNS1_9scan_implILNS1_25lookback_scan_determinismE0ELb0ELb0ES3_PKfPffZZZN2at6native31launch_logcumsumexp_cuda_kernelERKNSB_10TensorBaseESF_lENKUlvE_clEvENKUlvE0_clEvEUlffE_fEEDaPvRmT3_T4_T5_mT6_P12ihipStream_tbENKUlT_T0_E_clISt17integral_constantIbLb1EESV_IbLb0EEEEDaSR_SS_EUlSR_E0_NS1_11comp_targetILNS1_3genE8ELNS1_11target_archE1030ELNS1_3gpuE2ELNS1_3repE0EEENS1_30default_config_static_selectorELNS0_4arch9wavefront6targetE1EEEvT1_: ; @_ZN7rocprim17ROCPRIM_400000_NS6detail17trampoline_kernelINS0_14default_configENS1_20scan_config_selectorIfEEZZNS1_9scan_implILNS1_25lookback_scan_determinismE0ELb0ELb0ES3_PKfPffZZZN2at6native31launch_logcumsumexp_cuda_kernelERKNSB_10TensorBaseESF_lENKUlvE_clEvENKUlvE0_clEvEUlffE_fEEDaPvRmT3_T4_T5_mT6_P12ihipStream_tbENKUlT_T0_E_clISt17integral_constantIbLb1EESV_IbLb0EEEEDaSR_SS_EUlSR_E0_NS1_11comp_targetILNS1_3genE8ELNS1_11target_archE1030ELNS1_3gpuE2ELNS1_3repE0EEENS1_30default_config_static_selectorELNS0_4arch9wavefront6targetE1EEEvT1_
; %bb.0:
	.section	.rodata,"a",@progbits
	.p2align	6, 0x0
	.amdhsa_kernel _ZN7rocprim17ROCPRIM_400000_NS6detail17trampoline_kernelINS0_14default_configENS1_20scan_config_selectorIfEEZZNS1_9scan_implILNS1_25lookback_scan_determinismE0ELb0ELb0ES3_PKfPffZZZN2at6native31launch_logcumsumexp_cuda_kernelERKNSB_10TensorBaseESF_lENKUlvE_clEvENKUlvE0_clEvEUlffE_fEEDaPvRmT3_T4_T5_mT6_P12ihipStream_tbENKUlT_T0_E_clISt17integral_constantIbLb1EESV_IbLb0EEEEDaSR_SS_EUlSR_E0_NS1_11comp_targetILNS1_3genE8ELNS1_11target_archE1030ELNS1_3gpuE2ELNS1_3repE0EEENS1_30default_config_static_selectorELNS0_4arch9wavefront6targetE1EEEvT1_
		.amdhsa_group_segment_fixed_size 0
		.amdhsa_private_segment_fixed_size 0
		.amdhsa_kernarg_size 32
		.amdhsa_user_sgpr_count 6
		.amdhsa_user_sgpr_private_segment_buffer 1
		.amdhsa_user_sgpr_dispatch_ptr 0
		.amdhsa_user_sgpr_queue_ptr 0
		.amdhsa_user_sgpr_kernarg_segment_ptr 1
		.amdhsa_user_sgpr_dispatch_id 0
		.amdhsa_user_sgpr_flat_scratch_init 0
		.amdhsa_user_sgpr_kernarg_preload_length 0
		.amdhsa_user_sgpr_kernarg_preload_offset 0
		.amdhsa_user_sgpr_private_segment_size 0
		.amdhsa_uses_dynamic_stack 0
		.amdhsa_system_sgpr_private_segment_wavefront_offset 0
		.amdhsa_system_sgpr_workgroup_id_x 1
		.amdhsa_system_sgpr_workgroup_id_y 0
		.amdhsa_system_sgpr_workgroup_id_z 0
		.amdhsa_system_sgpr_workgroup_info 0
		.amdhsa_system_vgpr_workitem_id 0
		.amdhsa_next_free_vgpr 1
		.amdhsa_next_free_sgpr 0
		.amdhsa_accum_offset 4
		.amdhsa_reserve_vcc 0
		.amdhsa_reserve_flat_scratch 0
		.amdhsa_float_round_mode_32 0
		.amdhsa_float_round_mode_16_64 0
		.amdhsa_float_denorm_mode_32 3
		.amdhsa_float_denorm_mode_16_64 3
		.amdhsa_dx10_clamp 1
		.amdhsa_ieee_mode 1
		.amdhsa_fp16_overflow 0
		.amdhsa_tg_split 0
		.amdhsa_exception_fp_ieee_invalid_op 0
		.amdhsa_exception_fp_denorm_src 0
		.amdhsa_exception_fp_ieee_div_zero 0
		.amdhsa_exception_fp_ieee_overflow 0
		.amdhsa_exception_fp_ieee_underflow 0
		.amdhsa_exception_fp_ieee_inexact 0
		.amdhsa_exception_int_div_zero 0
	.end_amdhsa_kernel
	.section	.text._ZN7rocprim17ROCPRIM_400000_NS6detail17trampoline_kernelINS0_14default_configENS1_20scan_config_selectorIfEEZZNS1_9scan_implILNS1_25lookback_scan_determinismE0ELb0ELb0ES3_PKfPffZZZN2at6native31launch_logcumsumexp_cuda_kernelERKNSB_10TensorBaseESF_lENKUlvE_clEvENKUlvE0_clEvEUlffE_fEEDaPvRmT3_T4_T5_mT6_P12ihipStream_tbENKUlT_T0_E_clISt17integral_constantIbLb1EESV_IbLb0EEEEDaSR_SS_EUlSR_E0_NS1_11comp_targetILNS1_3genE8ELNS1_11target_archE1030ELNS1_3gpuE2ELNS1_3repE0EEENS1_30default_config_static_selectorELNS0_4arch9wavefront6targetE1EEEvT1_,"axG",@progbits,_ZN7rocprim17ROCPRIM_400000_NS6detail17trampoline_kernelINS0_14default_configENS1_20scan_config_selectorIfEEZZNS1_9scan_implILNS1_25lookback_scan_determinismE0ELb0ELb0ES3_PKfPffZZZN2at6native31launch_logcumsumexp_cuda_kernelERKNSB_10TensorBaseESF_lENKUlvE_clEvENKUlvE0_clEvEUlffE_fEEDaPvRmT3_T4_T5_mT6_P12ihipStream_tbENKUlT_T0_E_clISt17integral_constantIbLb1EESV_IbLb0EEEEDaSR_SS_EUlSR_E0_NS1_11comp_targetILNS1_3genE8ELNS1_11target_archE1030ELNS1_3gpuE2ELNS1_3repE0EEENS1_30default_config_static_selectorELNS0_4arch9wavefront6targetE1EEEvT1_,comdat
.Lfunc_end151:
	.size	_ZN7rocprim17ROCPRIM_400000_NS6detail17trampoline_kernelINS0_14default_configENS1_20scan_config_selectorIfEEZZNS1_9scan_implILNS1_25lookback_scan_determinismE0ELb0ELb0ES3_PKfPffZZZN2at6native31launch_logcumsumexp_cuda_kernelERKNSB_10TensorBaseESF_lENKUlvE_clEvENKUlvE0_clEvEUlffE_fEEDaPvRmT3_T4_T5_mT6_P12ihipStream_tbENKUlT_T0_E_clISt17integral_constantIbLb1EESV_IbLb0EEEEDaSR_SS_EUlSR_E0_NS1_11comp_targetILNS1_3genE8ELNS1_11target_archE1030ELNS1_3gpuE2ELNS1_3repE0EEENS1_30default_config_static_selectorELNS0_4arch9wavefront6targetE1EEEvT1_, .Lfunc_end151-_ZN7rocprim17ROCPRIM_400000_NS6detail17trampoline_kernelINS0_14default_configENS1_20scan_config_selectorIfEEZZNS1_9scan_implILNS1_25lookback_scan_determinismE0ELb0ELb0ES3_PKfPffZZZN2at6native31launch_logcumsumexp_cuda_kernelERKNSB_10TensorBaseESF_lENKUlvE_clEvENKUlvE0_clEvEUlffE_fEEDaPvRmT3_T4_T5_mT6_P12ihipStream_tbENKUlT_T0_E_clISt17integral_constantIbLb1EESV_IbLb0EEEEDaSR_SS_EUlSR_E0_NS1_11comp_targetILNS1_3genE8ELNS1_11target_archE1030ELNS1_3gpuE2ELNS1_3repE0EEENS1_30default_config_static_selectorELNS0_4arch9wavefront6targetE1EEEvT1_
                                        ; -- End function
	.section	.AMDGPU.csdata,"",@progbits
; Kernel info:
; codeLenInByte = 0
; NumSgprs: 4
; NumVgprs: 0
; NumAgprs: 0
; TotalNumVgprs: 0
; ScratchSize: 0
; MemoryBound: 0
; FloatMode: 240
; IeeeMode: 1
; LDSByteSize: 0 bytes/workgroup (compile time only)
; SGPRBlocks: 0
; VGPRBlocks: 0
; NumSGPRsForWavesPerEU: 4
; NumVGPRsForWavesPerEU: 1
; AccumOffset: 4
; Occupancy: 8
; WaveLimiterHint : 0
; COMPUTE_PGM_RSRC2:SCRATCH_EN: 0
; COMPUTE_PGM_RSRC2:USER_SGPR: 6
; COMPUTE_PGM_RSRC2:TRAP_HANDLER: 0
; COMPUTE_PGM_RSRC2:TGID_X_EN: 1
; COMPUTE_PGM_RSRC2:TGID_Y_EN: 0
; COMPUTE_PGM_RSRC2:TGID_Z_EN: 0
; COMPUTE_PGM_RSRC2:TIDIG_COMP_CNT: 0
; COMPUTE_PGM_RSRC3_GFX90A:ACCUM_OFFSET: 0
; COMPUTE_PGM_RSRC3_GFX90A:TG_SPLIT: 0
	.section	.text._ZN7rocprim17ROCPRIM_400000_NS6detail31init_lookback_scan_state_kernelINS1_19lookback_scan_stateIfLb0ELb1EEENS1_16block_id_wrapperIjLb1EEEEEvT_jT0_jPNS7_10value_typeE,"axG",@progbits,_ZN7rocprim17ROCPRIM_400000_NS6detail31init_lookback_scan_state_kernelINS1_19lookback_scan_stateIfLb0ELb1EEENS1_16block_id_wrapperIjLb1EEEEEvT_jT0_jPNS7_10value_typeE,comdat
	.protected	_ZN7rocprim17ROCPRIM_400000_NS6detail31init_lookback_scan_state_kernelINS1_19lookback_scan_stateIfLb0ELb1EEENS1_16block_id_wrapperIjLb1EEEEEvT_jT0_jPNS7_10value_typeE ; -- Begin function _ZN7rocprim17ROCPRIM_400000_NS6detail31init_lookback_scan_state_kernelINS1_19lookback_scan_stateIfLb0ELb1EEENS1_16block_id_wrapperIjLb1EEEEEvT_jT0_jPNS7_10value_typeE
	.globl	_ZN7rocprim17ROCPRIM_400000_NS6detail31init_lookback_scan_state_kernelINS1_19lookback_scan_stateIfLb0ELb1EEENS1_16block_id_wrapperIjLb1EEEEEvT_jT0_jPNS7_10value_typeE
	.p2align	8
	.type	_ZN7rocprim17ROCPRIM_400000_NS6detail31init_lookback_scan_state_kernelINS1_19lookback_scan_stateIfLb0ELb1EEENS1_16block_id_wrapperIjLb1EEEEEvT_jT0_jPNS7_10value_typeE,@function
_ZN7rocprim17ROCPRIM_400000_NS6detail31init_lookback_scan_state_kernelINS1_19lookback_scan_stateIfLb0ELb1EEENS1_16block_id_wrapperIjLb1EEEEEvT_jT0_jPNS7_10value_typeE: ; @_ZN7rocprim17ROCPRIM_400000_NS6detail31init_lookback_scan_state_kernelINS1_19lookback_scan_stateIfLb0ELb1EEENS1_16block_id_wrapperIjLb1EEEEEvT_jT0_jPNS7_10value_typeE
; %bb.0:
	s_load_dword s7, s[4:5], 0x34
	s_load_dwordx2 s[2:3], s[4:5], 0x20
	s_load_dwordx2 s[0:1], s[4:5], 0x0
	s_load_dword s10, s[4:5], 0x8
	s_waitcnt lgkmcnt(0)
	s_and_b32 s7, s7, 0xffff
	s_mul_i32 s6, s6, s7
	s_cmp_eq_u64 s[2:3], 0
	v_add_u32_e32 v0, s6, v0
	s_cbranch_scc1 .LBB152_6
; %bb.1:
	s_load_dword s8, s[4:5], 0x18
	s_mov_b32 s9, 0
	s_waitcnt lgkmcnt(0)
	s_cmp_lt_u32 s8, s10
	s_cselect_b32 s6, s8, 0
	v_cmp_eq_u32_e32 vcc, s6, v0
	s_and_saveexec_b64 s[6:7], vcc
	s_cbranch_execz .LBB152_5
; %bb.2:
	s_add_i32 s8, s8, 64
	s_lshl_b64 s[8:9], s[8:9], 3
	s_add_u32 s8, s0, s8
	s_addc_u32 s9, s1, s9
	v_mov_b32_e32 v4, 0
	global_load_dwordx2 v[2:3], v4, s[8:9] glc
	s_waitcnt vmcnt(0)
	v_and_b32_e32 v5, 0xff, v3
	v_cmp_ne_u64_e32 vcc, 0, v[4:5]
	s_cbranch_vccnz .LBB152_4
.LBB152_3:                              ; =>This Inner Loop Header: Depth=1
	global_load_dwordx2 v[2:3], v4, s[8:9] glc
	s_waitcnt vmcnt(0)
	v_and_b32_e32 v5, 0xff, v3
	v_cmp_eq_u64_e32 vcc, 0, v[4:5]
	s_cbranch_vccnz .LBB152_3
.LBB152_4:
	v_mov_b32_e32 v1, 0
	global_store_dword v1, v2, s[2:3]
.LBB152_5:
	s_or_b64 exec, exec, s[6:7]
.LBB152_6:
	v_cmp_eq_u32_e32 vcc, 0, v0
	s_and_saveexec_b64 s[2:3], vcc
	s_cbranch_execnz .LBB152_10
; %bb.7:
	s_or_b64 exec, exec, s[2:3]
	v_cmp_gt_u32_e32 vcc, s10, v0
	s_and_saveexec_b64 s[2:3], vcc
	s_cbranch_execnz .LBB152_11
.LBB152_8:
	s_or_b64 exec, exec, s[2:3]
	v_cmp_gt_u32_e32 vcc, 64, v0
	s_and_saveexec_b64 s[2:3], vcc
	s_cbranch_execnz .LBB152_12
.LBB152_9:
	s_endpgm
.LBB152_10:
	s_load_dwordx2 s[4:5], s[4:5], 0x10
	v_mov_b32_e32 v1, 0
	s_waitcnt lgkmcnt(0)
	global_store_dword v1, v1, s[4:5]
	s_or_b64 exec, exec, s[2:3]
	v_cmp_gt_u32_e32 vcc, s10, v0
	s_and_saveexec_b64 s[2:3], vcc
	s_cbranch_execz .LBB152_8
.LBB152_11:
	v_add_u32_e32 v2, 64, v0
	v_mov_b32_e32 v3, 0
	v_lshlrev_b64 v[4:5], 3, v[2:3]
	v_mov_b32_e32 v1, s1
	v_add_co_u32_e32 v4, vcc, s0, v4
	v_addc_co_u32_e32 v5, vcc, v1, v5, vcc
	v_mov_b32_e32 v2, v3
	global_store_dwordx2 v[4:5], v[2:3], off
	s_or_b64 exec, exec, s[2:3]
	v_cmp_gt_u32_e32 vcc, 64, v0
	s_and_saveexec_b64 s[2:3], vcc
	s_cbranch_execz .LBB152_9
.LBB152_12:
	v_mov_b32_e32 v1, 0
	v_lshlrev_b64 v[2:3], 3, v[0:1]
	v_mov_b32_e32 v0, s1
	v_add_co_u32_e32 v2, vcc, s0, v2
	v_addc_co_u32_e32 v3, vcc, v0, v3, vcc
	v_mov_b32_e32 v5, 0xff
	v_mov_b32_e32 v4, v1
	global_store_dwordx2 v[2:3], v[4:5], off
	s_endpgm
	.section	.rodata,"a",@progbits
	.p2align	6, 0x0
	.amdhsa_kernel _ZN7rocprim17ROCPRIM_400000_NS6detail31init_lookback_scan_state_kernelINS1_19lookback_scan_stateIfLb0ELb1EEENS1_16block_id_wrapperIjLb1EEEEEvT_jT0_jPNS7_10value_typeE
		.amdhsa_group_segment_fixed_size 0
		.amdhsa_private_segment_fixed_size 0
		.amdhsa_kernarg_size 296
		.amdhsa_user_sgpr_count 6
		.amdhsa_user_sgpr_private_segment_buffer 1
		.amdhsa_user_sgpr_dispatch_ptr 0
		.amdhsa_user_sgpr_queue_ptr 0
		.amdhsa_user_sgpr_kernarg_segment_ptr 1
		.amdhsa_user_sgpr_dispatch_id 0
		.amdhsa_user_sgpr_flat_scratch_init 0
		.amdhsa_user_sgpr_kernarg_preload_length 0
		.amdhsa_user_sgpr_kernarg_preload_offset 0
		.amdhsa_user_sgpr_private_segment_size 0
		.amdhsa_uses_dynamic_stack 0
		.amdhsa_system_sgpr_private_segment_wavefront_offset 0
		.amdhsa_system_sgpr_workgroup_id_x 1
		.amdhsa_system_sgpr_workgroup_id_y 0
		.amdhsa_system_sgpr_workgroup_id_z 0
		.amdhsa_system_sgpr_workgroup_info 0
		.amdhsa_system_vgpr_workitem_id 0
		.amdhsa_next_free_vgpr 6
		.amdhsa_next_free_sgpr 11
		.amdhsa_accum_offset 8
		.amdhsa_reserve_vcc 1
		.amdhsa_reserve_flat_scratch 0
		.amdhsa_float_round_mode_32 0
		.amdhsa_float_round_mode_16_64 0
		.amdhsa_float_denorm_mode_32 3
		.amdhsa_float_denorm_mode_16_64 3
		.amdhsa_dx10_clamp 1
		.amdhsa_ieee_mode 1
		.amdhsa_fp16_overflow 0
		.amdhsa_tg_split 0
		.amdhsa_exception_fp_ieee_invalid_op 0
		.amdhsa_exception_fp_denorm_src 0
		.amdhsa_exception_fp_ieee_div_zero 0
		.amdhsa_exception_fp_ieee_overflow 0
		.amdhsa_exception_fp_ieee_underflow 0
		.amdhsa_exception_fp_ieee_inexact 0
		.amdhsa_exception_int_div_zero 0
	.end_amdhsa_kernel
	.section	.text._ZN7rocprim17ROCPRIM_400000_NS6detail31init_lookback_scan_state_kernelINS1_19lookback_scan_stateIfLb0ELb1EEENS1_16block_id_wrapperIjLb1EEEEEvT_jT0_jPNS7_10value_typeE,"axG",@progbits,_ZN7rocprim17ROCPRIM_400000_NS6detail31init_lookback_scan_state_kernelINS1_19lookback_scan_stateIfLb0ELb1EEENS1_16block_id_wrapperIjLb1EEEEEvT_jT0_jPNS7_10value_typeE,comdat
.Lfunc_end152:
	.size	_ZN7rocprim17ROCPRIM_400000_NS6detail31init_lookback_scan_state_kernelINS1_19lookback_scan_stateIfLb0ELb1EEENS1_16block_id_wrapperIjLb1EEEEEvT_jT0_jPNS7_10value_typeE, .Lfunc_end152-_ZN7rocprim17ROCPRIM_400000_NS6detail31init_lookback_scan_state_kernelINS1_19lookback_scan_stateIfLb0ELb1EEENS1_16block_id_wrapperIjLb1EEEEEvT_jT0_jPNS7_10value_typeE
                                        ; -- End function
	.section	.AMDGPU.csdata,"",@progbits
; Kernel info:
; codeLenInByte = 380
; NumSgprs: 15
; NumVgprs: 6
; NumAgprs: 0
; TotalNumVgprs: 6
; ScratchSize: 0
; MemoryBound: 0
; FloatMode: 240
; IeeeMode: 1
; LDSByteSize: 0 bytes/workgroup (compile time only)
; SGPRBlocks: 1
; VGPRBlocks: 0
; NumSGPRsForWavesPerEU: 15
; NumVGPRsForWavesPerEU: 6
; AccumOffset: 8
; Occupancy: 8
; WaveLimiterHint : 0
; COMPUTE_PGM_RSRC2:SCRATCH_EN: 0
; COMPUTE_PGM_RSRC2:USER_SGPR: 6
; COMPUTE_PGM_RSRC2:TRAP_HANDLER: 0
; COMPUTE_PGM_RSRC2:TGID_X_EN: 1
; COMPUTE_PGM_RSRC2:TGID_Y_EN: 0
; COMPUTE_PGM_RSRC2:TGID_Z_EN: 0
; COMPUTE_PGM_RSRC2:TIDIG_COMP_CNT: 0
; COMPUTE_PGM_RSRC3_GFX90A:ACCUM_OFFSET: 1
; COMPUTE_PGM_RSRC3_GFX90A:TG_SPLIT: 0
	.section	.text._ZN7rocprim17ROCPRIM_400000_NS6detail17trampoline_kernelINS0_14default_configENS1_20scan_config_selectorIfEEZZNS1_9scan_implILNS1_25lookback_scan_determinismE0ELb0ELb0ES3_PKfPffZZZN2at6native31launch_logcumsumexp_cuda_kernelERKNSB_10TensorBaseESF_lENKUlvE_clEvENKUlvE0_clEvEUlffE_fEEDaPvRmT3_T4_T5_mT6_P12ihipStream_tbENKUlT_T0_E_clISt17integral_constantIbLb0EESV_IbLb1EEEEDaSR_SS_EUlSR_E_NS1_11comp_targetILNS1_3genE0ELNS1_11target_archE4294967295ELNS1_3gpuE0ELNS1_3repE0EEENS1_30default_config_static_selectorELNS0_4arch9wavefront6targetE1EEEvT1_,"axG",@progbits,_ZN7rocprim17ROCPRIM_400000_NS6detail17trampoline_kernelINS0_14default_configENS1_20scan_config_selectorIfEEZZNS1_9scan_implILNS1_25lookback_scan_determinismE0ELb0ELb0ES3_PKfPffZZZN2at6native31launch_logcumsumexp_cuda_kernelERKNSB_10TensorBaseESF_lENKUlvE_clEvENKUlvE0_clEvEUlffE_fEEDaPvRmT3_T4_T5_mT6_P12ihipStream_tbENKUlT_T0_E_clISt17integral_constantIbLb0EESV_IbLb1EEEEDaSR_SS_EUlSR_E_NS1_11comp_targetILNS1_3genE0ELNS1_11target_archE4294967295ELNS1_3gpuE0ELNS1_3repE0EEENS1_30default_config_static_selectorELNS0_4arch9wavefront6targetE1EEEvT1_,comdat
	.globl	_ZN7rocprim17ROCPRIM_400000_NS6detail17trampoline_kernelINS0_14default_configENS1_20scan_config_selectorIfEEZZNS1_9scan_implILNS1_25lookback_scan_determinismE0ELb0ELb0ES3_PKfPffZZZN2at6native31launch_logcumsumexp_cuda_kernelERKNSB_10TensorBaseESF_lENKUlvE_clEvENKUlvE0_clEvEUlffE_fEEDaPvRmT3_T4_T5_mT6_P12ihipStream_tbENKUlT_T0_E_clISt17integral_constantIbLb0EESV_IbLb1EEEEDaSR_SS_EUlSR_E_NS1_11comp_targetILNS1_3genE0ELNS1_11target_archE4294967295ELNS1_3gpuE0ELNS1_3repE0EEENS1_30default_config_static_selectorELNS0_4arch9wavefront6targetE1EEEvT1_ ; -- Begin function _ZN7rocprim17ROCPRIM_400000_NS6detail17trampoline_kernelINS0_14default_configENS1_20scan_config_selectorIfEEZZNS1_9scan_implILNS1_25lookback_scan_determinismE0ELb0ELb0ES3_PKfPffZZZN2at6native31launch_logcumsumexp_cuda_kernelERKNSB_10TensorBaseESF_lENKUlvE_clEvENKUlvE0_clEvEUlffE_fEEDaPvRmT3_T4_T5_mT6_P12ihipStream_tbENKUlT_T0_E_clISt17integral_constantIbLb0EESV_IbLb1EEEEDaSR_SS_EUlSR_E_NS1_11comp_targetILNS1_3genE0ELNS1_11target_archE4294967295ELNS1_3gpuE0ELNS1_3repE0EEENS1_30default_config_static_selectorELNS0_4arch9wavefront6targetE1EEEvT1_
	.p2align	8
	.type	_ZN7rocprim17ROCPRIM_400000_NS6detail17trampoline_kernelINS0_14default_configENS1_20scan_config_selectorIfEEZZNS1_9scan_implILNS1_25lookback_scan_determinismE0ELb0ELb0ES3_PKfPffZZZN2at6native31launch_logcumsumexp_cuda_kernelERKNSB_10TensorBaseESF_lENKUlvE_clEvENKUlvE0_clEvEUlffE_fEEDaPvRmT3_T4_T5_mT6_P12ihipStream_tbENKUlT_T0_E_clISt17integral_constantIbLb0EESV_IbLb1EEEEDaSR_SS_EUlSR_E_NS1_11comp_targetILNS1_3genE0ELNS1_11target_archE4294967295ELNS1_3gpuE0ELNS1_3repE0EEENS1_30default_config_static_selectorELNS0_4arch9wavefront6targetE1EEEvT1_,@function
_ZN7rocprim17ROCPRIM_400000_NS6detail17trampoline_kernelINS0_14default_configENS1_20scan_config_selectorIfEEZZNS1_9scan_implILNS1_25lookback_scan_determinismE0ELb0ELb0ES3_PKfPffZZZN2at6native31launch_logcumsumexp_cuda_kernelERKNSB_10TensorBaseESF_lENKUlvE_clEvENKUlvE0_clEvEUlffE_fEEDaPvRmT3_T4_T5_mT6_P12ihipStream_tbENKUlT_T0_E_clISt17integral_constantIbLb0EESV_IbLb1EEEEDaSR_SS_EUlSR_E_NS1_11comp_targetILNS1_3genE0ELNS1_11target_archE4294967295ELNS1_3gpuE0ELNS1_3repE0EEENS1_30default_config_static_selectorELNS0_4arch9wavefront6targetE1EEEvT1_: ; @_ZN7rocprim17ROCPRIM_400000_NS6detail17trampoline_kernelINS0_14default_configENS1_20scan_config_selectorIfEEZZNS1_9scan_implILNS1_25lookback_scan_determinismE0ELb0ELb0ES3_PKfPffZZZN2at6native31launch_logcumsumexp_cuda_kernelERKNSB_10TensorBaseESF_lENKUlvE_clEvENKUlvE0_clEvEUlffE_fEEDaPvRmT3_T4_T5_mT6_P12ihipStream_tbENKUlT_T0_E_clISt17integral_constantIbLb0EESV_IbLb1EEEEDaSR_SS_EUlSR_E_NS1_11comp_targetILNS1_3genE0ELNS1_11target_archE4294967295ELNS1_3gpuE0ELNS1_3repE0EEENS1_30default_config_static_selectorELNS0_4arch9wavefront6targetE1EEEvT1_
; %bb.0:
	.section	.rodata,"a",@progbits
	.p2align	6, 0x0
	.amdhsa_kernel _ZN7rocprim17ROCPRIM_400000_NS6detail17trampoline_kernelINS0_14default_configENS1_20scan_config_selectorIfEEZZNS1_9scan_implILNS1_25lookback_scan_determinismE0ELb0ELb0ES3_PKfPffZZZN2at6native31launch_logcumsumexp_cuda_kernelERKNSB_10TensorBaseESF_lENKUlvE_clEvENKUlvE0_clEvEUlffE_fEEDaPvRmT3_T4_T5_mT6_P12ihipStream_tbENKUlT_T0_E_clISt17integral_constantIbLb0EESV_IbLb1EEEEDaSR_SS_EUlSR_E_NS1_11comp_targetILNS1_3genE0ELNS1_11target_archE4294967295ELNS1_3gpuE0ELNS1_3repE0EEENS1_30default_config_static_selectorELNS0_4arch9wavefront6targetE1EEEvT1_
		.amdhsa_group_segment_fixed_size 0
		.amdhsa_private_segment_fixed_size 0
		.amdhsa_kernarg_size 96
		.amdhsa_user_sgpr_count 6
		.amdhsa_user_sgpr_private_segment_buffer 1
		.amdhsa_user_sgpr_dispatch_ptr 0
		.amdhsa_user_sgpr_queue_ptr 0
		.amdhsa_user_sgpr_kernarg_segment_ptr 1
		.amdhsa_user_sgpr_dispatch_id 0
		.amdhsa_user_sgpr_flat_scratch_init 0
		.amdhsa_user_sgpr_kernarg_preload_length 0
		.amdhsa_user_sgpr_kernarg_preload_offset 0
		.amdhsa_user_sgpr_private_segment_size 0
		.amdhsa_uses_dynamic_stack 0
		.amdhsa_system_sgpr_private_segment_wavefront_offset 0
		.amdhsa_system_sgpr_workgroup_id_x 1
		.amdhsa_system_sgpr_workgroup_id_y 0
		.amdhsa_system_sgpr_workgroup_id_z 0
		.amdhsa_system_sgpr_workgroup_info 0
		.amdhsa_system_vgpr_workitem_id 0
		.amdhsa_next_free_vgpr 1
		.amdhsa_next_free_sgpr 0
		.amdhsa_accum_offset 4
		.amdhsa_reserve_vcc 0
		.amdhsa_reserve_flat_scratch 0
		.amdhsa_float_round_mode_32 0
		.amdhsa_float_round_mode_16_64 0
		.amdhsa_float_denorm_mode_32 3
		.amdhsa_float_denorm_mode_16_64 3
		.amdhsa_dx10_clamp 1
		.amdhsa_ieee_mode 1
		.amdhsa_fp16_overflow 0
		.amdhsa_tg_split 0
		.amdhsa_exception_fp_ieee_invalid_op 0
		.amdhsa_exception_fp_denorm_src 0
		.amdhsa_exception_fp_ieee_div_zero 0
		.amdhsa_exception_fp_ieee_overflow 0
		.amdhsa_exception_fp_ieee_underflow 0
		.amdhsa_exception_fp_ieee_inexact 0
		.amdhsa_exception_int_div_zero 0
	.end_amdhsa_kernel
	.section	.text._ZN7rocprim17ROCPRIM_400000_NS6detail17trampoline_kernelINS0_14default_configENS1_20scan_config_selectorIfEEZZNS1_9scan_implILNS1_25lookback_scan_determinismE0ELb0ELb0ES3_PKfPffZZZN2at6native31launch_logcumsumexp_cuda_kernelERKNSB_10TensorBaseESF_lENKUlvE_clEvENKUlvE0_clEvEUlffE_fEEDaPvRmT3_T4_T5_mT6_P12ihipStream_tbENKUlT_T0_E_clISt17integral_constantIbLb0EESV_IbLb1EEEEDaSR_SS_EUlSR_E_NS1_11comp_targetILNS1_3genE0ELNS1_11target_archE4294967295ELNS1_3gpuE0ELNS1_3repE0EEENS1_30default_config_static_selectorELNS0_4arch9wavefront6targetE1EEEvT1_,"axG",@progbits,_ZN7rocprim17ROCPRIM_400000_NS6detail17trampoline_kernelINS0_14default_configENS1_20scan_config_selectorIfEEZZNS1_9scan_implILNS1_25lookback_scan_determinismE0ELb0ELb0ES3_PKfPffZZZN2at6native31launch_logcumsumexp_cuda_kernelERKNSB_10TensorBaseESF_lENKUlvE_clEvENKUlvE0_clEvEUlffE_fEEDaPvRmT3_T4_T5_mT6_P12ihipStream_tbENKUlT_T0_E_clISt17integral_constantIbLb0EESV_IbLb1EEEEDaSR_SS_EUlSR_E_NS1_11comp_targetILNS1_3genE0ELNS1_11target_archE4294967295ELNS1_3gpuE0ELNS1_3repE0EEENS1_30default_config_static_selectorELNS0_4arch9wavefront6targetE1EEEvT1_,comdat
.Lfunc_end153:
	.size	_ZN7rocprim17ROCPRIM_400000_NS6detail17trampoline_kernelINS0_14default_configENS1_20scan_config_selectorIfEEZZNS1_9scan_implILNS1_25lookback_scan_determinismE0ELb0ELb0ES3_PKfPffZZZN2at6native31launch_logcumsumexp_cuda_kernelERKNSB_10TensorBaseESF_lENKUlvE_clEvENKUlvE0_clEvEUlffE_fEEDaPvRmT3_T4_T5_mT6_P12ihipStream_tbENKUlT_T0_E_clISt17integral_constantIbLb0EESV_IbLb1EEEEDaSR_SS_EUlSR_E_NS1_11comp_targetILNS1_3genE0ELNS1_11target_archE4294967295ELNS1_3gpuE0ELNS1_3repE0EEENS1_30default_config_static_selectorELNS0_4arch9wavefront6targetE1EEEvT1_, .Lfunc_end153-_ZN7rocprim17ROCPRIM_400000_NS6detail17trampoline_kernelINS0_14default_configENS1_20scan_config_selectorIfEEZZNS1_9scan_implILNS1_25lookback_scan_determinismE0ELb0ELb0ES3_PKfPffZZZN2at6native31launch_logcumsumexp_cuda_kernelERKNSB_10TensorBaseESF_lENKUlvE_clEvENKUlvE0_clEvEUlffE_fEEDaPvRmT3_T4_T5_mT6_P12ihipStream_tbENKUlT_T0_E_clISt17integral_constantIbLb0EESV_IbLb1EEEEDaSR_SS_EUlSR_E_NS1_11comp_targetILNS1_3genE0ELNS1_11target_archE4294967295ELNS1_3gpuE0ELNS1_3repE0EEENS1_30default_config_static_selectorELNS0_4arch9wavefront6targetE1EEEvT1_
                                        ; -- End function
	.section	.AMDGPU.csdata,"",@progbits
; Kernel info:
; codeLenInByte = 0
; NumSgprs: 4
; NumVgprs: 0
; NumAgprs: 0
; TotalNumVgprs: 0
; ScratchSize: 0
; MemoryBound: 0
; FloatMode: 240
; IeeeMode: 1
; LDSByteSize: 0 bytes/workgroup (compile time only)
; SGPRBlocks: 0
; VGPRBlocks: 0
; NumSGPRsForWavesPerEU: 4
; NumVGPRsForWavesPerEU: 1
; AccumOffset: 4
; Occupancy: 8
; WaveLimiterHint : 0
; COMPUTE_PGM_RSRC2:SCRATCH_EN: 0
; COMPUTE_PGM_RSRC2:USER_SGPR: 6
; COMPUTE_PGM_RSRC2:TRAP_HANDLER: 0
; COMPUTE_PGM_RSRC2:TGID_X_EN: 1
; COMPUTE_PGM_RSRC2:TGID_Y_EN: 0
; COMPUTE_PGM_RSRC2:TGID_Z_EN: 0
; COMPUTE_PGM_RSRC2:TIDIG_COMP_CNT: 0
; COMPUTE_PGM_RSRC3_GFX90A:ACCUM_OFFSET: 0
; COMPUTE_PGM_RSRC3_GFX90A:TG_SPLIT: 0
	.section	.text._ZN7rocprim17ROCPRIM_400000_NS6detail17trampoline_kernelINS0_14default_configENS1_20scan_config_selectorIfEEZZNS1_9scan_implILNS1_25lookback_scan_determinismE0ELb0ELb0ES3_PKfPffZZZN2at6native31launch_logcumsumexp_cuda_kernelERKNSB_10TensorBaseESF_lENKUlvE_clEvENKUlvE0_clEvEUlffE_fEEDaPvRmT3_T4_T5_mT6_P12ihipStream_tbENKUlT_T0_E_clISt17integral_constantIbLb0EESV_IbLb1EEEEDaSR_SS_EUlSR_E_NS1_11comp_targetILNS1_3genE5ELNS1_11target_archE942ELNS1_3gpuE9ELNS1_3repE0EEENS1_30default_config_static_selectorELNS0_4arch9wavefront6targetE1EEEvT1_,"axG",@progbits,_ZN7rocprim17ROCPRIM_400000_NS6detail17trampoline_kernelINS0_14default_configENS1_20scan_config_selectorIfEEZZNS1_9scan_implILNS1_25lookback_scan_determinismE0ELb0ELb0ES3_PKfPffZZZN2at6native31launch_logcumsumexp_cuda_kernelERKNSB_10TensorBaseESF_lENKUlvE_clEvENKUlvE0_clEvEUlffE_fEEDaPvRmT3_T4_T5_mT6_P12ihipStream_tbENKUlT_T0_E_clISt17integral_constantIbLb0EESV_IbLb1EEEEDaSR_SS_EUlSR_E_NS1_11comp_targetILNS1_3genE5ELNS1_11target_archE942ELNS1_3gpuE9ELNS1_3repE0EEENS1_30default_config_static_selectorELNS0_4arch9wavefront6targetE1EEEvT1_,comdat
	.globl	_ZN7rocprim17ROCPRIM_400000_NS6detail17trampoline_kernelINS0_14default_configENS1_20scan_config_selectorIfEEZZNS1_9scan_implILNS1_25lookback_scan_determinismE0ELb0ELb0ES3_PKfPffZZZN2at6native31launch_logcumsumexp_cuda_kernelERKNSB_10TensorBaseESF_lENKUlvE_clEvENKUlvE0_clEvEUlffE_fEEDaPvRmT3_T4_T5_mT6_P12ihipStream_tbENKUlT_T0_E_clISt17integral_constantIbLb0EESV_IbLb1EEEEDaSR_SS_EUlSR_E_NS1_11comp_targetILNS1_3genE5ELNS1_11target_archE942ELNS1_3gpuE9ELNS1_3repE0EEENS1_30default_config_static_selectorELNS0_4arch9wavefront6targetE1EEEvT1_ ; -- Begin function _ZN7rocprim17ROCPRIM_400000_NS6detail17trampoline_kernelINS0_14default_configENS1_20scan_config_selectorIfEEZZNS1_9scan_implILNS1_25lookback_scan_determinismE0ELb0ELb0ES3_PKfPffZZZN2at6native31launch_logcumsumexp_cuda_kernelERKNSB_10TensorBaseESF_lENKUlvE_clEvENKUlvE0_clEvEUlffE_fEEDaPvRmT3_T4_T5_mT6_P12ihipStream_tbENKUlT_T0_E_clISt17integral_constantIbLb0EESV_IbLb1EEEEDaSR_SS_EUlSR_E_NS1_11comp_targetILNS1_3genE5ELNS1_11target_archE942ELNS1_3gpuE9ELNS1_3repE0EEENS1_30default_config_static_selectorELNS0_4arch9wavefront6targetE1EEEvT1_
	.p2align	8
	.type	_ZN7rocprim17ROCPRIM_400000_NS6detail17trampoline_kernelINS0_14default_configENS1_20scan_config_selectorIfEEZZNS1_9scan_implILNS1_25lookback_scan_determinismE0ELb0ELb0ES3_PKfPffZZZN2at6native31launch_logcumsumexp_cuda_kernelERKNSB_10TensorBaseESF_lENKUlvE_clEvENKUlvE0_clEvEUlffE_fEEDaPvRmT3_T4_T5_mT6_P12ihipStream_tbENKUlT_T0_E_clISt17integral_constantIbLb0EESV_IbLb1EEEEDaSR_SS_EUlSR_E_NS1_11comp_targetILNS1_3genE5ELNS1_11target_archE942ELNS1_3gpuE9ELNS1_3repE0EEENS1_30default_config_static_selectorELNS0_4arch9wavefront6targetE1EEEvT1_,@function
_ZN7rocprim17ROCPRIM_400000_NS6detail17trampoline_kernelINS0_14default_configENS1_20scan_config_selectorIfEEZZNS1_9scan_implILNS1_25lookback_scan_determinismE0ELb0ELb0ES3_PKfPffZZZN2at6native31launch_logcumsumexp_cuda_kernelERKNSB_10TensorBaseESF_lENKUlvE_clEvENKUlvE0_clEvEUlffE_fEEDaPvRmT3_T4_T5_mT6_P12ihipStream_tbENKUlT_T0_E_clISt17integral_constantIbLb0EESV_IbLb1EEEEDaSR_SS_EUlSR_E_NS1_11comp_targetILNS1_3genE5ELNS1_11target_archE942ELNS1_3gpuE9ELNS1_3repE0EEENS1_30default_config_static_selectorELNS0_4arch9wavefront6targetE1EEEvT1_: ; @_ZN7rocprim17ROCPRIM_400000_NS6detail17trampoline_kernelINS0_14default_configENS1_20scan_config_selectorIfEEZZNS1_9scan_implILNS1_25lookback_scan_determinismE0ELb0ELb0ES3_PKfPffZZZN2at6native31launch_logcumsumexp_cuda_kernelERKNSB_10TensorBaseESF_lENKUlvE_clEvENKUlvE0_clEvEUlffE_fEEDaPvRmT3_T4_T5_mT6_P12ihipStream_tbENKUlT_T0_E_clISt17integral_constantIbLb0EESV_IbLb1EEEEDaSR_SS_EUlSR_E_NS1_11comp_targetILNS1_3genE5ELNS1_11target_archE942ELNS1_3gpuE9ELNS1_3repE0EEENS1_30default_config_static_selectorELNS0_4arch9wavefront6targetE1EEEvT1_
; %bb.0:
	.section	.rodata,"a",@progbits
	.p2align	6, 0x0
	.amdhsa_kernel _ZN7rocprim17ROCPRIM_400000_NS6detail17trampoline_kernelINS0_14default_configENS1_20scan_config_selectorIfEEZZNS1_9scan_implILNS1_25lookback_scan_determinismE0ELb0ELb0ES3_PKfPffZZZN2at6native31launch_logcumsumexp_cuda_kernelERKNSB_10TensorBaseESF_lENKUlvE_clEvENKUlvE0_clEvEUlffE_fEEDaPvRmT3_T4_T5_mT6_P12ihipStream_tbENKUlT_T0_E_clISt17integral_constantIbLb0EESV_IbLb1EEEEDaSR_SS_EUlSR_E_NS1_11comp_targetILNS1_3genE5ELNS1_11target_archE942ELNS1_3gpuE9ELNS1_3repE0EEENS1_30default_config_static_selectorELNS0_4arch9wavefront6targetE1EEEvT1_
		.amdhsa_group_segment_fixed_size 0
		.amdhsa_private_segment_fixed_size 0
		.amdhsa_kernarg_size 96
		.amdhsa_user_sgpr_count 6
		.amdhsa_user_sgpr_private_segment_buffer 1
		.amdhsa_user_sgpr_dispatch_ptr 0
		.amdhsa_user_sgpr_queue_ptr 0
		.amdhsa_user_sgpr_kernarg_segment_ptr 1
		.amdhsa_user_sgpr_dispatch_id 0
		.amdhsa_user_sgpr_flat_scratch_init 0
		.amdhsa_user_sgpr_kernarg_preload_length 0
		.amdhsa_user_sgpr_kernarg_preload_offset 0
		.amdhsa_user_sgpr_private_segment_size 0
		.amdhsa_uses_dynamic_stack 0
		.amdhsa_system_sgpr_private_segment_wavefront_offset 0
		.amdhsa_system_sgpr_workgroup_id_x 1
		.amdhsa_system_sgpr_workgroup_id_y 0
		.amdhsa_system_sgpr_workgroup_id_z 0
		.amdhsa_system_sgpr_workgroup_info 0
		.amdhsa_system_vgpr_workitem_id 0
		.amdhsa_next_free_vgpr 1
		.amdhsa_next_free_sgpr 0
		.amdhsa_accum_offset 4
		.amdhsa_reserve_vcc 0
		.amdhsa_reserve_flat_scratch 0
		.amdhsa_float_round_mode_32 0
		.amdhsa_float_round_mode_16_64 0
		.amdhsa_float_denorm_mode_32 3
		.amdhsa_float_denorm_mode_16_64 3
		.amdhsa_dx10_clamp 1
		.amdhsa_ieee_mode 1
		.amdhsa_fp16_overflow 0
		.amdhsa_tg_split 0
		.amdhsa_exception_fp_ieee_invalid_op 0
		.amdhsa_exception_fp_denorm_src 0
		.amdhsa_exception_fp_ieee_div_zero 0
		.amdhsa_exception_fp_ieee_overflow 0
		.amdhsa_exception_fp_ieee_underflow 0
		.amdhsa_exception_fp_ieee_inexact 0
		.amdhsa_exception_int_div_zero 0
	.end_amdhsa_kernel
	.section	.text._ZN7rocprim17ROCPRIM_400000_NS6detail17trampoline_kernelINS0_14default_configENS1_20scan_config_selectorIfEEZZNS1_9scan_implILNS1_25lookback_scan_determinismE0ELb0ELb0ES3_PKfPffZZZN2at6native31launch_logcumsumexp_cuda_kernelERKNSB_10TensorBaseESF_lENKUlvE_clEvENKUlvE0_clEvEUlffE_fEEDaPvRmT3_T4_T5_mT6_P12ihipStream_tbENKUlT_T0_E_clISt17integral_constantIbLb0EESV_IbLb1EEEEDaSR_SS_EUlSR_E_NS1_11comp_targetILNS1_3genE5ELNS1_11target_archE942ELNS1_3gpuE9ELNS1_3repE0EEENS1_30default_config_static_selectorELNS0_4arch9wavefront6targetE1EEEvT1_,"axG",@progbits,_ZN7rocprim17ROCPRIM_400000_NS6detail17trampoline_kernelINS0_14default_configENS1_20scan_config_selectorIfEEZZNS1_9scan_implILNS1_25lookback_scan_determinismE0ELb0ELb0ES3_PKfPffZZZN2at6native31launch_logcumsumexp_cuda_kernelERKNSB_10TensorBaseESF_lENKUlvE_clEvENKUlvE0_clEvEUlffE_fEEDaPvRmT3_T4_T5_mT6_P12ihipStream_tbENKUlT_T0_E_clISt17integral_constantIbLb0EESV_IbLb1EEEEDaSR_SS_EUlSR_E_NS1_11comp_targetILNS1_3genE5ELNS1_11target_archE942ELNS1_3gpuE9ELNS1_3repE0EEENS1_30default_config_static_selectorELNS0_4arch9wavefront6targetE1EEEvT1_,comdat
.Lfunc_end154:
	.size	_ZN7rocprim17ROCPRIM_400000_NS6detail17trampoline_kernelINS0_14default_configENS1_20scan_config_selectorIfEEZZNS1_9scan_implILNS1_25lookback_scan_determinismE0ELb0ELb0ES3_PKfPffZZZN2at6native31launch_logcumsumexp_cuda_kernelERKNSB_10TensorBaseESF_lENKUlvE_clEvENKUlvE0_clEvEUlffE_fEEDaPvRmT3_T4_T5_mT6_P12ihipStream_tbENKUlT_T0_E_clISt17integral_constantIbLb0EESV_IbLb1EEEEDaSR_SS_EUlSR_E_NS1_11comp_targetILNS1_3genE5ELNS1_11target_archE942ELNS1_3gpuE9ELNS1_3repE0EEENS1_30default_config_static_selectorELNS0_4arch9wavefront6targetE1EEEvT1_, .Lfunc_end154-_ZN7rocprim17ROCPRIM_400000_NS6detail17trampoline_kernelINS0_14default_configENS1_20scan_config_selectorIfEEZZNS1_9scan_implILNS1_25lookback_scan_determinismE0ELb0ELb0ES3_PKfPffZZZN2at6native31launch_logcumsumexp_cuda_kernelERKNSB_10TensorBaseESF_lENKUlvE_clEvENKUlvE0_clEvEUlffE_fEEDaPvRmT3_T4_T5_mT6_P12ihipStream_tbENKUlT_T0_E_clISt17integral_constantIbLb0EESV_IbLb1EEEEDaSR_SS_EUlSR_E_NS1_11comp_targetILNS1_3genE5ELNS1_11target_archE942ELNS1_3gpuE9ELNS1_3repE0EEENS1_30default_config_static_selectorELNS0_4arch9wavefront6targetE1EEEvT1_
                                        ; -- End function
	.section	.AMDGPU.csdata,"",@progbits
; Kernel info:
; codeLenInByte = 0
; NumSgprs: 4
; NumVgprs: 0
; NumAgprs: 0
; TotalNumVgprs: 0
; ScratchSize: 0
; MemoryBound: 0
; FloatMode: 240
; IeeeMode: 1
; LDSByteSize: 0 bytes/workgroup (compile time only)
; SGPRBlocks: 0
; VGPRBlocks: 0
; NumSGPRsForWavesPerEU: 4
; NumVGPRsForWavesPerEU: 1
; AccumOffset: 4
; Occupancy: 8
; WaveLimiterHint : 0
; COMPUTE_PGM_RSRC2:SCRATCH_EN: 0
; COMPUTE_PGM_RSRC2:USER_SGPR: 6
; COMPUTE_PGM_RSRC2:TRAP_HANDLER: 0
; COMPUTE_PGM_RSRC2:TGID_X_EN: 1
; COMPUTE_PGM_RSRC2:TGID_Y_EN: 0
; COMPUTE_PGM_RSRC2:TGID_Z_EN: 0
; COMPUTE_PGM_RSRC2:TIDIG_COMP_CNT: 0
; COMPUTE_PGM_RSRC3_GFX90A:ACCUM_OFFSET: 0
; COMPUTE_PGM_RSRC3_GFX90A:TG_SPLIT: 0
	.section	.text._ZN7rocprim17ROCPRIM_400000_NS6detail17trampoline_kernelINS0_14default_configENS1_20scan_config_selectorIfEEZZNS1_9scan_implILNS1_25lookback_scan_determinismE0ELb0ELb0ES3_PKfPffZZZN2at6native31launch_logcumsumexp_cuda_kernelERKNSB_10TensorBaseESF_lENKUlvE_clEvENKUlvE0_clEvEUlffE_fEEDaPvRmT3_T4_T5_mT6_P12ihipStream_tbENKUlT_T0_E_clISt17integral_constantIbLb0EESV_IbLb1EEEEDaSR_SS_EUlSR_E_NS1_11comp_targetILNS1_3genE4ELNS1_11target_archE910ELNS1_3gpuE8ELNS1_3repE0EEENS1_30default_config_static_selectorELNS0_4arch9wavefront6targetE1EEEvT1_,"axG",@progbits,_ZN7rocprim17ROCPRIM_400000_NS6detail17trampoline_kernelINS0_14default_configENS1_20scan_config_selectorIfEEZZNS1_9scan_implILNS1_25lookback_scan_determinismE0ELb0ELb0ES3_PKfPffZZZN2at6native31launch_logcumsumexp_cuda_kernelERKNSB_10TensorBaseESF_lENKUlvE_clEvENKUlvE0_clEvEUlffE_fEEDaPvRmT3_T4_T5_mT6_P12ihipStream_tbENKUlT_T0_E_clISt17integral_constantIbLb0EESV_IbLb1EEEEDaSR_SS_EUlSR_E_NS1_11comp_targetILNS1_3genE4ELNS1_11target_archE910ELNS1_3gpuE8ELNS1_3repE0EEENS1_30default_config_static_selectorELNS0_4arch9wavefront6targetE1EEEvT1_,comdat
	.globl	_ZN7rocprim17ROCPRIM_400000_NS6detail17trampoline_kernelINS0_14default_configENS1_20scan_config_selectorIfEEZZNS1_9scan_implILNS1_25lookback_scan_determinismE0ELb0ELb0ES3_PKfPffZZZN2at6native31launch_logcumsumexp_cuda_kernelERKNSB_10TensorBaseESF_lENKUlvE_clEvENKUlvE0_clEvEUlffE_fEEDaPvRmT3_T4_T5_mT6_P12ihipStream_tbENKUlT_T0_E_clISt17integral_constantIbLb0EESV_IbLb1EEEEDaSR_SS_EUlSR_E_NS1_11comp_targetILNS1_3genE4ELNS1_11target_archE910ELNS1_3gpuE8ELNS1_3repE0EEENS1_30default_config_static_selectorELNS0_4arch9wavefront6targetE1EEEvT1_ ; -- Begin function _ZN7rocprim17ROCPRIM_400000_NS6detail17trampoline_kernelINS0_14default_configENS1_20scan_config_selectorIfEEZZNS1_9scan_implILNS1_25lookback_scan_determinismE0ELb0ELb0ES3_PKfPffZZZN2at6native31launch_logcumsumexp_cuda_kernelERKNSB_10TensorBaseESF_lENKUlvE_clEvENKUlvE0_clEvEUlffE_fEEDaPvRmT3_T4_T5_mT6_P12ihipStream_tbENKUlT_T0_E_clISt17integral_constantIbLb0EESV_IbLb1EEEEDaSR_SS_EUlSR_E_NS1_11comp_targetILNS1_3genE4ELNS1_11target_archE910ELNS1_3gpuE8ELNS1_3repE0EEENS1_30default_config_static_selectorELNS0_4arch9wavefront6targetE1EEEvT1_
	.p2align	8
	.type	_ZN7rocprim17ROCPRIM_400000_NS6detail17trampoline_kernelINS0_14default_configENS1_20scan_config_selectorIfEEZZNS1_9scan_implILNS1_25lookback_scan_determinismE0ELb0ELb0ES3_PKfPffZZZN2at6native31launch_logcumsumexp_cuda_kernelERKNSB_10TensorBaseESF_lENKUlvE_clEvENKUlvE0_clEvEUlffE_fEEDaPvRmT3_T4_T5_mT6_P12ihipStream_tbENKUlT_T0_E_clISt17integral_constantIbLb0EESV_IbLb1EEEEDaSR_SS_EUlSR_E_NS1_11comp_targetILNS1_3genE4ELNS1_11target_archE910ELNS1_3gpuE8ELNS1_3repE0EEENS1_30default_config_static_selectorELNS0_4arch9wavefront6targetE1EEEvT1_,@function
_ZN7rocprim17ROCPRIM_400000_NS6detail17trampoline_kernelINS0_14default_configENS1_20scan_config_selectorIfEEZZNS1_9scan_implILNS1_25lookback_scan_determinismE0ELb0ELb0ES3_PKfPffZZZN2at6native31launch_logcumsumexp_cuda_kernelERKNSB_10TensorBaseESF_lENKUlvE_clEvENKUlvE0_clEvEUlffE_fEEDaPvRmT3_T4_T5_mT6_P12ihipStream_tbENKUlT_T0_E_clISt17integral_constantIbLb0EESV_IbLb1EEEEDaSR_SS_EUlSR_E_NS1_11comp_targetILNS1_3genE4ELNS1_11target_archE910ELNS1_3gpuE8ELNS1_3repE0EEENS1_30default_config_static_selectorELNS0_4arch9wavefront6targetE1EEEvT1_: ; @_ZN7rocprim17ROCPRIM_400000_NS6detail17trampoline_kernelINS0_14default_configENS1_20scan_config_selectorIfEEZZNS1_9scan_implILNS1_25lookback_scan_determinismE0ELb0ELb0ES3_PKfPffZZZN2at6native31launch_logcumsumexp_cuda_kernelERKNSB_10TensorBaseESF_lENKUlvE_clEvENKUlvE0_clEvEUlffE_fEEDaPvRmT3_T4_T5_mT6_P12ihipStream_tbENKUlT_T0_E_clISt17integral_constantIbLb0EESV_IbLb1EEEEDaSR_SS_EUlSR_E_NS1_11comp_targetILNS1_3genE4ELNS1_11target_archE910ELNS1_3gpuE8ELNS1_3repE0EEENS1_30default_config_static_selectorELNS0_4arch9wavefront6targetE1EEEvT1_
; %bb.0:
	s_load_dwordx2 s[56:57], s[4:5], 0x28
	v_cmp_ne_u32_e64 s[0:1], 0, v0
	v_cmp_eq_u32_e64 s[2:3], 0, v0
	s_and_saveexec_b64 s[6:7], s[2:3]
	s_cbranch_execz .LBB155_4
; %bb.1:
	s_mov_b64 s[10:11], exec
	v_mbcnt_lo_u32_b32 v1, s10, 0
	v_mbcnt_hi_u32_b32 v1, s11, v1
	v_cmp_eq_u32_e32 vcc, 0, v1
                                        ; implicit-def: $vgpr2
	s_and_saveexec_b64 s[8:9], vcc
	s_cbranch_execz .LBB155_3
; %bb.2:
	s_load_dwordx2 s[12:13], s[4:5], 0x58
	s_bcnt1_i32_b64 s10, s[10:11]
	v_mov_b32_e32 v2, 0
	v_mov_b32_e32 v3, s10
	s_waitcnt lgkmcnt(0)
	global_atomic_add v2, v2, v3, s[12:13] glc
.LBB155_3:
	s_or_b64 exec, exec, s[8:9]
	s_waitcnt vmcnt(0)
	v_readfirstlane_b32 s8, v2
	v_add_u32_e32 v1, s8, v1
	v_mov_b32_e32 v2, 0
	ds_write_b32 v2, v1
.LBB155_4:
	s_or_b64 exec, exec, s[6:7]
	s_load_dwordx8 s[48:55], s[4:5], 0x0
	s_load_dword s6, s[4:5], 0x30
	s_load_dwordx8 s[40:47], s[4:5], 0x38
	v_mov_b32_e32 v1, 0
	s_waitcnt lgkmcnt(0)
	s_barrier
	ds_read_b32 v1, v1
	s_lshl_b64 s[50:51], s[50:51], 2
	s_add_u32 s7, s48, s50
	s_addc_u32 s8, s49, s51
	s_add_i32 s6, s6, -1
	s_mul_i32 s9, s6, 0x700
	s_sub_u32 s33, s54, s9
	s_waitcnt lgkmcnt(0)
	v_readfirstlane_b32 s63, v1
	s_subb_u32 s62, s55, 0
	s_mul_i32 s4, s63, 0x700
	s_mov_b32 s5, 0
	s_cmp_lg_u32 s63, s6
	s_cselect_b64 s[48:49], -1, 0
	s_lshl_b64 s[54:55], s[4:5], 2
	s_add_u32 s6, s7, s54
	s_addc_u32 s7, s8, s55
	s_mov_b64 s[4:5], -1
	s_and_b64 vcc, exec, s[48:49]
	v_lshlrev_b32_e32 v32, 2, v0
	s_barrier
	s_cbranch_vccz .LBB155_6
; %bb.5:
	v_mov_b32_e32 v1, s7
	v_add_co_u32_e32 v2, vcc, s6, v32
	v_addc_co_u32_e32 v1, vcc, 0, v1, vcc
	v_add_co_u32_e32 v2, vcc, 0x1000, v2
	v_addc_co_u32_e32 v3, vcc, 0, v1, vcc
	global_load_dword v4, v32, s[6:7]
	global_load_dword v5, v32, s[6:7] offset:512
	global_load_dword v6, v32, s[6:7] offset:1024
	;; [unrolled: 1-line block ×7, first 2 shown]
	global_load_dword v1, v[2:3], off
	global_load_dword v12, v[2:3], off offset:512
	global_load_dword v13, v[2:3], off offset:1024
	;; [unrolled: 1-line block ×5, first 2 shown]
	s_mov_b64 s[4:5], 0
	s_waitcnt vmcnt(12)
	ds_write2st64_b32 v32, v4, v5 offset1:2
	s_waitcnt vmcnt(10)
	ds_write2st64_b32 v32, v6, v7 offset0:4 offset1:6
	s_waitcnt vmcnt(8)
	ds_write2st64_b32 v32, v8, v9 offset0:8 offset1:10
	;; [unrolled: 2-line block ×6, first 2 shown]
	s_waitcnt lgkmcnt(0)
	s_barrier
.LBB155_6:
	s_andn2_b64 vcc, exec, s[4:5]
	v_cmp_gt_u32_e64 s[4:5], s33, v0
	s_cbranch_vccnz .LBB155_36
; %bb.7:
	v_mov_b32_e32 v1, 0
	global_load_dword v1, v1, s[6:7]
	s_waitcnt vmcnt(0)
	v_mov_b32_e32 v2, v1
	v_mov_b32_e32 v3, v1
	;; [unrolled: 1-line block ×12, first 2 shown]
	v_pk_mov_b32 v[16:17], v[14:15], v[14:15] op_sel:[0,1]
	v_pk_mov_b32 v[14:15], v[12:13], v[12:13] op_sel:[0,1]
	;; [unrolled: 1-line block ×8, first 2 shown]
	s_and_saveexec_b64 s[8:9], s[4:5]
	s_cbranch_execz .LBB155_9
; %bb.8:
	global_load_dword v18, v32, s[6:7]
	v_mov_b32_e32 v2, v1
	v_mov_b32_e32 v3, v1
	;; [unrolled: 1-line block ×12, first 2 shown]
	v_pk_mov_b32 v[16:17], v[14:15], v[14:15] op_sel:[0,1]
	v_pk_mov_b32 v[14:15], v[12:13], v[12:13] op_sel:[0,1]
	;; [unrolled: 1-line block ×8, first 2 shown]
	s_waitcnt vmcnt(0)
	v_mov_b32_e32 v1, v18
.LBB155_9:
	s_or_b64 exec, exec, s[8:9]
	v_or_b32_e32 v2, 0x80, v0
	v_cmp_gt_u32_e32 vcc, s33, v2
	s_and_saveexec_b64 s[4:5], vcc
	s_cbranch_execz .LBB155_11
; %bb.10:
	global_load_dword v3, v32, s[6:7] offset:512
.LBB155_11:
	s_or_b64 exec, exec, s[4:5]
	v_or_b32_e32 v2, 0x100, v0
	v_cmp_gt_u32_e32 vcc, s33, v2
	s_and_saveexec_b64 s[4:5], vcc
	s_cbranch_execz .LBB155_13
; %bb.12:
	global_load_dword v4, v32, s[6:7] offset:1024
.LBB155_13:
	;; [unrolled: 8-line block ×7, first 2 shown]
	s_or_b64 exec, exec, s[4:5]
	v_or_b32_e32 v2, 0x400, v0
	v_cmp_gt_u32_e32 vcc, s33, v2
	s_and_saveexec_b64 s[4:5], vcc
	s_cbranch_execz .LBB155_25
; %bb.24:
	v_lshlrev_b32_e32 v2, 2, v2
	global_load_dword v10, v2, s[6:7]
.LBB155_25:
	s_or_b64 exec, exec, s[4:5]
	v_or_b32_e32 v2, 0x480, v0
	v_cmp_gt_u32_e32 vcc, s33, v2
	s_and_saveexec_b64 s[4:5], vcc
	s_cbranch_execz .LBB155_27
; %bb.26:
	v_lshlrev_b32_e32 v2, 2, v2
	global_load_dword v11, v2, s[6:7]
.LBB155_27:
	;; [unrolled: 9-line block ×6, first 2 shown]
	s_or_b64 exec, exec, s[4:5]
	s_waitcnt vmcnt(0)
	ds_write2st64_b32 v32, v1, v3 offset1:2
	ds_write2st64_b32 v32, v4, v5 offset0:4 offset1:6
	ds_write2st64_b32 v32, v6, v7 offset0:8 offset1:10
	;; [unrolled: 1-line block ×6, first 2 shown]
	s_waitcnt lgkmcnt(0)
	s_barrier
.LBB155_36:
	v_mul_u32_u24_e32 v33, 14, v0
	v_lshlrev_b32_e32 v1, 2, v33
	ds_read2_b64 v[2:5], v1 offset1:1
	ds_read2_b64 v[26:29], v1 offset0:2 offset1:3
	ds_read2_b64 v[22:25], v1 offset0:4 offset1:5
	ds_read_b64 v[30:31], v1 offset:48
	s_cmp_lg_u32 s63, 0
	s_waitcnt lgkmcnt(0)
	s_barrier
	s_cbranch_scc0 .LBB155_201
; %bb.37:
	v_max_f32_e32 v18, v3, v3
	v_max_f32_e32 v43, v2, v2
	v_min_f32_e32 v6, v43, v18
	v_cmp_u_f32_e64 s[30:31], v2, v2
	v_cndmask_b32_e64 v6, v6, v2, s[30:31]
	v_cmp_u_f32_e64 s[4:5], v3, v3
	v_cndmask_b32_e64 v7, v6, v3, s[4:5]
	v_max_f32_e32 v6, v43, v18
	v_cndmask_b32_e64 v6, v6, v2, s[30:31]
	v_cndmask_b32_e64 v6, v6, v3, s[4:5]
	s_movk_i32 s8, 0x1f8
	v_cmp_neq_f32_e32 vcc, v7, v6
	v_cmp_class_f32_e64 s[6:7], v7, s8
	s_or_b64 s[10:11], vcc, s[6:7]
	v_mov_b32_e32 v44, v2
	s_and_saveexec_b64 s[6:7], s[10:11]
	s_cbranch_execz .LBB155_39
; %bb.38:
	v_sub_f32_e32 v7, v7, v6
	s_mov_b32 s9, 0x3fb8aa3b
	v_mul_f32_e32 v8, 0x3fb8aa3b, v7
	v_fma_f32 v9, v7, s9, -v8
	v_rndne_f32_e32 v10, v8
	v_fmac_f32_e32 v9, 0x32a5705f, v7
	v_sub_f32_e32 v8, v8, v10
	v_add_f32_e32 v8, v8, v9
	v_exp_f32_e32 v8, v8
	v_cvt_i32_f32_e32 v9, v10
	s_mov_b32 s9, 0xc2ce8ed0
	v_cmp_ngt_f32_e32 vcc, s9, v7
	s_mov_b32 s9, 0x42b17218
	v_ldexp_f32 v8, v8, v9
	v_cndmask_b32_e32 v8, 0, v8, vcc
	v_mov_b32_e32 v9, 0x7f800000
	v_cmp_nlt_f32_e32 vcc, s9, v7
	v_cndmask_b32_e32 v19, v9, v8, vcc
	v_add_f32_e32 v7, 1.0, v19
	v_add_f32_e32 v8, -1.0, v7
	v_sub_f32_e32 v9, v8, v7
	v_add_f32_e32 v9, 1.0, v9
	v_sub_f32_e32 v8, v19, v8
	v_add_f32_e32 v10, v8, v9
	v_frexp_mant_f32_e32 v11, v7
	s_mov_b32 s9, 0x3f2aaaab
	v_cvt_f64_f32_e32 v[8:9], v7
	v_frexp_exp_i32_f64_e32 v8, v[8:9]
	v_cmp_gt_f32_e32 vcc, s9, v11
	v_subbrev_co_u32_e32 v16, vcc, 0, v8, vcc
	v_sub_u32_e32 v8, 0, v16
	v_ldexp_f32 v7, v7, v8
	v_ldexp_f32 v8, v10, v8
	v_add_f32_e32 v10, -1.0, v7
	v_add_f32_e32 v9, 1.0, v10
	v_sub_f32_e32 v9, v7, v9
	v_add_f32_e32 v11, v8, v9
	v_add_f32_e32 v9, 1.0, v7
	v_add_f32_e32 v12, -1.0, v9
	v_sub_f32_e32 v7, v7, v12
	v_add_f32_e32 v7, v8, v7
	v_add_f32_e32 v17, v9, v7
	v_rcp_f32_e32 v20, v17
	v_sub_f32_e32 v8, v9, v17
	v_add_f32_e32 v9, v10, v11
	v_add_f32_e32 v7, v7, v8
	v_mul_f32_e32 v34, v9, v20
	v_sub_f32_e32 v8, v10, v9
	v_mul_f32_e32 v10, v17, v34
	v_fma_f32 v12, v34, v17, -v10
	v_fmac_f32_e32 v12, v34, v7
	v_add_f32_e32 v21, v11, v8
	v_add_f32_e32 v8, v10, v12
	v_sub_f32_e32 v11, v9, v8
	v_pk_add_f32 v[14:15], v[8:9], v[10:11] neg_lo:[0,1] neg_hi:[0,1]
	v_mov_b32_e32 v13, v8
	v_pk_add_f32 v[8:9], v[14:15], v[12:13] neg_lo:[0,1] neg_hi:[0,1]
	v_add_f32_e32 v9, v21, v9
	v_add_f32_e32 v8, v8, v9
	;; [unrolled: 1-line block ×3, first 2 shown]
	v_mul_f32_e32 v21, v20, v9
	v_mul_f32_e32 v10, v17, v21
	v_fma_f32 v12, v21, v17, -v10
	v_fmac_f32_e32 v12, v21, v7
	v_sub_f32_e32 v7, v11, v9
	v_add_f32_e32 v7, v8, v7
	v_add_f32_e32 v8, v10, v12
	v_sub_f32_e32 v11, v9, v8
	v_pk_add_f32 v[14:15], v[8:9], v[10:11] neg_lo:[0,1] neg_hi:[0,1]
	v_mov_b32_e32 v13, v8
	v_pk_add_f32 v[8:9], v[14:15], v[12:13] neg_lo:[0,1] neg_hi:[0,1]
	v_add_f32_e32 v7, v7, v9
	v_add_f32_e32 v7, v8, v7
	;; [unrolled: 1-line block ×4, first 2 shown]
	v_sub_f32_e32 v9, v8, v34
	v_mul_f32_e32 v7, v20, v7
	v_sub_f32_e32 v9, v21, v9
	v_add_f32_e32 v7, v9, v7
	v_add_f32_e32 v11, v8, v7
	v_mul_f32_e32 v12, v11, v11
	v_mov_b32_e32 v10, 0x3ecc95a3
	v_fmac_f32_e32 v10, 0x3e9b6dac, v12
	v_mov_b32_e32 v9, 0x3f2aaada
	v_fmac_f32_e32 v9, v12, v10
	v_cvt_f32_i32_e32 v10, v16
	v_sub_f32_e32 v8, v11, v8
	v_sub_f32_e32 v7, v7, v8
	v_ldexp_f32 v13, v11, 1
	v_mul_f32_e32 v11, v11, v12
	v_mov_b32_e32 v8, 0x3f317218
	s_mov_b32 s9, 0x3f317218
	v_pk_mul_f32 v[8:9], v[10:11], v[8:9]
	v_fma_f32 v12, v10, s9, -v8
	v_fmac_f32_e32 v12, 0xb102e308, v10
	v_pk_add_f32 v[10:11], v[8:9], v[12:13]
	v_sub_f32_e32 v13, v11, v13
	v_ldexp_f32 v7, v7, 1
	v_sub_f32_e32 v13, v9, v13
	v_add_f32_e32 v15, v7, v13
	v_mov_b32_e32 v14, v8
	v_pk_add_f32 v[8:9], v[10:11], v[8:9] neg_lo:[0,1] neg_hi:[0,1]
	v_pk_add_f32 v[16:17], v[10:11], v[14:15]
	v_mov_b32_e32 v9, v17
	v_mov_b32_e32 v13, v10
	v_pk_add_f32 v[20:21], v[12:13], v[8:9] neg_lo:[0,1] neg_hi:[0,1]
	v_pk_add_f32 v[8:9], v[12:13], v[8:9]
	v_mov_b32_e32 v12, v9
	v_pk_add_f32 v[34:35], v[12:13], v[10:11] neg_lo:[0,1] neg_hi:[0,1]
	v_mov_b32_e32 v7, v34
	v_pk_add_f32 v[36:37], v[16:17], v[6:7] neg_lo:[0,1] neg_hi:[0,1]
	v_mov_b32_e32 v8, v17
	v_mov_b32_e32 v16, v11
	;; [unrolled: 1-line block ×4, first 2 shown]
	v_pk_add_f32 v[8:9], v[8:9], v[16:17] neg_lo:[0,1] neg_hi:[0,1]
	v_mov_b32_e32 v14, v15
	v_mov_b32_e32 v15, v10
	v_pk_add_f32 v[8:9], v[14:15], v[8:9] neg_lo:[0,1] neg_hi:[0,1]
	v_mov_b32_e32 v36, v20
	v_pk_add_f32 v[10:11], v[36:37], v[8:9]
	v_mov_b32_e32 v14, v11
	v_pk_add_f32 v[14:15], v[10:11], v[14:15]
	v_pk_add_f32 v[12:13], v[12:13], v[14:15]
	v_mov_b32_e32 v11, v12
	v_pk_add_f32 v[16:17], v[10:11], v[20:21] neg_lo:[0,1] neg_hi:[0,1]
	v_mov_b32_e32 v9, v14
	v_sub_f32_e32 v7, v10, v16
	v_pk_add_f32 v[8:9], v[8:9], v[16:17] neg_lo:[0,1] neg_hi:[0,1]
	v_sub_f32_e32 v7, v20, v7
	s_mov_b32 s10, 0x7f800000
	v_add_f32_e32 v7, v8, v7
	s_mov_b32 s9, 0x33800000
	v_add_f32_e32 v7, v7, v9
	v_cmp_eq_f32_e32 vcc, s10, v19
	v_cmp_lt_f32_e64 s[10:11], |v19|, s9
	v_add_f32_e32 v7, v12, v7
	s_or_b64 vcc, vcc, s[10:11]
	v_cndmask_b32_e32 v7, v7, v19, vcc
	v_add_f32_e32 v44, v6, v7
.LBB155_39:
	s_or_b64 exec, exec, s[6:7]
	v_max_f32_e32 v6, v44, v44
	v_max_f32_e32 v19, v4, v4
	v_min_f32_e32 v7, v6, v19
	v_cmp_u_f32_e32 vcc, v44, v44
	v_max_f32_e32 v6, v6, v19
	v_cndmask_b32_e32 v7, v7, v44, vcc
	v_cmp_u_f32_e64 s[6:7], v4, v4
	v_cndmask_b32_e32 v6, v6, v44, vcc
	v_cndmask_b32_e64 v7, v7, v4, s[6:7]
	v_cndmask_b32_e64 v6, v6, v4, s[6:7]
	v_cmp_neq_f32_e32 vcc, v7, v6
	v_cmp_class_f32_e64 s[8:9], v7, s8
	s_or_b64 s[10:11], vcc, s[8:9]
	s_and_saveexec_b64 s[8:9], s[10:11]
	s_cbranch_execz .LBB155_41
; %bb.40:
	v_sub_f32_e32 v7, v7, v6
	s_mov_b32 s10, 0x3fb8aa3b
	v_mul_f32_e32 v8, 0x3fb8aa3b, v7
	v_fma_f32 v9, v7, s10, -v8
	v_rndne_f32_e32 v10, v8
	v_fmac_f32_e32 v9, 0x32a5705f, v7
	v_sub_f32_e32 v8, v8, v10
	v_add_f32_e32 v8, v8, v9
	v_exp_f32_e32 v8, v8
	v_cvt_i32_f32_e32 v9, v10
	s_mov_b32 s10, 0xc2ce8ed0
	v_cmp_ngt_f32_e32 vcc, s10, v7
	s_mov_b32 s10, 0x42b17218
	v_ldexp_f32 v8, v8, v9
	v_cndmask_b32_e32 v8, 0, v8, vcc
	v_mov_b32_e32 v9, 0x7f800000
	v_cmp_nlt_f32_e32 vcc, s10, v7
	v_cndmask_b32_e32 v38, v9, v8, vcc
	v_add_f32_e32 v7, 1.0, v38
	v_add_f32_e32 v8, -1.0, v7
	v_sub_f32_e32 v9, v8, v7
	v_add_f32_e32 v9, 1.0, v9
	v_sub_f32_e32 v8, v38, v8
	v_add_f32_e32 v10, v8, v9
	v_frexp_mant_f32_e32 v11, v7
	s_mov_b32 s10, 0x3f2aaaab
	v_cvt_f64_f32_e32 v[8:9], v7
	v_frexp_exp_i32_f64_e32 v8, v[8:9]
	v_cmp_gt_f32_e32 vcc, s10, v11
	v_subbrev_co_u32_e32 v16, vcc, 0, v8, vcc
	v_sub_u32_e32 v8, 0, v16
	v_ldexp_f32 v7, v7, v8
	v_ldexp_f32 v8, v10, v8
	v_add_f32_e32 v10, -1.0, v7
	v_add_f32_e32 v9, 1.0, v10
	v_sub_f32_e32 v9, v7, v9
	v_add_f32_e32 v11, v8, v9
	v_add_f32_e32 v9, 1.0, v7
	v_add_f32_e32 v12, -1.0, v9
	v_sub_f32_e32 v7, v7, v12
	v_add_f32_e32 v7, v8, v7
	v_add_f32_e32 v17, v9, v7
	v_rcp_f32_e32 v20, v17
	v_sub_f32_e32 v8, v9, v17
	v_add_f32_e32 v9, v10, v11
	v_add_f32_e32 v7, v7, v8
	v_mul_f32_e32 v34, v9, v20
	v_sub_f32_e32 v8, v10, v9
	v_mul_f32_e32 v10, v17, v34
	v_fma_f32 v12, v34, v17, -v10
	v_fmac_f32_e32 v12, v34, v7
	v_add_f32_e32 v21, v11, v8
	v_add_f32_e32 v8, v10, v12
	v_sub_f32_e32 v11, v9, v8
	v_pk_add_f32 v[14:15], v[8:9], v[10:11] neg_lo:[0,1] neg_hi:[0,1]
	v_mov_b32_e32 v13, v8
	v_pk_add_f32 v[8:9], v[14:15], v[12:13] neg_lo:[0,1] neg_hi:[0,1]
	v_add_f32_e32 v9, v21, v9
	v_add_f32_e32 v8, v8, v9
	;; [unrolled: 1-line block ×3, first 2 shown]
	v_mul_f32_e32 v21, v20, v9
	v_mul_f32_e32 v10, v17, v21
	v_fma_f32 v12, v21, v17, -v10
	v_fmac_f32_e32 v12, v21, v7
	v_sub_f32_e32 v7, v11, v9
	v_add_f32_e32 v7, v8, v7
	v_add_f32_e32 v8, v10, v12
	v_sub_f32_e32 v11, v9, v8
	v_pk_add_f32 v[14:15], v[8:9], v[10:11] neg_lo:[0,1] neg_hi:[0,1]
	v_mov_b32_e32 v13, v8
	v_pk_add_f32 v[8:9], v[14:15], v[12:13] neg_lo:[0,1] neg_hi:[0,1]
	v_add_f32_e32 v7, v7, v9
	v_add_f32_e32 v7, v8, v7
	;; [unrolled: 1-line block ×4, first 2 shown]
	v_sub_f32_e32 v9, v8, v34
	v_mul_f32_e32 v7, v20, v7
	v_sub_f32_e32 v9, v21, v9
	v_add_f32_e32 v7, v9, v7
	v_add_f32_e32 v11, v8, v7
	v_mul_f32_e32 v12, v11, v11
	v_mov_b32_e32 v10, 0x3ecc95a3
	v_fmac_f32_e32 v10, 0x3e9b6dac, v12
	v_mov_b32_e32 v9, 0x3f2aaada
	v_fmac_f32_e32 v9, v12, v10
	v_cvt_f32_i32_e32 v10, v16
	v_sub_f32_e32 v8, v11, v8
	v_sub_f32_e32 v7, v7, v8
	v_ldexp_f32 v13, v11, 1
	v_mul_f32_e32 v11, v11, v12
	v_mov_b32_e32 v8, 0x3f317218
	s_mov_b32 s10, 0x3f317218
	v_pk_mul_f32 v[8:9], v[10:11], v[8:9]
	v_fma_f32 v12, v10, s10, -v8
	v_fmac_f32_e32 v12, 0xb102e308, v10
	v_pk_add_f32 v[10:11], v[8:9], v[12:13]
	v_sub_f32_e32 v13, v11, v13
	v_ldexp_f32 v7, v7, 1
	v_sub_f32_e32 v13, v9, v13
	v_add_f32_e32 v15, v7, v13
	v_mov_b32_e32 v14, v8
	v_pk_add_f32 v[8:9], v[10:11], v[8:9] neg_lo:[0,1] neg_hi:[0,1]
	v_pk_add_f32 v[16:17], v[10:11], v[14:15]
	v_mov_b32_e32 v9, v17
	v_mov_b32_e32 v13, v10
	v_pk_add_f32 v[20:21], v[12:13], v[8:9] neg_lo:[0,1] neg_hi:[0,1]
	v_pk_add_f32 v[8:9], v[12:13], v[8:9]
	v_mov_b32_e32 v12, v9
	v_pk_add_f32 v[34:35], v[12:13], v[10:11] neg_lo:[0,1] neg_hi:[0,1]
	v_mov_b32_e32 v7, v34
	v_pk_add_f32 v[36:37], v[16:17], v[6:7] neg_lo:[0,1] neg_hi:[0,1]
	v_mov_b32_e32 v8, v17
	v_mov_b32_e32 v16, v11
	;; [unrolled: 1-line block ×4, first 2 shown]
	v_pk_add_f32 v[8:9], v[8:9], v[16:17] neg_lo:[0,1] neg_hi:[0,1]
	v_mov_b32_e32 v14, v15
	v_mov_b32_e32 v15, v10
	v_pk_add_f32 v[8:9], v[14:15], v[8:9] neg_lo:[0,1] neg_hi:[0,1]
	v_mov_b32_e32 v36, v20
	v_pk_add_f32 v[10:11], v[36:37], v[8:9]
	v_mov_b32_e32 v14, v11
	v_pk_add_f32 v[14:15], v[10:11], v[14:15]
	v_pk_add_f32 v[12:13], v[12:13], v[14:15]
	v_mov_b32_e32 v11, v12
	v_pk_add_f32 v[16:17], v[10:11], v[20:21] neg_lo:[0,1] neg_hi:[0,1]
	v_mov_b32_e32 v9, v14
	v_sub_f32_e32 v7, v10, v16
	v_pk_add_f32 v[8:9], v[8:9], v[16:17] neg_lo:[0,1] neg_hi:[0,1]
	v_sub_f32_e32 v7, v20, v7
	s_mov_b32 s11, 0x7f800000
	v_add_f32_e32 v7, v8, v7
	s_mov_b32 s10, 0x33800000
	v_add_f32_e32 v7, v7, v9
	v_cmp_eq_f32_e32 vcc, s11, v38
	v_cmp_lt_f32_e64 s[10:11], |v38|, s10
	v_add_f32_e32 v7, v12, v7
	s_or_b64 vcc, vcc, s[10:11]
	v_cndmask_b32_e32 v7, v7, v38, vcc
	v_add_f32_e32 v44, v6, v7
.LBB155_41:
	s_or_b64 exec, exec, s[8:9]
	v_max_f32_e32 v6, v44, v44
	v_max_f32_e32 v20, v5, v5
	v_min_f32_e32 v7, v6, v20
	v_cmp_u_f32_e32 vcc, v44, v44
	v_max_f32_e32 v6, v6, v20
	v_cndmask_b32_e32 v7, v7, v44, vcc
	v_cmp_u_f32_e64 s[8:9], v5, v5
	v_cndmask_b32_e32 v6, v6, v44, vcc
	v_cndmask_b32_e64 v7, v7, v5, s[8:9]
	v_cndmask_b32_e64 v6, v6, v5, s[8:9]
	s_movk_i32 s12, 0x1f8
	v_cmp_neq_f32_e32 vcc, v7, v6
	v_cmp_class_f32_e64 s[10:11], v7, s12
	s_or_b64 s[14:15], vcc, s[10:11]
	s_and_saveexec_b64 s[10:11], s[14:15]
	s_cbranch_execz .LBB155_43
; %bb.42:
	v_sub_f32_e32 v7, v7, v6
	s_mov_b32 s13, 0x3fb8aa3b
	v_mul_f32_e32 v8, 0x3fb8aa3b, v7
	v_fma_f32 v9, v7, s13, -v8
	v_rndne_f32_e32 v10, v8
	v_fmac_f32_e32 v9, 0x32a5705f, v7
	v_sub_f32_e32 v8, v8, v10
	v_add_f32_e32 v8, v8, v9
	v_exp_f32_e32 v8, v8
	v_cvt_i32_f32_e32 v9, v10
	s_mov_b32 s13, 0xc2ce8ed0
	v_cmp_ngt_f32_e32 vcc, s13, v7
	s_mov_b32 s13, 0x42b17218
	v_ldexp_f32 v8, v8, v9
	v_cndmask_b32_e32 v8, 0, v8, vcc
	v_mov_b32_e32 v9, 0x7f800000
	v_cmp_nlt_f32_e32 vcc, s13, v7
	v_cndmask_b32_e32 v21, v9, v8, vcc
	v_add_f32_e32 v7, 1.0, v21
	v_add_f32_e32 v8, -1.0, v7
	v_sub_f32_e32 v9, v8, v7
	v_add_f32_e32 v9, 1.0, v9
	v_sub_f32_e32 v8, v21, v8
	v_add_f32_e32 v10, v8, v9
	v_frexp_mant_f32_e32 v11, v7
	s_mov_b32 s13, 0x3f2aaaab
	v_cvt_f64_f32_e32 v[8:9], v7
	v_frexp_exp_i32_f64_e32 v8, v[8:9]
	v_cmp_gt_f32_e32 vcc, s13, v11
	v_subbrev_co_u32_e32 v16, vcc, 0, v8, vcc
	v_sub_u32_e32 v8, 0, v16
	v_ldexp_f32 v7, v7, v8
	v_ldexp_f32 v8, v10, v8
	v_add_f32_e32 v10, -1.0, v7
	v_add_f32_e32 v9, 1.0, v10
	v_sub_f32_e32 v9, v7, v9
	v_add_f32_e32 v11, v8, v9
	v_add_f32_e32 v9, 1.0, v7
	v_add_f32_e32 v12, -1.0, v9
	v_sub_f32_e32 v7, v7, v12
	v_add_f32_e32 v7, v8, v7
	v_add_f32_e32 v17, v9, v7
	v_rcp_f32_e32 v34, v17
	v_sub_f32_e32 v8, v9, v17
	v_add_f32_e32 v9, v10, v11
	v_add_f32_e32 v7, v7, v8
	v_mul_f32_e32 v36, v9, v34
	v_sub_f32_e32 v8, v10, v9
	v_mul_f32_e32 v10, v17, v36
	v_fma_f32 v12, v36, v17, -v10
	v_fmac_f32_e32 v12, v36, v7
	v_add_f32_e32 v35, v11, v8
	v_add_f32_e32 v8, v10, v12
	v_sub_f32_e32 v11, v9, v8
	v_pk_add_f32 v[14:15], v[8:9], v[10:11] neg_lo:[0,1] neg_hi:[0,1]
	v_mov_b32_e32 v13, v8
	v_pk_add_f32 v[8:9], v[14:15], v[12:13] neg_lo:[0,1] neg_hi:[0,1]
	v_add_f32_e32 v9, v35, v9
	v_add_f32_e32 v8, v8, v9
	;; [unrolled: 1-line block ×3, first 2 shown]
	v_mul_f32_e32 v35, v34, v9
	v_mul_f32_e32 v10, v17, v35
	v_fma_f32 v12, v35, v17, -v10
	v_fmac_f32_e32 v12, v35, v7
	v_sub_f32_e32 v7, v11, v9
	v_add_f32_e32 v7, v8, v7
	v_add_f32_e32 v8, v10, v12
	v_sub_f32_e32 v11, v9, v8
	v_pk_add_f32 v[14:15], v[8:9], v[10:11] neg_lo:[0,1] neg_hi:[0,1]
	v_mov_b32_e32 v13, v8
	v_pk_add_f32 v[8:9], v[14:15], v[12:13] neg_lo:[0,1] neg_hi:[0,1]
	v_add_f32_e32 v7, v7, v9
	v_add_f32_e32 v7, v8, v7
	;; [unrolled: 1-line block ×4, first 2 shown]
	v_sub_f32_e32 v9, v8, v36
	v_mul_f32_e32 v7, v34, v7
	v_sub_f32_e32 v9, v35, v9
	v_add_f32_e32 v7, v9, v7
	v_add_f32_e32 v11, v8, v7
	v_mul_f32_e32 v12, v11, v11
	v_mov_b32_e32 v10, 0x3ecc95a3
	v_fmac_f32_e32 v10, 0x3e9b6dac, v12
	v_mov_b32_e32 v9, 0x3f2aaada
	v_fmac_f32_e32 v9, v12, v10
	v_cvt_f32_i32_e32 v10, v16
	v_sub_f32_e32 v8, v11, v8
	v_sub_f32_e32 v7, v7, v8
	v_ldexp_f32 v13, v11, 1
	v_mul_f32_e32 v11, v11, v12
	v_mov_b32_e32 v8, 0x3f317218
	s_mov_b32 s13, 0x3f317218
	v_pk_mul_f32 v[8:9], v[10:11], v[8:9]
	v_fma_f32 v12, v10, s13, -v8
	v_fmac_f32_e32 v12, 0xb102e308, v10
	v_pk_add_f32 v[10:11], v[8:9], v[12:13]
	v_sub_f32_e32 v13, v11, v13
	v_ldexp_f32 v7, v7, 1
	v_sub_f32_e32 v13, v9, v13
	v_add_f32_e32 v15, v7, v13
	v_mov_b32_e32 v14, v8
	v_pk_add_f32 v[8:9], v[10:11], v[8:9] neg_lo:[0,1] neg_hi:[0,1]
	v_pk_add_f32 v[16:17], v[10:11], v[14:15]
	v_mov_b32_e32 v9, v17
	v_mov_b32_e32 v13, v10
	v_pk_add_f32 v[34:35], v[12:13], v[8:9] neg_lo:[0,1] neg_hi:[0,1]
	v_pk_add_f32 v[8:9], v[12:13], v[8:9]
	v_mov_b32_e32 v12, v9
	v_pk_add_f32 v[36:37], v[12:13], v[10:11] neg_lo:[0,1] neg_hi:[0,1]
	v_mov_b32_e32 v7, v36
	v_pk_add_f32 v[38:39], v[16:17], v[6:7] neg_lo:[0,1] neg_hi:[0,1]
	v_mov_b32_e32 v8, v17
	v_mov_b32_e32 v16, v11
	;; [unrolled: 1-line block ×4, first 2 shown]
	v_pk_add_f32 v[8:9], v[8:9], v[16:17] neg_lo:[0,1] neg_hi:[0,1]
	v_mov_b32_e32 v14, v15
	v_mov_b32_e32 v15, v10
	v_pk_add_f32 v[8:9], v[14:15], v[8:9] neg_lo:[0,1] neg_hi:[0,1]
	v_mov_b32_e32 v38, v34
	v_pk_add_f32 v[10:11], v[38:39], v[8:9]
	v_mov_b32_e32 v14, v11
	v_pk_add_f32 v[14:15], v[10:11], v[14:15]
	v_pk_add_f32 v[12:13], v[12:13], v[14:15]
	v_mov_b32_e32 v11, v12
	v_pk_add_f32 v[16:17], v[10:11], v[34:35] neg_lo:[0,1] neg_hi:[0,1]
	v_mov_b32_e32 v9, v14
	v_sub_f32_e32 v7, v10, v16
	v_pk_add_f32 v[8:9], v[8:9], v[16:17] neg_lo:[0,1] neg_hi:[0,1]
	v_sub_f32_e32 v7, v34, v7
	s_mov_b32 s14, 0x7f800000
	v_add_f32_e32 v7, v8, v7
	s_mov_b32 s13, 0x33800000
	v_add_f32_e32 v7, v7, v9
	v_cmp_eq_f32_e32 vcc, s14, v21
	v_cmp_lt_f32_e64 s[14:15], |v21|, s13
	v_add_f32_e32 v7, v12, v7
	s_or_b64 vcc, vcc, s[14:15]
	v_cndmask_b32_e32 v7, v7, v21, vcc
	v_add_f32_e32 v44, v6, v7
.LBB155_43:
	s_or_b64 exec, exec, s[10:11]
	v_max_f32_e32 v6, v44, v44
	v_max_f32_e32 v21, v26, v26
	v_min_f32_e32 v7, v6, v21
	v_cmp_u_f32_e32 vcc, v44, v44
	v_max_f32_e32 v6, v6, v21
	v_cndmask_b32_e32 v7, v7, v44, vcc
	v_cmp_u_f32_e64 s[10:11], v26, v26
	v_cndmask_b32_e32 v6, v6, v44, vcc
	v_cndmask_b32_e64 v7, v7, v26, s[10:11]
	v_cndmask_b32_e64 v6, v6, v26, s[10:11]
	v_cmp_neq_f32_e32 vcc, v7, v6
	v_cmp_class_f32_e64 s[12:13], v7, s12
	s_or_b64 s[14:15], vcc, s[12:13]
	s_and_saveexec_b64 s[12:13], s[14:15]
	s_cbranch_execz .LBB155_45
; %bb.44:
	v_sub_f32_e32 v7, v7, v6
	s_mov_b32 s14, 0x3fb8aa3b
	v_mul_f32_e32 v8, 0x3fb8aa3b, v7
	v_fma_f32 v9, v7, s14, -v8
	v_rndne_f32_e32 v10, v8
	v_fmac_f32_e32 v9, 0x32a5705f, v7
	v_sub_f32_e32 v8, v8, v10
	v_add_f32_e32 v8, v8, v9
	v_exp_f32_e32 v8, v8
	v_cvt_i32_f32_e32 v9, v10
	s_mov_b32 s14, 0xc2ce8ed0
	v_cmp_ngt_f32_e32 vcc, s14, v7
	s_mov_b32 s14, 0x42b17218
	v_ldexp_f32 v8, v8, v9
	v_cndmask_b32_e32 v8, 0, v8, vcc
	v_mov_b32_e32 v9, 0x7f800000
	v_cmp_nlt_f32_e32 vcc, s14, v7
	v_cndmask_b32_e32 v40, v9, v8, vcc
	v_add_f32_e32 v7, 1.0, v40
	v_add_f32_e32 v8, -1.0, v7
	v_sub_f32_e32 v9, v8, v7
	v_add_f32_e32 v9, 1.0, v9
	v_sub_f32_e32 v8, v40, v8
	v_add_f32_e32 v10, v8, v9
	v_frexp_mant_f32_e32 v11, v7
	s_mov_b32 s14, 0x3f2aaaab
	v_cvt_f64_f32_e32 v[8:9], v7
	v_frexp_exp_i32_f64_e32 v8, v[8:9]
	v_cmp_gt_f32_e32 vcc, s14, v11
	v_subbrev_co_u32_e32 v16, vcc, 0, v8, vcc
	v_sub_u32_e32 v8, 0, v16
	v_ldexp_f32 v7, v7, v8
	v_ldexp_f32 v8, v10, v8
	v_add_f32_e32 v10, -1.0, v7
	v_add_f32_e32 v9, 1.0, v10
	v_sub_f32_e32 v9, v7, v9
	v_add_f32_e32 v11, v8, v9
	v_add_f32_e32 v9, 1.0, v7
	v_add_f32_e32 v12, -1.0, v9
	v_sub_f32_e32 v7, v7, v12
	v_add_f32_e32 v7, v8, v7
	v_add_f32_e32 v17, v9, v7
	v_rcp_f32_e32 v34, v17
	v_sub_f32_e32 v8, v9, v17
	v_add_f32_e32 v9, v10, v11
	v_add_f32_e32 v7, v7, v8
	v_mul_f32_e32 v36, v9, v34
	v_sub_f32_e32 v8, v10, v9
	v_mul_f32_e32 v10, v17, v36
	v_fma_f32 v12, v36, v17, -v10
	v_fmac_f32_e32 v12, v36, v7
	v_add_f32_e32 v35, v11, v8
	v_add_f32_e32 v8, v10, v12
	v_sub_f32_e32 v11, v9, v8
	v_pk_add_f32 v[14:15], v[8:9], v[10:11] neg_lo:[0,1] neg_hi:[0,1]
	v_mov_b32_e32 v13, v8
	v_pk_add_f32 v[8:9], v[14:15], v[12:13] neg_lo:[0,1] neg_hi:[0,1]
	v_add_f32_e32 v9, v35, v9
	v_add_f32_e32 v8, v8, v9
	;; [unrolled: 1-line block ×3, first 2 shown]
	v_mul_f32_e32 v35, v34, v9
	v_mul_f32_e32 v10, v17, v35
	v_fma_f32 v12, v35, v17, -v10
	v_fmac_f32_e32 v12, v35, v7
	v_sub_f32_e32 v7, v11, v9
	v_add_f32_e32 v7, v8, v7
	v_add_f32_e32 v8, v10, v12
	v_sub_f32_e32 v11, v9, v8
	v_pk_add_f32 v[14:15], v[8:9], v[10:11] neg_lo:[0,1] neg_hi:[0,1]
	v_mov_b32_e32 v13, v8
	v_pk_add_f32 v[8:9], v[14:15], v[12:13] neg_lo:[0,1] neg_hi:[0,1]
	v_add_f32_e32 v7, v7, v9
	v_add_f32_e32 v7, v8, v7
	;; [unrolled: 1-line block ×4, first 2 shown]
	v_sub_f32_e32 v9, v8, v36
	v_mul_f32_e32 v7, v34, v7
	v_sub_f32_e32 v9, v35, v9
	v_add_f32_e32 v7, v9, v7
	v_add_f32_e32 v11, v8, v7
	v_mul_f32_e32 v12, v11, v11
	v_mov_b32_e32 v10, 0x3ecc95a3
	v_fmac_f32_e32 v10, 0x3e9b6dac, v12
	v_mov_b32_e32 v9, 0x3f2aaada
	v_fmac_f32_e32 v9, v12, v10
	v_cvt_f32_i32_e32 v10, v16
	v_sub_f32_e32 v8, v11, v8
	v_sub_f32_e32 v7, v7, v8
	v_ldexp_f32 v13, v11, 1
	v_mul_f32_e32 v11, v11, v12
	v_mov_b32_e32 v8, 0x3f317218
	s_mov_b32 s14, 0x3f317218
	v_pk_mul_f32 v[8:9], v[10:11], v[8:9]
	v_fma_f32 v12, v10, s14, -v8
	v_fmac_f32_e32 v12, 0xb102e308, v10
	v_pk_add_f32 v[10:11], v[8:9], v[12:13]
	v_sub_f32_e32 v13, v11, v13
	v_ldexp_f32 v7, v7, 1
	v_sub_f32_e32 v13, v9, v13
	v_add_f32_e32 v15, v7, v13
	v_mov_b32_e32 v14, v8
	v_pk_add_f32 v[8:9], v[10:11], v[8:9] neg_lo:[0,1] neg_hi:[0,1]
	v_pk_add_f32 v[16:17], v[10:11], v[14:15]
	v_mov_b32_e32 v9, v17
	v_mov_b32_e32 v13, v10
	v_pk_add_f32 v[34:35], v[12:13], v[8:9] neg_lo:[0,1] neg_hi:[0,1]
	v_pk_add_f32 v[8:9], v[12:13], v[8:9]
	v_mov_b32_e32 v12, v9
	v_pk_add_f32 v[36:37], v[12:13], v[10:11] neg_lo:[0,1] neg_hi:[0,1]
	v_mov_b32_e32 v7, v36
	v_pk_add_f32 v[38:39], v[16:17], v[6:7] neg_lo:[0,1] neg_hi:[0,1]
	v_mov_b32_e32 v8, v17
	v_mov_b32_e32 v16, v11
	;; [unrolled: 1-line block ×4, first 2 shown]
	v_pk_add_f32 v[8:9], v[8:9], v[16:17] neg_lo:[0,1] neg_hi:[0,1]
	v_mov_b32_e32 v14, v15
	v_mov_b32_e32 v15, v10
	v_pk_add_f32 v[8:9], v[14:15], v[8:9] neg_lo:[0,1] neg_hi:[0,1]
	v_mov_b32_e32 v38, v34
	v_pk_add_f32 v[10:11], v[38:39], v[8:9]
	v_mov_b32_e32 v14, v11
	v_pk_add_f32 v[14:15], v[10:11], v[14:15]
	v_pk_add_f32 v[12:13], v[12:13], v[14:15]
	v_mov_b32_e32 v11, v12
	v_pk_add_f32 v[16:17], v[10:11], v[34:35] neg_lo:[0,1] neg_hi:[0,1]
	v_mov_b32_e32 v9, v14
	v_sub_f32_e32 v7, v10, v16
	v_pk_add_f32 v[8:9], v[8:9], v[16:17] neg_lo:[0,1] neg_hi:[0,1]
	v_sub_f32_e32 v7, v34, v7
	s_mov_b32 s15, 0x7f800000
	v_add_f32_e32 v7, v8, v7
	s_mov_b32 s14, 0x33800000
	v_add_f32_e32 v7, v7, v9
	v_cmp_eq_f32_e32 vcc, s15, v40
	v_cmp_lt_f32_e64 s[14:15], |v40|, s14
	v_add_f32_e32 v7, v12, v7
	s_or_b64 vcc, vcc, s[14:15]
	v_cndmask_b32_e32 v7, v7, v40, vcc
	v_add_f32_e32 v44, v6, v7
.LBB155_45:
	s_or_b64 exec, exec, s[12:13]
	v_max_f32_e32 v6, v44, v44
	v_max_f32_e32 v34, v27, v27
	v_min_f32_e32 v7, v6, v34
	v_cmp_u_f32_e32 vcc, v44, v44
	v_max_f32_e32 v6, v6, v34
	v_cndmask_b32_e32 v7, v7, v44, vcc
	v_cmp_u_f32_e64 s[12:13], v27, v27
	v_cndmask_b32_e32 v6, v6, v44, vcc
	v_cndmask_b32_e64 v7, v7, v27, s[12:13]
	v_cndmask_b32_e64 v6, v6, v27, s[12:13]
	s_movk_i32 s16, 0x1f8
	v_cmp_neq_f32_e32 vcc, v7, v6
	v_cmp_class_f32_e64 s[14:15], v7, s16
	s_or_b64 s[18:19], vcc, s[14:15]
	s_and_saveexec_b64 s[14:15], s[18:19]
	s_cbranch_execz .LBB155_47
; %bb.46:
	v_sub_f32_e32 v7, v7, v6
	s_mov_b32 s17, 0x3fb8aa3b
	v_mul_f32_e32 v8, 0x3fb8aa3b, v7
	v_fma_f32 v9, v7, s17, -v8
	v_rndne_f32_e32 v10, v8
	v_fmac_f32_e32 v9, 0x32a5705f, v7
	v_sub_f32_e32 v8, v8, v10
	v_add_f32_e32 v8, v8, v9
	v_exp_f32_e32 v8, v8
	v_cvt_i32_f32_e32 v9, v10
	s_mov_b32 s17, 0xc2ce8ed0
	v_cmp_ngt_f32_e32 vcc, s17, v7
	s_mov_b32 s17, 0x42b17218
	v_ldexp_f32 v8, v8, v9
	v_cndmask_b32_e32 v8, 0, v8, vcc
	v_mov_b32_e32 v9, 0x7f800000
	v_cmp_nlt_f32_e32 vcc, s17, v7
	v_cndmask_b32_e32 v35, v9, v8, vcc
	v_add_f32_e32 v7, 1.0, v35
	v_add_f32_e32 v8, -1.0, v7
	v_sub_f32_e32 v9, v8, v7
	v_add_f32_e32 v9, 1.0, v9
	v_sub_f32_e32 v8, v35, v8
	v_add_f32_e32 v10, v8, v9
	v_frexp_mant_f32_e32 v11, v7
	s_mov_b32 s17, 0x3f2aaaab
	v_cvt_f64_f32_e32 v[8:9], v7
	v_frexp_exp_i32_f64_e32 v8, v[8:9]
	v_cmp_gt_f32_e32 vcc, s17, v11
	v_subbrev_co_u32_e32 v16, vcc, 0, v8, vcc
	v_sub_u32_e32 v8, 0, v16
	v_ldexp_f32 v7, v7, v8
	v_ldexp_f32 v8, v10, v8
	v_add_f32_e32 v10, -1.0, v7
	v_add_f32_e32 v9, 1.0, v10
	v_sub_f32_e32 v9, v7, v9
	v_add_f32_e32 v11, v8, v9
	v_add_f32_e32 v9, 1.0, v7
	v_add_f32_e32 v12, -1.0, v9
	v_sub_f32_e32 v7, v7, v12
	v_add_f32_e32 v7, v8, v7
	v_add_f32_e32 v17, v9, v7
	v_rcp_f32_e32 v36, v17
	v_sub_f32_e32 v8, v9, v17
	v_add_f32_e32 v9, v10, v11
	v_add_f32_e32 v7, v7, v8
	v_mul_f32_e32 v38, v9, v36
	v_sub_f32_e32 v8, v10, v9
	v_mul_f32_e32 v10, v17, v38
	v_fma_f32 v12, v38, v17, -v10
	v_fmac_f32_e32 v12, v38, v7
	v_add_f32_e32 v37, v11, v8
	v_add_f32_e32 v8, v10, v12
	v_sub_f32_e32 v11, v9, v8
	v_pk_add_f32 v[14:15], v[8:9], v[10:11] neg_lo:[0,1] neg_hi:[0,1]
	v_mov_b32_e32 v13, v8
	v_pk_add_f32 v[8:9], v[14:15], v[12:13] neg_lo:[0,1] neg_hi:[0,1]
	v_add_f32_e32 v9, v37, v9
	v_add_f32_e32 v8, v8, v9
	;; [unrolled: 1-line block ×3, first 2 shown]
	v_mul_f32_e32 v37, v36, v9
	v_mul_f32_e32 v10, v17, v37
	v_fma_f32 v12, v37, v17, -v10
	v_fmac_f32_e32 v12, v37, v7
	v_sub_f32_e32 v7, v11, v9
	v_add_f32_e32 v7, v8, v7
	v_add_f32_e32 v8, v10, v12
	v_sub_f32_e32 v11, v9, v8
	v_pk_add_f32 v[14:15], v[8:9], v[10:11] neg_lo:[0,1] neg_hi:[0,1]
	v_mov_b32_e32 v13, v8
	v_pk_add_f32 v[8:9], v[14:15], v[12:13] neg_lo:[0,1] neg_hi:[0,1]
	v_add_f32_e32 v7, v7, v9
	v_add_f32_e32 v7, v8, v7
	;; [unrolled: 1-line block ×4, first 2 shown]
	v_sub_f32_e32 v9, v8, v38
	v_mul_f32_e32 v7, v36, v7
	v_sub_f32_e32 v9, v37, v9
	v_add_f32_e32 v7, v9, v7
	v_add_f32_e32 v11, v8, v7
	v_mul_f32_e32 v12, v11, v11
	v_mov_b32_e32 v10, 0x3ecc95a3
	v_fmac_f32_e32 v10, 0x3e9b6dac, v12
	v_mov_b32_e32 v9, 0x3f2aaada
	v_fmac_f32_e32 v9, v12, v10
	v_cvt_f32_i32_e32 v10, v16
	v_sub_f32_e32 v8, v11, v8
	v_sub_f32_e32 v7, v7, v8
	v_ldexp_f32 v13, v11, 1
	v_mul_f32_e32 v11, v11, v12
	v_mov_b32_e32 v8, 0x3f317218
	s_mov_b32 s17, 0x3f317218
	v_pk_mul_f32 v[8:9], v[10:11], v[8:9]
	v_fma_f32 v12, v10, s17, -v8
	v_fmac_f32_e32 v12, 0xb102e308, v10
	v_pk_add_f32 v[10:11], v[8:9], v[12:13]
	v_sub_f32_e32 v13, v11, v13
	v_ldexp_f32 v7, v7, 1
	v_sub_f32_e32 v13, v9, v13
	v_add_f32_e32 v15, v7, v13
	v_mov_b32_e32 v14, v8
	v_pk_add_f32 v[8:9], v[10:11], v[8:9] neg_lo:[0,1] neg_hi:[0,1]
	v_pk_add_f32 v[16:17], v[10:11], v[14:15]
	v_mov_b32_e32 v9, v17
	v_mov_b32_e32 v13, v10
	v_pk_add_f32 v[36:37], v[12:13], v[8:9] neg_lo:[0,1] neg_hi:[0,1]
	v_pk_add_f32 v[8:9], v[12:13], v[8:9]
	v_mov_b32_e32 v12, v9
	v_pk_add_f32 v[38:39], v[12:13], v[10:11] neg_lo:[0,1] neg_hi:[0,1]
	v_mov_b32_e32 v7, v38
	v_pk_add_f32 v[40:41], v[16:17], v[6:7] neg_lo:[0,1] neg_hi:[0,1]
	v_mov_b32_e32 v8, v17
	v_mov_b32_e32 v16, v11
	;; [unrolled: 1-line block ×4, first 2 shown]
	v_pk_add_f32 v[8:9], v[8:9], v[16:17] neg_lo:[0,1] neg_hi:[0,1]
	v_mov_b32_e32 v14, v15
	v_mov_b32_e32 v15, v10
	v_pk_add_f32 v[8:9], v[14:15], v[8:9] neg_lo:[0,1] neg_hi:[0,1]
	v_mov_b32_e32 v40, v36
	v_pk_add_f32 v[10:11], v[40:41], v[8:9]
	v_mov_b32_e32 v14, v11
	v_pk_add_f32 v[14:15], v[10:11], v[14:15]
	v_pk_add_f32 v[12:13], v[12:13], v[14:15]
	v_mov_b32_e32 v11, v12
	v_pk_add_f32 v[16:17], v[10:11], v[36:37] neg_lo:[0,1] neg_hi:[0,1]
	v_mov_b32_e32 v9, v14
	v_sub_f32_e32 v7, v10, v16
	v_pk_add_f32 v[8:9], v[8:9], v[16:17] neg_lo:[0,1] neg_hi:[0,1]
	v_sub_f32_e32 v7, v36, v7
	s_mov_b32 s18, 0x7f800000
	v_add_f32_e32 v7, v8, v7
	s_mov_b32 s17, 0x33800000
	v_add_f32_e32 v7, v7, v9
	v_cmp_eq_f32_e32 vcc, s18, v35
	v_cmp_lt_f32_e64 s[18:19], |v35|, s17
	v_add_f32_e32 v7, v12, v7
	s_or_b64 vcc, vcc, s[18:19]
	v_cndmask_b32_e32 v7, v7, v35, vcc
	v_add_f32_e32 v44, v6, v7
.LBB155_47:
	s_or_b64 exec, exec, s[14:15]
	v_max_f32_e32 v6, v44, v44
	v_max_f32_e32 v35, v28, v28
	v_min_f32_e32 v7, v6, v35
	v_cmp_u_f32_e32 vcc, v44, v44
	v_max_f32_e32 v6, v6, v35
	v_cndmask_b32_e32 v7, v7, v44, vcc
	v_cmp_u_f32_e64 s[14:15], v28, v28
	v_cndmask_b32_e32 v6, v6, v44, vcc
	v_cndmask_b32_e64 v7, v7, v28, s[14:15]
	v_cndmask_b32_e64 v6, v6, v28, s[14:15]
	v_cmp_neq_f32_e32 vcc, v7, v6
	v_cmp_class_f32_e64 s[16:17], v7, s16
	s_or_b64 s[18:19], vcc, s[16:17]
	s_and_saveexec_b64 s[16:17], s[18:19]
	s_cbranch_execz .LBB155_49
; %bb.48:
	v_sub_f32_e32 v7, v7, v6
	s_mov_b32 s18, 0x3fb8aa3b
	v_mul_f32_e32 v8, 0x3fb8aa3b, v7
	v_fma_f32 v9, v7, s18, -v8
	v_rndne_f32_e32 v10, v8
	v_fmac_f32_e32 v9, 0x32a5705f, v7
	v_sub_f32_e32 v8, v8, v10
	v_add_f32_e32 v8, v8, v9
	v_exp_f32_e32 v8, v8
	v_cvt_i32_f32_e32 v9, v10
	s_mov_b32 s18, 0xc2ce8ed0
	v_cmp_ngt_f32_e32 vcc, s18, v7
	s_mov_b32 s18, 0x42b17218
	v_ldexp_f32 v8, v8, v9
	v_cndmask_b32_e32 v8, 0, v8, vcc
	v_mov_b32_e32 v9, 0x7f800000
	v_cmp_nlt_f32_e32 vcc, s18, v7
	v_cndmask_b32_e32 v42, v9, v8, vcc
	v_add_f32_e32 v7, 1.0, v42
	v_add_f32_e32 v8, -1.0, v7
	v_sub_f32_e32 v9, v8, v7
	v_add_f32_e32 v9, 1.0, v9
	v_sub_f32_e32 v8, v42, v8
	v_add_f32_e32 v10, v8, v9
	v_frexp_mant_f32_e32 v11, v7
	s_mov_b32 s18, 0x3f2aaaab
	v_cvt_f64_f32_e32 v[8:9], v7
	v_frexp_exp_i32_f64_e32 v8, v[8:9]
	v_cmp_gt_f32_e32 vcc, s18, v11
	v_subbrev_co_u32_e32 v16, vcc, 0, v8, vcc
	v_sub_u32_e32 v8, 0, v16
	v_ldexp_f32 v7, v7, v8
	v_ldexp_f32 v8, v10, v8
	v_add_f32_e32 v10, -1.0, v7
	v_add_f32_e32 v9, 1.0, v10
	v_sub_f32_e32 v9, v7, v9
	v_add_f32_e32 v11, v8, v9
	v_add_f32_e32 v9, 1.0, v7
	v_add_f32_e32 v12, -1.0, v9
	v_sub_f32_e32 v7, v7, v12
	v_add_f32_e32 v7, v8, v7
	v_add_f32_e32 v17, v9, v7
	v_rcp_f32_e32 v36, v17
	v_sub_f32_e32 v8, v9, v17
	v_add_f32_e32 v9, v10, v11
	v_add_f32_e32 v7, v7, v8
	v_mul_f32_e32 v38, v9, v36
	v_sub_f32_e32 v8, v10, v9
	v_mul_f32_e32 v10, v17, v38
	v_fma_f32 v12, v38, v17, -v10
	v_fmac_f32_e32 v12, v38, v7
	v_add_f32_e32 v37, v11, v8
	v_add_f32_e32 v8, v10, v12
	v_sub_f32_e32 v11, v9, v8
	v_pk_add_f32 v[14:15], v[8:9], v[10:11] neg_lo:[0,1] neg_hi:[0,1]
	v_mov_b32_e32 v13, v8
	v_pk_add_f32 v[8:9], v[14:15], v[12:13] neg_lo:[0,1] neg_hi:[0,1]
	v_add_f32_e32 v9, v37, v9
	v_add_f32_e32 v8, v8, v9
	;; [unrolled: 1-line block ×3, first 2 shown]
	v_mul_f32_e32 v37, v36, v9
	v_mul_f32_e32 v10, v17, v37
	v_fma_f32 v12, v37, v17, -v10
	v_fmac_f32_e32 v12, v37, v7
	v_sub_f32_e32 v7, v11, v9
	v_add_f32_e32 v7, v8, v7
	v_add_f32_e32 v8, v10, v12
	v_sub_f32_e32 v11, v9, v8
	v_pk_add_f32 v[14:15], v[8:9], v[10:11] neg_lo:[0,1] neg_hi:[0,1]
	v_mov_b32_e32 v13, v8
	v_pk_add_f32 v[8:9], v[14:15], v[12:13] neg_lo:[0,1] neg_hi:[0,1]
	v_add_f32_e32 v7, v7, v9
	v_add_f32_e32 v7, v8, v7
	;; [unrolled: 1-line block ×4, first 2 shown]
	v_sub_f32_e32 v9, v8, v38
	v_mul_f32_e32 v7, v36, v7
	v_sub_f32_e32 v9, v37, v9
	v_add_f32_e32 v7, v9, v7
	v_add_f32_e32 v11, v8, v7
	v_mul_f32_e32 v12, v11, v11
	v_mov_b32_e32 v10, 0x3ecc95a3
	v_fmac_f32_e32 v10, 0x3e9b6dac, v12
	v_mov_b32_e32 v9, 0x3f2aaada
	v_fmac_f32_e32 v9, v12, v10
	v_cvt_f32_i32_e32 v10, v16
	v_sub_f32_e32 v8, v11, v8
	v_sub_f32_e32 v7, v7, v8
	v_ldexp_f32 v13, v11, 1
	v_mul_f32_e32 v11, v11, v12
	v_mov_b32_e32 v8, 0x3f317218
	s_mov_b32 s18, 0x3f317218
	v_pk_mul_f32 v[8:9], v[10:11], v[8:9]
	v_fma_f32 v12, v10, s18, -v8
	v_fmac_f32_e32 v12, 0xb102e308, v10
	v_pk_add_f32 v[10:11], v[8:9], v[12:13]
	v_sub_f32_e32 v13, v11, v13
	v_ldexp_f32 v7, v7, 1
	v_sub_f32_e32 v13, v9, v13
	v_add_f32_e32 v15, v7, v13
	v_mov_b32_e32 v14, v8
	v_pk_add_f32 v[8:9], v[10:11], v[8:9] neg_lo:[0,1] neg_hi:[0,1]
	v_pk_add_f32 v[16:17], v[10:11], v[14:15]
	v_mov_b32_e32 v9, v17
	v_mov_b32_e32 v13, v10
	v_pk_add_f32 v[36:37], v[12:13], v[8:9] neg_lo:[0,1] neg_hi:[0,1]
	v_pk_add_f32 v[8:9], v[12:13], v[8:9]
	v_mov_b32_e32 v12, v9
	v_pk_add_f32 v[38:39], v[12:13], v[10:11] neg_lo:[0,1] neg_hi:[0,1]
	v_mov_b32_e32 v7, v38
	v_pk_add_f32 v[40:41], v[16:17], v[6:7] neg_lo:[0,1] neg_hi:[0,1]
	v_mov_b32_e32 v8, v17
	v_mov_b32_e32 v16, v11
	;; [unrolled: 1-line block ×4, first 2 shown]
	v_pk_add_f32 v[8:9], v[8:9], v[16:17] neg_lo:[0,1] neg_hi:[0,1]
	v_mov_b32_e32 v14, v15
	v_mov_b32_e32 v15, v10
	v_pk_add_f32 v[8:9], v[14:15], v[8:9] neg_lo:[0,1] neg_hi:[0,1]
	v_mov_b32_e32 v40, v36
	v_pk_add_f32 v[10:11], v[40:41], v[8:9]
	v_mov_b32_e32 v14, v11
	v_pk_add_f32 v[14:15], v[10:11], v[14:15]
	v_pk_add_f32 v[12:13], v[12:13], v[14:15]
	v_mov_b32_e32 v11, v12
	v_pk_add_f32 v[16:17], v[10:11], v[36:37] neg_lo:[0,1] neg_hi:[0,1]
	v_mov_b32_e32 v9, v14
	v_sub_f32_e32 v7, v10, v16
	v_pk_add_f32 v[8:9], v[8:9], v[16:17] neg_lo:[0,1] neg_hi:[0,1]
	v_sub_f32_e32 v7, v36, v7
	s_mov_b32 s19, 0x7f800000
	v_add_f32_e32 v7, v8, v7
	s_mov_b32 s18, 0x33800000
	v_add_f32_e32 v7, v7, v9
	v_cmp_eq_f32_e32 vcc, s19, v42
	v_cmp_lt_f32_e64 s[18:19], |v42|, s18
	v_add_f32_e32 v7, v12, v7
	s_or_b64 vcc, vcc, s[18:19]
	v_cndmask_b32_e32 v7, v7, v42, vcc
	v_add_f32_e32 v44, v6, v7
.LBB155_49:
	s_or_b64 exec, exec, s[16:17]
	v_max_f32_e32 v6, v44, v44
	v_max_f32_e32 v36, v29, v29
	v_min_f32_e32 v7, v6, v36
	v_cmp_u_f32_e32 vcc, v44, v44
	v_max_f32_e32 v6, v6, v36
	v_cndmask_b32_e32 v7, v7, v44, vcc
	v_cmp_u_f32_e64 s[16:17], v29, v29
	v_cndmask_b32_e32 v6, v6, v44, vcc
	v_cndmask_b32_e64 v7, v7, v29, s[16:17]
	v_cndmask_b32_e64 v6, v6, v29, s[16:17]
	s_movk_i32 s20, 0x1f8
	v_cmp_neq_f32_e32 vcc, v7, v6
	v_cmp_class_f32_e64 s[18:19], v7, s20
	s_or_b64 s[22:23], vcc, s[18:19]
	s_and_saveexec_b64 s[18:19], s[22:23]
	s_cbranch_execz .LBB155_51
; %bb.50:
	v_sub_f32_e32 v7, v7, v6
	s_mov_b32 s21, 0x3fb8aa3b
	v_mul_f32_e32 v8, 0x3fb8aa3b, v7
	v_fma_f32 v9, v7, s21, -v8
	v_rndne_f32_e32 v10, v8
	v_fmac_f32_e32 v9, 0x32a5705f, v7
	v_sub_f32_e32 v8, v8, v10
	v_add_f32_e32 v8, v8, v9
	v_exp_f32_e32 v8, v8
	v_cvt_i32_f32_e32 v9, v10
	s_mov_b32 s21, 0xc2ce8ed0
	v_cmp_ngt_f32_e32 vcc, s21, v7
	s_mov_b32 s21, 0x42b17218
	v_ldexp_f32 v8, v8, v9
	v_cndmask_b32_e32 v8, 0, v8, vcc
	v_mov_b32_e32 v9, 0x7f800000
	v_cmp_nlt_f32_e32 vcc, s21, v7
	v_cndmask_b32_e32 v37, v9, v8, vcc
	v_add_f32_e32 v7, 1.0, v37
	v_add_f32_e32 v8, -1.0, v7
	v_sub_f32_e32 v9, v8, v7
	v_add_f32_e32 v9, 1.0, v9
	v_sub_f32_e32 v8, v37, v8
	v_add_f32_e32 v10, v8, v9
	v_frexp_mant_f32_e32 v11, v7
	s_mov_b32 s21, 0x3f2aaaab
	v_cvt_f64_f32_e32 v[8:9], v7
	v_frexp_exp_i32_f64_e32 v8, v[8:9]
	v_cmp_gt_f32_e32 vcc, s21, v11
	v_subbrev_co_u32_e32 v16, vcc, 0, v8, vcc
	v_sub_u32_e32 v8, 0, v16
	v_ldexp_f32 v7, v7, v8
	v_ldexp_f32 v8, v10, v8
	v_add_f32_e32 v10, -1.0, v7
	v_add_f32_e32 v9, 1.0, v10
	v_sub_f32_e32 v9, v7, v9
	v_add_f32_e32 v11, v8, v9
	v_add_f32_e32 v9, 1.0, v7
	v_add_f32_e32 v12, -1.0, v9
	v_sub_f32_e32 v7, v7, v12
	v_add_f32_e32 v7, v8, v7
	v_add_f32_e32 v17, v9, v7
	v_rcp_f32_e32 v38, v17
	v_sub_f32_e32 v8, v9, v17
	v_add_f32_e32 v9, v10, v11
	v_add_f32_e32 v7, v7, v8
	v_mul_f32_e32 v40, v9, v38
	v_sub_f32_e32 v8, v10, v9
	v_mul_f32_e32 v10, v17, v40
	v_fma_f32 v12, v40, v17, -v10
	v_fmac_f32_e32 v12, v40, v7
	v_add_f32_e32 v39, v11, v8
	v_add_f32_e32 v8, v10, v12
	v_sub_f32_e32 v11, v9, v8
	v_pk_add_f32 v[14:15], v[8:9], v[10:11] neg_lo:[0,1] neg_hi:[0,1]
	v_mov_b32_e32 v13, v8
	v_pk_add_f32 v[8:9], v[14:15], v[12:13] neg_lo:[0,1] neg_hi:[0,1]
	v_add_f32_e32 v9, v39, v9
	v_add_f32_e32 v8, v8, v9
	;; [unrolled: 1-line block ×3, first 2 shown]
	v_mul_f32_e32 v39, v38, v9
	v_mul_f32_e32 v10, v17, v39
	v_fma_f32 v12, v39, v17, -v10
	v_fmac_f32_e32 v12, v39, v7
	v_sub_f32_e32 v7, v11, v9
	v_add_f32_e32 v7, v8, v7
	v_add_f32_e32 v8, v10, v12
	v_sub_f32_e32 v11, v9, v8
	v_pk_add_f32 v[14:15], v[8:9], v[10:11] neg_lo:[0,1] neg_hi:[0,1]
	v_mov_b32_e32 v13, v8
	v_pk_add_f32 v[8:9], v[14:15], v[12:13] neg_lo:[0,1] neg_hi:[0,1]
	v_add_f32_e32 v7, v7, v9
	v_add_f32_e32 v7, v8, v7
	;; [unrolled: 1-line block ×4, first 2 shown]
	v_sub_f32_e32 v9, v8, v40
	v_mul_f32_e32 v7, v38, v7
	v_sub_f32_e32 v9, v39, v9
	v_add_f32_e32 v7, v9, v7
	v_add_f32_e32 v11, v8, v7
	v_mul_f32_e32 v12, v11, v11
	v_mov_b32_e32 v10, 0x3ecc95a3
	v_fmac_f32_e32 v10, 0x3e9b6dac, v12
	v_mov_b32_e32 v9, 0x3f2aaada
	v_fmac_f32_e32 v9, v12, v10
	v_cvt_f32_i32_e32 v10, v16
	v_sub_f32_e32 v8, v11, v8
	v_sub_f32_e32 v7, v7, v8
	v_ldexp_f32 v13, v11, 1
	v_mul_f32_e32 v11, v11, v12
	v_mov_b32_e32 v8, 0x3f317218
	s_mov_b32 s21, 0x3f317218
	v_pk_mul_f32 v[8:9], v[10:11], v[8:9]
	v_fma_f32 v12, v10, s21, -v8
	v_fmac_f32_e32 v12, 0xb102e308, v10
	v_pk_add_f32 v[10:11], v[8:9], v[12:13]
	v_sub_f32_e32 v13, v11, v13
	v_ldexp_f32 v7, v7, 1
	v_sub_f32_e32 v13, v9, v13
	v_add_f32_e32 v15, v7, v13
	v_mov_b32_e32 v14, v8
	v_pk_add_f32 v[8:9], v[10:11], v[8:9] neg_lo:[0,1] neg_hi:[0,1]
	v_pk_add_f32 v[16:17], v[10:11], v[14:15]
	v_mov_b32_e32 v9, v17
	v_mov_b32_e32 v13, v10
	v_pk_add_f32 v[38:39], v[12:13], v[8:9] neg_lo:[0,1] neg_hi:[0,1]
	v_pk_add_f32 v[8:9], v[12:13], v[8:9]
	v_mov_b32_e32 v12, v9
	v_pk_add_f32 v[40:41], v[12:13], v[10:11] neg_lo:[0,1] neg_hi:[0,1]
	v_mov_b32_e32 v7, v40
	v_pk_add_f32 v[44:45], v[16:17], v[6:7] neg_lo:[0,1] neg_hi:[0,1]
	v_mov_b32_e32 v8, v17
	v_mov_b32_e32 v16, v11
	;; [unrolled: 1-line block ×4, first 2 shown]
	v_pk_add_f32 v[8:9], v[8:9], v[16:17] neg_lo:[0,1] neg_hi:[0,1]
	v_mov_b32_e32 v14, v15
	v_mov_b32_e32 v15, v10
	v_pk_add_f32 v[8:9], v[14:15], v[8:9] neg_lo:[0,1] neg_hi:[0,1]
	v_mov_b32_e32 v44, v38
	v_pk_add_f32 v[10:11], v[44:45], v[8:9]
	v_mov_b32_e32 v14, v11
	v_pk_add_f32 v[14:15], v[10:11], v[14:15]
	v_pk_add_f32 v[12:13], v[12:13], v[14:15]
	v_mov_b32_e32 v11, v12
	v_pk_add_f32 v[16:17], v[10:11], v[38:39] neg_lo:[0,1] neg_hi:[0,1]
	v_mov_b32_e32 v9, v14
	v_sub_f32_e32 v7, v10, v16
	v_pk_add_f32 v[8:9], v[8:9], v[16:17] neg_lo:[0,1] neg_hi:[0,1]
	v_sub_f32_e32 v7, v38, v7
	s_mov_b32 s22, 0x7f800000
	v_add_f32_e32 v7, v8, v7
	s_mov_b32 s21, 0x33800000
	v_add_f32_e32 v7, v7, v9
	v_cmp_eq_f32_e32 vcc, s22, v37
	v_cmp_lt_f32_e64 s[22:23], |v37|, s21
	v_add_f32_e32 v7, v12, v7
	s_or_b64 vcc, vcc, s[22:23]
	v_cndmask_b32_e32 v7, v7, v37, vcc
	v_add_f32_e32 v44, v6, v7
.LBB155_51:
	s_or_b64 exec, exec, s[18:19]
	v_max_f32_e32 v6, v44, v44
	v_max_f32_e32 v37, v22, v22
	v_min_f32_e32 v7, v6, v37
	v_cmp_u_f32_e32 vcc, v44, v44
	v_max_f32_e32 v6, v6, v37
	v_cndmask_b32_e32 v7, v7, v44, vcc
	v_cmp_u_f32_e64 s[18:19], v22, v22
	v_cndmask_b32_e32 v6, v6, v44, vcc
	v_cndmask_b32_e64 v7, v7, v22, s[18:19]
	v_cndmask_b32_e64 v6, v6, v22, s[18:19]
	v_cmp_neq_f32_e32 vcc, v7, v6
	v_cmp_class_f32_e64 s[20:21], v7, s20
	s_or_b64 s[22:23], vcc, s[20:21]
	s_and_saveexec_b64 s[20:21], s[22:23]
	s_cbranch_execz .LBB155_53
; %bb.52:
	v_sub_f32_e32 v7, v7, v6
	s_mov_b32 s22, 0x3fb8aa3b
	v_mul_f32_e32 v8, 0x3fb8aa3b, v7
	v_fma_f32 v9, v7, s22, -v8
	v_rndne_f32_e32 v10, v8
	v_fmac_f32_e32 v9, 0x32a5705f, v7
	v_sub_f32_e32 v8, v8, v10
	v_add_f32_e32 v8, v8, v9
	v_exp_f32_e32 v8, v8
	v_cvt_i32_f32_e32 v9, v10
	s_mov_b32 s22, 0xc2ce8ed0
	v_cmp_ngt_f32_e32 vcc, s22, v7
	s_mov_b32 s22, 0x42b17218
	v_ldexp_f32 v8, v8, v9
	v_cndmask_b32_e32 v8, 0, v8, vcc
	v_mov_b32_e32 v9, 0x7f800000
	v_cmp_nlt_f32_e32 vcc, s22, v7
	v_cndmask_b32_e32 v42, v9, v8, vcc
	v_add_f32_e32 v7, 1.0, v42
	v_add_f32_e32 v8, -1.0, v7
	v_sub_f32_e32 v9, v8, v7
	v_add_f32_e32 v9, 1.0, v9
	v_sub_f32_e32 v8, v42, v8
	v_add_f32_e32 v10, v8, v9
	v_frexp_mant_f32_e32 v11, v7
	s_mov_b32 s22, 0x3f2aaaab
	v_cvt_f64_f32_e32 v[8:9], v7
	v_frexp_exp_i32_f64_e32 v8, v[8:9]
	v_cmp_gt_f32_e32 vcc, s22, v11
	v_subbrev_co_u32_e32 v16, vcc, 0, v8, vcc
	v_sub_u32_e32 v8, 0, v16
	v_ldexp_f32 v7, v7, v8
	v_ldexp_f32 v8, v10, v8
	v_add_f32_e32 v10, -1.0, v7
	v_add_f32_e32 v9, 1.0, v10
	v_sub_f32_e32 v9, v7, v9
	v_add_f32_e32 v11, v8, v9
	v_add_f32_e32 v9, 1.0, v7
	v_add_f32_e32 v12, -1.0, v9
	v_sub_f32_e32 v7, v7, v12
	v_add_f32_e32 v7, v8, v7
	v_add_f32_e32 v17, v9, v7
	v_rcp_f32_e32 v38, v17
	v_sub_f32_e32 v8, v9, v17
	v_add_f32_e32 v9, v10, v11
	v_add_f32_e32 v7, v7, v8
	v_mul_f32_e32 v40, v9, v38
	v_sub_f32_e32 v8, v10, v9
	v_mul_f32_e32 v10, v17, v40
	v_fma_f32 v12, v40, v17, -v10
	v_fmac_f32_e32 v12, v40, v7
	v_add_f32_e32 v39, v11, v8
	v_add_f32_e32 v8, v10, v12
	v_sub_f32_e32 v11, v9, v8
	v_pk_add_f32 v[14:15], v[8:9], v[10:11] neg_lo:[0,1] neg_hi:[0,1]
	v_mov_b32_e32 v13, v8
	v_pk_add_f32 v[8:9], v[14:15], v[12:13] neg_lo:[0,1] neg_hi:[0,1]
	v_add_f32_e32 v9, v39, v9
	v_add_f32_e32 v8, v8, v9
	;; [unrolled: 1-line block ×3, first 2 shown]
	v_mul_f32_e32 v39, v38, v9
	v_mul_f32_e32 v10, v17, v39
	v_fma_f32 v12, v39, v17, -v10
	v_fmac_f32_e32 v12, v39, v7
	v_sub_f32_e32 v7, v11, v9
	v_add_f32_e32 v7, v8, v7
	v_add_f32_e32 v8, v10, v12
	v_sub_f32_e32 v11, v9, v8
	v_pk_add_f32 v[14:15], v[8:9], v[10:11] neg_lo:[0,1] neg_hi:[0,1]
	v_mov_b32_e32 v13, v8
	v_pk_add_f32 v[8:9], v[14:15], v[12:13] neg_lo:[0,1] neg_hi:[0,1]
	v_add_f32_e32 v7, v7, v9
	v_add_f32_e32 v7, v8, v7
	;; [unrolled: 1-line block ×4, first 2 shown]
	v_sub_f32_e32 v9, v8, v40
	v_mul_f32_e32 v7, v38, v7
	v_sub_f32_e32 v9, v39, v9
	v_add_f32_e32 v7, v9, v7
	v_add_f32_e32 v11, v8, v7
	v_mul_f32_e32 v12, v11, v11
	v_mov_b32_e32 v10, 0x3ecc95a3
	v_fmac_f32_e32 v10, 0x3e9b6dac, v12
	v_mov_b32_e32 v9, 0x3f2aaada
	v_fmac_f32_e32 v9, v12, v10
	v_cvt_f32_i32_e32 v10, v16
	v_sub_f32_e32 v8, v11, v8
	v_sub_f32_e32 v7, v7, v8
	v_ldexp_f32 v13, v11, 1
	v_mul_f32_e32 v11, v11, v12
	v_mov_b32_e32 v8, 0x3f317218
	s_mov_b32 s22, 0x3f317218
	v_pk_mul_f32 v[8:9], v[10:11], v[8:9]
	v_fma_f32 v12, v10, s22, -v8
	v_fmac_f32_e32 v12, 0xb102e308, v10
	v_pk_add_f32 v[10:11], v[8:9], v[12:13]
	v_sub_f32_e32 v13, v11, v13
	v_ldexp_f32 v7, v7, 1
	v_sub_f32_e32 v13, v9, v13
	v_add_f32_e32 v15, v7, v13
	v_mov_b32_e32 v14, v8
	v_pk_add_f32 v[8:9], v[10:11], v[8:9] neg_lo:[0,1] neg_hi:[0,1]
	v_pk_add_f32 v[16:17], v[10:11], v[14:15]
	v_mov_b32_e32 v9, v17
	v_mov_b32_e32 v13, v10
	v_pk_add_f32 v[38:39], v[12:13], v[8:9] neg_lo:[0,1] neg_hi:[0,1]
	v_pk_add_f32 v[8:9], v[12:13], v[8:9]
	v_mov_b32_e32 v12, v9
	v_pk_add_f32 v[40:41], v[12:13], v[10:11] neg_lo:[0,1] neg_hi:[0,1]
	v_mov_b32_e32 v7, v40
	v_pk_add_f32 v[44:45], v[16:17], v[6:7] neg_lo:[0,1] neg_hi:[0,1]
	v_mov_b32_e32 v8, v17
	v_mov_b32_e32 v16, v11
	;; [unrolled: 1-line block ×4, first 2 shown]
	v_pk_add_f32 v[8:9], v[8:9], v[16:17] neg_lo:[0,1] neg_hi:[0,1]
	v_mov_b32_e32 v14, v15
	v_mov_b32_e32 v15, v10
	v_pk_add_f32 v[8:9], v[14:15], v[8:9] neg_lo:[0,1] neg_hi:[0,1]
	v_mov_b32_e32 v44, v38
	v_pk_add_f32 v[10:11], v[44:45], v[8:9]
	v_mov_b32_e32 v14, v11
	v_pk_add_f32 v[14:15], v[10:11], v[14:15]
	v_pk_add_f32 v[12:13], v[12:13], v[14:15]
	v_mov_b32_e32 v11, v12
	v_pk_add_f32 v[16:17], v[10:11], v[38:39] neg_lo:[0,1] neg_hi:[0,1]
	v_mov_b32_e32 v9, v14
	v_sub_f32_e32 v7, v10, v16
	v_pk_add_f32 v[8:9], v[8:9], v[16:17] neg_lo:[0,1] neg_hi:[0,1]
	v_sub_f32_e32 v7, v38, v7
	s_mov_b32 s23, 0x7f800000
	v_add_f32_e32 v7, v8, v7
	s_mov_b32 s22, 0x33800000
	v_add_f32_e32 v7, v7, v9
	v_cmp_eq_f32_e32 vcc, s23, v42
	v_cmp_lt_f32_e64 s[22:23], |v42|, s22
	v_add_f32_e32 v7, v12, v7
	s_or_b64 vcc, vcc, s[22:23]
	v_cndmask_b32_e32 v7, v7, v42, vcc
	v_add_f32_e32 v44, v6, v7
.LBB155_53:
	s_or_b64 exec, exec, s[20:21]
	v_max_f32_e32 v6, v44, v44
	v_max_f32_e32 v38, v23, v23
	v_min_f32_e32 v7, v6, v38
	v_cmp_u_f32_e32 vcc, v44, v44
	v_max_f32_e32 v6, v6, v38
	v_cndmask_b32_e32 v7, v7, v44, vcc
	v_cmp_u_f32_e64 s[20:21], v23, v23
	v_cndmask_b32_e32 v6, v6, v44, vcc
	v_cndmask_b32_e64 v7, v7, v23, s[20:21]
	v_cndmask_b32_e64 v6, v6, v23, s[20:21]
	s_movk_i32 s24, 0x1f8
	v_cmp_neq_f32_e32 vcc, v7, v6
	v_cmp_class_f32_e64 s[22:23], v7, s24
	s_or_b64 s[26:27], vcc, s[22:23]
	s_and_saveexec_b64 s[22:23], s[26:27]
	s_cbranch_execz .LBB155_55
; %bb.54:
	v_sub_f32_e32 v7, v7, v6
	s_mov_b32 s25, 0x3fb8aa3b
	v_mul_f32_e32 v8, 0x3fb8aa3b, v7
	v_fma_f32 v9, v7, s25, -v8
	v_rndne_f32_e32 v10, v8
	v_fmac_f32_e32 v9, 0x32a5705f, v7
	v_sub_f32_e32 v8, v8, v10
	v_add_f32_e32 v8, v8, v9
	v_exp_f32_e32 v8, v8
	v_cvt_i32_f32_e32 v9, v10
	s_mov_b32 s25, 0xc2ce8ed0
	v_cmp_ngt_f32_e32 vcc, s25, v7
	s_mov_b32 s25, 0x42b17218
	v_ldexp_f32 v8, v8, v9
	v_cndmask_b32_e32 v8, 0, v8, vcc
	v_mov_b32_e32 v9, 0x7f800000
	v_cmp_nlt_f32_e32 vcc, s25, v7
	v_cndmask_b32_e32 v39, v9, v8, vcc
	v_add_f32_e32 v7, 1.0, v39
	v_add_f32_e32 v8, -1.0, v7
	v_sub_f32_e32 v9, v8, v7
	v_add_f32_e32 v9, 1.0, v9
	v_sub_f32_e32 v8, v39, v8
	v_add_f32_e32 v10, v8, v9
	v_frexp_mant_f32_e32 v11, v7
	s_mov_b32 s25, 0x3f2aaaab
	v_cvt_f64_f32_e32 v[8:9], v7
	v_frexp_exp_i32_f64_e32 v8, v[8:9]
	v_cmp_gt_f32_e32 vcc, s25, v11
	v_subbrev_co_u32_e32 v16, vcc, 0, v8, vcc
	v_sub_u32_e32 v8, 0, v16
	v_ldexp_f32 v7, v7, v8
	v_ldexp_f32 v8, v10, v8
	v_add_f32_e32 v10, -1.0, v7
	v_add_f32_e32 v9, 1.0, v10
	v_sub_f32_e32 v9, v7, v9
	v_add_f32_e32 v11, v8, v9
	v_add_f32_e32 v9, 1.0, v7
	v_add_f32_e32 v12, -1.0, v9
	v_sub_f32_e32 v7, v7, v12
	v_add_f32_e32 v7, v8, v7
	v_add_f32_e32 v17, v9, v7
	v_rcp_f32_e32 v40, v17
	v_sub_f32_e32 v8, v9, v17
	v_add_f32_e32 v9, v10, v11
	v_add_f32_e32 v7, v7, v8
	v_mul_f32_e32 v42, v9, v40
	v_sub_f32_e32 v8, v10, v9
	v_mul_f32_e32 v10, v17, v42
	v_fma_f32 v12, v42, v17, -v10
	v_fmac_f32_e32 v12, v42, v7
	v_add_f32_e32 v41, v11, v8
	v_add_f32_e32 v8, v10, v12
	v_sub_f32_e32 v11, v9, v8
	v_pk_add_f32 v[14:15], v[8:9], v[10:11] neg_lo:[0,1] neg_hi:[0,1]
	v_mov_b32_e32 v13, v8
	v_pk_add_f32 v[8:9], v[14:15], v[12:13] neg_lo:[0,1] neg_hi:[0,1]
	v_add_f32_e32 v9, v41, v9
	v_add_f32_e32 v8, v8, v9
	;; [unrolled: 1-line block ×3, first 2 shown]
	v_mul_f32_e32 v41, v40, v9
	v_mul_f32_e32 v10, v17, v41
	v_fma_f32 v12, v41, v17, -v10
	v_fmac_f32_e32 v12, v41, v7
	v_sub_f32_e32 v7, v11, v9
	v_add_f32_e32 v7, v8, v7
	v_add_f32_e32 v8, v10, v12
	v_sub_f32_e32 v11, v9, v8
	v_pk_add_f32 v[14:15], v[8:9], v[10:11] neg_lo:[0,1] neg_hi:[0,1]
	v_mov_b32_e32 v13, v8
	v_pk_add_f32 v[8:9], v[14:15], v[12:13] neg_lo:[0,1] neg_hi:[0,1]
	v_add_f32_e32 v7, v7, v9
	v_add_f32_e32 v7, v8, v7
	;; [unrolled: 1-line block ×4, first 2 shown]
	v_sub_f32_e32 v9, v8, v42
	v_mul_f32_e32 v7, v40, v7
	v_sub_f32_e32 v9, v41, v9
	v_add_f32_e32 v7, v9, v7
	v_add_f32_e32 v11, v8, v7
	v_mul_f32_e32 v12, v11, v11
	v_mov_b32_e32 v10, 0x3ecc95a3
	v_fmac_f32_e32 v10, 0x3e9b6dac, v12
	v_mov_b32_e32 v9, 0x3f2aaada
	v_fmac_f32_e32 v9, v12, v10
	v_cvt_f32_i32_e32 v10, v16
	v_sub_f32_e32 v8, v11, v8
	v_sub_f32_e32 v7, v7, v8
	v_ldexp_f32 v13, v11, 1
	v_mul_f32_e32 v11, v11, v12
	v_mov_b32_e32 v8, 0x3f317218
	s_mov_b32 s25, 0x3f317218
	v_pk_mul_f32 v[8:9], v[10:11], v[8:9]
	v_fma_f32 v12, v10, s25, -v8
	v_fmac_f32_e32 v12, 0xb102e308, v10
	v_pk_add_f32 v[10:11], v[8:9], v[12:13]
	v_sub_f32_e32 v13, v11, v13
	v_ldexp_f32 v7, v7, 1
	v_sub_f32_e32 v13, v9, v13
	v_add_f32_e32 v15, v7, v13
	v_mov_b32_e32 v14, v8
	v_pk_add_f32 v[8:9], v[10:11], v[8:9] neg_lo:[0,1] neg_hi:[0,1]
	v_pk_add_f32 v[16:17], v[10:11], v[14:15]
	v_mov_b32_e32 v9, v17
	v_mov_b32_e32 v13, v10
	v_pk_add_f32 v[40:41], v[12:13], v[8:9] neg_lo:[0,1] neg_hi:[0,1]
	v_pk_add_f32 v[8:9], v[12:13], v[8:9]
	v_mov_b32_e32 v12, v9
	v_pk_add_f32 v[44:45], v[12:13], v[10:11] neg_lo:[0,1] neg_hi:[0,1]
	v_mov_b32_e32 v7, v44
	v_pk_add_f32 v[46:47], v[16:17], v[6:7] neg_lo:[0,1] neg_hi:[0,1]
	v_mov_b32_e32 v8, v17
	v_mov_b32_e32 v16, v11
	;; [unrolled: 1-line block ×4, first 2 shown]
	v_pk_add_f32 v[8:9], v[8:9], v[16:17] neg_lo:[0,1] neg_hi:[0,1]
	v_mov_b32_e32 v14, v15
	v_mov_b32_e32 v15, v10
	v_pk_add_f32 v[8:9], v[14:15], v[8:9] neg_lo:[0,1] neg_hi:[0,1]
	v_mov_b32_e32 v46, v40
	v_pk_add_f32 v[10:11], v[46:47], v[8:9]
	v_mov_b32_e32 v14, v11
	v_pk_add_f32 v[14:15], v[10:11], v[14:15]
	v_pk_add_f32 v[12:13], v[12:13], v[14:15]
	v_mov_b32_e32 v11, v12
	v_pk_add_f32 v[16:17], v[10:11], v[40:41] neg_lo:[0,1] neg_hi:[0,1]
	v_mov_b32_e32 v9, v14
	v_sub_f32_e32 v7, v10, v16
	v_pk_add_f32 v[8:9], v[8:9], v[16:17] neg_lo:[0,1] neg_hi:[0,1]
	v_sub_f32_e32 v7, v40, v7
	s_mov_b32 s26, 0x7f800000
	v_add_f32_e32 v7, v8, v7
	s_mov_b32 s25, 0x33800000
	v_add_f32_e32 v7, v7, v9
	v_cmp_eq_f32_e32 vcc, s26, v39
	v_cmp_lt_f32_e64 s[26:27], |v39|, s25
	v_add_f32_e32 v7, v12, v7
	s_or_b64 vcc, vcc, s[26:27]
	v_cndmask_b32_e32 v7, v7, v39, vcc
	v_add_f32_e32 v44, v6, v7
.LBB155_55:
	s_or_b64 exec, exec, s[22:23]
	v_max_f32_e32 v6, v44, v44
	v_max_f32_e32 v39, v24, v24
	v_min_f32_e32 v7, v6, v39
	v_cmp_u_f32_e32 vcc, v44, v44
	v_max_f32_e32 v6, v6, v39
	v_cndmask_b32_e32 v7, v7, v44, vcc
	v_cmp_u_f32_e64 s[22:23], v24, v24
	v_cndmask_b32_e32 v6, v6, v44, vcc
	v_cndmask_b32_e64 v7, v7, v24, s[22:23]
	v_cndmask_b32_e64 v6, v6, v24, s[22:23]
	v_cmp_neq_f32_e32 vcc, v7, v6
	v_cmp_class_f32_e64 s[24:25], v7, s24
	s_or_b64 s[26:27], vcc, s[24:25]
	s_and_saveexec_b64 s[24:25], s[26:27]
	s_cbranch_execz .LBB155_57
; %bb.56:
	v_sub_f32_e32 v7, v7, v6
	s_mov_b32 s26, 0x3fb8aa3b
	v_mul_f32_e32 v8, 0x3fb8aa3b, v7
	v_fma_f32 v9, v7, s26, -v8
	v_rndne_f32_e32 v10, v8
	v_fmac_f32_e32 v9, 0x32a5705f, v7
	v_sub_f32_e32 v8, v8, v10
	v_add_f32_e32 v8, v8, v9
	v_exp_f32_e32 v8, v8
	v_cvt_i32_f32_e32 v9, v10
	s_mov_b32 s26, 0xc2ce8ed0
	v_cmp_ngt_f32_e32 vcc, s26, v7
	s_mov_b32 s26, 0x42b17218
	v_ldexp_f32 v8, v8, v9
	v_cndmask_b32_e32 v8, 0, v8, vcc
	v_mov_b32_e32 v9, 0x7f800000
	v_cmp_nlt_f32_e32 vcc, s26, v7
	v_cndmask_b32_e32 v42, v9, v8, vcc
	v_add_f32_e32 v7, 1.0, v42
	v_add_f32_e32 v8, -1.0, v7
	v_sub_f32_e32 v9, v8, v7
	v_add_f32_e32 v9, 1.0, v9
	v_sub_f32_e32 v8, v42, v8
	v_add_f32_e32 v10, v8, v9
	v_frexp_mant_f32_e32 v11, v7
	s_mov_b32 s26, 0x3f2aaaab
	v_cvt_f64_f32_e32 v[8:9], v7
	v_frexp_exp_i32_f64_e32 v8, v[8:9]
	v_cmp_gt_f32_e32 vcc, s26, v11
	v_subbrev_co_u32_e32 v16, vcc, 0, v8, vcc
	v_sub_u32_e32 v8, 0, v16
	v_ldexp_f32 v7, v7, v8
	v_ldexp_f32 v8, v10, v8
	v_add_f32_e32 v10, -1.0, v7
	v_add_f32_e32 v9, 1.0, v10
	v_sub_f32_e32 v9, v7, v9
	v_add_f32_e32 v11, v8, v9
	v_add_f32_e32 v9, 1.0, v7
	v_add_f32_e32 v12, -1.0, v9
	v_sub_f32_e32 v7, v7, v12
	v_add_f32_e32 v7, v8, v7
	v_add_f32_e32 v17, v9, v7
	v_rcp_f32_e32 v40, v17
	v_sub_f32_e32 v8, v9, v17
	v_add_f32_e32 v9, v10, v11
	v_add_f32_e32 v7, v7, v8
	v_mul_f32_e32 v44, v9, v40
	v_sub_f32_e32 v8, v10, v9
	v_mul_f32_e32 v10, v17, v44
	v_fma_f32 v12, v44, v17, -v10
	v_fmac_f32_e32 v12, v44, v7
	v_add_f32_e32 v41, v11, v8
	v_add_f32_e32 v8, v10, v12
	v_sub_f32_e32 v11, v9, v8
	v_pk_add_f32 v[14:15], v[8:9], v[10:11] neg_lo:[0,1] neg_hi:[0,1]
	v_mov_b32_e32 v13, v8
	v_pk_add_f32 v[8:9], v[14:15], v[12:13] neg_lo:[0,1] neg_hi:[0,1]
	v_add_f32_e32 v9, v41, v9
	v_add_f32_e32 v8, v8, v9
	;; [unrolled: 1-line block ×3, first 2 shown]
	v_mul_f32_e32 v41, v40, v9
	v_mul_f32_e32 v10, v17, v41
	v_fma_f32 v12, v41, v17, -v10
	v_fmac_f32_e32 v12, v41, v7
	v_sub_f32_e32 v7, v11, v9
	v_add_f32_e32 v7, v8, v7
	v_add_f32_e32 v8, v10, v12
	v_sub_f32_e32 v11, v9, v8
	v_pk_add_f32 v[14:15], v[8:9], v[10:11] neg_lo:[0,1] neg_hi:[0,1]
	v_mov_b32_e32 v13, v8
	v_pk_add_f32 v[8:9], v[14:15], v[12:13] neg_lo:[0,1] neg_hi:[0,1]
	v_add_f32_e32 v7, v7, v9
	v_add_f32_e32 v7, v8, v7
	;; [unrolled: 1-line block ×4, first 2 shown]
	v_sub_f32_e32 v9, v8, v44
	v_mul_f32_e32 v7, v40, v7
	v_sub_f32_e32 v9, v41, v9
	v_add_f32_e32 v7, v9, v7
	v_add_f32_e32 v11, v8, v7
	v_mul_f32_e32 v12, v11, v11
	v_mov_b32_e32 v10, 0x3ecc95a3
	v_fmac_f32_e32 v10, 0x3e9b6dac, v12
	v_mov_b32_e32 v9, 0x3f2aaada
	v_fmac_f32_e32 v9, v12, v10
	v_cvt_f32_i32_e32 v10, v16
	v_sub_f32_e32 v8, v11, v8
	v_sub_f32_e32 v7, v7, v8
	v_ldexp_f32 v13, v11, 1
	v_mul_f32_e32 v11, v11, v12
	v_mov_b32_e32 v8, 0x3f317218
	s_mov_b32 s26, 0x3f317218
	v_pk_mul_f32 v[8:9], v[10:11], v[8:9]
	v_fma_f32 v12, v10, s26, -v8
	v_fmac_f32_e32 v12, 0xb102e308, v10
	v_pk_add_f32 v[10:11], v[8:9], v[12:13]
	v_sub_f32_e32 v13, v11, v13
	v_ldexp_f32 v7, v7, 1
	v_sub_f32_e32 v13, v9, v13
	v_add_f32_e32 v15, v7, v13
	v_mov_b32_e32 v14, v8
	v_pk_add_f32 v[8:9], v[10:11], v[8:9] neg_lo:[0,1] neg_hi:[0,1]
	v_pk_add_f32 v[16:17], v[10:11], v[14:15]
	v_mov_b32_e32 v9, v17
	v_mov_b32_e32 v13, v10
	v_pk_add_f32 v[40:41], v[12:13], v[8:9] neg_lo:[0,1] neg_hi:[0,1]
	v_pk_add_f32 v[8:9], v[12:13], v[8:9]
	v_mov_b32_e32 v12, v9
	v_pk_add_f32 v[44:45], v[12:13], v[10:11] neg_lo:[0,1] neg_hi:[0,1]
	v_mov_b32_e32 v7, v44
	v_pk_add_f32 v[46:47], v[16:17], v[6:7] neg_lo:[0,1] neg_hi:[0,1]
	v_mov_b32_e32 v8, v17
	v_mov_b32_e32 v16, v11
	;; [unrolled: 1-line block ×4, first 2 shown]
	v_pk_add_f32 v[8:9], v[8:9], v[16:17] neg_lo:[0,1] neg_hi:[0,1]
	v_mov_b32_e32 v14, v15
	v_mov_b32_e32 v15, v10
	v_pk_add_f32 v[8:9], v[14:15], v[8:9] neg_lo:[0,1] neg_hi:[0,1]
	v_mov_b32_e32 v46, v40
	v_pk_add_f32 v[10:11], v[46:47], v[8:9]
	v_mov_b32_e32 v14, v11
	v_pk_add_f32 v[14:15], v[10:11], v[14:15]
	v_pk_add_f32 v[12:13], v[12:13], v[14:15]
	v_mov_b32_e32 v11, v12
	v_pk_add_f32 v[16:17], v[10:11], v[40:41] neg_lo:[0,1] neg_hi:[0,1]
	v_mov_b32_e32 v9, v14
	v_sub_f32_e32 v7, v10, v16
	v_pk_add_f32 v[8:9], v[8:9], v[16:17] neg_lo:[0,1] neg_hi:[0,1]
	v_sub_f32_e32 v7, v40, v7
	s_mov_b32 s27, 0x7f800000
	v_add_f32_e32 v7, v8, v7
	s_mov_b32 s26, 0x33800000
	v_add_f32_e32 v7, v7, v9
	v_cmp_eq_f32_e32 vcc, s27, v42
	v_cmp_lt_f32_e64 s[26:27], |v42|, s26
	v_add_f32_e32 v7, v12, v7
	s_or_b64 vcc, vcc, s[26:27]
	v_cndmask_b32_e32 v7, v7, v42, vcc
	v_add_f32_e32 v44, v6, v7
.LBB155_57:
	s_or_b64 exec, exec, s[24:25]
	v_max_f32_e32 v6, v44, v44
	v_max_f32_e32 v40, v25, v25
	v_min_f32_e32 v7, v6, v40
	v_cmp_u_f32_e32 vcc, v44, v44
	v_max_f32_e32 v6, v6, v40
	v_cndmask_b32_e32 v7, v7, v44, vcc
	v_cmp_u_f32_e64 s[24:25], v25, v25
	v_cndmask_b32_e32 v6, v6, v44, vcc
	v_cndmask_b32_e64 v7, v7, v25, s[24:25]
	v_cndmask_b32_e64 v6, v6, v25, s[24:25]
	s_movk_i32 s28, 0x1f8
	v_cmp_neq_f32_e32 vcc, v7, v6
	v_cmp_class_f32_e64 s[26:27], v7, s28
	s_or_b64 s[34:35], vcc, s[26:27]
	s_and_saveexec_b64 s[26:27], s[34:35]
	s_cbranch_execz .LBB155_59
; %bb.58:
	v_sub_f32_e32 v7, v7, v6
	s_mov_b32 s29, 0x3fb8aa3b
	v_mul_f32_e32 v8, 0x3fb8aa3b, v7
	v_fma_f32 v9, v7, s29, -v8
	v_rndne_f32_e32 v10, v8
	v_fmac_f32_e32 v9, 0x32a5705f, v7
	v_sub_f32_e32 v8, v8, v10
	v_add_f32_e32 v8, v8, v9
	v_exp_f32_e32 v8, v8
	v_cvt_i32_f32_e32 v9, v10
	s_mov_b32 s29, 0xc2ce8ed0
	v_cmp_ngt_f32_e32 vcc, s29, v7
	s_mov_b32 s29, 0x42b17218
	v_ldexp_f32 v8, v8, v9
	v_cndmask_b32_e32 v8, 0, v8, vcc
	v_mov_b32_e32 v9, 0x7f800000
	v_cmp_nlt_f32_e32 vcc, s29, v7
	v_cndmask_b32_e32 v41, v9, v8, vcc
	v_add_f32_e32 v7, 1.0, v41
	v_add_f32_e32 v8, -1.0, v7
	v_sub_f32_e32 v9, v8, v7
	v_add_f32_e32 v9, 1.0, v9
	v_sub_f32_e32 v8, v41, v8
	v_add_f32_e32 v10, v8, v9
	v_frexp_mant_f32_e32 v11, v7
	s_mov_b32 s29, 0x3f2aaaab
	v_cvt_f64_f32_e32 v[8:9], v7
	v_frexp_exp_i32_f64_e32 v8, v[8:9]
	v_cmp_gt_f32_e32 vcc, s29, v11
	v_subbrev_co_u32_e32 v16, vcc, 0, v8, vcc
	v_sub_u32_e32 v8, 0, v16
	v_ldexp_f32 v7, v7, v8
	v_ldexp_f32 v8, v10, v8
	v_add_f32_e32 v10, -1.0, v7
	v_add_f32_e32 v9, 1.0, v10
	v_sub_f32_e32 v9, v7, v9
	v_add_f32_e32 v11, v8, v9
	v_add_f32_e32 v9, 1.0, v7
	v_add_f32_e32 v12, -1.0, v9
	v_sub_f32_e32 v7, v7, v12
	v_add_f32_e32 v7, v8, v7
	v_add_f32_e32 v17, v9, v7
	v_rcp_f32_e32 v42, v17
	v_sub_f32_e32 v8, v9, v17
	v_add_f32_e32 v9, v10, v11
	v_add_f32_e32 v7, v7, v8
	v_mul_f32_e32 v45, v9, v42
	v_sub_f32_e32 v8, v10, v9
	v_mul_f32_e32 v10, v17, v45
	v_fma_f32 v12, v45, v17, -v10
	v_fmac_f32_e32 v12, v45, v7
	v_add_f32_e32 v44, v11, v8
	v_add_f32_e32 v8, v10, v12
	v_sub_f32_e32 v11, v9, v8
	v_pk_add_f32 v[14:15], v[8:9], v[10:11] neg_lo:[0,1] neg_hi:[0,1]
	v_mov_b32_e32 v13, v8
	v_pk_add_f32 v[8:9], v[14:15], v[12:13] neg_lo:[0,1] neg_hi:[0,1]
	v_add_f32_e32 v9, v44, v9
	v_add_f32_e32 v8, v8, v9
	;; [unrolled: 1-line block ×3, first 2 shown]
	v_mul_f32_e32 v44, v42, v9
	v_mul_f32_e32 v10, v17, v44
	v_fma_f32 v12, v44, v17, -v10
	v_fmac_f32_e32 v12, v44, v7
	v_sub_f32_e32 v7, v11, v9
	v_add_f32_e32 v7, v8, v7
	v_add_f32_e32 v8, v10, v12
	v_sub_f32_e32 v11, v9, v8
	v_pk_add_f32 v[14:15], v[8:9], v[10:11] neg_lo:[0,1] neg_hi:[0,1]
	v_mov_b32_e32 v13, v8
	v_pk_add_f32 v[8:9], v[14:15], v[12:13] neg_lo:[0,1] neg_hi:[0,1]
	v_add_f32_e32 v7, v7, v9
	v_add_f32_e32 v7, v8, v7
	;; [unrolled: 1-line block ×4, first 2 shown]
	v_sub_f32_e32 v9, v8, v45
	v_mul_f32_e32 v7, v42, v7
	v_sub_f32_e32 v9, v44, v9
	v_add_f32_e32 v7, v9, v7
	v_add_f32_e32 v11, v8, v7
	v_mul_f32_e32 v12, v11, v11
	v_mov_b32_e32 v10, 0x3ecc95a3
	v_fmac_f32_e32 v10, 0x3e9b6dac, v12
	v_mov_b32_e32 v9, 0x3f2aaada
	v_fmac_f32_e32 v9, v12, v10
	v_cvt_f32_i32_e32 v10, v16
	v_sub_f32_e32 v8, v11, v8
	v_sub_f32_e32 v7, v7, v8
	v_ldexp_f32 v13, v11, 1
	v_mul_f32_e32 v11, v11, v12
	v_mov_b32_e32 v8, 0x3f317218
	s_mov_b32 s29, 0x3f317218
	v_pk_mul_f32 v[8:9], v[10:11], v[8:9]
	v_fma_f32 v12, v10, s29, -v8
	v_fmac_f32_e32 v12, 0xb102e308, v10
	v_pk_add_f32 v[10:11], v[8:9], v[12:13]
	v_sub_f32_e32 v13, v11, v13
	v_ldexp_f32 v7, v7, 1
	v_sub_f32_e32 v13, v9, v13
	v_add_f32_e32 v15, v7, v13
	v_mov_b32_e32 v14, v8
	v_pk_add_f32 v[8:9], v[10:11], v[8:9] neg_lo:[0,1] neg_hi:[0,1]
	v_pk_add_f32 v[16:17], v[10:11], v[14:15]
	v_mov_b32_e32 v9, v17
	v_mov_b32_e32 v13, v10
	v_pk_add_f32 v[44:45], v[12:13], v[8:9] neg_lo:[0,1] neg_hi:[0,1]
	v_pk_add_f32 v[8:9], v[12:13], v[8:9]
	v_mov_b32_e32 v12, v9
	v_pk_add_f32 v[46:47], v[12:13], v[10:11] neg_lo:[0,1] neg_hi:[0,1]
	v_mov_b32_e32 v7, v46
	v_pk_add_f32 v[48:49], v[16:17], v[6:7] neg_lo:[0,1] neg_hi:[0,1]
	v_mov_b32_e32 v8, v17
	v_mov_b32_e32 v16, v11
	;; [unrolled: 1-line block ×4, first 2 shown]
	v_pk_add_f32 v[8:9], v[8:9], v[16:17] neg_lo:[0,1] neg_hi:[0,1]
	v_mov_b32_e32 v14, v15
	v_mov_b32_e32 v15, v10
	v_pk_add_f32 v[8:9], v[14:15], v[8:9] neg_lo:[0,1] neg_hi:[0,1]
	v_mov_b32_e32 v48, v44
	v_pk_add_f32 v[10:11], v[48:49], v[8:9]
	v_mov_b32_e32 v14, v11
	v_pk_add_f32 v[14:15], v[10:11], v[14:15]
	v_pk_add_f32 v[12:13], v[12:13], v[14:15]
	v_mov_b32_e32 v11, v12
	v_pk_add_f32 v[16:17], v[10:11], v[44:45] neg_lo:[0,1] neg_hi:[0,1]
	v_mov_b32_e32 v9, v14
	v_sub_f32_e32 v7, v10, v16
	v_pk_add_f32 v[8:9], v[8:9], v[16:17] neg_lo:[0,1] neg_hi:[0,1]
	v_sub_f32_e32 v7, v44, v7
	s_mov_b32 s34, 0x7f800000
	v_add_f32_e32 v7, v8, v7
	s_mov_b32 s29, 0x33800000
	v_add_f32_e32 v7, v7, v9
	v_cmp_eq_f32_e32 vcc, s34, v41
	v_cmp_lt_f32_e64 s[34:35], |v41|, s29
	v_add_f32_e32 v7, v12, v7
	s_or_b64 vcc, vcc, s[34:35]
	v_cndmask_b32_e32 v7, v7, v41, vcc
	v_add_f32_e32 v44, v6, v7
.LBB155_59:
	s_or_b64 exec, exec, s[26:27]
	v_max_f32_e32 v6, v44, v44
	v_max_f32_e32 v41, v30, v30
	v_min_f32_e32 v7, v6, v41
	v_cmp_u_f32_e32 vcc, v44, v44
	v_max_f32_e32 v6, v6, v41
	v_cndmask_b32_e32 v7, v7, v44, vcc
	v_cmp_u_f32_e64 s[26:27], v30, v30
	v_cndmask_b32_e32 v6, v6, v44, vcc
	v_cndmask_b32_e64 v7, v7, v30, s[26:27]
	v_cndmask_b32_e64 v6, v6, v30, s[26:27]
	v_cmp_neq_f32_e32 vcc, v7, v6
	v_cmp_class_f32_e64 s[28:29], v7, s28
	s_or_b64 s[34:35], vcc, s[28:29]
	s_and_saveexec_b64 s[28:29], s[34:35]
	s_cbranch_execz .LBB155_61
; %bb.60:
	v_sub_f32_e32 v7, v7, v6
	s_mov_b32 s34, 0x3fb8aa3b
	v_mul_f32_e32 v8, 0x3fb8aa3b, v7
	v_fma_f32 v9, v7, s34, -v8
	v_rndne_f32_e32 v10, v8
	v_fmac_f32_e32 v9, 0x32a5705f, v7
	v_sub_f32_e32 v8, v8, v10
	v_add_f32_e32 v8, v8, v9
	v_exp_f32_e32 v8, v8
	v_cvt_i32_f32_e32 v9, v10
	s_mov_b32 s34, 0xc2ce8ed0
	v_cmp_ngt_f32_e32 vcc, s34, v7
	s_mov_b32 s34, 0x42b17218
	v_ldexp_f32 v8, v8, v9
	v_cndmask_b32_e32 v8, 0, v8, vcc
	v_mov_b32_e32 v9, 0x7f800000
	v_cmp_nlt_f32_e32 vcc, s34, v7
	v_cndmask_b32_e32 v42, v9, v8, vcc
	v_add_f32_e32 v7, 1.0, v42
	v_add_f32_e32 v8, -1.0, v7
	v_sub_f32_e32 v9, v8, v7
	v_add_f32_e32 v9, 1.0, v9
	v_sub_f32_e32 v8, v42, v8
	v_add_f32_e32 v10, v8, v9
	v_frexp_mant_f32_e32 v11, v7
	s_mov_b32 s34, 0x3f2aaaab
	v_cvt_f64_f32_e32 v[8:9], v7
	v_frexp_exp_i32_f64_e32 v8, v[8:9]
	v_cmp_gt_f32_e32 vcc, s34, v11
	v_subbrev_co_u32_e32 v16, vcc, 0, v8, vcc
	v_sub_u32_e32 v8, 0, v16
	v_ldexp_f32 v7, v7, v8
	v_ldexp_f32 v8, v10, v8
	v_add_f32_e32 v10, -1.0, v7
	v_add_f32_e32 v9, 1.0, v10
	v_sub_f32_e32 v9, v7, v9
	v_add_f32_e32 v11, v8, v9
	v_add_f32_e32 v9, 1.0, v7
	v_add_f32_e32 v12, -1.0, v9
	v_sub_f32_e32 v7, v7, v12
	v_add_f32_e32 v7, v8, v7
	v_add_f32_e32 v17, v9, v7
	v_rcp_f32_e32 v44, v17
	v_sub_f32_e32 v8, v9, v17
	v_add_f32_e32 v9, v10, v11
	v_add_f32_e32 v7, v7, v8
	v_mul_f32_e32 v46, v9, v44
	v_sub_f32_e32 v8, v10, v9
	v_mul_f32_e32 v10, v17, v46
	v_fma_f32 v12, v46, v17, -v10
	v_fmac_f32_e32 v12, v46, v7
	v_add_f32_e32 v45, v11, v8
	v_add_f32_e32 v8, v10, v12
	v_sub_f32_e32 v11, v9, v8
	v_pk_add_f32 v[14:15], v[8:9], v[10:11] neg_lo:[0,1] neg_hi:[0,1]
	v_mov_b32_e32 v13, v8
	v_pk_add_f32 v[8:9], v[14:15], v[12:13] neg_lo:[0,1] neg_hi:[0,1]
	v_add_f32_e32 v9, v45, v9
	v_add_f32_e32 v8, v8, v9
	;; [unrolled: 1-line block ×3, first 2 shown]
	v_mul_f32_e32 v45, v44, v9
	v_mul_f32_e32 v10, v17, v45
	v_fma_f32 v12, v45, v17, -v10
	v_fmac_f32_e32 v12, v45, v7
	v_sub_f32_e32 v7, v11, v9
	v_add_f32_e32 v7, v8, v7
	v_add_f32_e32 v8, v10, v12
	v_sub_f32_e32 v11, v9, v8
	v_pk_add_f32 v[14:15], v[8:9], v[10:11] neg_lo:[0,1] neg_hi:[0,1]
	v_mov_b32_e32 v13, v8
	v_pk_add_f32 v[8:9], v[14:15], v[12:13] neg_lo:[0,1] neg_hi:[0,1]
	v_add_f32_e32 v7, v7, v9
	v_add_f32_e32 v7, v8, v7
	;; [unrolled: 1-line block ×4, first 2 shown]
	v_sub_f32_e32 v9, v8, v46
	v_mul_f32_e32 v7, v44, v7
	v_sub_f32_e32 v9, v45, v9
	v_add_f32_e32 v7, v9, v7
	v_add_f32_e32 v11, v8, v7
	v_mul_f32_e32 v12, v11, v11
	v_mov_b32_e32 v10, 0x3ecc95a3
	v_fmac_f32_e32 v10, 0x3e9b6dac, v12
	v_mov_b32_e32 v9, 0x3f2aaada
	v_fmac_f32_e32 v9, v12, v10
	v_cvt_f32_i32_e32 v10, v16
	v_sub_f32_e32 v8, v11, v8
	v_sub_f32_e32 v7, v7, v8
	v_ldexp_f32 v13, v11, 1
	v_mul_f32_e32 v11, v11, v12
	v_mov_b32_e32 v8, 0x3f317218
	s_mov_b32 s34, 0x3f317218
	v_pk_mul_f32 v[8:9], v[10:11], v[8:9]
	v_fma_f32 v12, v10, s34, -v8
	v_fmac_f32_e32 v12, 0xb102e308, v10
	v_pk_add_f32 v[10:11], v[8:9], v[12:13]
	v_sub_f32_e32 v13, v11, v13
	v_ldexp_f32 v7, v7, 1
	v_sub_f32_e32 v13, v9, v13
	v_add_f32_e32 v15, v7, v13
	v_mov_b32_e32 v14, v8
	v_pk_add_f32 v[8:9], v[10:11], v[8:9] neg_lo:[0,1] neg_hi:[0,1]
	v_pk_add_f32 v[16:17], v[10:11], v[14:15]
	v_mov_b32_e32 v9, v17
	v_mov_b32_e32 v13, v10
	v_pk_add_f32 v[44:45], v[12:13], v[8:9] neg_lo:[0,1] neg_hi:[0,1]
	v_pk_add_f32 v[8:9], v[12:13], v[8:9]
	v_mov_b32_e32 v12, v9
	v_pk_add_f32 v[46:47], v[12:13], v[10:11] neg_lo:[0,1] neg_hi:[0,1]
	v_mov_b32_e32 v7, v46
	v_pk_add_f32 v[48:49], v[16:17], v[6:7] neg_lo:[0,1] neg_hi:[0,1]
	v_mov_b32_e32 v8, v17
	v_mov_b32_e32 v16, v11
	;; [unrolled: 1-line block ×4, first 2 shown]
	v_pk_add_f32 v[8:9], v[8:9], v[16:17] neg_lo:[0,1] neg_hi:[0,1]
	v_mov_b32_e32 v14, v15
	v_mov_b32_e32 v15, v10
	v_pk_add_f32 v[8:9], v[14:15], v[8:9] neg_lo:[0,1] neg_hi:[0,1]
	v_mov_b32_e32 v48, v44
	v_pk_add_f32 v[10:11], v[48:49], v[8:9]
	v_mov_b32_e32 v14, v11
	v_pk_add_f32 v[14:15], v[10:11], v[14:15]
	v_pk_add_f32 v[12:13], v[12:13], v[14:15]
	v_mov_b32_e32 v11, v12
	v_pk_add_f32 v[16:17], v[10:11], v[44:45] neg_lo:[0,1] neg_hi:[0,1]
	v_mov_b32_e32 v9, v14
	v_sub_f32_e32 v7, v10, v16
	v_pk_add_f32 v[8:9], v[8:9], v[16:17] neg_lo:[0,1] neg_hi:[0,1]
	v_sub_f32_e32 v7, v44, v7
	s_mov_b32 s35, 0x7f800000
	v_add_f32_e32 v7, v8, v7
	s_mov_b32 s34, 0x33800000
	v_add_f32_e32 v7, v7, v9
	v_cmp_eq_f32_e32 vcc, s35, v42
	v_cmp_lt_f32_e64 s[34:35], |v42|, s34
	v_add_f32_e32 v7, v12, v7
	s_or_b64 vcc, vcc, s[34:35]
	v_cndmask_b32_e32 v7, v7, v42, vcc
	v_add_f32_e32 v44, v6, v7
.LBB155_61:
	s_or_b64 exec, exec, s[28:29]
	v_max_f32_e32 v6, v44, v44
	v_max_f32_e32 v42, v31, v31
	v_min_f32_e32 v7, v6, v42
	v_cmp_u_f32_e32 vcc, v44, v44
	v_max_f32_e32 v6, v6, v42
	v_cndmask_b32_e32 v7, v7, v44, vcc
	v_cmp_u_f32_e64 s[28:29], v31, v31
	v_cndmask_b32_e32 v6, v6, v44, vcc
	v_cndmask_b32_e64 v7, v7, v31, s[28:29]
	v_cndmask_b32_e64 v6, v6, v31, s[28:29]
	s_movk_i32 s34, 0x1f8
	v_cmp_neq_f32_e32 vcc, v7, v6
	v_cmp_class_f32_e64 s[34:35], v7, s34
	s_or_b64 s[36:37], vcc, s[34:35]
	s_and_saveexec_b64 s[34:35], s[36:37]
	s_cbranch_execz .LBB155_63
; %bb.62:
	v_sub_f32_e32 v7, v7, v6
	s_mov_b32 s36, 0x3fb8aa3b
	v_mul_f32_e32 v8, 0x3fb8aa3b, v7
	v_fma_f32 v9, v7, s36, -v8
	v_rndne_f32_e32 v10, v8
	v_fmac_f32_e32 v9, 0x32a5705f, v7
	v_sub_f32_e32 v8, v8, v10
	v_add_f32_e32 v8, v8, v9
	v_exp_f32_e32 v8, v8
	v_cvt_i32_f32_e32 v9, v10
	s_mov_b32 s36, 0xc2ce8ed0
	v_cmp_ngt_f32_e32 vcc, s36, v7
	s_mov_b32 s36, 0x42b17218
	v_ldexp_f32 v8, v8, v9
	v_cndmask_b32_e32 v8, 0, v8, vcc
	v_mov_b32_e32 v9, 0x7f800000
	v_cmp_nlt_f32_e32 vcc, s36, v7
	v_cndmask_b32_e32 v50, v9, v8, vcc
	v_add_f32_e32 v7, 1.0, v50
	v_add_f32_e32 v8, -1.0, v7
	v_sub_f32_e32 v9, v8, v7
	v_add_f32_e32 v9, 1.0, v9
	v_sub_f32_e32 v8, v50, v8
	v_add_f32_e32 v10, v8, v9
	v_frexp_mant_f32_e32 v11, v7
	s_mov_b32 s36, 0x3f2aaaab
	v_cvt_f64_f32_e32 v[8:9], v7
	v_frexp_exp_i32_f64_e32 v8, v[8:9]
	v_cmp_gt_f32_e32 vcc, s36, v11
	v_subbrev_co_u32_e32 v16, vcc, 0, v8, vcc
	v_sub_u32_e32 v8, 0, v16
	v_ldexp_f32 v7, v7, v8
	v_ldexp_f32 v8, v10, v8
	v_add_f32_e32 v10, -1.0, v7
	v_add_f32_e32 v9, 1.0, v10
	v_sub_f32_e32 v9, v7, v9
	v_add_f32_e32 v11, v8, v9
	v_add_f32_e32 v9, 1.0, v7
	v_add_f32_e32 v12, -1.0, v9
	v_sub_f32_e32 v7, v7, v12
	v_add_f32_e32 v7, v8, v7
	v_add_f32_e32 v17, v9, v7
	v_rcp_f32_e32 v44, v17
	v_sub_f32_e32 v8, v9, v17
	v_add_f32_e32 v9, v10, v11
	v_add_f32_e32 v7, v7, v8
	v_mul_f32_e32 v46, v9, v44
	v_sub_f32_e32 v8, v10, v9
	v_mul_f32_e32 v10, v17, v46
	v_fma_f32 v12, v46, v17, -v10
	v_fmac_f32_e32 v12, v46, v7
	v_add_f32_e32 v45, v11, v8
	v_add_f32_e32 v8, v10, v12
	v_sub_f32_e32 v11, v9, v8
	v_pk_add_f32 v[14:15], v[8:9], v[10:11] neg_lo:[0,1] neg_hi:[0,1]
	v_mov_b32_e32 v13, v8
	v_pk_add_f32 v[8:9], v[14:15], v[12:13] neg_lo:[0,1] neg_hi:[0,1]
	v_add_f32_e32 v9, v45, v9
	v_add_f32_e32 v8, v8, v9
	v_add_f32_e32 v9, v11, v8
	v_mul_f32_e32 v45, v44, v9
	v_mul_f32_e32 v10, v17, v45
	v_fma_f32 v12, v45, v17, -v10
	v_fmac_f32_e32 v12, v45, v7
	v_sub_f32_e32 v7, v11, v9
	v_add_f32_e32 v7, v8, v7
	v_add_f32_e32 v8, v10, v12
	v_sub_f32_e32 v11, v9, v8
	v_pk_add_f32 v[14:15], v[8:9], v[10:11] neg_lo:[0,1] neg_hi:[0,1]
	v_mov_b32_e32 v13, v8
	v_pk_add_f32 v[8:9], v[14:15], v[12:13] neg_lo:[0,1] neg_hi:[0,1]
	v_add_f32_e32 v7, v7, v9
	v_add_f32_e32 v7, v8, v7
	;; [unrolled: 1-line block ×4, first 2 shown]
	v_sub_f32_e32 v9, v8, v46
	v_mul_f32_e32 v7, v44, v7
	v_sub_f32_e32 v9, v45, v9
	v_add_f32_e32 v7, v9, v7
	v_add_f32_e32 v11, v8, v7
	v_mul_f32_e32 v12, v11, v11
	v_mov_b32_e32 v10, 0x3ecc95a3
	v_fmac_f32_e32 v10, 0x3e9b6dac, v12
	v_mov_b32_e32 v9, 0x3f2aaada
	v_fmac_f32_e32 v9, v12, v10
	v_cvt_f32_i32_e32 v10, v16
	v_sub_f32_e32 v8, v11, v8
	v_sub_f32_e32 v7, v7, v8
	v_ldexp_f32 v13, v11, 1
	v_mul_f32_e32 v11, v11, v12
	v_mov_b32_e32 v8, 0x3f317218
	s_mov_b32 s36, 0x3f317218
	v_pk_mul_f32 v[8:9], v[10:11], v[8:9]
	v_fma_f32 v12, v10, s36, -v8
	v_fmac_f32_e32 v12, 0xb102e308, v10
	v_pk_add_f32 v[10:11], v[8:9], v[12:13]
	v_sub_f32_e32 v13, v11, v13
	v_ldexp_f32 v7, v7, 1
	v_sub_f32_e32 v13, v9, v13
	v_add_f32_e32 v15, v7, v13
	v_mov_b32_e32 v14, v8
	v_pk_add_f32 v[8:9], v[10:11], v[8:9] neg_lo:[0,1] neg_hi:[0,1]
	v_pk_add_f32 v[16:17], v[10:11], v[14:15]
	v_mov_b32_e32 v9, v17
	v_mov_b32_e32 v13, v10
	v_pk_add_f32 v[44:45], v[12:13], v[8:9] neg_lo:[0,1] neg_hi:[0,1]
	v_pk_add_f32 v[8:9], v[12:13], v[8:9]
	v_mov_b32_e32 v12, v9
	v_pk_add_f32 v[46:47], v[12:13], v[10:11] neg_lo:[0,1] neg_hi:[0,1]
	v_mov_b32_e32 v7, v46
	v_pk_add_f32 v[48:49], v[16:17], v[6:7] neg_lo:[0,1] neg_hi:[0,1]
	v_mov_b32_e32 v8, v17
	v_mov_b32_e32 v16, v11
	;; [unrolled: 1-line block ×4, first 2 shown]
	v_pk_add_f32 v[8:9], v[8:9], v[16:17] neg_lo:[0,1] neg_hi:[0,1]
	v_mov_b32_e32 v14, v15
	v_mov_b32_e32 v15, v10
	v_pk_add_f32 v[8:9], v[14:15], v[8:9] neg_lo:[0,1] neg_hi:[0,1]
	v_mov_b32_e32 v48, v44
	v_pk_add_f32 v[10:11], v[48:49], v[8:9]
	v_mov_b32_e32 v14, v11
	v_pk_add_f32 v[14:15], v[10:11], v[14:15]
	v_pk_add_f32 v[12:13], v[12:13], v[14:15]
	v_mov_b32_e32 v11, v12
	v_pk_add_f32 v[16:17], v[10:11], v[44:45] neg_lo:[0,1] neg_hi:[0,1]
	v_mov_b32_e32 v9, v14
	v_sub_f32_e32 v7, v10, v16
	v_pk_add_f32 v[8:9], v[8:9], v[16:17] neg_lo:[0,1] neg_hi:[0,1]
	v_sub_f32_e32 v7, v44, v7
	s_mov_b32 s37, 0x7f800000
	v_add_f32_e32 v7, v8, v7
	s_mov_b32 s36, 0x33800000
	v_add_f32_e32 v7, v7, v9
	v_cmp_eq_f32_e32 vcc, s37, v50
	v_cmp_lt_f32_e64 s[36:37], |v50|, s36
	v_add_f32_e32 v7, v12, v7
	s_or_b64 vcc, vcc, s[36:37]
	v_cndmask_b32_e32 v7, v7, v50, vcc
	v_add_f32_e32 v44, v6, v7
.LBB155_63:
	s_or_b64 exec, exec, s[34:35]
	v_lshrrev_b32_e32 v6, 5, v0
	v_add_lshl_u32 v6, v6, v0, 2
	v_cmp_gt_u32_e32 vcc, 64, v0
	ds_write_b32 v6, v44
	s_waitcnt lgkmcnt(0)
	s_barrier
	s_and_saveexec_b64 s[58:59], vcc
	s_cbranch_execz .LBB155_95
; %bb.64:
	v_lshlrev_b32_e32 v6, 1, v0
	v_lshrrev_b32_e32 v7, 4, v0
	v_add_lshl_u32 v8, v7, v6, 2
	ds_read2_b32 v[6:7], v8 offset1:1
	s_movk_i32 s38, 0x1f8
	s_waitcnt lgkmcnt(0)
	v_max_f32_e32 v11, v7, v7
	v_max_f32_e32 v9, v6, v6
	v_min_f32_e32 v10, v9, v11
	v_cmp_u_f32_e64 s[34:35], v6, v6
	v_max_f32_e32 v11, v9, v11
	v_cndmask_b32_e64 v10, v10, v6, s[34:35]
	v_cmp_u_f32_e64 s[36:37], v7, v7
	v_cndmask_b32_e64 v11, v11, v6, s[34:35]
	v_cndmask_b32_e64 v10, v10, v7, s[36:37]
	;; [unrolled: 1-line block ×3, first 2 shown]
	v_cmp_neq_f32_e64 s[36:37], v10, v7
	v_cmp_class_f32_e64 s[38:39], v10, s38
	s_or_b64 s[36:37], s[36:37], s[38:39]
	v_mov_b32_e32 v11, v6
	s_and_saveexec_b64 s[38:39], s[36:37]
	s_cbranch_execz .LBB155_66
; %bb.65:
	v_sub_f32_e32 v10, v10, v7
	s_mov_b32 s36, 0x3fb8aa3b
	v_mul_f32_e32 v11, 0x3fb8aa3b, v10
	v_fma_f32 v12, v10, s36, -v11
	v_rndne_f32_e32 v13, v11
	v_fmac_f32_e32 v12, 0x32a5705f, v10
	v_sub_f32_e32 v11, v11, v13
	v_add_f32_e32 v11, v11, v12
	v_exp_f32_e32 v11, v11
	v_cvt_i32_f32_e32 v12, v13
	s_mov_b32 s36, 0xc2ce8ed0
	v_cmp_ngt_f32_e64 s[36:37], s36, v10
	s_mov_b32 s60, 0x7f800000
	v_ldexp_f32 v11, v11, v12
	v_cndmask_b32_e64 v11, 0, v11, s[36:37]
	s_mov_b32 s36, 0x42b17218
	v_mov_b32_e32 v12, 0x7f800000
	v_cmp_nlt_f32_e64 s[36:37], s36, v10
	v_cndmask_b32_e64 v45, v12, v11, s[36:37]
	v_add_f32_e32 v12, 1.0, v45
	v_add_f32_e32 v10, -1.0, v12
	v_sub_f32_e32 v11, v10, v12
	v_add_f32_e32 v11, 1.0, v11
	v_sub_f32_e32 v10, v45, v10
	v_add_f32_e32 v13, v10, v11
	v_frexp_mant_f32_e32 v14, v12
	s_mov_b32 s36, 0x3f2aaaab
	v_cvt_f64_f32_e32 v[10:11], v12
	v_frexp_exp_i32_f64_e32 v10, v[10:11]
	v_cmp_gt_f32_e64 s[36:37], s36, v14
	v_subbrev_co_u32_e64 v46, s[36:37], 0, v10, s[36:37]
	v_sub_u32_e32 v10, 0, v46
	v_ldexp_f32 v11, v12, v10
	v_add_f32_e32 v12, -1.0, v11
	v_add_f32_e32 v14, 1.0, v11
	v_ldexp_f32 v10, v13, v10
	v_add_f32_e32 v13, 1.0, v12
	v_add_f32_e32 v15, -1.0, v14
	v_sub_f32_e32 v13, v11, v13
	v_sub_f32_e32 v11, v11, v15
	v_add_f32_e32 v13, v10, v13
	v_add_f32_e32 v10, v10, v11
	;; [unrolled: 1-line block ×3, first 2 shown]
	v_rcp_f32_e32 v49, v47
	v_sub_f32_e32 v11, v14, v47
	v_add_f32_e32 v48, v10, v11
	v_add_f32_e32 v11, v12, v13
	v_mul_f32_e32 v51, v11, v49
	v_sub_f32_e32 v10, v12, v11
	v_mul_f32_e32 v12, v47, v51
	v_fma_f32 v14, v51, v47, -v12
	v_fmac_f32_e32 v14, v51, v48
	v_add_f32_e32 v50, v13, v10
	v_add_f32_e32 v10, v12, v14
	v_sub_f32_e32 v13, v11, v10
	v_pk_add_f32 v[16:17], v[10:11], v[12:13] neg_lo:[0,1] neg_hi:[0,1]
	v_mov_b32_e32 v15, v10
	v_pk_add_f32 v[10:11], v[16:17], v[14:15] neg_lo:[0,1] neg_hi:[0,1]
	v_add_f32_e32 v11, v50, v11
	v_add_f32_e32 v10, v10, v11
	;; [unrolled: 1-line block ×3, first 2 shown]
	v_mul_f32_e32 v50, v49, v11
	v_mul_f32_e32 v12, v47, v50
	v_fma_f32 v14, v50, v47, -v12
	v_fmac_f32_e32 v14, v50, v48
	v_sub_f32_e32 v13, v13, v11
	v_add_f32_e32 v47, v10, v13
	v_add_f32_e32 v10, v12, v14
	v_sub_f32_e32 v13, v11, v10
	v_pk_add_f32 v[16:17], v[10:11], v[12:13] neg_lo:[0,1] neg_hi:[0,1]
	v_mov_b32_e32 v15, v10
	v_pk_add_f32 v[10:11], v[16:17], v[14:15] neg_lo:[0,1] neg_hi:[0,1]
	v_add_f32_e32 v11, v47, v11
	v_add_f32_e32 v10, v10, v11
	;; [unrolled: 1-line block ×4, first 2 shown]
	v_sub_f32_e32 v11, v13, v51
	v_mul_f32_e32 v10, v49, v10
	v_sub_f32_e32 v11, v50, v11
	v_add_f32_e32 v10, v11, v10
	v_add_f32_e32 v14, v13, v10
	v_mul_f32_e32 v16, v14, v14
	v_mov_b32_e32 v12, 0x3ecc95a3
	v_fmac_f32_e32 v12, 0x3e9b6dac, v16
	v_mov_b32_e32 v11, 0x3f2aaada
	v_fmac_f32_e32 v11, v16, v12
	v_cvt_f32_i32_e32 v12, v46
	v_sub_f32_e32 v13, v14, v13
	v_sub_f32_e32 v10, v10, v13
	v_ldexp_f32 v17, v10, 1
	v_mul_f32_e32 v13, v14, v16
	v_mov_b32_e32 v10, 0x3f317218
	s_mov_b32 s36, 0x3f317218
	v_pk_mul_f32 v[10:11], v[12:13], v[10:11]
	v_ldexp_f32 v15, v14, 1
	v_fma_f32 v14, v12, s36, -v10
	v_fmac_f32_e32 v14, 0xb102e308, v12
	v_pk_add_f32 v[12:13], v[10:11], v[14:15]
	v_sub_f32_e32 v15, v13, v15
	v_sub_f32_e32 v15, v11, v15
	v_add_f32_e32 v17, v17, v15
	v_mov_b32_e32 v16, v10
	v_pk_add_f32 v[10:11], v[12:13], v[10:11] neg_lo:[0,1] neg_hi:[0,1]
	v_pk_add_f32 v[46:47], v[12:13], v[16:17]
	v_mov_b32_e32 v11, v47
	v_mov_b32_e32 v15, v12
	v_pk_add_f32 v[48:49], v[14:15], v[10:11] neg_lo:[0,1] neg_hi:[0,1]
	v_pk_add_f32 v[10:11], v[14:15], v[10:11]
	v_mov_b32_e32 v14, v11
	v_pk_add_f32 v[50:51], v[14:15], v[12:13] neg_lo:[0,1] neg_hi:[0,1]
	v_mov_b32_e32 v15, v50
	v_pk_add_f32 v[52:53], v[46:47], v[14:15] neg_lo:[0,1] neg_hi:[0,1]
	v_mov_b32_e32 v10, v47
	v_mov_b32_e32 v46, v13
	;; [unrolled: 1-line block ×4, first 2 shown]
	v_pk_add_f32 v[10:11], v[10:11], v[46:47] neg_lo:[0,1] neg_hi:[0,1]
	v_mov_b32_e32 v16, v17
	v_mov_b32_e32 v17, v12
	v_pk_add_f32 v[10:11], v[16:17], v[10:11] neg_lo:[0,1] neg_hi:[0,1]
	v_mov_b32_e32 v52, v48
	v_pk_add_f32 v[12:13], v[52:53], v[10:11]
	v_mov_b32_e32 v16, v13
	v_pk_add_f32 v[16:17], v[12:13], v[16:17]
	v_pk_add_f32 v[14:15], v[14:15], v[16:17]
	v_mov_b32_e32 v13, v14
	v_pk_add_f32 v[46:47], v[12:13], v[48:49] neg_lo:[0,1] neg_hi:[0,1]
	v_mov_b32_e32 v11, v16
	v_sub_f32_e32 v12, v12, v46
	v_pk_add_f32 v[10:11], v[10:11], v[46:47] neg_lo:[0,1] neg_hi:[0,1]
	v_sub_f32_e32 v12, v48, v12
	v_add_f32_e32 v10, v10, v12
	v_cmp_eq_f32_e64 s[36:37], s60, v45
	s_mov_b32 s60, 0x33800000
	v_add_f32_e32 v10, v10, v11
	v_cmp_lt_f32_e64 s[60:61], |v45|, s60
	v_add_f32_e32 v10, v14, v10
	s_or_b64 s[36:37], s[36:37], s[60:61]
	v_cndmask_b32_e64 v10, v10, v45, s[36:37]
	v_add_f32_e32 v11, v7, v10
.LBB155_66:
	s_or_b64 exec, exec, s[38:39]
	v_mbcnt_lo_u32_b32 v7, -1, 0
	v_mbcnt_hi_u32_b32 v7, -1, v7
	v_and_b32_e32 v10, 15, v7
	v_mov_b32_dpp v12, v11 row_shr:1 row_mask:0xf bank_mask:0xf
	v_cmp_ne_u32_e64 s[36:37], 0, v10
	s_and_saveexec_b64 s[60:61], s[36:37]
	s_cbranch_execz .LBB155_70
; %bb.67:
	v_max_f32_e32 v14, v11, v11
	v_max_f32_e32 v15, v12, v12
	v_min_f32_e32 v13, v15, v14
	v_cmp_u_f32_e64 s[36:37], v12, v12
	v_max_f32_e32 v14, v15, v14
	v_cndmask_b32_e64 v13, v13, v12, s[36:37]
	v_cmp_u_f32_e64 s[38:39], v11, v11
	v_cndmask_b32_e64 v14, v14, v12, s[36:37]
	v_cndmask_b32_e64 v13, v13, v11, s[38:39]
	;; [unrolled: 1-line block ×3, first 2 shown]
	s_movk_i32 s38, 0x1f8
	v_cmp_neq_f32_e64 s[36:37], v13, v11
	v_cmp_class_f32_e64 s[38:39], v13, s38
	s_or_b64 s[36:37], s[36:37], s[38:39]
	s_and_saveexec_b64 s[38:39], s[36:37]
	s_cbranch_execz .LBB155_69
; %bb.68:
	v_sub_f32_e32 v12, v13, v11
	s_mov_b32 s36, 0x3fb8aa3b
	v_mul_f32_e32 v13, 0x3fb8aa3b, v12
	v_fma_f32 v14, v12, s36, -v13
	v_rndne_f32_e32 v15, v13
	v_fmac_f32_e32 v14, 0x32a5705f, v12
	v_sub_f32_e32 v13, v13, v15
	v_add_f32_e32 v13, v13, v14
	v_exp_f32_e32 v13, v13
	v_cvt_i32_f32_e32 v14, v15
	s_mov_b32 s36, 0xc2ce8ed0
	v_cmp_ngt_f32_e64 s[36:37], s36, v12
	s_mov_b32 s64, 0x7f800000
	v_ldexp_f32 v13, v13, v14
	v_cndmask_b32_e64 v13, 0, v13, s[36:37]
	s_mov_b32 s36, 0x42b17218
	v_mov_b32_e32 v14, 0x7f800000
	v_cmp_nlt_f32_e64 s[36:37], s36, v12
	v_cndmask_b32_e64 v45, v14, v13, s[36:37]
	v_add_f32_e32 v14, 1.0, v45
	v_add_f32_e32 v12, -1.0, v14
	v_sub_f32_e32 v13, v12, v14
	v_add_f32_e32 v13, 1.0, v13
	v_sub_f32_e32 v12, v45, v12
	v_add_f32_e32 v15, v12, v13
	v_frexp_mant_f32_e32 v16, v14
	s_mov_b32 s36, 0x3f2aaaab
	v_cvt_f64_f32_e32 v[12:13], v14
	v_frexp_exp_i32_f64_e32 v12, v[12:13]
	v_cmp_gt_f32_e64 s[36:37], s36, v16
	v_subbrev_co_u32_e64 v48, s[36:37], 0, v12, s[36:37]
	v_sub_u32_e32 v12, 0, v48
	v_ldexp_f32 v13, v14, v12
	v_add_f32_e32 v14, -1.0, v13
	v_add_f32_e32 v16, 1.0, v13
	v_ldexp_f32 v12, v15, v12
	v_add_f32_e32 v15, 1.0, v14
	v_add_f32_e32 v17, -1.0, v16
	v_sub_f32_e32 v15, v13, v15
	v_sub_f32_e32 v13, v13, v17
	v_add_f32_e32 v15, v12, v15
	v_add_f32_e32 v12, v12, v13
	;; [unrolled: 1-line block ×3, first 2 shown]
	v_rcp_f32_e32 v51, v49
	v_sub_f32_e32 v13, v16, v49
	v_add_f32_e32 v50, v12, v13
	v_add_f32_e32 v13, v14, v15
	v_mul_f32_e32 v53, v13, v51
	v_sub_f32_e32 v12, v14, v13
	v_mul_f32_e32 v14, v49, v53
	v_fma_f32 v16, v53, v49, -v14
	v_fmac_f32_e32 v16, v53, v50
	v_add_f32_e32 v52, v15, v12
	v_add_f32_e32 v12, v14, v16
	v_sub_f32_e32 v15, v13, v12
	v_pk_add_f32 v[46:47], v[12:13], v[14:15] neg_lo:[0,1] neg_hi:[0,1]
	v_mov_b32_e32 v17, v12
	v_pk_add_f32 v[12:13], v[46:47], v[16:17] neg_lo:[0,1] neg_hi:[0,1]
	v_add_f32_e32 v13, v52, v13
	v_add_f32_e32 v12, v12, v13
	;; [unrolled: 1-line block ×3, first 2 shown]
	v_mul_f32_e32 v52, v51, v13
	v_mul_f32_e32 v14, v49, v52
	v_fma_f32 v16, v52, v49, -v14
	v_fmac_f32_e32 v16, v52, v50
	v_sub_f32_e32 v15, v15, v13
	v_add_f32_e32 v49, v12, v15
	v_add_f32_e32 v12, v14, v16
	v_sub_f32_e32 v15, v13, v12
	v_pk_add_f32 v[46:47], v[12:13], v[14:15] neg_lo:[0,1] neg_hi:[0,1]
	v_mov_b32_e32 v17, v12
	v_pk_add_f32 v[12:13], v[46:47], v[16:17] neg_lo:[0,1] neg_hi:[0,1]
	v_add_f32_e32 v13, v49, v13
	v_add_f32_e32 v12, v12, v13
	;; [unrolled: 1-line block ×4, first 2 shown]
	v_sub_f32_e32 v13, v15, v53
	v_mul_f32_e32 v12, v51, v12
	v_sub_f32_e32 v13, v52, v13
	v_add_f32_e32 v12, v13, v12
	v_add_f32_e32 v16, v15, v12
	v_mul_f32_e32 v46, v16, v16
	v_mov_b32_e32 v14, 0x3ecc95a3
	v_fmac_f32_e32 v14, 0x3e9b6dac, v46
	v_mov_b32_e32 v13, 0x3f2aaada
	v_fmac_f32_e32 v13, v46, v14
	v_cvt_f32_i32_e32 v14, v48
	v_sub_f32_e32 v15, v16, v15
	v_sub_f32_e32 v12, v12, v15
	v_ldexp_f32 v47, v12, 1
	v_mul_f32_e32 v15, v16, v46
	v_mov_b32_e32 v12, 0x3f317218
	s_mov_b32 s36, 0x3f317218
	v_pk_mul_f32 v[12:13], v[14:15], v[12:13]
	v_ldexp_f32 v17, v16, 1
	v_fma_f32 v16, v14, s36, -v12
	v_fmac_f32_e32 v16, 0xb102e308, v14
	v_pk_add_f32 v[14:15], v[12:13], v[16:17]
	v_sub_f32_e32 v17, v15, v17
	v_sub_f32_e32 v17, v13, v17
	v_add_f32_e32 v47, v47, v17
	v_mov_b32_e32 v46, v12
	v_pk_add_f32 v[12:13], v[14:15], v[12:13] neg_lo:[0,1] neg_hi:[0,1]
	v_pk_add_f32 v[48:49], v[14:15], v[46:47]
	v_mov_b32_e32 v13, v49
	v_mov_b32_e32 v17, v14
	v_pk_add_f32 v[50:51], v[16:17], v[12:13] neg_lo:[0,1] neg_hi:[0,1]
	v_pk_add_f32 v[12:13], v[16:17], v[12:13]
	v_mov_b32_e32 v16, v13
	v_pk_add_f32 v[52:53], v[16:17], v[14:15] neg_lo:[0,1] neg_hi:[0,1]
	v_mov_b32_e32 v17, v52
	v_pk_add_f32 v[54:55], v[48:49], v[16:17] neg_lo:[0,1] neg_hi:[0,1]
	v_mov_b32_e32 v12, v49
	v_mov_b32_e32 v48, v15
	;; [unrolled: 1-line block ×4, first 2 shown]
	v_pk_add_f32 v[12:13], v[12:13], v[48:49] neg_lo:[0,1] neg_hi:[0,1]
	v_mov_b32_e32 v46, v47
	v_mov_b32_e32 v47, v14
	v_pk_add_f32 v[12:13], v[46:47], v[12:13] neg_lo:[0,1] neg_hi:[0,1]
	v_mov_b32_e32 v54, v50
	v_pk_add_f32 v[14:15], v[54:55], v[12:13]
	v_mov_b32_e32 v46, v15
	v_pk_add_f32 v[46:47], v[14:15], v[46:47]
	v_pk_add_f32 v[16:17], v[16:17], v[46:47]
	v_mov_b32_e32 v15, v16
	v_pk_add_f32 v[48:49], v[14:15], v[50:51] neg_lo:[0,1] neg_hi:[0,1]
	v_mov_b32_e32 v13, v46
	v_sub_f32_e32 v14, v14, v48
	v_pk_add_f32 v[12:13], v[12:13], v[48:49] neg_lo:[0,1] neg_hi:[0,1]
	v_sub_f32_e32 v14, v50, v14
	v_add_f32_e32 v12, v12, v14
	v_cmp_eq_f32_e64 s[36:37], s64, v45
	s_mov_b32 s64, 0x33800000
	v_add_f32_e32 v12, v12, v13
	v_cmp_lt_f32_e64 s[64:65], |v45|, s64
	v_add_f32_e32 v12, v16, v12
	s_or_b64 s[36:37], s[36:37], s[64:65]
	v_cndmask_b32_e64 v12, v12, v45, s[36:37]
	v_add_f32_e32 v12, v11, v12
.LBB155_69:
	s_or_b64 exec, exec, s[38:39]
	v_mov_b32_e32 v11, v12
.LBB155_70:
	s_or_b64 exec, exec, s[60:61]
	s_nop 0
	v_mov_b32_dpp v12, v11 row_shr:2 row_mask:0xf bank_mask:0xf
	v_cmp_lt_u32_e64 s[36:37], 1, v10
	s_and_saveexec_b64 s[60:61], s[36:37]
	s_cbranch_execz .LBB155_74
; %bb.71:
	v_max_f32_e32 v14, v11, v11
	v_max_f32_e32 v15, v12, v12
	v_min_f32_e32 v13, v15, v14
	v_cmp_u_f32_e64 s[36:37], v12, v12
	v_max_f32_e32 v14, v15, v14
	v_cndmask_b32_e64 v13, v13, v12, s[36:37]
	v_cmp_u_f32_e64 s[38:39], v11, v11
	v_cndmask_b32_e64 v14, v14, v12, s[36:37]
	v_cndmask_b32_e64 v13, v13, v11, s[38:39]
	;; [unrolled: 1-line block ×3, first 2 shown]
	s_movk_i32 s38, 0x1f8
	v_cmp_neq_f32_e64 s[36:37], v13, v11
	v_cmp_class_f32_e64 s[38:39], v13, s38
	s_or_b64 s[36:37], s[36:37], s[38:39]
	s_and_saveexec_b64 s[38:39], s[36:37]
	s_cbranch_execz .LBB155_73
; %bb.72:
	v_sub_f32_e32 v12, v13, v11
	s_mov_b32 s36, 0x3fb8aa3b
	v_mul_f32_e32 v13, 0x3fb8aa3b, v12
	v_fma_f32 v14, v12, s36, -v13
	v_rndne_f32_e32 v15, v13
	v_fmac_f32_e32 v14, 0x32a5705f, v12
	v_sub_f32_e32 v13, v13, v15
	v_add_f32_e32 v13, v13, v14
	v_exp_f32_e32 v13, v13
	v_cvt_i32_f32_e32 v14, v15
	s_mov_b32 s36, 0xc2ce8ed0
	v_cmp_ngt_f32_e64 s[36:37], s36, v12
	s_mov_b32 s64, 0x7f800000
	v_ldexp_f32 v13, v13, v14
	v_cndmask_b32_e64 v13, 0, v13, s[36:37]
	s_mov_b32 s36, 0x42b17218
	v_mov_b32_e32 v14, 0x7f800000
	v_cmp_nlt_f32_e64 s[36:37], s36, v12
	v_cndmask_b32_e64 v45, v14, v13, s[36:37]
	v_add_f32_e32 v14, 1.0, v45
	v_add_f32_e32 v12, -1.0, v14
	v_sub_f32_e32 v13, v12, v14
	v_add_f32_e32 v13, 1.0, v13
	v_sub_f32_e32 v12, v45, v12
	v_add_f32_e32 v15, v12, v13
	v_frexp_mant_f32_e32 v16, v14
	s_mov_b32 s36, 0x3f2aaaab
	v_cvt_f64_f32_e32 v[12:13], v14
	v_frexp_exp_i32_f64_e32 v12, v[12:13]
	v_cmp_gt_f32_e64 s[36:37], s36, v16
	v_subbrev_co_u32_e64 v48, s[36:37], 0, v12, s[36:37]
	v_sub_u32_e32 v12, 0, v48
	v_ldexp_f32 v13, v14, v12
	v_add_f32_e32 v14, -1.0, v13
	v_add_f32_e32 v16, 1.0, v13
	v_ldexp_f32 v12, v15, v12
	v_add_f32_e32 v15, 1.0, v14
	v_add_f32_e32 v17, -1.0, v16
	v_sub_f32_e32 v15, v13, v15
	v_sub_f32_e32 v13, v13, v17
	v_add_f32_e32 v15, v12, v15
	v_add_f32_e32 v12, v12, v13
	;; [unrolled: 1-line block ×3, first 2 shown]
	v_rcp_f32_e32 v51, v49
	v_sub_f32_e32 v13, v16, v49
	v_add_f32_e32 v50, v12, v13
	v_add_f32_e32 v13, v14, v15
	v_mul_f32_e32 v53, v13, v51
	v_sub_f32_e32 v12, v14, v13
	v_mul_f32_e32 v14, v49, v53
	v_fma_f32 v16, v53, v49, -v14
	v_fmac_f32_e32 v16, v53, v50
	v_add_f32_e32 v52, v15, v12
	v_add_f32_e32 v12, v14, v16
	v_sub_f32_e32 v15, v13, v12
	v_pk_add_f32 v[46:47], v[12:13], v[14:15] neg_lo:[0,1] neg_hi:[0,1]
	v_mov_b32_e32 v17, v12
	v_pk_add_f32 v[12:13], v[46:47], v[16:17] neg_lo:[0,1] neg_hi:[0,1]
	v_add_f32_e32 v13, v52, v13
	v_add_f32_e32 v12, v12, v13
	;; [unrolled: 1-line block ×3, first 2 shown]
	v_mul_f32_e32 v52, v51, v13
	v_mul_f32_e32 v14, v49, v52
	v_fma_f32 v16, v52, v49, -v14
	v_fmac_f32_e32 v16, v52, v50
	v_sub_f32_e32 v15, v15, v13
	v_add_f32_e32 v49, v12, v15
	v_add_f32_e32 v12, v14, v16
	v_sub_f32_e32 v15, v13, v12
	v_pk_add_f32 v[46:47], v[12:13], v[14:15] neg_lo:[0,1] neg_hi:[0,1]
	v_mov_b32_e32 v17, v12
	v_pk_add_f32 v[12:13], v[46:47], v[16:17] neg_lo:[0,1] neg_hi:[0,1]
	v_add_f32_e32 v13, v49, v13
	v_add_f32_e32 v12, v12, v13
	;; [unrolled: 1-line block ×4, first 2 shown]
	v_sub_f32_e32 v13, v15, v53
	v_mul_f32_e32 v12, v51, v12
	v_sub_f32_e32 v13, v52, v13
	v_add_f32_e32 v12, v13, v12
	v_add_f32_e32 v16, v15, v12
	v_mul_f32_e32 v46, v16, v16
	v_mov_b32_e32 v14, 0x3ecc95a3
	v_fmac_f32_e32 v14, 0x3e9b6dac, v46
	v_mov_b32_e32 v13, 0x3f2aaada
	v_fmac_f32_e32 v13, v46, v14
	v_cvt_f32_i32_e32 v14, v48
	v_sub_f32_e32 v15, v16, v15
	v_sub_f32_e32 v12, v12, v15
	v_ldexp_f32 v47, v12, 1
	v_mul_f32_e32 v15, v16, v46
	v_mov_b32_e32 v12, 0x3f317218
	s_mov_b32 s36, 0x3f317218
	v_pk_mul_f32 v[12:13], v[14:15], v[12:13]
	v_ldexp_f32 v17, v16, 1
	v_fma_f32 v16, v14, s36, -v12
	v_fmac_f32_e32 v16, 0xb102e308, v14
	v_pk_add_f32 v[14:15], v[12:13], v[16:17]
	v_sub_f32_e32 v17, v15, v17
	v_sub_f32_e32 v17, v13, v17
	v_add_f32_e32 v47, v47, v17
	v_mov_b32_e32 v46, v12
	v_pk_add_f32 v[12:13], v[14:15], v[12:13] neg_lo:[0,1] neg_hi:[0,1]
	v_pk_add_f32 v[48:49], v[14:15], v[46:47]
	v_mov_b32_e32 v13, v49
	v_mov_b32_e32 v17, v14
	v_pk_add_f32 v[50:51], v[16:17], v[12:13] neg_lo:[0,1] neg_hi:[0,1]
	v_pk_add_f32 v[12:13], v[16:17], v[12:13]
	v_mov_b32_e32 v16, v13
	v_pk_add_f32 v[52:53], v[16:17], v[14:15] neg_lo:[0,1] neg_hi:[0,1]
	v_mov_b32_e32 v17, v52
	v_pk_add_f32 v[54:55], v[48:49], v[16:17] neg_lo:[0,1] neg_hi:[0,1]
	v_mov_b32_e32 v12, v49
	v_mov_b32_e32 v48, v15
	v_mov_b32_e32 v49, v52
	v_mov_b32_e32 v51, v13
	v_pk_add_f32 v[12:13], v[12:13], v[48:49] neg_lo:[0,1] neg_hi:[0,1]
	v_mov_b32_e32 v46, v47
	v_mov_b32_e32 v47, v14
	v_pk_add_f32 v[12:13], v[46:47], v[12:13] neg_lo:[0,1] neg_hi:[0,1]
	v_mov_b32_e32 v54, v50
	v_pk_add_f32 v[14:15], v[54:55], v[12:13]
	v_mov_b32_e32 v46, v15
	v_pk_add_f32 v[46:47], v[14:15], v[46:47]
	v_pk_add_f32 v[16:17], v[16:17], v[46:47]
	v_mov_b32_e32 v15, v16
	v_pk_add_f32 v[48:49], v[14:15], v[50:51] neg_lo:[0,1] neg_hi:[0,1]
	v_mov_b32_e32 v13, v46
	v_sub_f32_e32 v14, v14, v48
	v_pk_add_f32 v[12:13], v[12:13], v[48:49] neg_lo:[0,1] neg_hi:[0,1]
	v_sub_f32_e32 v14, v50, v14
	v_add_f32_e32 v12, v12, v14
	v_cmp_eq_f32_e64 s[36:37], s64, v45
	s_mov_b32 s64, 0x33800000
	v_add_f32_e32 v12, v12, v13
	v_cmp_lt_f32_e64 s[64:65], |v45|, s64
	v_add_f32_e32 v12, v16, v12
	s_or_b64 s[36:37], s[36:37], s[64:65]
	v_cndmask_b32_e64 v12, v12, v45, s[36:37]
	v_add_f32_e32 v12, v11, v12
.LBB155_73:
	s_or_b64 exec, exec, s[38:39]
	v_mov_b32_e32 v11, v12
.LBB155_74:
	s_or_b64 exec, exec, s[60:61]
	s_nop 0
	v_mov_b32_dpp v12, v11 row_shr:4 row_mask:0xf bank_mask:0xf
	v_cmp_lt_u32_e64 s[36:37], 3, v10
	s_and_saveexec_b64 s[60:61], s[36:37]
	s_cbranch_execz .LBB155_78
; %bb.75:
	v_max_f32_e32 v14, v11, v11
	v_max_f32_e32 v15, v12, v12
	v_min_f32_e32 v13, v15, v14
	v_cmp_u_f32_e64 s[36:37], v12, v12
	v_max_f32_e32 v14, v15, v14
	v_cndmask_b32_e64 v13, v13, v12, s[36:37]
	v_cmp_u_f32_e64 s[38:39], v11, v11
	v_cndmask_b32_e64 v14, v14, v12, s[36:37]
	v_cndmask_b32_e64 v13, v13, v11, s[38:39]
	;; [unrolled: 1-line block ×3, first 2 shown]
	s_movk_i32 s38, 0x1f8
	v_cmp_neq_f32_e64 s[36:37], v13, v11
	v_cmp_class_f32_e64 s[38:39], v13, s38
	s_or_b64 s[36:37], s[36:37], s[38:39]
	s_and_saveexec_b64 s[38:39], s[36:37]
	s_cbranch_execz .LBB155_77
; %bb.76:
	v_sub_f32_e32 v12, v13, v11
	s_mov_b32 s36, 0x3fb8aa3b
	v_mul_f32_e32 v13, 0x3fb8aa3b, v12
	v_fma_f32 v14, v12, s36, -v13
	v_rndne_f32_e32 v15, v13
	v_fmac_f32_e32 v14, 0x32a5705f, v12
	v_sub_f32_e32 v13, v13, v15
	v_add_f32_e32 v13, v13, v14
	v_exp_f32_e32 v13, v13
	v_cvt_i32_f32_e32 v14, v15
	s_mov_b32 s36, 0xc2ce8ed0
	v_cmp_ngt_f32_e64 s[36:37], s36, v12
	s_mov_b32 s64, 0x7f800000
	v_ldexp_f32 v13, v13, v14
	v_cndmask_b32_e64 v13, 0, v13, s[36:37]
	s_mov_b32 s36, 0x42b17218
	v_mov_b32_e32 v14, 0x7f800000
	v_cmp_nlt_f32_e64 s[36:37], s36, v12
	v_cndmask_b32_e64 v45, v14, v13, s[36:37]
	v_add_f32_e32 v14, 1.0, v45
	v_add_f32_e32 v12, -1.0, v14
	v_sub_f32_e32 v13, v12, v14
	v_add_f32_e32 v13, 1.0, v13
	v_sub_f32_e32 v12, v45, v12
	v_add_f32_e32 v15, v12, v13
	v_frexp_mant_f32_e32 v16, v14
	s_mov_b32 s36, 0x3f2aaaab
	v_cvt_f64_f32_e32 v[12:13], v14
	v_frexp_exp_i32_f64_e32 v12, v[12:13]
	v_cmp_gt_f32_e64 s[36:37], s36, v16
	v_subbrev_co_u32_e64 v48, s[36:37], 0, v12, s[36:37]
	v_sub_u32_e32 v12, 0, v48
	v_ldexp_f32 v13, v14, v12
	v_add_f32_e32 v14, -1.0, v13
	v_add_f32_e32 v16, 1.0, v13
	v_ldexp_f32 v12, v15, v12
	v_add_f32_e32 v15, 1.0, v14
	v_add_f32_e32 v17, -1.0, v16
	v_sub_f32_e32 v15, v13, v15
	v_sub_f32_e32 v13, v13, v17
	v_add_f32_e32 v15, v12, v15
	v_add_f32_e32 v12, v12, v13
	;; [unrolled: 1-line block ×3, first 2 shown]
	v_rcp_f32_e32 v51, v49
	v_sub_f32_e32 v13, v16, v49
	v_add_f32_e32 v50, v12, v13
	v_add_f32_e32 v13, v14, v15
	v_mul_f32_e32 v53, v13, v51
	v_sub_f32_e32 v12, v14, v13
	v_mul_f32_e32 v14, v49, v53
	v_fma_f32 v16, v53, v49, -v14
	v_fmac_f32_e32 v16, v53, v50
	v_add_f32_e32 v52, v15, v12
	v_add_f32_e32 v12, v14, v16
	v_sub_f32_e32 v15, v13, v12
	v_pk_add_f32 v[46:47], v[12:13], v[14:15] neg_lo:[0,1] neg_hi:[0,1]
	v_mov_b32_e32 v17, v12
	v_pk_add_f32 v[12:13], v[46:47], v[16:17] neg_lo:[0,1] neg_hi:[0,1]
	v_add_f32_e32 v13, v52, v13
	v_add_f32_e32 v12, v12, v13
	v_add_f32_e32 v13, v15, v12
	v_mul_f32_e32 v52, v51, v13
	v_mul_f32_e32 v14, v49, v52
	v_fma_f32 v16, v52, v49, -v14
	v_fmac_f32_e32 v16, v52, v50
	v_sub_f32_e32 v15, v15, v13
	v_add_f32_e32 v49, v12, v15
	v_add_f32_e32 v12, v14, v16
	v_sub_f32_e32 v15, v13, v12
	v_pk_add_f32 v[46:47], v[12:13], v[14:15] neg_lo:[0,1] neg_hi:[0,1]
	v_mov_b32_e32 v17, v12
	v_pk_add_f32 v[12:13], v[46:47], v[16:17] neg_lo:[0,1] neg_hi:[0,1]
	v_add_f32_e32 v13, v49, v13
	v_add_f32_e32 v12, v12, v13
	;; [unrolled: 1-line block ×4, first 2 shown]
	v_sub_f32_e32 v13, v15, v53
	v_mul_f32_e32 v12, v51, v12
	v_sub_f32_e32 v13, v52, v13
	v_add_f32_e32 v12, v13, v12
	v_add_f32_e32 v16, v15, v12
	v_mul_f32_e32 v46, v16, v16
	v_mov_b32_e32 v14, 0x3ecc95a3
	v_fmac_f32_e32 v14, 0x3e9b6dac, v46
	v_mov_b32_e32 v13, 0x3f2aaada
	v_fmac_f32_e32 v13, v46, v14
	v_cvt_f32_i32_e32 v14, v48
	v_sub_f32_e32 v15, v16, v15
	v_sub_f32_e32 v12, v12, v15
	v_ldexp_f32 v47, v12, 1
	v_mul_f32_e32 v15, v16, v46
	v_mov_b32_e32 v12, 0x3f317218
	s_mov_b32 s36, 0x3f317218
	v_pk_mul_f32 v[12:13], v[14:15], v[12:13]
	v_ldexp_f32 v17, v16, 1
	v_fma_f32 v16, v14, s36, -v12
	v_fmac_f32_e32 v16, 0xb102e308, v14
	v_pk_add_f32 v[14:15], v[12:13], v[16:17]
	v_sub_f32_e32 v17, v15, v17
	v_sub_f32_e32 v17, v13, v17
	v_add_f32_e32 v47, v47, v17
	v_mov_b32_e32 v46, v12
	v_pk_add_f32 v[12:13], v[14:15], v[12:13] neg_lo:[0,1] neg_hi:[0,1]
	v_pk_add_f32 v[48:49], v[14:15], v[46:47]
	v_mov_b32_e32 v13, v49
	v_mov_b32_e32 v17, v14
	v_pk_add_f32 v[50:51], v[16:17], v[12:13] neg_lo:[0,1] neg_hi:[0,1]
	v_pk_add_f32 v[12:13], v[16:17], v[12:13]
	v_mov_b32_e32 v16, v13
	v_pk_add_f32 v[52:53], v[16:17], v[14:15] neg_lo:[0,1] neg_hi:[0,1]
	v_mov_b32_e32 v17, v52
	v_pk_add_f32 v[54:55], v[48:49], v[16:17] neg_lo:[0,1] neg_hi:[0,1]
	v_mov_b32_e32 v12, v49
	v_mov_b32_e32 v48, v15
	v_mov_b32_e32 v49, v52
	v_mov_b32_e32 v51, v13
	v_pk_add_f32 v[12:13], v[12:13], v[48:49] neg_lo:[0,1] neg_hi:[0,1]
	v_mov_b32_e32 v46, v47
	v_mov_b32_e32 v47, v14
	v_pk_add_f32 v[12:13], v[46:47], v[12:13] neg_lo:[0,1] neg_hi:[0,1]
	v_mov_b32_e32 v54, v50
	v_pk_add_f32 v[14:15], v[54:55], v[12:13]
	v_mov_b32_e32 v46, v15
	v_pk_add_f32 v[46:47], v[14:15], v[46:47]
	v_pk_add_f32 v[16:17], v[16:17], v[46:47]
	v_mov_b32_e32 v15, v16
	v_pk_add_f32 v[48:49], v[14:15], v[50:51] neg_lo:[0,1] neg_hi:[0,1]
	v_mov_b32_e32 v13, v46
	v_sub_f32_e32 v14, v14, v48
	v_pk_add_f32 v[12:13], v[12:13], v[48:49] neg_lo:[0,1] neg_hi:[0,1]
	v_sub_f32_e32 v14, v50, v14
	v_add_f32_e32 v12, v12, v14
	v_cmp_eq_f32_e64 s[36:37], s64, v45
	s_mov_b32 s64, 0x33800000
	v_add_f32_e32 v12, v12, v13
	v_cmp_lt_f32_e64 s[64:65], |v45|, s64
	v_add_f32_e32 v12, v16, v12
	s_or_b64 s[36:37], s[36:37], s[64:65]
	v_cndmask_b32_e64 v12, v12, v45, s[36:37]
	v_add_f32_e32 v12, v11, v12
.LBB155_77:
	s_or_b64 exec, exec, s[38:39]
	v_mov_b32_e32 v11, v12
.LBB155_78:
	s_or_b64 exec, exec, s[60:61]
	s_nop 0
	v_mov_b32_dpp v12, v11 row_shr:8 row_mask:0xf bank_mask:0xf
	v_cmp_lt_u32_e64 s[36:37], 7, v10
	s_and_saveexec_b64 s[60:61], s[36:37]
	s_cbranch_execz .LBB155_82
; %bb.79:
	v_max_f32_e32 v10, v11, v11
	v_max_f32_e32 v14, v12, v12
	v_min_f32_e32 v13, v14, v10
	v_cmp_u_f32_e64 s[36:37], v12, v12
	v_max_f32_e32 v10, v14, v10
	v_cndmask_b32_e64 v13, v13, v12, s[36:37]
	v_cmp_u_f32_e64 s[38:39], v11, v11
	v_cndmask_b32_e64 v10, v10, v12, s[36:37]
	v_cndmask_b32_e64 v13, v13, v11, s[38:39]
	v_cndmask_b32_e64 v10, v10, v11, s[38:39]
	s_movk_i32 s38, 0x1f8
	v_cmp_neq_f32_e64 s[36:37], v13, v10
	v_cmp_class_f32_e64 s[38:39], v13, s38
	s_or_b64 s[36:37], s[36:37], s[38:39]
	s_and_saveexec_b64 s[38:39], s[36:37]
	s_cbranch_execz .LBB155_81
; %bb.80:
	v_sub_f32_e32 v11, v13, v10
	s_mov_b32 s36, 0x3fb8aa3b
	v_mul_f32_e32 v12, 0x3fb8aa3b, v11
	v_fma_f32 v13, v11, s36, -v12
	v_rndne_f32_e32 v14, v12
	v_fmac_f32_e32 v13, 0x32a5705f, v11
	v_sub_f32_e32 v12, v12, v14
	v_add_f32_e32 v12, v12, v13
	v_exp_f32_e32 v12, v12
	v_cvt_i32_f32_e32 v13, v14
	s_mov_b32 s36, 0xc2ce8ed0
	v_cmp_ngt_f32_e64 s[36:37], s36, v11
	s_mov_b32 s64, 0x7f800000
	v_ldexp_f32 v12, v12, v13
	v_cndmask_b32_e64 v12, 0, v12, s[36:37]
	s_mov_b32 s36, 0x42b17218
	v_mov_b32_e32 v13, 0x7f800000
	v_cmp_nlt_f32_e64 s[36:37], s36, v11
	v_cndmask_b32_e64 v45, v13, v12, s[36:37]
	v_add_f32_e32 v11, 1.0, v45
	v_add_f32_e32 v12, -1.0, v11
	v_sub_f32_e32 v13, v12, v11
	v_add_f32_e32 v13, 1.0, v13
	v_sub_f32_e32 v12, v45, v12
	v_add_f32_e32 v14, v12, v13
	v_frexp_mant_f32_e32 v15, v11
	s_mov_b32 s36, 0x3f2aaaab
	v_cvt_f64_f32_e32 v[12:13], v11
	v_frexp_exp_i32_f64_e32 v12, v[12:13]
	v_cmp_gt_f32_e64 s[36:37], s36, v15
	v_subbrev_co_u32_e64 v48, s[36:37], 0, v12, s[36:37]
	v_sub_u32_e32 v12, 0, v48
	v_ldexp_f32 v11, v11, v12
	v_ldexp_f32 v12, v14, v12
	v_add_f32_e32 v14, -1.0, v11
	v_add_f32_e32 v13, 1.0, v14
	v_sub_f32_e32 v13, v11, v13
	v_add_f32_e32 v15, v12, v13
	v_add_f32_e32 v13, 1.0, v11
	v_add_f32_e32 v16, -1.0, v13
	v_sub_f32_e32 v11, v11, v16
	v_add_f32_e32 v11, v12, v11
	v_add_f32_e32 v49, v13, v11
	v_rcp_f32_e32 v50, v49
	v_sub_f32_e32 v12, v13, v49
	v_add_f32_e32 v13, v14, v15
	v_add_f32_e32 v11, v11, v12
	v_mul_f32_e32 v52, v13, v50
	v_sub_f32_e32 v12, v14, v13
	v_mul_f32_e32 v14, v49, v52
	v_fma_f32 v16, v52, v49, -v14
	v_fmac_f32_e32 v16, v52, v11
	v_add_f32_e32 v51, v15, v12
	v_add_f32_e32 v12, v14, v16
	v_sub_f32_e32 v15, v13, v12
	v_pk_add_f32 v[46:47], v[12:13], v[14:15] neg_lo:[0,1] neg_hi:[0,1]
	v_mov_b32_e32 v17, v12
	v_pk_add_f32 v[12:13], v[46:47], v[16:17] neg_lo:[0,1] neg_hi:[0,1]
	v_add_f32_e32 v13, v51, v13
	v_add_f32_e32 v12, v12, v13
	;; [unrolled: 1-line block ×3, first 2 shown]
	v_mul_f32_e32 v51, v50, v13
	v_mul_f32_e32 v14, v49, v51
	v_fma_f32 v16, v51, v49, -v14
	v_fmac_f32_e32 v16, v51, v11
	v_sub_f32_e32 v11, v15, v13
	v_add_f32_e32 v11, v12, v11
	v_add_f32_e32 v12, v14, v16
	v_sub_f32_e32 v15, v13, v12
	v_pk_add_f32 v[46:47], v[12:13], v[14:15] neg_lo:[0,1] neg_hi:[0,1]
	v_mov_b32_e32 v17, v12
	v_pk_add_f32 v[12:13], v[46:47], v[16:17] neg_lo:[0,1] neg_hi:[0,1]
	v_add_f32_e32 v11, v11, v13
	v_add_f32_e32 v11, v12, v11
	;; [unrolled: 1-line block ×4, first 2 shown]
	v_sub_f32_e32 v13, v12, v52
	v_mul_f32_e32 v11, v50, v11
	v_sub_f32_e32 v13, v51, v13
	v_add_f32_e32 v11, v13, v11
	v_add_f32_e32 v15, v12, v11
	v_mul_f32_e32 v16, v15, v15
	v_mov_b32_e32 v14, 0x3ecc95a3
	v_fmac_f32_e32 v14, 0x3e9b6dac, v16
	v_mov_b32_e32 v13, 0x3f2aaada
	v_fmac_f32_e32 v13, v16, v14
	v_cvt_f32_i32_e32 v14, v48
	v_sub_f32_e32 v12, v15, v12
	v_sub_f32_e32 v11, v11, v12
	v_ldexp_f32 v17, v15, 1
	v_mul_f32_e32 v15, v15, v16
	v_mov_b32_e32 v12, 0x3f317218
	s_mov_b32 s36, 0x3f317218
	v_pk_mul_f32 v[12:13], v[14:15], v[12:13]
	v_fma_f32 v16, v14, s36, -v12
	v_fmac_f32_e32 v16, 0xb102e308, v14
	v_pk_add_f32 v[14:15], v[12:13], v[16:17]
	v_sub_f32_e32 v17, v15, v17
	v_ldexp_f32 v11, v11, 1
	v_sub_f32_e32 v17, v13, v17
	v_add_f32_e32 v47, v11, v17
	v_mov_b32_e32 v46, v12
	v_pk_add_f32 v[12:13], v[14:15], v[12:13] neg_lo:[0,1] neg_hi:[0,1]
	v_pk_add_f32 v[48:49], v[14:15], v[46:47]
	v_mov_b32_e32 v13, v49
	v_mov_b32_e32 v17, v14
	v_pk_add_f32 v[50:51], v[16:17], v[12:13] neg_lo:[0,1] neg_hi:[0,1]
	v_pk_add_f32 v[12:13], v[16:17], v[12:13]
	v_mov_b32_e32 v16, v13
	v_pk_add_f32 v[52:53], v[16:17], v[14:15] neg_lo:[0,1] neg_hi:[0,1]
	v_mov_b32_e32 v11, v52
	v_pk_add_f32 v[54:55], v[48:49], v[10:11] neg_lo:[0,1] neg_hi:[0,1]
	v_mov_b32_e32 v12, v49
	v_mov_b32_e32 v48, v15
	;; [unrolled: 1-line block ×4, first 2 shown]
	v_pk_add_f32 v[12:13], v[12:13], v[48:49] neg_lo:[0,1] neg_hi:[0,1]
	v_mov_b32_e32 v46, v47
	v_mov_b32_e32 v47, v14
	v_pk_add_f32 v[12:13], v[46:47], v[12:13] neg_lo:[0,1] neg_hi:[0,1]
	v_mov_b32_e32 v54, v50
	v_pk_add_f32 v[14:15], v[54:55], v[12:13]
	v_mov_b32_e32 v46, v15
	v_pk_add_f32 v[46:47], v[14:15], v[46:47]
	v_pk_add_f32 v[16:17], v[16:17], v[46:47]
	v_mov_b32_e32 v15, v16
	v_pk_add_f32 v[48:49], v[14:15], v[50:51] neg_lo:[0,1] neg_hi:[0,1]
	v_mov_b32_e32 v13, v46
	v_sub_f32_e32 v11, v14, v48
	v_pk_add_f32 v[12:13], v[12:13], v[48:49] neg_lo:[0,1] neg_hi:[0,1]
	v_sub_f32_e32 v11, v50, v11
	v_add_f32_e32 v11, v12, v11
	v_cmp_eq_f32_e64 s[36:37], s64, v45
	s_mov_b32 s64, 0x33800000
	v_add_f32_e32 v11, v11, v13
	v_cmp_lt_f32_e64 s[64:65], |v45|, s64
	v_add_f32_e32 v11, v16, v11
	s_or_b64 s[36:37], s[36:37], s[64:65]
	v_cndmask_b32_e64 v11, v11, v45, s[36:37]
	v_add_f32_e32 v12, v10, v11
.LBB155_81:
	s_or_b64 exec, exec, s[38:39]
	v_mov_b32_e32 v11, v12
.LBB155_82:
	s_or_b64 exec, exec, s[60:61]
	v_and_b32_e32 v10, 16, v7
	v_mov_b32_dpp v12, v11 row_bcast:15 row_mask:0xf bank_mask:0xf
	v_cmp_ne_u32_e64 s[36:37], 0, v10
	s_and_saveexec_b64 s[60:61], s[36:37]
	s_cbranch_execz .LBB155_86
; %bb.83:
	v_max_f32_e32 v10, v11, v11
	v_max_f32_e32 v14, v12, v12
	v_min_f32_e32 v13, v14, v10
	v_cmp_u_f32_e64 s[36:37], v12, v12
	v_max_f32_e32 v10, v14, v10
	v_cndmask_b32_e64 v13, v13, v12, s[36:37]
	v_cmp_u_f32_e64 s[38:39], v11, v11
	v_cndmask_b32_e64 v10, v10, v12, s[36:37]
	v_cndmask_b32_e64 v13, v13, v11, s[38:39]
	;; [unrolled: 1-line block ×3, first 2 shown]
	s_movk_i32 s38, 0x1f8
	v_cmp_neq_f32_e64 s[36:37], v13, v10
	v_cmp_class_f32_e64 s[38:39], v13, s38
	s_or_b64 s[36:37], s[36:37], s[38:39]
	s_and_saveexec_b64 s[38:39], s[36:37]
	s_cbranch_execz .LBB155_85
; %bb.84:
	v_sub_f32_e32 v11, v13, v10
	s_mov_b32 s36, 0x3fb8aa3b
	v_mul_f32_e32 v12, 0x3fb8aa3b, v11
	v_fma_f32 v13, v11, s36, -v12
	v_rndne_f32_e32 v14, v12
	v_fmac_f32_e32 v13, 0x32a5705f, v11
	v_sub_f32_e32 v12, v12, v14
	v_add_f32_e32 v12, v12, v13
	v_exp_f32_e32 v12, v12
	v_cvt_i32_f32_e32 v13, v14
	s_mov_b32 s36, 0xc2ce8ed0
	v_cmp_ngt_f32_e64 s[36:37], s36, v11
	s_mov_b32 s64, 0x7f800000
	v_ldexp_f32 v12, v12, v13
	v_cndmask_b32_e64 v12, 0, v12, s[36:37]
	s_mov_b32 s36, 0x42b17218
	v_mov_b32_e32 v13, 0x7f800000
	v_cmp_nlt_f32_e64 s[36:37], s36, v11
	v_cndmask_b32_e64 v45, v13, v12, s[36:37]
	v_add_f32_e32 v11, 1.0, v45
	v_add_f32_e32 v12, -1.0, v11
	v_sub_f32_e32 v13, v12, v11
	v_add_f32_e32 v13, 1.0, v13
	v_sub_f32_e32 v12, v45, v12
	v_add_f32_e32 v14, v12, v13
	v_frexp_mant_f32_e32 v15, v11
	s_mov_b32 s36, 0x3f2aaaab
	v_cvt_f64_f32_e32 v[12:13], v11
	v_frexp_exp_i32_f64_e32 v12, v[12:13]
	v_cmp_gt_f32_e64 s[36:37], s36, v15
	v_subbrev_co_u32_e64 v48, s[36:37], 0, v12, s[36:37]
	v_sub_u32_e32 v12, 0, v48
	v_ldexp_f32 v11, v11, v12
	v_ldexp_f32 v12, v14, v12
	v_add_f32_e32 v14, -1.0, v11
	v_add_f32_e32 v13, 1.0, v14
	v_sub_f32_e32 v13, v11, v13
	v_add_f32_e32 v15, v12, v13
	v_add_f32_e32 v13, 1.0, v11
	v_add_f32_e32 v16, -1.0, v13
	v_sub_f32_e32 v11, v11, v16
	v_add_f32_e32 v11, v12, v11
	v_add_f32_e32 v49, v13, v11
	v_rcp_f32_e32 v50, v49
	v_sub_f32_e32 v12, v13, v49
	v_add_f32_e32 v13, v14, v15
	v_add_f32_e32 v11, v11, v12
	v_mul_f32_e32 v52, v13, v50
	v_sub_f32_e32 v12, v14, v13
	v_mul_f32_e32 v14, v49, v52
	v_fma_f32 v16, v52, v49, -v14
	v_fmac_f32_e32 v16, v52, v11
	v_add_f32_e32 v51, v15, v12
	v_add_f32_e32 v12, v14, v16
	v_sub_f32_e32 v15, v13, v12
	v_pk_add_f32 v[46:47], v[12:13], v[14:15] neg_lo:[0,1] neg_hi:[0,1]
	v_mov_b32_e32 v17, v12
	v_pk_add_f32 v[12:13], v[46:47], v[16:17] neg_lo:[0,1] neg_hi:[0,1]
	v_add_f32_e32 v13, v51, v13
	v_add_f32_e32 v12, v12, v13
	;; [unrolled: 1-line block ×3, first 2 shown]
	v_mul_f32_e32 v51, v50, v13
	v_mul_f32_e32 v14, v49, v51
	v_fma_f32 v16, v51, v49, -v14
	v_fmac_f32_e32 v16, v51, v11
	v_sub_f32_e32 v11, v15, v13
	v_add_f32_e32 v11, v12, v11
	v_add_f32_e32 v12, v14, v16
	v_sub_f32_e32 v15, v13, v12
	v_pk_add_f32 v[46:47], v[12:13], v[14:15] neg_lo:[0,1] neg_hi:[0,1]
	v_mov_b32_e32 v17, v12
	v_pk_add_f32 v[12:13], v[46:47], v[16:17] neg_lo:[0,1] neg_hi:[0,1]
	v_add_f32_e32 v11, v11, v13
	v_add_f32_e32 v11, v12, v11
	;; [unrolled: 1-line block ×4, first 2 shown]
	v_sub_f32_e32 v13, v12, v52
	v_mul_f32_e32 v11, v50, v11
	v_sub_f32_e32 v13, v51, v13
	v_add_f32_e32 v11, v13, v11
	v_add_f32_e32 v15, v12, v11
	v_mul_f32_e32 v16, v15, v15
	v_mov_b32_e32 v14, 0x3ecc95a3
	v_fmac_f32_e32 v14, 0x3e9b6dac, v16
	v_mov_b32_e32 v13, 0x3f2aaada
	v_fmac_f32_e32 v13, v16, v14
	v_cvt_f32_i32_e32 v14, v48
	v_sub_f32_e32 v12, v15, v12
	v_sub_f32_e32 v11, v11, v12
	v_ldexp_f32 v17, v15, 1
	v_mul_f32_e32 v15, v15, v16
	v_mov_b32_e32 v12, 0x3f317218
	s_mov_b32 s36, 0x3f317218
	v_pk_mul_f32 v[12:13], v[14:15], v[12:13]
	v_fma_f32 v16, v14, s36, -v12
	v_fmac_f32_e32 v16, 0xb102e308, v14
	v_pk_add_f32 v[14:15], v[12:13], v[16:17]
	v_sub_f32_e32 v17, v15, v17
	v_ldexp_f32 v11, v11, 1
	v_sub_f32_e32 v17, v13, v17
	v_add_f32_e32 v47, v11, v17
	v_mov_b32_e32 v46, v12
	v_pk_add_f32 v[12:13], v[14:15], v[12:13] neg_lo:[0,1] neg_hi:[0,1]
	v_pk_add_f32 v[48:49], v[14:15], v[46:47]
	v_mov_b32_e32 v13, v49
	v_mov_b32_e32 v17, v14
	v_pk_add_f32 v[50:51], v[16:17], v[12:13] neg_lo:[0,1] neg_hi:[0,1]
	v_pk_add_f32 v[12:13], v[16:17], v[12:13]
	v_mov_b32_e32 v16, v13
	v_pk_add_f32 v[52:53], v[16:17], v[14:15] neg_lo:[0,1] neg_hi:[0,1]
	v_mov_b32_e32 v11, v52
	v_pk_add_f32 v[54:55], v[48:49], v[10:11] neg_lo:[0,1] neg_hi:[0,1]
	v_mov_b32_e32 v12, v49
	v_mov_b32_e32 v48, v15
	v_mov_b32_e32 v49, v52
	v_mov_b32_e32 v51, v13
	v_pk_add_f32 v[12:13], v[12:13], v[48:49] neg_lo:[0,1] neg_hi:[0,1]
	v_mov_b32_e32 v46, v47
	v_mov_b32_e32 v47, v14
	v_pk_add_f32 v[12:13], v[46:47], v[12:13] neg_lo:[0,1] neg_hi:[0,1]
	v_mov_b32_e32 v54, v50
	v_pk_add_f32 v[14:15], v[54:55], v[12:13]
	v_mov_b32_e32 v46, v15
	v_pk_add_f32 v[46:47], v[14:15], v[46:47]
	v_pk_add_f32 v[16:17], v[16:17], v[46:47]
	v_mov_b32_e32 v15, v16
	v_pk_add_f32 v[48:49], v[14:15], v[50:51] neg_lo:[0,1] neg_hi:[0,1]
	v_mov_b32_e32 v13, v46
	v_sub_f32_e32 v11, v14, v48
	v_pk_add_f32 v[12:13], v[12:13], v[48:49] neg_lo:[0,1] neg_hi:[0,1]
	v_sub_f32_e32 v11, v50, v11
	v_add_f32_e32 v11, v12, v11
	v_cmp_eq_f32_e64 s[36:37], s64, v45
	s_mov_b32 s64, 0x33800000
	v_add_f32_e32 v11, v11, v13
	v_cmp_lt_f32_e64 s[64:65], |v45|, s64
	v_add_f32_e32 v11, v16, v11
	s_or_b64 s[36:37], s[36:37], s[64:65]
	v_cndmask_b32_e64 v11, v11, v45, s[36:37]
	v_add_f32_e32 v12, v10, v11
.LBB155_85:
	s_or_b64 exec, exec, s[38:39]
	v_mov_b32_e32 v11, v12
.LBB155_86:
	s_or_b64 exec, exec, s[60:61]
	s_nop 0
	v_mov_b32_dpp v12, v11 row_bcast:31 row_mask:0xf bank_mask:0xf
	v_cmp_lt_u32_e64 s[36:37], 31, v7
	s_and_saveexec_b64 s[60:61], s[36:37]
	s_cbranch_execz .LBB155_90
; %bb.87:
	v_max_f32_e32 v10, v11, v11
	v_max_f32_e32 v14, v12, v12
	v_min_f32_e32 v13, v14, v10
	v_cmp_u_f32_e64 s[36:37], v12, v12
	v_max_f32_e32 v10, v14, v10
	v_cndmask_b32_e64 v13, v13, v12, s[36:37]
	v_cmp_u_f32_e64 s[38:39], v11, v11
	v_cndmask_b32_e64 v10, v10, v12, s[36:37]
	v_cndmask_b32_e64 v13, v13, v11, s[38:39]
	;; [unrolled: 1-line block ×3, first 2 shown]
	s_movk_i32 s38, 0x1f8
	v_cmp_neq_f32_e64 s[36:37], v13, v10
	v_cmp_class_f32_e64 s[38:39], v13, s38
	s_or_b64 s[36:37], s[36:37], s[38:39]
	s_and_saveexec_b64 s[38:39], s[36:37]
	s_cbranch_execz .LBB155_89
; %bb.88:
	v_sub_f32_e32 v11, v13, v10
	s_mov_b32 s36, 0x3fb8aa3b
	v_mul_f32_e32 v12, 0x3fb8aa3b, v11
	v_fma_f32 v13, v11, s36, -v12
	v_rndne_f32_e32 v14, v12
	v_fmac_f32_e32 v13, 0x32a5705f, v11
	v_sub_f32_e32 v12, v12, v14
	v_add_f32_e32 v12, v12, v13
	v_exp_f32_e32 v12, v12
	v_cvt_i32_f32_e32 v13, v14
	s_mov_b32 s36, 0xc2ce8ed0
	v_cmp_ngt_f32_e64 s[36:37], s36, v11
	s_mov_b32 s64, 0x7f800000
	v_ldexp_f32 v12, v12, v13
	v_cndmask_b32_e64 v12, 0, v12, s[36:37]
	s_mov_b32 s36, 0x42b17218
	v_mov_b32_e32 v13, 0x7f800000
	v_cmp_nlt_f32_e64 s[36:37], s36, v11
	v_cndmask_b32_e64 v45, v13, v12, s[36:37]
	v_add_f32_e32 v11, 1.0, v45
	v_add_f32_e32 v12, -1.0, v11
	v_sub_f32_e32 v13, v12, v11
	v_add_f32_e32 v13, 1.0, v13
	v_sub_f32_e32 v12, v45, v12
	v_add_f32_e32 v14, v12, v13
	v_frexp_mant_f32_e32 v15, v11
	s_mov_b32 s36, 0x3f2aaaab
	v_cvt_f64_f32_e32 v[12:13], v11
	v_frexp_exp_i32_f64_e32 v12, v[12:13]
	v_cmp_gt_f32_e64 s[36:37], s36, v15
	v_subbrev_co_u32_e64 v48, s[36:37], 0, v12, s[36:37]
	v_sub_u32_e32 v12, 0, v48
	v_ldexp_f32 v11, v11, v12
	v_ldexp_f32 v12, v14, v12
	v_add_f32_e32 v14, -1.0, v11
	v_add_f32_e32 v13, 1.0, v14
	v_sub_f32_e32 v13, v11, v13
	v_add_f32_e32 v15, v12, v13
	v_add_f32_e32 v13, 1.0, v11
	v_add_f32_e32 v16, -1.0, v13
	v_sub_f32_e32 v11, v11, v16
	v_add_f32_e32 v11, v12, v11
	v_add_f32_e32 v49, v13, v11
	v_rcp_f32_e32 v50, v49
	v_sub_f32_e32 v12, v13, v49
	v_add_f32_e32 v13, v14, v15
	v_add_f32_e32 v11, v11, v12
	v_mul_f32_e32 v52, v13, v50
	v_sub_f32_e32 v12, v14, v13
	v_mul_f32_e32 v14, v49, v52
	v_fma_f32 v16, v52, v49, -v14
	v_fmac_f32_e32 v16, v52, v11
	v_add_f32_e32 v51, v15, v12
	v_add_f32_e32 v12, v14, v16
	v_sub_f32_e32 v15, v13, v12
	v_pk_add_f32 v[46:47], v[12:13], v[14:15] neg_lo:[0,1] neg_hi:[0,1]
	v_mov_b32_e32 v17, v12
	v_pk_add_f32 v[12:13], v[46:47], v[16:17] neg_lo:[0,1] neg_hi:[0,1]
	v_add_f32_e32 v13, v51, v13
	v_add_f32_e32 v12, v12, v13
	;; [unrolled: 1-line block ×3, first 2 shown]
	v_mul_f32_e32 v51, v50, v13
	v_mul_f32_e32 v14, v49, v51
	v_fma_f32 v16, v51, v49, -v14
	v_fmac_f32_e32 v16, v51, v11
	v_sub_f32_e32 v11, v15, v13
	v_add_f32_e32 v11, v12, v11
	v_add_f32_e32 v12, v14, v16
	v_sub_f32_e32 v15, v13, v12
	v_pk_add_f32 v[46:47], v[12:13], v[14:15] neg_lo:[0,1] neg_hi:[0,1]
	v_mov_b32_e32 v17, v12
	v_pk_add_f32 v[12:13], v[46:47], v[16:17] neg_lo:[0,1] neg_hi:[0,1]
	v_add_f32_e32 v11, v11, v13
	v_add_f32_e32 v11, v12, v11
	;; [unrolled: 1-line block ×4, first 2 shown]
	v_sub_f32_e32 v13, v12, v52
	v_mul_f32_e32 v11, v50, v11
	v_sub_f32_e32 v13, v51, v13
	v_add_f32_e32 v11, v13, v11
	v_add_f32_e32 v15, v12, v11
	v_mul_f32_e32 v16, v15, v15
	v_mov_b32_e32 v14, 0x3ecc95a3
	v_fmac_f32_e32 v14, 0x3e9b6dac, v16
	v_mov_b32_e32 v13, 0x3f2aaada
	v_fmac_f32_e32 v13, v16, v14
	v_cvt_f32_i32_e32 v14, v48
	v_sub_f32_e32 v12, v15, v12
	v_sub_f32_e32 v11, v11, v12
	v_ldexp_f32 v17, v15, 1
	v_mul_f32_e32 v15, v15, v16
	v_mov_b32_e32 v12, 0x3f317218
	s_mov_b32 s36, 0x3f317218
	v_pk_mul_f32 v[12:13], v[14:15], v[12:13]
	v_fma_f32 v16, v14, s36, -v12
	v_fmac_f32_e32 v16, 0xb102e308, v14
	v_pk_add_f32 v[14:15], v[12:13], v[16:17]
	v_sub_f32_e32 v17, v15, v17
	v_ldexp_f32 v11, v11, 1
	v_sub_f32_e32 v17, v13, v17
	v_add_f32_e32 v47, v11, v17
	v_mov_b32_e32 v46, v12
	v_pk_add_f32 v[12:13], v[14:15], v[12:13] neg_lo:[0,1] neg_hi:[0,1]
	v_pk_add_f32 v[48:49], v[14:15], v[46:47]
	v_mov_b32_e32 v13, v49
	v_mov_b32_e32 v17, v14
	v_pk_add_f32 v[50:51], v[16:17], v[12:13] neg_lo:[0,1] neg_hi:[0,1]
	v_pk_add_f32 v[12:13], v[16:17], v[12:13]
	v_mov_b32_e32 v16, v13
	v_pk_add_f32 v[52:53], v[16:17], v[14:15] neg_lo:[0,1] neg_hi:[0,1]
	v_mov_b32_e32 v11, v52
	v_pk_add_f32 v[54:55], v[48:49], v[10:11] neg_lo:[0,1] neg_hi:[0,1]
	v_mov_b32_e32 v12, v49
	v_mov_b32_e32 v48, v15
	;; [unrolled: 1-line block ×4, first 2 shown]
	v_pk_add_f32 v[12:13], v[12:13], v[48:49] neg_lo:[0,1] neg_hi:[0,1]
	v_mov_b32_e32 v46, v47
	v_mov_b32_e32 v47, v14
	v_pk_add_f32 v[12:13], v[46:47], v[12:13] neg_lo:[0,1] neg_hi:[0,1]
	v_mov_b32_e32 v54, v50
	v_pk_add_f32 v[14:15], v[54:55], v[12:13]
	v_mov_b32_e32 v46, v15
	v_pk_add_f32 v[46:47], v[14:15], v[46:47]
	v_pk_add_f32 v[16:17], v[16:17], v[46:47]
	v_mov_b32_e32 v15, v16
	v_pk_add_f32 v[48:49], v[14:15], v[50:51] neg_lo:[0,1] neg_hi:[0,1]
	v_mov_b32_e32 v13, v46
	v_sub_f32_e32 v11, v14, v48
	v_pk_add_f32 v[12:13], v[12:13], v[48:49] neg_lo:[0,1] neg_hi:[0,1]
	v_sub_f32_e32 v11, v50, v11
	v_add_f32_e32 v11, v12, v11
	v_cmp_eq_f32_e64 s[36:37], s64, v45
	s_mov_b32 s64, 0x33800000
	v_add_f32_e32 v11, v11, v13
	v_cmp_lt_f32_e64 s[64:65], |v45|, s64
	v_add_f32_e32 v11, v16, v11
	s_or_b64 s[36:37], s[36:37], s[64:65]
	v_cndmask_b32_e64 v11, v11, v45, s[36:37]
	v_add_f32_e32 v12, v10, v11
.LBB155_89:
	s_or_b64 exec, exec, s[38:39]
	v_mov_b32_e32 v11, v12
.LBB155_90:
	s_or_b64 exec, exec, s[60:61]
	v_add_u32_e32 v10, -1, v7
	v_and_b32_e32 v12, 64, v7
	v_cmp_lt_i32_e64 s[36:37], v10, v12
	v_cndmask_b32_e64 v7, v10, v7, s[36:37]
	v_lshlrev_b32_e32 v7, 2, v7
	ds_bpermute_b32 v7, v7, v11
	s_movk_i32 s38, 0x1f8
	s_waitcnt lgkmcnt(0)
	v_max_f32_e32 v10, v7, v7
	v_min_f32_e32 v11, v10, v9
	v_max_f32_e32 v10, v10, v9
	v_cmp_u_f32_e64 s[36:37], v7, v7
	v_cndmask_b32_e64 v9, v11, v7, s[36:37]
	v_cndmask_b32_e64 v10, v10, v7, s[36:37]
	;; [unrolled: 1-line block ×4, first 2 shown]
	v_cmp_neq_f32_e64 s[34:35], v9, v6
	v_cmp_class_f32_e64 s[36:37], v9, s38
	s_or_b64 s[34:35], s[34:35], s[36:37]
	s_and_saveexec_b64 s[36:37], s[34:35]
	s_cbranch_execz .LBB155_92
; %bb.91:
	v_sub_f32_e32 v7, v9, v6
	s_mov_b32 s34, 0x3fb8aa3b
	v_mul_f32_e32 v9, 0x3fb8aa3b, v7
	v_fma_f32 v10, v7, s34, -v9
	v_rndne_f32_e32 v11, v9
	v_fmac_f32_e32 v10, 0x32a5705f, v7
	v_sub_f32_e32 v9, v9, v11
	v_add_f32_e32 v9, v9, v10
	v_exp_f32_e32 v9, v9
	v_cvt_i32_f32_e32 v10, v11
	s_mov_b32 s34, 0xc2ce8ed0
	v_cmp_ngt_f32_e64 s[34:35], s34, v7
	s_mov_b32 s39, 0x7f800000
	v_ldexp_f32 v9, v9, v10
	v_cndmask_b32_e64 v9, 0, v9, s[34:35]
	s_mov_b32 s34, 0x42b17218
	v_mov_b32_e32 v10, 0x7f800000
	v_cmp_nlt_f32_e64 s[34:35], s34, v7
	v_cndmask_b32_e64 v9, v10, v9, s[34:35]
	v_add_f32_e32 v7, 1.0, v9
	v_add_f32_e32 v10, -1.0, v7
	v_sub_f32_e32 v11, v10, v7
	v_add_f32_e32 v11, 1.0, v11
	v_sub_f32_e32 v10, v9, v10
	v_add_f32_e32 v12, v10, v11
	v_frexp_mant_f32_e32 v13, v7
	s_mov_b32 s34, 0x3f2aaaab
	v_cvt_f64_f32_e32 v[10:11], v7
	v_frexp_exp_i32_f64_e32 v10, v[10:11]
	v_cmp_gt_f32_e64 s[34:35], s34, v13
	v_subbrev_co_u32_e64 v45, s[34:35], 0, v10, s[34:35]
	v_sub_u32_e32 v10, 0, v45
	v_ldexp_f32 v7, v7, v10
	v_ldexp_f32 v10, v12, v10
	v_add_f32_e32 v12, -1.0, v7
	v_add_f32_e32 v11, 1.0, v12
	v_sub_f32_e32 v11, v7, v11
	v_add_f32_e32 v13, v10, v11
	v_add_f32_e32 v11, 1.0, v7
	v_add_f32_e32 v14, -1.0, v11
	v_sub_f32_e32 v7, v7, v14
	v_add_f32_e32 v7, v10, v7
	v_add_f32_e32 v46, v11, v7
	v_rcp_f32_e32 v47, v46
	v_sub_f32_e32 v10, v11, v46
	v_add_f32_e32 v11, v12, v13
	v_add_f32_e32 v7, v7, v10
	v_mul_f32_e32 v49, v11, v47
	v_sub_f32_e32 v10, v12, v11
	v_mul_f32_e32 v12, v46, v49
	v_fma_f32 v14, v49, v46, -v12
	v_fmac_f32_e32 v14, v49, v7
	v_add_f32_e32 v48, v13, v10
	v_add_f32_e32 v10, v12, v14
	v_sub_f32_e32 v13, v11, v10
	v_pk_add_f32 v[16:17], v[10:11], v[12:13] neg_lo:[0,1] neg_hi:[0,1]
	v_mov_b32_e32 v15, v10
	v_pk_add_f32 v[10:11], v[16:17], v[14:15] neg_lo:[0,1] neg_hi:[0,1]
	v_add_f32_e32 v11, v48, v11
	v_add_f32_e32 v10, v10, v11
	;; [unrolled: 1-line block ×3, first 2 shown]
	v_mul_f32_e32 v48, v47, v11
	v_mul_f32_e32 v12, v46, v48
	v_fma_f32 v14, v48, v46, -v12
	v_fmac_f32_e32 v14, v48, v7
	v_sub_f32_e32 v7, v13, v11
	v_add_f32_e32 v7, v10, v7
	v_add_f32_e32 v10, v12, v14
	v_sub_f32_e32 v13, v11, v10
	v_pk_add_f32 v[16:17], v[10:11], v[12:13] neg_lo:[0,1] neg_hi:[0,1]
	v_mov_b32_e32 v15, v10
	v_pk_add_f32 v[10:11], v[16:17], v[14:15] neg_lo:[0,1] neg_hi:[0,1]
	v_add_f32_e32 v7, v7, v11
	v_add_f32_e32 v7, v10, v7
	;; [unrolled: 1-line block ×4, first 2 shown]
	v_sub_f32_e32 v11, v10, v49
	v_mul_f32_e32 v7, v47, v7
	v_sub_f32_e32 v11, v48, v11
	v_add_f32_e32 v7, v11, v7
	v_add_f32_e32 v13, v10, v7
	v_mul_f32_e32 v14, v13, v13
	v_mov_b32_e32 v12, 0x3ecc95a3
	v_fmac_f32_e32 v12, 0x3e9b6dac, v14
	v_mov_b32_e32 v11, 0x3f2aaada
	v_fmac_f32_e32 v11, v14, v12
	v_cvt_f32_i32_e32 v12, v45
	v_sub_f32_e32 v10, v13, v10
	v_sub_f32_e32 v7, v7, v10
	v_ldexp_f32 v15, v13, 1
	v_mul_f32_e32 v13, v13, v14
	v_mov_b32_e32 v10, 0x3f317218
	s_mov_b32 s34, 0x3f317218
	v_pk_mul_f32 v[10:11], v[12:13], v[10:11]
	v_fma_f32 v14, v12, s34, -v10
	v_fmac_f32_e32 v14, 0xb102e308, v12
	v_pk_add_f32 v[12:13], v[10:11], v[14:15]
	v_sub_f32_e32 v15, v13, v15
	v_ldexp_f32 v7, v7, 1
	v_sub_f32_e32 v15, v11, v15
	v_add_f32_e32 v17, v7, v15
	v_mov_b32_e32 v16, v10
	v_pk_add_f32 v[10:11], v[12:13], v[10:11] neg_lo:[0,1] neg_hi:[0,1]
	v_pk_add_f32 v[46:47], v[12:13], v[16:17]
	v_mov_b32_e32 v11, v47
	v_mov_b32_e32 v15, v12
	v_pk_add_f32 v[48:49], v[14:15], v[10:11] neg_lo:[0,1] neg_hi:[0,1]
	v_pk_add_f32 v[10:11], v[14:15], v[10:11]
	v_mov_b32_e32 v14, v11
	v_pk_add_f32 v[50:51], v[14:15], v[12:13] neg_lo:[0,1] neg_hi:[0,1]
	v_mov_b32_e32 v7, v50
	v_pk_add_f32 v[52:53], v[46:47], v[6:7] neg_lo:[0,1] neg_hi:[0,1]
	v_mov_b32_e32 v10, v47
	v_mov_b32_e32 v46, v13
	;; [unrolled: 1-line block ×4, first 2 shown]
	v_pk_add_f32 v[10:11], v[10:11], v[46:47] neg_lo:[0,1] neg_hi:[0,1]
	v_mov_b32_e32 v16, v17
	v_mov_b32_e32 v17, v12
	v_pk_add_f32 v[10:11], v[16:17], v[10:11] neg_lo:[0,1] neg_hi:[0,1]
	v_mov_b32_e32 v52, v48
	v_pk_add_f32 v[12:13], v[52:53], v[10:11]
	v_mov_b32_e32 v16, v13
	v_pk_add_f32 v[16:17], v[12:13], v[16:17]
	v_pk_add_f32 v[14:15], v[14:15], v[16:17]
	v_mov_b32_e32 v13, v14
	v_pk_add_f32 v[46:47], v[12:13], v[48:49] neg_lo:[0,1] neg_hi:[0,1]
	v_mov_b32_e32 v11, v16
	v_sub_f32_e32 v7, v12, v46
	v_pk_add_f32 v[10:11], v[10:11], v[46:47] neg_lo:[0,1] neg_hi:[0,1]
	v_sub_f32_e32 v7, v48, v7
	v_add_f32_e32 v7, v10, v7
	v_cmp_eq_f32_e64 s[34:35], s39, v9
	s_mov_b32 s39, 0x33800000
	v_add_f32_e32 v7, v7, v11
	v_cmp_lt_f32_e64 s[60:61], |v9|, s39
	v_add_f32_e32 v7, v14, v7
	s_or_b64 s[34:35], s[34:35], s[60:61]
	v_cndmask_b32_e64 v7, v7, v9, s[34:35]
	v_add_f32_e32 v7, v6, v7
.LBB155_92:
	s_or_b64 exec, exec, s[36:37]
	v_cndmask_b32_e64 v7, v7, v44, s[2:3]
	; wave barrier
	ds_write_b32 v8, v7
	; wave barrier
	ds_read_b32 v6, v8 offset:4
	v_max_f32_e32 v10, v7, v7
	v_cmp_u_f32_e64 s[34:35], v7, v7
	s_waitcnt lgkmcnt(0)
	v_max_f32_e32 v11, v6, v6
	v_min_f32_e32 v9, v10, v11
	v_max_f32_e32 v10, v10, v11
	v_cndmask_b32_e64 v9, v9, v7, s[34:35]
	v_cmp_u_f32_e64 s[36:37], v6, v6
	v_cndmask_b32_e64 v10, v10, v7, s[34:35]
	v_cndmask_b32_e64 v9, v9, v6, s[36:37]
	;; [unrolled: 1-line block ×3, first 2 shown]
	v_cmp_neq_f32_e64 s[34:35], v9, v6
	v_cmp_class_f32_e64 s[36:37], v9, s38
	s_or_b64 s[34:35], s[34:35], s[36:37]
	s_and_saveexec_b64 s[36:37], s[34:35]
	s_cbranch_execz .LBB155_94
; %bb.93:
	v_sub_f32_e32 v7, v9, v6
	s_mov_b32 s34, 0x3fb8aa3b
	v_mul_f32_e32 v9, 0x3fb8aa3b, v7
	v_fma_f32 v10, v7, s34, -v9
	v_rndne_f32_e32 v11, v9
	v_fmac_f32_e32 v10, 0x32a5705f, v7
	v_sub_f32_e32 v9, v9, v11
	v_add_f32_e32 v9, v9, v10
	v_exp_f32_e32 v9, v9
	v_cvt_i32_f32_e32 v10, v11
	s_mov_b32 s34, 0xc2ce8ed0
	v_cmp_ngt_f32_e64 s[34:35], s34, v7
	s_mov_b32 s38, 0x7f800000
	v_ldexp_f32 v9, v9, v10
	v_cndmask_b32_e64 v9, 0, v9, s[34:35]
	s_mov_b32 s34, 0x42b17218
	v_mov_b32_e32 v10, 0x7f800000
	v_cmp_nlt_f32_e64 s[34:35], s34, v7
	v_cndmask_b32_e64 v9, v10, v9, s[34:35]
	v_add_f32_e32 v7, 1.0, v9
	v_add_f32_e32 v10, -1.0, v7
	v_sub_f32_e32 v11, v10, v7
	v_add_f32_e32 v11, 1.0, v11
	v_sub_f32_e32 v10, v9, v10
	v_add_f32_e32 v12, v10, v11
	v_frexp_mant_f32_e32 v13, v7
	s_mov_b32 s34, 0x3f2aaaab
	v_cvt_f64_f32_e32 v[10:11], v7
	v_frexp_exp_i32_f64_e32 v10, v[10:11]
	v_cmp_gt_f32_e64 s[34:35], s34, v13
	v_subbrev_co_u32_e64 v45, s[34:35], 0, v10, s[34:35]
	v_sub_u32_e32 v10, 0, v45
	v_ldexp_f32 v7, v7, v10
	v_ldexp_f32 v10, v12, v10
	v_add_f32_e32 v12, -1.0, v7
	v_add_f32_e32 v11, 1.0, v12
	v_sub_f32_e32 v11, v7, v11
	v_add_f32_e32 v13, v10, v11
	v_add_f32_e32 v11, 1.0, v7
	v_add_f32_e32 v14, -1.0, v11
	v_sub_f32_e32 v7, v7, v14
	v_add_f32_e32 v7, v10, v7
	v_add_f32_e32 v46, v11, v7
	v_rcp_f32_e32 v47, v46
	v_sub_f32_e32 v10, v11, v46
	v_add_f32_e32 v11, v12, v13
	v_add_f32_e32 v7, v7, v10
	v_mul_f32_e32 v49, v11, v47
	v_sub_f32_e32 v10, v12, v11
	v_mul_f32_e32 v12, v46, v49
	v_fma_f32 v14, v49, v46, -v12
	v_fmac_f32_e32 v14, v49, v7
	v_add_f32_e32 v48, v13, v10
	v_add_f32_e32 v10, v12, v14
	v_sub_f32_e32 v13, v11, v10
	v_pk_add_f32 v[16:17], v[10:11], v[12:13] neg_lo:[0,1] neg_hi:[0,1]
	v_mov_b32_e32 v15, v10
	v_pk_add_f32 v[10:11], v[16:17], v[14:15] neg_lo:[0,1] neg_hi:[0,1]
	v_add_f32_e32 v11, v48, v11
	v_add_f32_e32 v10, v10, v11
	;; [unrolled: 1-line block ×3, first 2 shown]
	v_mul_f32_e32 v48, v47, v11
	v_mul_f32_e32 v12, v46, v48
	v_fma_f32 v14, v48, v46, -v12
	v_fmac_f32_e32 v14, v48, v7
	v_sub_f32_e32 v7, v13, v11
	v_add_f32_e32 v7, v10, v7
	v_add_f32_e32 v10, v12, v14
	v_sub_f32_e32 v13, v11, v10
	v_pk_add_f32 v[16:17], v[10:11], v[12:13] neg_lo:[0,1] neg_hi:[0,1]
	v_mov_b32_e32 v15, v10
	v_pk_add_f32 v[10:11], v[16:17], v[14:15] neg_lo:[0,1] neg_hi:[0,1]
	v_add_f32_e32 v7, v7, v11
	v_add_f32_e32 v7, v10, v7
	v_add_f32_e32 v10, v49, v48
	v_add_f32_e32 v7, v13, v7
	v_sub_f32_e32 v11, v10, v49
	v_mul_f32_e32 v7, v47, v7
	v_sub_f32_e32 v11, v48, v11
	v_add_f32_e32 v7, v11, v7
	v_add_f32_e32 v13, v10, v7
	v_mul_f32_e32 v14, v13, v13
	v_mov_b32_e32 v12, 0x3ecc95a3
	v_fmac_f32_e32 v12, 0x3e9b6dac, v14
	v_mov_b32_e32 v11, 0x3f2aaada
	v_fmac_f32_e32 v11, v14, v12
	v_cvt_f32_i32_e32 v12, v45
	v_sub_f32_e32 v10, v13, v10
	v_sub_f32_e32 v7, v7, v10
	v_ldexp_f32 v15, v13, 1
	v_mul_f32_e32 v13, v13, v14
	v_mov_b32_e32 v10, 0x3f317218
	s_mov_b32 s34, 0x3f317218
	v_pk_mul_f32 v[10:11], v[12:13], v[10:11]
	v_fma_f32 v14, v12, s34, -v10
	v_fmac_f32_e32 v14, 0xb102e308, v12
	v_pk_add_f32 v[12:13], v[10:11], v[14:15]
	v_sub_f32_e32 v15, v13, v15
	v_ldexp_f32 v7, v7, 1
	v_sub_f32_e32 v15, v11, v15
	v_add_f32_e32 v17, v7, v15
	v_mov_b32_e32 v16, v10
	v_pk_add_f32 v[10:11], v[12:13], v[10:11] neg_lo:[0,1] neg_hi:[0,1]
	v_pk_add_f32 v[46:47], v[12:13], v[16:17]
	v_mov_b32_e32 v11, v47
	v_mov_b32_e32 v15, v12
	v_pk_add_f32 v[48:49], v[14:15], v[10:11] neg_lo:[0,1] neg_hi:[0,1]
	v_pk_add_f32 v[10:11], v[14:15], v[10:11]
	v_mov_b32_e32 v14, v11
	v_pk_add_f32 v[50:51], v[14:15], v[12:13] neg_lo:[0,1] neg_hi:[0,1]
	v_mov_b32_e32 v7, v50
	v_pk_add_f32 v[52:53], v[46:47], v[6:7] neg_lo:[0,1] neg_hi:[0,1]
	v_mov_b32_e32 v10, v47
	v_mov_b32_e32 v46, v13
	;; [unrolled: 1-line block ×4, first 2 shown]
	v_pk_add_f32 v[10:11], v[10:11], v[46:47] neg_lo:[0,1] neg_hi:[0,1]
	v_mov_b32_e32 v16, v17
	v_mov_b32_e32 v17, v12
	v_pk_add_f32 v[10:11], v[16:17], v[10:11] neg_lo:[0,1] neg_hi:[0,1]
	v_mov_b32_e32 v52, v48
	v_pk_add_f32 v[12:13], v[52:53], v[10:11]
	v_mov_b32_e32 v16, v13
	v_pk_add_f32 v[16:17], v[12:13], v[16:17]
	v_pk_add_f32 v[14:15], v[14:15], v[16:17]
	v_mov_b32_e32 v13, v14
	v_pk_add_f32 v[46:47], v[12:13], v[48:49] neg_lo:[0,1] neg_hi:[0,1]
	v_mov_b32_e32 v11, v16
	v_sub_f32_e32 v7, v12, v46
	v_pk_add_f32 v[10:11], v[10:11], v[46:47] neg_lo:[0,1] neg_hi:[0,1]
	v_sub_f32_e32 v7, v48, v7
	v_add_f32_e32 v7, v10, v7
	v_cmp_eq_f32_e64 s[34:35], s38, v9
	s_mov_b32 s38, 0x33800000
	v_add_f32_e32 v7, v7, v11
	v_cmp_lt_f32_e64 s[38:39], |v9|, s38
	v_add_f32_e32 v7, v14, v7
	s_or_b64 s[34:35], s[34:35], s[38:39]
	v_cndmask_b32_e64 v7, v7, v9, s[34:35]
	v_add_f32_e32 v7, v6, v7
.LBB155_94:
	s_or_b64 exec, exec, s[36:37]
	ds_write_b32 v8, v7 offset:4
.LBB155_95:
	s_or_b64 exec, exec, s[58:59]
	s_waitcnt lgkmcnt(0)
	s_barrier
	s_and_saveexec_b64 s[34:35], s[0:1]
	s_cbranch_execz .LBB155_97
; %bb.96:
	v_add_u32_e32 v6, -1, v0
	v_lshrrev_b32_e32 v7, 5, v6
	v_add_lshl_u32 v6, v7, v6, 2
	ds_read_b32 v44, v6
.LBB155_97:
	s_or_b64 exec, exec, s[34:35]
	s_and_saveexec_b64 s[38:39], vcc
	s_cbranch_execz .LBB155_168
; %bb.98:
	v_mov_b32_e32 v13, 0
	ds_read_b32 v6, v13 offset:520
	v_mbcnt_lo_u32_b32 v7, -1, 0
	v_mbcnt_hi_u32_b32 v9, -1, v7
	s_mov_b32 s59, 0
	v_cmp_eq_u32_e64 s[34:35], 0, v9
	s_and_saveexec_b64 s[36:37], s[34:35]
	s_cbranch_execz .LBB155_100
; %bb.99:
	s_add_i32 s58, s63, 64
	s_lshl_b64 s[58:59], s[58:59], 3
	s_add_u32 s58, s56, s58
	v_mov_b32_e32 v7, 1
	s_addc_u32 s59, s57, s59
	s_waitcnt lgkmcnt(0)
	global_store_dwordx2 v13, v[6:7], s[58:59]
.LBB155_100:
	s_or_b64 exec, exec, s[36:37]
	v_xad_u32 v8, v9, -1, s63
	v_add_u32_e32 v12, 64, v8
	v_lshlrev_b64 v[10:11], 3, v[12:13]
	v_mov_b32_e32 v7, s57
	v_add_co_u32_e32 v14, vcc, s56, v10
	v_addc_co_u32_e32 v15, vcc, v7, v11, vcc
	global_load_dwordx2 v[10:11], v[14:15], off glc
	s_waitcnt vmcnt(0)
	v_cmp_eq_u16_sdwa s[58:59], v11, v13 src0_sel:BYTE_0 src1_sel:DWORD
	s_and_saveexec_b64 s[36:37], s[58:59]
	s_cbranch_execz .LBB155_104
; %bb.101:
	s_mov_b64 s[58:59], 0
	v_mov_b32_e32 v7, 0
.LBB155_102:                            ; =>This Inner Loop Header: Depth=1
	global_load_dwordx2 v[10:11], v[14:15], off glc
	s_waitcnt vmcnt(0)
	v_cmp_ne_u16_sdwa s[60:61], v11, v7 src0_sel:BYTE_0 src1_sel:DWORD
	s_or_b64 s[58:59], s[60:61], s[58:59]
	s_andn2_b64 exec, exec, s[58:59]
	s_cbranch_execnz .LBB155_102
; %bb.103:
	s_or_b64 exec, exec, s[58:59]
.LBB155_104:
	s_or_b64 exec, exec, s[36:37]
	v_mov_b32_e32 v7, 2
	v_cmp_eq_u16_sdwa s[36:37], v11, v7 src0_sel:BYTE_0 src1_sel:DWORD
	v_lshlrev_b64 v[12:13], v9, -1
	v_and_b32_e32 v7, s37, v13
	v_or_b32_e32 v7, 0x80000000, v7
	v_ffbl_b32_e32 v7, v7
	v_add_u32_e32 v15, 32, v7
	v_and_b32_e32 v7, 63, v9
	v_cmp_ne_u32_e32 vcc, 63, v7
	v_addc_co_u32_e32 v16, vcc, 0, v9, vcc
	v_lshlrev_b32_e32 v45, 2, v16
	ds_bpermute_b32 v16, v45, v10
	v_and_b32_e32 v14, s36, v12
	v_ffbl_b32_e32 v14, v14
	v_min_u32_e32 v14, v14, v15
	v_cmp_lt_u32_e32 vcc, v7, v14
	v_mov_b32_e32 v15, v10
	s_and_saveexec_b64 s[58:59], vcc
	s_cbranch_execz .LBB155_108
; %bb.105:
	v_max_f32_e32 v17, v10, v10
	s_waitcnt lgkmcnt(0)
	v_max_f32_e32 v46, v16, v16
	v_min_f32_e32 v15, v46, v17
	v_cmp_u_f32_e32 vcc, v16, v16
	v_max_f32_e32 v17, v46, v17
	v_cndmask_b32_e32 v15, v15, v16, vcc
	v_cmp_u_f32_e64 s[36:37], v10, v10
	v_cndmask_b32_e32 v17, v17, v16, vcc
	v_cndmask_b32_e64 v15, v15, v10, s[36:37]
	v_cndmask_b32_e64 v10, v17, v10, s[36:37]
	s_movk_i32 s36, 0x1f8
	v_cmp_neq_f32_e32 vcc, v15, v10
	v_cmp_class_f32_e64 s[36:37], v15, s36
	s_or_b64 s[60:61], vcc, s[36:37]
	s_and_saveexec_b64 s[36:37], s[60:61]
	s_cbranch_execz .LBB155_107
; %bb.106:
	v_sub_f32_e32 v15, v15, v10
	s_mov_b32 s60, 0x3fb8aa3b
	v_mul_f32_e32 v16, 0x3fb8aa3b, v15
	v_fma_f32 v17, v15, s60, -v16
	v_rndne_f32_e32 v46, v16
	v_fmac_f32_e32 v17, 0x32a5705f, v15
	v_sub_f32_e32 v16, v16, v46
	v_add_f32_e32 v16, v16, v17
	v_exp_f32_e32 v16, v16
	v_cvt_i32_f32_e32 v17, v46
	s_mov_b32 s60, 0xc2ce8ed0
	v_cmp_ngt_f32_e32 vcc, s60, v15
	s_mov_b32 s60, 0x42b17218
	v_ldexp_f32 v16, v16, v17
	v_cndmask_b32_e32 v16, 0, v16, vcc
	v_mov_b32_e32 v17, 0x7f800000
	v_cmp_nlt_f32_e32 vcc, s60, v15
	v_cndmask_b32_e32 v60, v17, v16, vcc
	v_add_f32_e32 v15, 1.0, v60
	v_add_f32_e32 v16, -1.0, v15
	v_sub_f32_e32 v17, v16, v15
	v_add_f32_e32 v17, 1.0, v17
	v_sub_f32_e32 v16, v60, v16
	v_add_f32_e32 v46, v16, v17
	v_frexp_mant_f32_e32 v47, v15
	s_mov_b32 s60, 0x3f2aaaab
	v_cvt_f64_f32_e32 v[16:17], v15
	v_frexp_exp_i32_f64_e32 v16, v[16:17]
	v_cmp_gt_f32_e32 vcc, s60, v47
	v_subbrev_co_u32_e32 v52, vcc, 0, v16, vcc
	v_sub_u32_e32 v16, 0, v52
	v_ldexp_f32 v15, v15, v16
	v_ldexp_f32 v16, v46, v16
	v_add_f32_e32 v46, -1.0, v15
	v_add_f32_e32 v17, 1.0, v46
	v_sub_f32_e32 v17, v15, v17
	v_add_f32_e32 v47, v16, v17
	v_add_f32_e32 v17, 1.0, v15
	v_add_f32_e32 v48, -1.0, v17
	v_sub_f32_e32 v15, v15, v48
	v_add_f32_e32 v15, v16, v15
	v_add_f32_e32 v53, v17, v15
	v_rcp_f32_e32 v54, v53
	v_sub_f32_e32 v16, v17, v53
	v_add_f32_e32 v17, v46, v47
	v_add_f32_e32 v15, v15, v16
	v_mul_f32_e32 v56, v17, v54
	v_sub_f32_e32 v16, v46, v17
	v_mul_f32_e32 v46, v53, v56
	v_fma_f32 v48, v56, v53, -v46
	v_fmac_f32_e32 v48, v56, v15
	v_add_f32_e32 v55, v47, v16
	v_add_f32_e32 v16, v46, v48
	v_sub_f32_e32 v47, v17, v16
	v_pk_add_f32 v[50:51], v[16:17], v[46:47] neg_lo:[0,1] neg_hi:[0,1]
	v_mov_b32_e32 v49, v16
	v_pk_add_f32 v[16:17], v[50:51], v[48:49] neg_lo:[0,1] neg_hi:[0,1]
	v_add_f32_e32 v17, v55, v17
	v_add_f32_e32 v16, v16, v17
	;; [unrolled: 1-line block ×3, first 2 shown]
	v_mul_f32_e32 v55, v54, v17
	v_mul_f32_e32 v46, v53, v55
	v_fma_f32 v48, v55, v53, -v46
	v_fmac_f32_e32 v48, v55, v15
	v_sub_f32_e32 v15, v47, v17
	v_add_f32_e32 v15, v16, v15
	v_add_f32_e32 v16, v46, v48
	v_sub_f32_e32 v47, v17, v16
	v_pk_add_f32 v[50:51], v[16:17], v[46:47] neg_lo:[0,1] neg_hi:[0,1]
	v_mov_b32_e32 v49, v16
	v_pk_add_f32 v[16:17], v[50:51], v[48:49] neg_lo:[0,1] neg_hi:[0,1]
	v_add_f32_e32 v15, v15, v17
	v_add_f32_e32 v15, v16, v15
	;; [unrolled: 1-line block ×4, first 2 shown]
	v_sub_f32_e32 v17, v16, v56
	v_mul_f32_e32 v15, v54, v15
	v_sub_f32_e32 v17, v55, v17
	v_add_f32_e32 v15, v17, v15
	v_add_f32_e32 v47, v16, v15
	v_mul_f32_e32 v48, v47, v47
	v_mov_b32_e32 v46, 0x3ecc95a3
	v_fmac_f32_e32 v46, 0x3e9b6dac, v48
	v_mov_b32_e32 v17, 0x3f2aaada
	v_fmac_f32_e32 v17, v48, v46
	v_cvt_f32_i32_e32 v46, v52
	v_sub_f32_e32 v16, v47, v16
	v_sub_f32_e32 v15, v15, v16
	v_ldexp_f32 v49, v47, 1
	v_mul_f32_e32 v47, v47, v48
	v_mov_b32_e32 v16, 0x3f317218
	s_mov_b32 s60, 0x3f317218
	v_pk_mul_f32 v[16:17], v[46:47], v[16:17]
	v_fma_f32 v48, v46, s60, -v16
	v_fmac_f32_e32 v48, 0xb102e308, v46
	v_pk_add_f32 v[46:47], v[16:17], v[48:49]
	v_sub_f32_e32 v49, v47, v49
	v_ldexp_f32 v15, v15, 1
	v_sub_f32_e32 v49, v17, v49
	v_add_f32_e32 v51, v15, v49
	v_mov_b32_e32 v50, v16
	v_pk_add_f32 v[16:17], v[46:47], v[16:17] neg_lo:[0,1] neg_hi:[0,1]
	v_pk_add_f32 v[52:53], v[46:47], v[50:51]
	v_mov_b32_e32 v17, v53
	v_mov_b32_e32 v49, v46
	v_pk_add_f32 v[54:55], v[48:49], v[16:17] neg_lo:[0,1] neg_hi:[0,1]
	v_pk_add_f32 v[16:17], v[48:49], v[16:17]
	v_mov_b32_e32 v48, v17
	v_pk_add_f32 v[56:57], v[48:49], v[46:47] neg_lo:[0,1] neg_hi:[0,1]
	v_mov_b32_e32 v15, v56
	v_pk_add_f32 v[58:59], v[52:53], v[14:15] neg_lo:[0,1] neg_hi:[0,1]
	v_mov_b32_e32 v16, v53
	v_mov_b32_e32 v52, v47
	;; [unrolled: 1-line block ×4, first 2 shown]
	v_pk_add_f32 v[16:17], v[16:17], v[52:53] neg_lo:[0,1] neg_hi:[0,1]
	v_mov_b32_e32 v50, v51
	v_mov_b32_e32 v51, v46
	v_pk_add_f32 v[16:17], v[50:51], v[16:17] neg_lo:[0,1] neg_hi:[0,1]
	v_mov_b32_e32 v58, v54
	v_pk_add_f32 v[46:47], v[58:59], v[16:17]
	v_mov_b32_e32 v50, v47
	v_pk_add_f32 v[50:51], v[46:47], v[50:51]
	v_pk_add_f32 v[48:49], v[48:49], v[50:51]
	v_mov_b32_e32 v47, v48
	v_pk_add_f32 v[52:53], v[46:47], v[54:55] neg_lo:[0,1] neg_hi:[0,1]
	v_mov_b32_e32 v17, v50
	v_sub_f32_e32 v15, v46, v52
	v_pk_add_f32 v[16:17], v[16:17], v[52:53] neg_lo:[0,1] neg_hi:[0,1]
	v_sub_f32_e32 v15, v54, v15
	s_mov_b32 s61, 0x7f800000
	v_add_f32_e32 v15, v16, v15
	s_mov_b32 s60, 0x33800000
	v_add_f32_e32 v15, v15, v17
	v_cmp_eq_f32_e32 vcc, s61, v60
	v_cmp_lt_f32_e64 s[60:61], |v60|, s60
	v_add_f32_e32 v15, v48, v15
	s_or_b64 vcc, vcc, s[60:61]
	v_cndmask_b32_e32 v15, v15, v60, vcc
	v_add_f32_e32 v16, v10, v15
.LBB155_107:
	s_or_b64 exec, exec, s[36:37]
	v_mov_b32_e32 v10, v16
	v_mov_b32_e32 v15, v16
.LBB155_108:
	s_or_b64 exec, exec, s[58:59]
	v_cmp_gt_u32_e32 vcc, 62, v7
	s_waitcnt lgkmcnt(0)
	v_cndmask_b32_e64 v16, 0, 1, vcc
	v_lshlrev_b32_e32 v16, 1, v16
	v_add_lshl_u32 v46, v16, v9, 2
	ds_bpermute_b32 v16, v46, v10
	v_add_u32_e32 v47, 2, v7
	v_cmp_le_u32_e32 vcc, v47, v14
	s_and_saveexec_b64 s[58:59], vcc
	s_cbranch_execz .LBB155_112
; %bb.109:
	v_max_f32_e32 v10, v15, v15
	s_waitcnt lgkmcnt(0)
	v_max_f32_e32 v48, v16, v16
	v_min_f32_e32 v17, v48, v10
	v_cmp_u_f32_e32 vcc, v16, v16
	v_max_f32_e32 v10, v48, v10
	v_cndmask_b32_e32 v17, v17, v16, vcc
	v_cmp_u_f32_e64 s[36:37], v15, v15
	v_cndmask_b32_e32 v10, v10, v16, vcc
	v_cndmask_b32_e64 v17, v17, v15, s[36:37]
	v_cndmask_b32_e64 v10, v10, v15, s[36:37]
	s_movk_i32 s36, 0x1f8
	v_cmp_neq_f32_e32 vcc, v17, v10
	v_cmp_class_f32_e64 s[36:37], v17, s36
	s_or_b64 s[60:61], vcc, s[36:37]
	s_and_saveexec_b64 s[36:37], s[60:61]
	s_cbranch_execz .LBB155_111
; %bb.110:
	v_sub_f32_e32 v15, v17, v10
	s_mov_b32 s60, 0x3fb8aa3b
	v_mul_f32_e32 v16, 0x3fb8aa3b, v15
	v_fma_f32 v17, v15, s60, -v16
	v_rndne_f32_e32 v48, v16
	v_fmac_f32_e32 v17, 0x32a5705f, v15
	v_sub_f32_e32 v16, v16, v48
	v_add_f32_e32 v16, v16, v17
	v_exp_f32_e32 v16, v16
	v_cvt_i32_f32_e32 v17, v48
	s_mov_b32 s60, 0xc2ce8ed0
	v_cmp_ngt_f32_e32 vcc, s60, v15
	s_mov_b32 s60, 0x42b17218
	v_ldexp_f32 v16, v16, v17
	v_cndmask_b32_e32 v16, 0, v16, vcc
	v_mov_b32_e32 v17, 0x7f800000
	v_cmp_nlt_f32_e32 vcc, s60, v15
	v_cndmask_b32_e32 v62, v17, v16, vcc
	v_add_f32_e32 v15, 1.0, v62
	v_add_f32_e32 v16, -1.0, v15
	v_sub_f32_e32 v17, v16, v15
	v_add_f32_e32 v17, 1.0, v17
	v_sub_f32_e32 v16, v62, v16
	v_add_f32_e32 v48, v16, v17
	v_frexp_mant_f32_e32 v49, v15
	s_mov_b32 s60, 0x3f2aaaab
	v_cvt_f64_f32_e32 v[16:17], v15
	v_frexp_exp_i32_f64_e32 v16, v[16:17]
	v_cmp_gt_f32_e32 vcc, s60, v49
	v_subbrev_co_u32_e32 v54, vcc, 0, v16, vcc
	v_sub_u32_e32 v16, 0, v54
	v_ldexp_f32 v15, v15, v16
	v_ldexp_f32 v16, v48, v16
	v_add_f32_e32 v48, -1.0, v15
	v_add_f32_e32 v17, 1.0, v48
	v_sub_f32_e32 v17, v15, v17
	v_add_f32_e32 v49, v16, v17
	v_add_f32_e32 v17, 1.0, v15
	v_add_f32_e32 v50, -1.0, v17
	v_sub_f32_e32 v15, v15, v50
	v_add_f32_e32 v15, v16, v15
	v_add_f32_e32 v55, v17, v15
	v_rcp_f32_e32 v56, v55
	v_sub_f32_e32 v16, v17, v55
	v_add_f32_e32 v17, v48, v49
	v_add_f32_e32 v15, v15, v16
	v_mul_f32_e32 v58, v17, v56
	v_sub_f32_e32 v16, v48, v17
	v_mul_f32_e32 v48, v55, v58
	v_fma_f32 v50, v58, v55, -v48
	v_fmac_f32_e32 v50, v58, v15
	v_add_f32_e32 v57, v49, v16
	v_add_f32_e32 v16, v48, v50
	v_sub_f32_e32 v49, v17, v16
	v_pk_add_f32 v[52:53], v[16:17], v[48:49] neg_lo:[0,1] neg_hi:[0,1]
	v_mov_b32_e32 v51, v16
	v_pk_add_f32 v[16:17], v[52:53], v[50:51] neg_lo:[0,1] neg_hi:[0,1]
	v_add_f32_e32 v17, v57, v17
	v_add_f32_e32 v16, v16, v17
	;; [unrolled: 1-line block ×3, first 2 shown]
	v_mul_f32_e32 v57, v56, v17
	v_mul_f32_e32 v48, v55, v57
	v_fma_f32 v50, v57, v55, -v48
	v_fmac_f32_e32 v50, v57, v15
	v_sub_f32_e32 v15, v49, v17
	v_add_f32_e32 v15, v16, v15
	v_add_f32_e32 v16, v48, v50
	v_sub_f32_e32 v49, v17, v16
	v_pk_add_f32 v[52:53], v[16:17], v[48:49] neg_lo:[0,1] neg_hi:[0,1]
	v_mov_b32_e32 v51, v16
	v_pk_add_f32 v[16:17], v[52:53], v[50:51] neg_lo:[0,1] neg_hi:[0,1]
	v_add_f32_e32 v15, v15, v17
	v_add_f32_e32 v15, v16, v15
	;; [unrolled: 1-line block ×4, first 2 shown]
	v_sub_f32_e32 v17, v16, v58
	v_mul_f32_e32 v15, v56, v15
	v_sub_f32_e32 v17, v57, v17
	v_add_f32_e32 v15, v17, v15
	v_add_f32_e32 v49, v16, v15
	v_mul_f32_e32 v50, v49, v49
	v_mov_b32_e32 v48, 0x3ecc95a3
	v_fmac_f32_e32 v48, 0x3e9b6dac, v50
	v_mov_b32_e32 v17, 0x3f2aaada
	v_fmac_f32_e32 v17, v50, v48
	v_cvt_f32_i32_e32 v48, v54
	v_sub_f32_e32 v16, v49, v16
	v_sub_f32_e32 v15, v15, v16
	v_ldexp_f32 v51, v49, 1
	v_mul_f32_e32 v49, v49, v50
	v_mov_b32_e32 v16, 0x3f317218
	s_mov_b32 s60, 0x3f317218
	v_pk_mul_f32 v[16:17], v[48:49], v[16:17]
	v_fma_f32 v50, v48, s60, -v16
	v_fmac_f32_e32 v50, 0xb102e308, v48
	v_pk_add_f32 v[48:49], v[16:17], v[50:51]
	v_sub_f32_e32 v51, v49, v51
	v_ldexp_f32 v15, v15, 1
	v_sub_f32_e32 v51, v17, v51
	v_add_f32_e32 v53, v15, v51
	v_mov_b32_e32 v52, v16
	v_pk_add_f32 v[16:17], v[48:49], v[16:17] neg_lo:[0,1] neg_hi:[0,1]
	v_pk_add_f32 v[54:55], v[48:49], v[52:53]
	v_mov_b32_e32 v17, v55
	v_mov_b32_e32 v51, v48
	v_pk_add_f32 v[56:57], v[50:51], v[16:17] neg_lo:[0,1] neg_hi:[0,1]
	v_pk_add_f32 v[16:17], v[50:51], v[16:17]
	v_mov_b32_e32 v50, v17
	v_pk_add_f32 v[58:59], v[50:51], v[48:49] neg_lo:[0,1] neg_hi:[0,1]
	v_mov_b32_e32 v15, v58
	v_pk_add_f32 v[60:61], v[54:55], v[14:15] neg_lo:[0,1] neg_hi:[0,1]
	v_mov_b32_e32 v16, v55
	v_mov_b32_e32 v54, v49
	;; [unrolled: 1-line block ×4, first 2 shown]
	v_pk_add_f32 v[16:17], v[16:17], v[54:55] neg_lo:[0,1] neg_hi:[0,1]
	v_mov_b32_e32 v52, v53
	v_mov_b32_e32 v53, v48
	v_pk_add_f32 v[16:17], v[52:53], v[16:17] neg_lo:[0,1] neg_hi:[0,1]
	v_mov_b32_e32 v60, v56
	v_pk_add_f32 v[48:49], v[60:61], v[16:17]
	v_mov_b32_e32 v52, v49
	v_pk_add_f32 v[52:53], v[48:49], v[52:53]
	v_pk_add_f32 v[50:51], v[50:51], v[52:53]
	v_mov_b32_e32 v49, v50
	v_pk_add_f32 v[54:55], v[48:49], v[56:57] neg_lo:[0,1] neg_hi:[0,1]
	v_mov_b32_e32 v17, v52
	v_sub_f32_e32 v15, v48, v54
	v_pk_add_f32 v[16:17], v[16:17], v[54:55] neg_lo:[0,1] neg_hi:[0,1]
	v_sub_f32_e32 v15, v56, v15
	s_mov_b32 s61, 0x7f800000
	v_add_f32_e32 v15, v16, v15
	s_mov_b32 s60, 0x33800000
	v_add_f32_e32 v15, v15, v17
	v_cmp_eq_f32_e32 vcc, s61, v62
	v_cmp_lt_f32_e64 s[60:61], |v62|, s60
	v_add_f32_e32 v15, v50, v15
	s_or_b64 vcc, vcc, s[60:61]
	v_cndmask_b32_e32 v15, v15, v62, vcc
	v_add_f32_e32 v16, v10, v15
.LBB155_111:
	s_or_b64 exec, exec, s[36:37]
	v_mov_b32_e32 v10, v16
	v_mov_b32_e32 v15, v16
.LBB155_112:
	s_or_b64 exec, exec, s[58:59]
	v_cmp_gt_u32_e32 vcc, 60, v7
	s_waitcnt lgkmcnt(0)
	v_cndmask_b32_e64 v16, 0, 1, vcc
	v_lshlrev_b32_e32 v16, 2, v16
	v_add_lshl_u32 v48, v16, v9, 2
	ds_bpermute_b32 v16, v48, v10
	v_add_u32_e32 v49, 4, v7
	v_cmp_le_u32_e32 vcc, v49, v14
	s_and_saveexec_b64 s[58:59], vcc
	s_cbranch_execz .LBB155_116
; %bb.113:
	v_max_f32_e32 v10, v15, v15
	s_waitcnt lgkmcnt(0)
	v_max_f32_e32 v50, v16, v16
	v_min_f32_e32 v17, v50, v10
	v_cmp_u_f32_e32 vcc, v16, v16
	v_max_f32_e32 v10, v50, v10
	v_cndmask_b32_e32 v17, v17, v16, vcc
	v_cmp_u_f32_e64 s[36:37], v15, v15
	v_cndmask_b32_e32 v10, v10, v16, vcc
	v_cndmask_b32_e64 v17, v17, v15, s[36:37]
	v_cndmask_b32_e64 v10, v10, v15, s[36:37]
	s_movk_i32 s36, 0x1f8
	v_cmp_neq_f32_e32 vcc, v17, v10
	v_cmp_class_f32_e64 s[36:37], v17, s36
	s_or_b64 s[60:61], vcc, s[36:37]
	s_and_saveexec_b64 s[36:37], s[60:61]
	s_cbranch_execz .LBB155_115
; %bb.114:
	v_sub_f32_e32 v15, v17, v10
	s_mov_b32 s60, 0x3fb8aa3b
	v_mul_f32_e32 v16, 0x3fb8aa3b, v15
	v_fma_f32 v17, v15, s60, -v16
	v_rndne_f32_e32 v50, v16
	v_fmac_f32_e32 v17, 0x32a5705f, v15
	v_sub_f32_e32 v16, v16, v50
	v_add_f32_e32 v16, v16, v17
	v_exp_f32_e32 v16, v16
	v_cvt_i32_f32_e32 v17, v50
	s_mov_b32 s60, 0xc2ce8ed0
	v_cmp_ngt_f32_e32 vcc, s60, v15
	s_mov_b32 s60, 0x42b17218
	v_ldexp_f32 v16, v16, v17
	v_cndmask_b32_e32 v16, 0, v16, vcc
	v_mov_b32_e32 v17, 0x7f800000
	v_cmp_nlt_f32_e32 vcc, s60, v15
	v_cndmask_b32_e32 v64, v17, v16, vcc
	v_add_f32_e32 v15, 1.0, v64
	v_add_f32_e32 v16, -1.0, v15
	v_sub_f32_e32 v17, v16, v15
	v_add_f32_e32 v17, 1.0, v17
	v_sub_f32_e32 v16, v64, v16
	v_add_f32_e32 v50, v16, v17
	v_frexp_mant_f32_e32 v51, v15
	s_mov_b32 s60, 0x3f2aaaab
	v_cvt_f64_f32_e32 v[16:17], v15
	v_frexp_exp_i32_f64_e32 v16, v[16:17]
	v_cmp_gt_f32_e32 vcc, s60, v51
	v_subbrev_co_u32_e32 v56, vcc, 0, v16, vcc
	v_sub_u32_e32 v16, 0, v56
	v_ldexp_f32 v15, v15, v16
	v_ldexp_f32 v16, v50, v16
	v_add_f32_e32 v50, -1.0, v15
	v_add_f32_e32 v17, 1.0, v50
	v_sub_f32_e32 v17, v15, v17
	v_add_f32_e32 v51, v16, v17
	v_add_f32_e32 v17, 1.0, v15
	v_add_f32_e32 v52, -1.0, v17
	v_sub_f32_e32 v15, v15, v52
	v_add_f32_e32 v15, v16, v15
	v_add_f32_e32 v57, v17, v15
	v_rcp_f32_e32 v58, v57
	v_sub_f32_e32 v16, v17, v57
	v_add_f32_e32 v17, v50, v51
	v_add_f32_e32 v15, v15, v16
	v_mul_f32_e32 v60, v17, v58
	v_sub_f32_e32 v16, v50, v17
	v_mul_f32_e32 v50, v57, v60
	v_fma_f32 v52, v60, v57, -v50
	v_fmac_f32_e32 v52, v60, v15
	v_add_f32_e32 v59, v51, v16
	v_add_f32_e32 v16, v50, v52
	v_sub_f32_e32 v51, v17, v16
	v_pk_add_f32 v[54:55], v[16:17], v[50:51] neg_lo:[0,1] neg_hi:[0,1]
	v_mov_b32_e32 v53, v16
	v_pk_add_f32 v[16:17], v[54:55], v[52:53] neg_lo:[0,1] neg_hi:[0,1]
	v_add_f32_e32 v17, v59, v17
	v_add_f32_e32 v16, v16, v17
	;; [unrolled: 1-line block ×3, first 2 shown]
	v_mul_f32_e32 v59, v58, v17
	v_mul_f32_e32 v50, v57, v59
	v_fma_f32 v52, v59, v57, -v50
	v_fmac_f32_e32 v52, v59, v15
	v_sub_f32_e32 v15, v51, v17
	v_add_f32_e32 v15, v16, v15
	v_add_f32_e32 v16, v50, v52
	v_sub_f32_e32 v51, v17, v16
	v_pk_add_f32 v[54:55], v[16:17], v[50:51] neg_lo:[0,1] neg_hi:[0,1]
	v_mov_b32_e32 v53, v16
	v_pk_add_f32 v[16:17], v[54:55], v[52:53] neg_lo:[0,1] neg_hi:[0,1]
	v_add_f32_e32 v15, v15, v17
	v_add_f32_e32 v15, v16, v15
	;; [unrolled: 1-line block ×4, first 2 shown]
	v_sub_f32_e32 v17, v16, v60
	v_mul_f32_e32 v15, v58, v15
	v_sub_f32_e32 v17, v59, v17
	v_add_f32_e32 v15, v17, v15
	v_add_f32_e32 v51, v16, v15
	v_mul_f32_e32 v52, v51, v51
	v_mov_b32_e32 v50, 0x3ecc95a3
	v_fmac_f32_e32 v50, 0x3e9b6dac, v52
	v_mov_b32_e32 v17, 0x3f2aaada
	v_fmac_f32_e32 v17, v52, v50
	v_cvt_f32_i32_e32 v50, v56
	v_sub_f32_e32 v16, v51, v16
	v_sub_f32_e32 v15, v15, v16
	v_ldexp_f32 v53, v51, 1
	v_mul_f32_e32 v51, v51, v52
	v_mov_b32_e32 v16, 0x3f317218
	s_mov_b32 s60, 0x3f317218
	v_pk_mul_f32 v[16:17], v[50:51], v[16:17]
	v_fma_f32 v52, v50, s60, -v16
	v_fmac_f32_e32 v52, 0xb102e308, v50
	v_pk_add_f32 v[50:51], v[16:17], v[52:53]
	v_sub_f32_e32 v53, v51, v53
	v_ldexp_f32 v15, v15, 1
	v_sub_f32_e32 v53, v17, v53
	v_add_f32_e32 v55, v15, v53
	v_mov_b32_e32 v54, v16
	v_pk_add_f32 v[16:17], v[50:51], v[16:17] neg_lo:[0,1] neg_hi:[0,1]
	v_pk_add_f32 v[56:57], v[50:51], v[54:55]
	v_mov_b32_e32 v17, v57
	v_mov_b32_e32 v53, v50
	v_pk_add_f32 v[58:59], v[52:53], v[16:17] neg_lo:[0,1] neg_hi:[0,1]
	v_pk_add_f32 v[16:17], v[52:53], v[16:17]
	v_mov_b32_e32 v52, v17
	v_pk_add_f32 v[60:61], v[52:53], v[50:51] neg_lo:[0,1] neg_hi:[0,1]
	v_mov_b32_e32 v15, v60
	v_pk_add_f32 v[62:63], v[56:57], v[14:15] neg_lo:[0,1] neg_hi:[0,1]
	v_mov_b32_e32 v16, v57
	v_mov_b32_e32 v56, v51
	;; [unrolled: 1-line block ×4, first 2 shown]
	v_pk_add_f32 v[16:17], v[16:17], v[56:57] neg_lo:[0,1] neg_hi:[0,1]
	v_mov_b32_e32 v54, v55
	v_mov_b32_e32 v55, v50
	v_pk_add_f32 v[16:17], v[54:55], v[16:17] neg_lo:[0,1] neg_hi:[0,1]
	v_mov_b32_e32 v62, v58
	v_pk_add_f32 v[50:51], v[62:63], v[16:17]
	v_mov_b32_e32 v54, v51
	v_pk_add_f32 v[54:55], v[50:51], v[54:55]
	v_pk_add_f32 v[52:53], v[52:53], v[54:55]
	v_mov_b32_e32 v51, v52
	v_pk_add_f32 v[56:57], v[50:51], v[58:59] neg_lo:[0,1] neg_hi:[0,1]
	v_mov_b32_e32 v17, v54
	v_sub_f32_e32 v15, v50, v56
	v_pk_add_f32 v[16:17], v[16:17], v[56:57] neg_lo:[0,1] neg_hi:[0,1]
	v_sub_f32_e32 v15, v58, v15
	s_mov_b32 s61, 0x7f800000
	v_add_f32_e32 v15, v16, v15
	s_mov_b32 s60, 0x33800000
	v_add_f32_e32 v15, v15, v17
	v_cmp_eq_f32_e32 vcc, s61, v64
	v_cmp_lt_f32_e64 s[60:61], |v64|, s60
	v_add_f32_e32 v15, v52, v15
	s_or_b64 vcc, vcc, s[60:61]
	v_cndmask_b32_e32 v15, v15, v64, vcc
	v_add_f32_e32 v16, v10, v15
.LBB155_115:
	s_or_b64 exec, exec, s[36:37]
	v_mov_b32_e32 v10, v16
	v_mov_b32_e32 v15, v16
.LBB155_116:
	s_or_b64 exec, exec, s[58:59]
	v_cmp_gt_u32_e32 vcc, 56, v7
	s_waitcnt lgkmcnt(0)
	v_cndmask_b32_e64 v16, 0, 1, vcc
	v_lshlrev_b32_e32 v16, 3, v16
	v_add_lshl_u32 v50, v16, v9, 2
	ds_bpermute_b32 v16, v50, v10
	v_add_u32_e32 v51, 8, v7
	v_cmp_le_u32_e32 vcc, v51, v14
	s_and_saveexec_b64 s[58:59], vcc
	s_cbranch_execz .LBB155_120
; %bb.117:
	v_max_f32_e32 v10, v15, v15
	s_waitcnt lgkmcnt(0)
	v_max_f32_e32 v52, v16, v16
	v_min_f32_e32 v17, v52, v10
	v_cmp_u_f32_e32 vcc, v16, v16
	v_max_f32_e32 v10, v52, v10
	v_cndmask_b32_e32 v17, v17, v16, vcc
	v_cmp_u_f32_e64 s[36:37], v15, v15
	v_cndmask_b32_e32 v10, v10, v16, vcc
	v_cndmask_b32_e64 v17, v17, v15, s[36:37]
	v_cndmask_b32_e64 v10, v10, v15, s[36:37]
	s_movk_i32 s36, 0x1f8
	v_cmp_neq_f32_e32 vcc, v17, v10
	v_cmp_class_f32_e64 s[36:37], v17, s36
	s_or_b64 s[60:61], vcc, s[36:37]
	s_and_saveexec_b64 s[36:37], s[60:61]
	s_cbranch_execz .LBB155_119
; %bb.118:
	v_sub_f32_e32 v15, v17, v10
	s_mov_b32 s60, 0x3fb8aa3b
	v_mul_f32_e32 v16, 0x3fb8aa3b, v15
	v_fma_f32 v17, v15, s60, -v16
	v_rndne_f32_e32 v52, v16
	v_fmac_f32_e32 v17, 0x32a5705f, v15
	v_sub_f32_e32 v16, v16, v52
	v_add_f32_e32 v16, v16, v17
	v_exp_f32_e32 v16, v16
	v_cvt_i32_f32_e32 v17, v52
	s_mov_b32 s60, 0xc2ce8ed0
	v_cmp_ngt_f32_e32 vcc, s60, v15
	s_mov_b32 s60, 0x42b17218
	v_ldexp_f32 v16, v16, v17
	v_cndmask_b32_e32 v16, 0, v16, vcc
	v_mov_b32_e32 v17, 0x7f800000
	v_cmp_nlt_f32_e32 vcc, s60, v15
	v_cndmask_b32_e32 v66, v17, v16, vcc
	v_add_f32_e32 v15, 1.0, v66
	v_add_f32_e32 v16, -1.0, v15
	v_sub_f32_e32 v17, v16, v15
	v_add_f32_e32 v17, 1.0, v17
	v_sub_f32_e32 v16, v66, v16
	v_add_f32_e32 v52, v16, v17
	v_frexp_mant_f32_e32 v53, v15
	s_mov_b32 s60, 0x3f2aaaab
	v_cvt_f64_f32_e32 v[16:17], v15
	v_frexp_exp_i32_f64_e32 v16, v[16:17]
	v_cmp_gt_f32_e32 vcc, s60, v53
	v_subbrev_co_u32_e32 v58, vcc, 0, v16, vcc
	v_sub_u32_e32 v16, 0, v58
	v_ldexp_f32 v15, v15, v16
	v_ldexp_f32 v16, v52, v16
	v_add_f32_e32 v52, -1.0, v15
	v_add_f32_e32 v17, 1.0, v52
	v_sub_f32_e32 v17, v15, v17
	v_add_f32_e32 v53, v16, v17
	v_add_f32_e32 v17, 1.0, v15
	v_add_f32_e32 v54, -1.0, v17
	v_sub_f32_e32 v15, v15, v54
	v_add_f32_e32 v15, v16, v15
	v_add_f32_e32 v59, v17, v15
	v_rcp_f32_e32 v60, v59
	v_sub_f32_e32 v16, v17, v59
	v_add_f32_e32 v17, v52, v53
	v_add_f32_e32 v15, v15, v16
	v_mul_f32_e32 v62, v17, v60
	v_sub_f32_e32 v16, v52, v17
	v_mul_f32_e32 v52, v59, v62
	v_fma_f32 v54, v62, v59, -v52
	v_fmac_f32_e32 v54, v62, v15
	v_add_f32_e32 v61, v53, v16
	v_add_f32_e32 v16, v52, v54
	v_sub_f32_e32 v53, v17, v16
	v_pk_add_f32 v[56:57], v[16:17], v[52:53] neg_lo:[0,1] neg_hi:[0,1]
	v_mov_b32_e32 v55, v16
	v_pk_add_f32 v[16:17], v[56:57], v[54:55] neg_lo:[0,1] neg_hi:[0,1]
	v_add_f32_e32 v17, v61, v17
	v_add_f32_e32 v16, v16, v17
	;; [unrolled: 1-line block ×3, first 2 shown]
	v_mul_f32_e32 v61, v60, v17
	v_mul_f32_e32 v52, v59, v61
	v_fma_f32 v54, v61, v59, -v52
	v_fmac_f32_e32 v54, v61, v15
	v_sub_f32_e32 v15, v53, v17
	v_add_f32_e32 v15, v16, v15
	v_add_f32_e32 v16, v52, v54
	v_sub_f32_e32 v53, v17, v16
	v_pk_add_f32 v[56:57], v[16:17], v[52:53] neg_lo:[0,1] neg_hi:[0,1]
	v_mov_b32_e32 v55, v16
	v_pk_add_f32 v[16:17], v[56:57], v[54:55] neg_lo:[0,1] neg_hi:[0,1]
	v_add_f32_e32 v15, v15, v17
	v_add_f32_e32 v15, v16, v15
	;; [unrolled: 1-line block ×4, first 2 shown]
	v_sub_f32_e32 v17, v16, v62
	v_mul_f32_e32 v15, v60, v15
	v_sub_f32_e32 v17, v61, v17
	v_add_f32_e32 v15, v17, v15
	v_add_f32_e32 v53, v16, v15
	v_mul_f32_e32 v54, v53, v53
	v_mov_b32_e32 v52, 0x3ecc95a3
	v_fmac_f32_e32 v52, 0x3e9b6dac, v54
	v_mov_b32_e32 v17, 0x3f2aaada
	v_fmac_f32_e32 v17, v54, v52
	v_cvt_f32_i32_e32 v52, v58
	v_sub_f32_e32 v16, v53, v16
	v_sub_f32_e32 v15, v15, v16
	v_ldexp_f32 v55, v53, 1
	v_mul_f32_e32 v53, v53, v54
	v_mov_b32_e32 v16, 0x3f317218
	s_mov_b32 s60, 0x3f317218
	v_pk_mul_f32 v[16:17], v[52:53], v[16:17]
	v_fma_f32 v54, v52, s60, -v16
	v_fmac_f32_e32 v54, 0xb102e308, v52
	v_pk_add_f32 v[52:53], v[16:17], v[54:55]
	v_sub_f32_e32 v55, v53, v55
	v_ldexp_f32 v15, v15, 1
	v_sub_f32_e32 v55, v17, v55
	v_add_f32_e32 v57, v15, v55
	v_mov_b32_e32 v56, v16
	v_pk_add_f32 v[16:17], v[52:53], v[16:17] neg_lo:[0,1] neg_hi:[0,1]
	v_pk_add_f32 v[58:59], v[52:53], v[56:57]
	v_mov_b32_e32 v17, v59
	v_mov_b32_e32 v55, v52
	v_pk_add_f32 v[60:61], v[54:55], v[16:17] neg_lo:[0,1] neg_hi:[0,1]
	v_pk_add_f32 v[16:17], v[54:55], v[16:17]
	v_mov_b32_e32 v54, v17
	v_pk_add_f32 v[62:63], v[54:55], v[52:53] neg_lo:[0,1] neg_hi:[0,1]
	v_mov_b32_e32 v15, v62
	v_pk_add_f32 v[64:65], v[58:59], v[14:15] neg_lo:[0,1] neg_hi:[0,1]
	v_mov_b32_e32 v16, v59
	v_mov_b32_e32 v58, v53
	v_mov_b32_e32 v59, v62
	v_mov_b32_e32 v61, v17
	v_pk_add_f32 v[16:17], v[16:17], v[58:59] neg_lo:[0,1] neg_hi:[0,1]
	v_mov_b32_e32 v56, v57
	v_mov_b32_e32 v57, v52
	v_pk_add_f32 v[16:17], v[56:57], v[16:17] neg_lo:[0,1] neg_hi:[0,1]
	v_mov_b32_e32 v64, v60
	v_pk_add_f32 v[52:53], v[64:65], v[16:17]
	v_mov_b32_e32 v56, v53
	v_pk_add_f32 v[56:57], v[52:53], v[56:57]
	v_pk_add_f32 v[54:55], v[54:55], v[56:57]
	v_mov_b32_e32 v53, v54
	v_pk_add_f32 v[58:59], v[52:53], v[60:61] neg_lo:[0,1] neg_hi:[0,1]
	v_mov_b32_e32 v17, v56
	v_sub_f32_e32 v15, v52, v58
	v_pk_add_f32 v[16:17], v[16:17], v[58:59] neg_lo:[0,1] neg_hi:[0,1]
	v_sub_f32_e32 v15, v60, v15
	s_mov_b32 s61, 0x7f800000
	v_add_f32_e32 v15, v16, v15
	s_mov_b32 s60, 0x33800000
	v_add_f32_e32 v15, v15, v17
	v_cmp_eq_f32_e32 vcc, s61, v66
	v_cmp_lt_f32_e64 s[60:61], |v66|, s60
	v_add_f32_e32 v15, v54, v15
	s_or_b64 vcc, vcc, s[60:61]
	v_cndmask_b32_e32 v15, v15, v66, vcc
	v_add_f32_e32 v16, v10, v15
.LBB155_119:
	s_or_b64 exec, exec, s[36:37]
	v_mov_b32_e32 v10, v16
	v_mov_b32_e32 v15, v16
.LBB155_120:
	s_or_b64 exec, exec, s[58:59]
	v_cmp_gt_u32_e32 vcc, 48, v7
	s_waitcnt lgkmcnt(0)
	v_cndmask_b32_e64 v16, 0, 1, vcc
	v_lshlrev_b32_e32 v16, 4, v16
	v_add_lshl_u32 v52, v16, v9, 2
	ds_bpermute_b32 v16, v52, v10
	v_add_u32_e32 v53, 16, v7
	v_cmp_le_u32_e32 vcc, v53, v14
	s_and_saveexec_b64 s[58:59], vcc
	s_cbranch_execz .LBB155_124
; %bb.121:
	v_max_f32_e32 v10, v15, v15
	s_waitcnt lgkmcnt(0)
	v_max_f32_e32 v54, v16, v16
	v_min_f32_e32 v17, v54, v10
	v_cmp_u_f32_e32 vcc, v16, v16
	v_max_f32_e32 v10, v54, v10
	v_cndmask_b32_e32 v17, v17, v16, vcc
	v_cmp_u_f32_e64 s[36:37], v15, v15
	v_cndmask_b32_e32 v10, v10, v16, vcc
	v_cndmask_b32_e64 v17, v17, v15, s[36:37]
	v_cndmask_b32_e64 v10, v10, v15, s[36:37]
	s_movk_i32 s36, 0x1f8
	v_cmp_neq_f32_e32 vcc, v17, v10
	v_cmp_class_f32_e64 s[36:37], v17, s36
	s_or_b64 s[60:61], vcc, s[36:37]
	s_and_saveexec_b64 s[36:37], s[60:61]
	s_cbranch_execz .LBB155_123
; %bb.122:
	v_sub_f32_e32 v15, v17, v10
	s_mov_b32 s60, 0x3fb8aa3b
	v_mul_f32_e32 v16, 0x3fb8aa3b, v15
	v_fma_f32 v17, v15, s60, -v16
	v_rndne_f32_e32 v54, v16
	v_fmac_f32_e32 v17, 0x32a5705f, v15
	v_sub_f32_e32 v16, v16, v54
	v_add_f32_e32 v16, v16, v17
	v_exp_f32_e32 v16, v16
	v_cvt_i32_f32_e32 v17, v54
	s_mov_b32 s60, 0xc2ce8ed0
	v_cmp_ngt_f32_e32 vcc, s60, v15
	s_mov_b32 s60, 0x42b17218
	v_ldexp_f32 v16, v16, v17
	v_cndmask_b32_e32 v16, 0, v16, vcc
	v_mov_b32_e32 v17, 0x7f800000
	v_cmp_nlt_f32_e32 vcc, s60, v15
	v_cndmask_b32_e32 v68, v17, v16, vcc
	v_add_f32_e32 v15, 1.0, v68
	v_add_f32_e32 v16, -1.0, v15
	v_sub_f32_e32 v17, v16, v15
	v_add_f32_e32 v17, 1.0, v17
	v_sub_f32_e32 v16, v68, v16
	v_add_f32_e32 v54, v16, v17
	v_frexp_mant_f32_e32 v55, v15
	s_mov_b32 s60, 0x3f2aaaab
	v_cvt_f64_f32_e32 v[16:17], v15
	v_frexp_exp_i32_f64_e32 v16, v[16:17]
	v_cmp_gt_f32_e32 vcc, s60, v55
	v_subbrev_co_u32_e32 v60, vcc, 0, v16, vcc
	v_sub_u32_e32 v16, 0, v60
	v_ldexp_f32 v15, v15, v16
	v_ldexp_f32 v16, v54, v16
	v_add_f32_e32 v54, -1.0, v15
	v_add_f32_e32 v17, 1.0, v54
	v_sub_f32_e32 v17, v15, v17
	v_add_f32_e32 v55, v16, v17
	v_add_f32_e32 v17, 1.0, v15
	v_add_f32_e32 v56, -1.0, v17
	v_sub_f32_e32 v15, v15, v56
	v_add_f32_e32 v15, v16, v15
	v_add_f32_e32 v61, v17, v15
	v_rcp_f32_e32 v62, v61
	v_sub_f32_e32 v16, v17, v61
	v_add_f32_e32 v17, v54, v55
	v_add_f32_e32 v15, v15, v16
	v_mul_f32_e32 v64, v17, v62
	v_sub_f32_e32 v16, v54, v17
	v_mul_f32_e32 v54, v61, v64
	v_fma_f32 v56, v64, v61, -v54
	v_fmac_f32_e32 v56, v64, v15
	v_add_f32_e32 v63, v55, v16
	v_add_f32_e32 v16, v54, v56
	v_sub_f32_e32 v55, v17, v16
	v_pk_add_f32 v[58:59], v[16:17], v[54:55] neg_lo:[0,1] neg_hi:[0,1]
	v_mov_b32_e32 v57, v16
	v_pk_add_f32 v[16:17], v[58:59], v[56:57] neg_lo:[0,1] neg_hi:[0,1]
	v_add_f32_e32 v17, v63, v17
	v_add_f32_e32 v16, v16, v17
	;; [unrolled: 1-line block ×3, first 2 shown]
	v_mul_f32_e32 v63, v62, v17
	v_mul_f32_e32 v54, v61, v63
	v_fma_f32 v56, v63, v61, -v54
	v_fmac_f32_e32 v56, v63, v15
	v_sub_f32_e32 v15, v55, v17
	v_add_f32_e32 v15, v16, v15
	v_add_f32_e32 v16, v54, v56
	v_sub_f32_e32 v55, v17, v16
	v_pk_add_f32 v[58:59], v[16:17], v[54:55] neg_lo:[0,1] neg_hi:[0,1]
	v_mov_b32_e32 v57, v16
	v_pk_add_f32 v[16:17], v[58:59], v[56:57] neg_lo:[0,1] neg_hi:[0,1]
	v_add_f32_e32 v15, v15, v17
	v_add_f32_e32 v15, v16, v15
	;; [unrolled: 1-line block ×4, first 2 shown]
	v_sub_f32_e32 v17, v16, v64
	v_mul_f32_e32 v15, v62, v15
	v_sub_f32_e32 v17, v63, v17
	v_add_f32_e32 v15, v17, v15
	v_add_f32_e32 v55, v16, v15
	v_mul_f32_e32 v56, v55, v55
	v_mov_b32_e32 v54, 0x3ecc95a3
	v_fmac_f32_e32 v54, 0x3e9b6dac, v56
	v_mov_b32_e32 v17, 0x3f2aaada
	v_fmac_f32_e32 v17, v56, v54
	v_cvt_f32_i32_e32 v54, v60
	v_sub_f32_e32 v16, v55, v16
	v_sub_f32_e32 v15, v15, v16
	v_ldexp_f32 v57, v55, 1
	v_mul_f32_e32 v55, v55, v56
	v_mov_b32_e32 v16, 0x3f317218
	s_mov_b32 s60, 0x3f317218
	v_pk_mul_f32 v[16:17], v[54:55], v[16:17]
	v_fma_f32 v56, v54, s60, -v16
	v_fmac_f32_e32 v56, 0xb102e308, v54
	v_pk_add_f32 v[54:55], v[16:17], v[56:57]
	v_sub_f32_e32 v57, v55, v57
	v_ldexp_f32 v15, v15, 1
	v_sub_f32_e32 v57, v17, v57
	v_add_f32_e32 v59, v15, v57
	v_mov_b32_e32 v58, v16
	v_pk_add_f32 v[16:17], v[54:55], v[16:17] neg_lo:[0,1] neg_hi:[0,1]
	v_pk_add_f32 v[60:61], v[54:55], v[58:59]
	v_mov_b32_e32 v17, v61
	v_mov_b32_e32 v57, v54
	v_pk_add_f32 v[62:63], v[56:57], v[16:17] neg_lo:[0,1] neg_hi:[0,1]
	v_pk_add_f32 v[16:17], v[56:57], v[16:17]
	v_mov_b32_e32 v56, v17
	v_pk_add_f32 v[64:65], v[56:57], v[54:55] neg_lo:[0,1] neg_hi:[0,1]
	v_mov_b32_e32 v15, v64
	v_pk_add_f32 v[66:67], v[60:61], v[14:15] neg_lo:[0,1] neg_hi:[0,1]
	v_mov_b32_e32 v16, v61
	v_mov_b32_e32 v60, v55
	;; [unrolled: 1-line block ×4, first 2 shown]
	v_pk_add_f32 v[16:17], v[16:17], v[60:61] neg_lo:[0,1] neg_hi:[0,1]
	v_mov_b32_e32 v58, v59
	v_mov_b32_e32 v59, v54
	v_pk_add_f32 v[16:17], v[58:59], v[16:17] neg_lo:[0,1] neg_hi:[0,1]
	v_mov_b32_e32 v66, v62
	v_pk_add_f32 v[54:55], v[66:67], v[16:17]
	v_mov_b32_e32 v58, v55
	v_pk_add_f32 v[58:59], v[54:55], v[58:59]
	v_pk_add_f32 v[56:57], v[56:57], v[58:59]
	v_mov_b32_e32 v55, v56
	v_pk_add_f32 v[60:61], v[54:55], v[62:63] neg_lo:[0,1] neg_hi:[0,1]
	v_mov_b32_e32 v17, v58
	v_sub_f32_e32 v15, v54, v60
	v_pk_add_f32 v[16:17], v[16:17], v[60:61] neg_lo:[0,1] neg_hi:[0,1]
	v_sub_f32_e32 v15, v62, v15
	s_mov_b32 s61, 0x7f800000
	v_add_f32_e32 v15, v16, v15
	s_mov_b32 s60, 0x33800000
	v_add_f32_e32 v15, v15, v17
	v_cmp_eq_f32_e32 vcc, s61, v68
	v_cmp_lt_f32_e64 s[60:61], |v68|, s60
	v_add_f32_e32 v15, v56, v15
	s_or_b64 vcc, vcc, s[60:61]
	v_cndmask_b32_e32 v15, v15, v68, vcc
	v_add_f32_e32 v16, v10, v15
.LBB155_123:
	s_or_b64 exec, exec, s[36:37]
	v_mov_b32_e32 v10, v16
	v_mov_b32_e32 v15, v16
.LBB155_124:
	s_or_b64 exec, exec, s[58:59]
	v_cmp_gt_u32_e32 vcc, 32, v7
	s_waitcnt lgkmcnt(0)
	v_cndmask_b32_e64 v16, 0, 1, vcc
	v_lshlrev_b32_e32 v16, 5, v16
	v_add_lshl_u32 v54, v16, v9, 2
	ds_bpermute_b32 v10, v54, v10
	v_add_u32_e32 v55, 32, v7
	v_cmp_le_u32_e32 vcc, v55, v14
	s_and_saveexec_b64 s[58:59], vcc
	s_cbranch_execz .LBB155_128
; %bb.125:
	v_max_f32_e32 v9, v15, v15
	s_waitcnt lgkmcnt(0)
	v_max_f32_e32 v16, v10, v10
	v_min_f32_e32 v14, v16, v9
	v_cmp_u_f32_e32 vcc, v10, v10
	v_max_f32_e32 v9, v16, v9
	v_cndmask_b32_e32 v14, v14, v10, vcc
	v_cmp_u_f32_e64 s[36:37], v15, v15
	v_cndmask_b32_e32 v9, v9, v10, vcc
	v_cndmask_b32_e64 v14, v14, v15, s[36:37]
	v_cndmask_b32_e64 v9, v9, v15, s[36:37]
	s_movk_i32 s36, 0x1f8
	v_cmp_neq_f32_e32 vcc, v14, v9
	v_cmp_class_f32_e64 s[36:37], v14, s36
	s_or_b64 s[60:61], vcc, s[36:37]
	s_and_saveexec_b64 s[36:37], s[60:61]
	s_cbranch_execz .LBB155_127
; %bb.126:
	v_sub_f32_e32 v10, v14, v9
	s_mov_b32 s60, 0x3fb8aa3b
	v_mul_f32_e32 v14, 0x3fb8aa3b, v10
	v_fma_f32 v15, v10, s60, -v14
	v_rndne_f32_e32 v16, v14
	v_fmac_f32_e32 v15, 0x32a5705f, v10
	v_sub_f32_e32 v14, v14, v16
	v_add_f32_e32 v14, v14, v15
	v_exp_f32_e32 v14, v14
	v_cvt_i32_f32_e32 v15, v16
	s_mov_b32 s60, 0xc2ce8ed0
	v_cmp_ngt_f32_e32 vcc, s60, v10
	s_mov_b32 s60, 0x42b17218
	v_ldexp_f32 v14, v14, v15
	v_cndmask_b32_e32 v14, 0, v14, vcc
	v_mov_b32_e32 v15, 0x7f800000
	v_cmp_nlt_f32_e32 vcc, s60, v10
	v_cndmask_b32_e32 v66, v15, v14, vcc
	v_add_f32_e32 v10, 1.0, v66
	v_add_f32_e32 v14, -1.0, v10
	v_sub_f32_e32 v15, v14, v10
	v_add_f32_e32 v15, 1.0, v15
	v_sub_f32_e32 v14, v66, v14
	v_add_f32_e32 v16, v14, v15
	v_frexp_mant_f32_e32 v17, v10
	s_mov_b32 s60, 0x3f2aaaab
	v_cvt_f64_f32_e32 v[14:15], v10
	v_frexp_exp_i32_f64_e32 v14, v[14:15]
	v_cmp_gt_f32_e32 vcc, s60, v17
	v_subbrev_co_u32_e32 v60, vcc, 0, v14, vcc
	v_sub_u32_e32 v14, 0, v60
	v_ldexp_f32 v10, v10, v14
	v_ldexp_f32 v14, v16, v14
	v_add_f32_e32 v16, -1.0, v10
	v_add_f32_e32 v15, 1.0, v16
	v_sub_f32_e32 v15, v10, v15
	v_add_f32_e32 v17, v14, v15
	v_add_f32_e32 v15, 1.0, v10
	v_add_f32_e32 v56, -1.0, v15
	v_sub_f32_e32 v10, v10, v56
	v_add_f32_e32 v10, v14, v10
	v_add_f32_e32 v61, v15, v10
	v_rcp_f32_e32 v62, v61
	v_sub_f32_e32 v14, v15, v61
	v_add_f32_e32 v15, v16, v17
	v_add_f32_e32 v10, v10, v14
	v_mul_f32_e32 v64, v15, v62
	v_sub_f32_e32 v14, v16, v15
	v_mul_f32_e32 v16, v61, v64
	v_fma_f32 v56, v64, v61, -v16
	v_fmac_f32_e32 v56, v64, v10
	v_add_f32_e32 v63, v17, v14
	v_add_f32_e32 v14, v16, v56
	v_sub_f32_e32 v17, v15, v14
	v_pk_add_f32 v[58:59], v[14:15], v[16:17] neg_lo:[0,1] neg_hi:[0,1]
	v_mov_b32_e32 v57, v14
	v_pk_add_f32 v[14:15], v[58:59], v[56:57] neg_lo:[0,1] neg_hi:[0,1]
	v_add_f32_e32 v15, v63, v15
	v_add_f32_e32 v14, v14, v15
	;; [unrolled: 1-line block ×3, first 2 shown]
	v_mul_f32_e32 v63, v62, v15
	v_mul_f32_e32 v16, v61, v63
	v_fma_f32 v56, v63, v61, -v16
	v_fmac_f32_e32 v56, v63, v10
	v_sub_f32_e32 v10, v17, v15
	v_add_f32_e32 v10, v14, v10
	v_add_f32_e32 v14, v16, v56
	v_sub_f32_e32 v17, v15, v14
	v_pk_add_f32 v[58:59], v[14:15], v[16:17] neg_lo:[0,1] neg_hi:[0,1]
	v_mov_b32_e32 v57, v14
	v_pk_add_f32 v[14:15], v[58:59], v[56:57] neg_lo:[0,1] neg_hi:[0,1]
	v_add_f32_e32 v10, v10, v15
	v_add_f32_e32 v10, v14, v10
	;; [unrolled: 1-line block ×4, first 2 shown]
	v_sub_f32_e32 v15, v14, v64
	v_mul_f32_e32 v10, v62, v10
	v_sub_f32_e32 v15, v63, v15
	v_add_f32_e32 v10, v15, v10
	v_add_f32_e32 v17, v14, v10
	v_mul_f32_e32 v56, v17, v17
	v_mov_b32_e32 v16, 0x3ecc95a3
	v_fmac_f32_e32 v16, 0x3e9b6dac, v56
	v_mov_b32_e32 v15, 0x3f2aaada
	v_fmac_f32_e32 v15, v56, v16
	v_cvt_f32_i32_e32 v16, v60
	v_sub_f32_e32 v14, v17, v14
	v_sub_f32_e32 v10, v10, v14
	v_ldexp_f32 v57, v17, 1
	v_mul_f32_e32 v17, v17, v56
	v_mov_b32_e32 v14, 0x3f317218
	s_mov_b32 s60, 0x3f317218
	v_pk_mul_f32 v[14:15], v[16:17], v[14:15]
	v_fma_f32 v56, v16, s60, -v14
	v_fmac_f32_e32 v56, 0xb102e308, v16
	v_pk_add_f32 v[16:17], v[14:15], v[56:57]
	v_sub_f32_e32 v57, v17, v57
	v_ldexp_f32 v10, v10, 1
	v_sub_f32_e32 v57, v15, v57
	v_add_f32_e32 v59, v10, v57
	v_mov_b32_e32 v58, v14
	v_pk_add_f32 v[14:15], v[16:17], v[14:15] neg_lo:[0,1] neg_hi:[0,1]
	v_pk_add_f32 v[60:61], v[16:17], v[58:59]
	v_mov_b32_e32 v15, v61
	v_mov_b32_e32 v57, v16
	v_pk_add_f32 v[62:63], v[56:57], v[14:15] neg_lo:[0,1] neg_hi:[0,1]
	v_pk_add_f32 v[14:15], v[56:57], v[14:15]
	v_mov_b32_e32 v10, v15
	v_pk_add_f32 v[56:57], v[10:11], v[16:17] neg_lo:[0,1] neg_hi:[0,1]
	v_mov_b32_e32 v57, v56
	v_pk_add_f32 v[64:65], v[60:61], v[56:57] neg_lo:[0,1] neg_hi:[0,1]
	v_mov_b32_e32 v14, v61
	v_mov_b32_e32 v60, v17
	;; [unrolled: 1-line block ×4, first 2 shown]
	v_pk_add_f32 v[14:15], v[14:15], v[60:61] neg_lo:[0,1] neg_hi:[0,1]
	v_mov_b32_e32 v56, v59
	v_mov_b32_e32 v57, v16
	v_pk_add_f32 v[14:15], v[56:57], v[14:15] neg_lo:[0,1] neg_hi:[0,1]
	v_mov_b32_e32 v64, v62
	v_pk_add_f32 v[16:17], v[64:65], v[14:15]
	v_mov_b32_e32 v56, v17
	v_pk_add_f32 v[56:57], v[16:17], v[56:57]
	v_pk_add_f32 v[58:59], v[10:11], v[56:57]
	v_mov_b32_e32 v17, v58
	v_pk_add_f32 v[60:61], v[16:17], v[62:63] neg_lo:[0,1] neg_hi:[0,1]
	v_mov_b32_e32 v15, v56
	v_sub_f32_e32 v10, v16, v60
	v_pk_add_f32 v[14:15], v[14:15], v[60:61] neg_lo:[0,1] neg_hi:[0,1]
	v_sub_f32_e32 v10, v62, v10
	s_mov_b32 s61, 0x7f800000
	v_add_f32_e32 v10, v14, v10
	s_mov_b32 s60, 0x33800000
	v_add_f32_e32 v10, v10, v15
	v_cmp_eq_f32_e32 vcc, s61, v66
	v_cmp_lt_f32_e64 s[60:61], |v66|, s60
	v_add_f32_e32 v10, v58, v10
	s_or_b64 vcc, vcc, s[60:61]
	v_cndmask_b32_e32 v10, v10, v66, vcc
	v_add_f32_e32 v10, v9, v10
.LBB155_127:
	s_or_b64 exec, exec, s[36:37]
	v_mov_b32_e32 v15, v10
.LBB155_128:
	s_or_b64 exec, exec, s[58:59]
	v_mov_b32_e32 v9, 0
	s_movk_i32 s60, 0x1f8
	s_mov_b32 s61, 0x3fb8aa3b
	s_mov_b32 s64, 0xc2ce8ed0
	;; [unrolled: 1-line block ×5, first 2 shown]
	v_mov_b32_e32 v57, 0x3f2aaada
	s_mov_b32 s68, 0x3f317218
	s_mov_b32 s69, 0x33800000
	v_mov_b32_e32 v58, 2
	v_mov_b32_e32 v59, 0x7f800000
	;; [unrolled: 1-line block ×3, first 2 shown]
	s_branch .LBB155_130
.LBB155_129:                            ;   in Loop: Header=BB155_130 Depth=1
	s_or_b64 exec, exec, s[36:37]
	v_subrev_u32_e32 v8, 64, v8
.LBB155_130:                            ; =>This Loop Header: Depth=1
                                        ;     Child Loop BB155_133 Depth 2
	v_cmp_ne_u16_sdwa s[36:37], v11, v58 src0_sel:BYTE_0 src1_sel:DWORD
	s_waitcnt lgkmcnt(0)
	v_cndmask_b32_e64 v10, 0, 1, s[36:37]
	;;#ASMSTART
	;;#ASMEND
	v_cmp_ne_u32_e32 vcc, 0, v10
	s_cmp_lg_u64 vcc, exec
	v_mov_b32_e32 v56, v15
	s_cbranch_scc1 .LBB155_161
; %bb.131:                              ;   in Loop: Header=BB155_130 Depth=1
	v_lshlrev_b64 v[10:11], 3, v[8:9]
	v_mov_b32_e32 v15, s57
	v_add_co_u32_e32 v16, vcc, s56, v10
	v_addc_co_u32_e32 v17, vcc, v15, v11, vcc
	global_load_dwordx2 v[10:11], v[16:17], off glc
	s_waitcnt vmcnt(0)
	v_cmp_eq_u16_sdwa s[58:59], v11, v9 src0_sel:BYTE_0 src1_sel:DWORD
	s_and_saveexec_b64 s[36:37], s[58:59]
	s_cbranch_execz .LBB155_135
; %bb.132:                              ;   in Loop: Header=BB155_130 Depth=1
	s_mov_b64 s[58:59], 0
.LBB155_133:                            ;   Parent Loop BB155_130 Depth=1
                                        ; =>  This Inner Loop Header: Depth=2
	global_load_dwordx2 v[10:11], v[16:17], off glc
	s_waitcnt vmcnt(0)
	v_cmp_ne_u16_sdwa s[70:71], v11, v9 src0_sel:BYTE_0 src1_sel:DWORD
	s_or_b64 s[58:59], s[70:71], s[58:59]
	s_andn2_b64 exec, exec, s[58:59]
	s_cbranch_execnz .LBB155_133
; %bb.134:                              ;   in Loop: Header=BB155_130 Depth=1
	s_or_b64 exec, exec, s[58:59]
.LBB155_135:                            ;   in Loop: Header=BB155_130 Depth=1
	s_or_b64 exec, exec, s[36:37]
	v_cmp_eq_u16_sdwa s[36:37], v11, v58 src0_sel:BYTE_0 src1_sel:DWORD
	v_and_b32_e32 v15, s37, v13
	v_or_b32_e32 v15, 0x80000000, v15
	ds_bpermute_b32 v17, v45, v10
	v_and_b32_e32 v16, s36, v12
	v_ffbl_b32_e32 v15, v15
	v_add_u32_e32 v15, 32, v15
	v_ffbl_b32_e32 v16, v16
	v_min_u32_e32 v16, v16, v15
	v_cmp_lt_u32_e32 vcc, v7, v16
	v_mov_b32_e32 v15, v10
	s_and_saveexec_b64 s[58:59], vcc
	s_cbranch_execz .LBB155_139
; %bb.136:                              ;   in Loop: Header=BB155_130 Depth=1
	v_max_f32_e32 v60, v10, v10
	s_waitcnt lgkmcnt(0)
	v_max_f32_e32 v61, v17, v17
	v_min_f32_e32 v15, v61, v60
	v_cmp_u_f32_e32 vcc, v17, v17
	v_max_f32_e32 v60, v61, v60
	v_cndmask_b32_e32 v15, v15, v17, vcc
	v_cmp_u_f32_e64 s[36:37], v10, v10
	v_cndmask_b32_e32 v60, v60, v17, vcc
	v_cndmask_b32_e64 v15, v15, v10, s[36:37]
	v_cndmask_b32_e64 v10, v60, v10, s[36:37]
	v_cmp_neq_f32_e32 vcc, v15, v10
	v_cmp_class_f32_e64 s[36:37], v15, s60
	s_or_b64 s[70:71], vcc, s[36:37]
	s_and_saveexec_b64 s[36:37], s[70:71]
	s_cbranch_execz .LBB155_138
; %bb.137:                              ;   in Loop: Header=BB155_130 Depth=1
	v_sub_f32_e32 v15, v15, v10
	v_mul_f32_e32 v17, 0x3fb8aa3b, v15
	v_fma_f32 v60, v15, s61, -v17
	v_rndne_f32_e32 v61, v17
	v_fmac_f32_e32 v60, 0x32a5705f, v15
	v_sub_f32_e32 v17, v17, v61
	v_add_f32_e32 v17, v17, v60
	v_cvt_i32_f32_e32 v60, v61
	v_exp_f32_e32 v17, v17
	v_cmp_ngt_f32_e32 vcc, s64, v15
	v_ldexp_f32 v17, v17, v60
	v_cndmask_b32_e32 v17, 0, v17, vcc
	v_cmp_nlt_f32_e32 vcc, s65, v15
	v_cndmask_b32_e32 v17, v59, v17, vcc
	v_add_f32_e32 v15, 1.0, v17
	v_add_f32_e32 v60, -1.0, v15
	v_sub_f32_e32 v61, v60, v15
	v_add_f32_e32 v61, 1.0, v61
	v_sub_f32_e32 v60, v17, v60
	v_add_f32_e32 v62, v60, v61
	v_frexp_mant_f32_e32 v63, v15
	v_cvt_f64_f32_e32 v[60:61], v15
	v_frexp_exp_i32_f64_e32 v60, v[60:61]
	v_cmp_gt_f32_e32 vcc, s67, v63
	v_subbrev_co_u32_e32 v68, vcc, 0, v60, vcc
	v_sub_u32_e32 v60, 0, v68
	v_ldexp_f32 v15, v15, v60
	v_ldexp_f32 v60, v62, v60
	v_add_f32_e32 v62, -1.0, v15
	v_add_f32_e32 v61, 1.0, v62
	v_sub_f32_e32 v61, v15, v61
	v_add_f32_e32 v63, v60, v61
	v_add_f32_e32 v61, 1.0, v15
	v_add_f32_e32 v64, -1.0, v61
	v_sub_f32_e32 v15, v15, v64
	v_add_f32_e32 v15, v60, v15
	v_add_f32_e32 v69, v61, v15
	v_rcp_f32_e32 v70, v69
	v_sub_f32_e32 v60, v61, v69
	v_add_f32_e32 v61, v62, v63
	v_add_f32_e32 v15, v15, v60
	v_mul_f32_e32 v72, v61, v70
	v_sub_f32_e32 v60, v62, v61
	v_mul_f32_e32 v62, v69, v72
	v_fma_f32 v64, v72, v69, -v62
	v_fmac_f32_e32 v64, v72, v15
	v_add_f32_e32 v71, v63, v60
	v_add_f32_e32 v60, v62, v64
	v_sub_f32_e32 v63, v61, v60
	v_pk_add_f32 v[66:67], v[60:61], v[62:63] neg_lo:[0,1] neg_hi:[0,1]
	v_mov_b32_e32 v65, v60
	v_pk_add_f32 v[60:61], v[66:67], v[64:65] neg_lo:[0,1] neg_hi:[0,1]
	v_add_f32_e32 v61, v71, v61
	v_add_f32_e32 v60, v60, v61
	;; [unrolled: 1-line block ×3, first 2 shown]
	v_mul_f32_e32 v71, v70, v61
	v_mul_f32_e32 v62, v69, v71
	v_fma_f32 v64, v71, v69, -v62
	v_fmac_f32_e32 v64, v71, v15
	v_sub_f32_e32 v15, v63, v61
	v_add_f32_e32 v15, v60, v15
	v_add_f32_e32 v60, v62, v64
	v_sub_f32_e32 v63, v61, v60
	v_pk_add_f32 v[66:67], v[60:61], v[62:63] neg_lo:[0,1] neg_hi:[0,1]
	v_mov_b32_e32 v65, v60
	v_pk_add_f32 v[60:61], v[66:67], v[64:65] neg_lo:[0,1] neg_hi:[0,1]
	v_add_f32_e32 v15, v15, v61
	v_add_f32_e32 v15, v60, v15
	;; [unrolled: 1-line block ×4, first 2 shown]
	v_sub_f32_e32 v60, v61, v72
	v_mul_f32_e32 v15, v70, v15
	v_sub_f32_e32 v60, v71, v60
	v_add_f32_e32 v62, v60, v15
	v_add_f32_e32 v64, v61, v62
	v_cvt_f32_i32_e32 v60, v68
	v_mul_f32_e32 v65, v64, v64
	v_mov_b32_e32 v15, 0x3ecc95a3
	v_sub_f32_e32 v61, v64, v61
	v_fmac_f32_e32 v15, 0x3e9b6dac, v65
	v_sub_f32_e32 v61, v62, v61
	v_fma_f32 v15, v65, v15, v57
	v_ldexp_f32 v66, v61, 1
	v_mul_f32_e32 v61, v64, v65
	v_ldexp_f32 v63, v64, 1
	v_pk_mul_f32 v[64:65], v[60:61], v[14:15]
	v_fma_f32 v62, v60, s68, -v64
	v_fmac_f32_e32 v62, 0xb102e308, v60
	v_pk_add_f32 v[60:61], v[64:65], v[62:63]
	v_sub_f32_e32 v15, v61, v63
	v_sub_f32_e32 v15, v65, v15
	v_add_f32_e32 v67, v66, v15
	v_mov_b32_e32 v66, v64
	v_pk_add_f32 v[64:65], v[60:61], v[64:65] neg_lo:[0,1] neg_hi:[0,1]
	v_pk_add_f32 v[68:69], v[60:61], v[66:67]
	v_mov_b32_e32 v65, v69
	v_mov_b32_e32 v63, v60
	v_pk_add_f32 v[70:71], v[62:63], v[64:65] neg_lo:[0,1] neg_hi:[0,1]
	v_pk_add_f32 v[62:63], v[62:63], v[64:65]
	v_mov_b32_e32 v64, v63
	v_pk_add_f32 v[72:73], v[64:65], v[60:61] neg_lo:[0,1] neg_hi:[0,1]
	v_mov_b32_e32 v15, v72
	v_pk_add_f32 v[74:75], v[68:69], v[14:15] neg_lo:[0,1] neg_hi:[0,1]
	v_mov_b32_e32 v62, v69
	v_mov_b32_e32 v68, v61
	;; [unrolled: 1-line block ×4, first 2 shown]
	v_pk_add_f32 v[62:63], v[62:63], v[68:69] neg_lo:[0,1] neg_hi:[0,1]
	v_mov_b32_e32 v66, v67
	v_mov_b32_e32 v67, v60
	v_pk_add_f32 v[60:61], v[66:67], v[62:63] neg_lo:[0,1] neg_hi:[0,1]
	v_mov_b32_e32 v74, v70
	v_pk_add_f32 v[62:63], v[74:75], v[60:61]
	v_mov_b32_e32 v66, v63
	v_pk_add_f32 v[66:67], v[62:63], v[66:67]
	v_pk_add_f32 v[64:65], v[64:65], v[66:67]
	v_mov_b32_e32 v63, v64
	v_pk_add_f32 v[68:69], v[62:63], v[70:71] neg_lo:[0,1] neg_hi:[0,1]
	v_mov_b32_e32 v61, v66
	v_sub_f32_e32 v15, v62, v68
	v_pk_add_f32 v[60:61], v[60:61], v[68:69] neg_lo:[0,1] neg_hi:[0,1]
	v_sub_f32_e32 v15, v70, v15
	v_add_f32_e32 v15, v60, v15
	v_add_f32_e32 v15, v15, v61
	v_cmp_eq_f32_e32 vcc, s66, v17
	v_cmp_lt_f32_e64 s[70:71], |v17|, s69
	v_add_f32_e32 v15, v64, v15
	s_or_b64 vcc, vcc, s[70:71]
	v_cndmask_b32_e32 v15, v15, v17, vcc
	v_add_f32_e32 v17, v10, v15
.LBB155_138:                            ;   in Loop: Header=BB155_130 Depth=1
	s_or_b64 exec, exec, s[36:37]
	v_mov_b32_e32 v10, v17
	v_mov_b32_e32 v15, v17
.LBB155_139:                            ;   in Loop: Header=BB155_130 Depth=1
	s_or_b64 exec, exec, s[58:59]
	s_waitcnt lgkmcnt(0)
	ds_bpermute_b32 v17, v46, v10
	v_cmp_le_u32_e32 vcc, v47, v16
	s_and_saveexec_b64 s[58:59], vcc
	s_cbranch_execz .LBB155_143
; %bb.140:                              ;   in Loop: Header=BB155_130 Depth=1
	v_max_f32_e32 v10, v15, v15
	s_waitcnt lgkmcnt(0)
	v_max_f32_e32 v61, v17, v17
	v_min_f32_e32 v60, v61, v10
	v_cmp_u_f32_e32 vcc, v17, v17
	v_max_f32_e32 v10, v61, v10
	v_cndmask_b32_e32 v60, v60, v17, vcc
	v_cmp_u_f32_e64 s[36:37], v15, v15
	v_cndmask_b32_e32 v10, v10, v17, vcc
	v_cndmask_b32_e64 v60, v60, v15, s[36:37]
	v_cndmask_b32_e64 v10, v10, v15, s[36:37]
	v_cmp_neq_f32_e32 vcc, v60, v10
	v_cmp_class_f32_e64 s[36:37], v60, s60
	s_or_b64 s[70:71], vcc, s[36:37]
	s_and_saveexec_b64 s[36:37], s[70:71]
	s_cbranch_execz .LBB155_142
; %bb.141:                              ;   in Loop: Header=BB155_130 Depth=1
	v_sub_f32_e32 v15, v60, v10
	v_mul_f32_e32 v17, 0x3fb8aa3b, v15
	v_fma_f32 v60, v15, s61, -v17
	v_rndne_f32_e32 v61, v17
	v_fmac_f32_e32 v60, 0x32a5705f, v15
	v_sub_f32_e32 v17, v17, v61
	v_add_f32_e32 v17, v17, v60
	v_cvt_i32_f32_e32 v60, v61
	v_exp_f32_e32 v17, v17
	v_cmp_ngt_f32_e32 vcc, s64, v15
	v_ldexp_f32 v17, v17, v60
	v_cndmask_b32_e32 v17, 0, v17, vcc
	v_cmp_nlt_f32_e32 vcc, s65, v15
	v_cndmask_b32_e32 v17, v59, v17, vcc
	v_add_f32_e32 v15, 1.0, v17
	v_add_f32_e32 v60, -1.0, v15
	v_sub_f32_e32 v61, v60, v15
	v_add_f32_e32 v61, 1.0, v61
	v_sub_f32_e32 v60, v17, v60
	v_add_f32_e32 v62, v60, v61
	v_frexp_mant_f32_e32 v63, v15
	v_cvt_f64_f32_e32 v[60:61], v15
	v_frexp_exp_i32_f64_e32 v60, v[60:61]
	v_cmp_gt_f32_e32 vcc, s67, v63
	v_subbrev_co_u32_e32 v68, vcc, 0, v60, vcc
	v_sub_u32_e32 v60, 0, v68
	v_ldexp_f32 v15, v15, v60
	v_ldexp_f32 v60, v62, v60
	v_add_f32_e32 v62, -1.0, v15
	v_add_f32_e32 v61, 1.0, v62
	v_sub_f32_e32 v61, v15, v61
	v_add_f32_e32 v63, v60, v61
	v_add_f32_e32 v61, 1.0, v15
	v_add_f32_e32 v64, -1.0, v61
	v_sub_f32_e32 v15, v15, v64
	v_add_f32_e32 v15, v60, v15
	v_add_f32_e32 v69, v61, v15
	v_rcp_f32_e32 v70, v69
	v_sub_f32_e32 v60, v61, v69
	v_add_f32_e32 v61, v62, v63
	v_add_f32_e32 v15, v15, v60
	v_mul_f32_e32 v72, v61, v70
	v_sub_f32_e32 v60, v62, v61
	v_mul_f32_e32 v62, v69, v72
	v_fma_f32 v64, v72, v69, -v62
	v_fmac_f32_e32 v64, v72, v15
	v_add_f32_e32 v71, v63, v60
	v_add_f32_e32 v60, v62, v64
	v_sub_f32_e32 v63, v61, v60
	v_pk_add_f32 v[66:67], v[60:61], v[62:63] neg_lo:[0,1] neg_hi:[0,1]
	v_mov_b32_e32 v65, v60
	v_pk_add_f32 v[60:61], v[66:67], v[64:65] neg_lo:[0,1] neg_hi:[0,1]
	v_add_f32_e32 v61, v71, v61
	v_add_f32_e32 v60, v60, v61
	;; [unrolled: 1-line block ×3, first 2 shown]
	v_mul_f32_e32 v71, v70, v61
	v_mul_f32_e32 v62, v69, v71
	v_fma_f32 v64, v71, v69, -v62
	v_fmac_f32_e32 v64, v71, v15
	v_sub_f32_e32 v15, v63, v61
	v_add_f32_e32 v15, v60, v15
	v_add_f32_e32 v60, v62, v64
	v_sub_f32_e32 v63, v61, v60
	v_pk_add_f32 v[66:67], v[60:61], v[62:63] neg_lo:[0,1] neg_hi:[0,1]
	v_mov_b32_e32 v65, v60
	v_pk_add_f32 v[60:61], v[66:67], v[64:65] neg_lo:[0,1] neg_hi:[0,1]
	v_add_f32_e32 v15, v15, v61
	v_add_f32_e32 v15, v60, v15
	;; [unrolled: 1-line block ×4, first 2 shown]
	v_sub_f32_e32 v60, v61, v72
	v_mul_f32_e32 v15, v70, v15
	v_sub_f32_e32 v60, v71, v60
	v_add_f32_e32 v62, v60, v15
	v_add_f32_e32 v64, v61, v62
	v_cvt_f32_i32_e32 v60, v68
	v_mul_f32_e32 v65, v64, v64
	v_mov_b32_e32 v15, 0x3ecc95a3
	v_sub_f32_e32 v61, v64, v61
	v_fmac_f32_e32 v15, 0x3e9b6dac, v65
	v_sub_f32_e32 v61, v62, v61
	v_fma_f32 v15, v65, v15, v57
	v_ldexp_f32 v66, v61, 1
	v_mul_f32_e32 v61, v64, v65
	v_ldexp_f32 v63, v64, 1
	v_pk_mul_f32 v[64:65], v[60:61], v[14:15]
	v_fma_f32 v62, v60, s68, -v64
	v_fmac_f32_e32 v62, 0xb102e308, v60
	v_pk_add_f32 v[60:61], v[64:65], v[62:63]
	v_sub_f32_e32 v15, v61, v63
	v_sub_f32_e32 v15, v65, v15
	v_add_f32_e32 v67, v66, v15
	v_mov_b32_e32 v66, v64
	v_pk_add_f32 v[64:65], v[60:61], v[64:65] neg_lo:[0,1] neg_hi:[0,1]
	v_pk_add_f32 v[68:69], v[60:61], v[66:67]
	v_mov_b32_e32 v65, v69
	v_mov_b32_e32 v63, v60
	v_pk_add_f32 v[70:71], v[62:63], v[64:65] neg_lo:[0,1] neg_hi:[0,1]
	v_pk_add_f32 v[62:63], v[62:63], v[64:65]
	v_mov_b32_e32 v64, v63
	v_pk_add_f32 v[72:73], v[64:65], v[60:61] neg_lo:[0,1] neg_hi:[0,1]
	v_mov_b32_e32 v15, v72
	v_pk_add_f32 v[74:75], v[68:69], v[14:15] neg_lo:[0,1] neg_hi:[0,1]
	v_mov_b32_e32 v62, v69
	v_mov_b32_e32 v68, v61
	;; [unrolled: 1-line block ×4, first 2 shown]
	v_pk_add_f32 v[62:63], v[62:63], v[68:69] neg_lo:[0,1] neg_hi:[0,1]
	v_mov_b32_e32 v66, v67
	v_mov_b32_e32 v67, v60
	v_pk_add_f32 v[60:61], v[66:67], v[62:63] neg_lo:[0,1] neg_hi:[0,1]
	v_mov_b32_e32 v74, v70
	v_pk_add_f32 v[62:63], v[74:75], v[60:61]
	v_mov_b32_e32 v66, v63
	v_pk_add_f32 v[66:67], v[62:63], v[66:67]
	v_pk_add_f32 v[64:65], v[64:65], v[66:67]
	v_mov_b32_e32 v63, v64
	v_pk_add_f32 v[68:69], v[62:63], v[70:71] neg_lo:[0,1] neg_hi:[0,1]
	v_mov_b32_e32 v61, v66
	v_sub_f32_e32 v15, v62, v68
	v_pk_add_f32 v[60:61], v[60:61], v[68:69] neg_lo:[0,1] neg_hi:[0,1]
	v_sub_f32_e32 v15, v70, v15
	v_add_f32_e32 v15, v60, v15
	v_add_f32_e32 v15, v15, v61
	v_cmp_eq_f32_e32 vcc, s66, v17
	v_cmp_lt_f32_e64 s[70:71], |v17|, s69
	v_add_f32_e32 v15, v64, v15
	s_or_b64 vcc, vcc, s[70:71]
	v_cndmask_b32_e32 v15, v15, v17, vcc
	v_add_f32_e32 v17, v10, v15
.LBB155_142:                            ;   in Loop: Header=BB155_130 Depth=1
	s_or_b64 exec, exec, s[36:37]
	v_mov_b32_e32 v10, v17
	v_mov_b32_e32 v15, v17
.LBB155_143:                            ;   in Loop: Header=BB155_130 Depth=1
	s_or_b64 exec, exec, s[58:59]
	s_waitcnt lgkmcnt(0)
	ds_bpermute_b32 v17, v48, v10
	v_cmp_le_u32_e32 vcc, v49, v16
	s_and_saveexec_b64 s[58:59], vcc
	s_cbranch_execz .LBB155_147
; %bb.144:                              ;   in Loop: Header=BB155_130 Depth=1
	v_max_f32_e32 v10, v15, v15
	s_waitcnt lgkmcnt(0)
	v_max_f32_e32 v61, v17, v17
	v_min_f32_e32 v60, v61, v10
	v_cmp_u_f32_e32 vcc, v17, v17
	v_max_f32_e32 v10, v61, v10
	v_cndmask_b32_e32 v60, v60, v17, vcc
	v_cmp_u_f32_e64 s[36:37], v15, v15
	v_cndmask_b32_e32 v10, v10, v17, vcc
	v_cndmask_b32_e64 v60, v60, v15, s[36:37]
	v_cndmask_b32_e64 v10, v10, v15, s[36:37]
	v_cmp_neq_f32_e32 vcc, v60, v10
	v_cmp_class_f32_e64 s[36:37], v60, s60
	s_or_b64 s[70:71], vcc, s[36:37]
	s_and_saveexec_b64 s[36:37], s[70:71]
	s_cbranch_execz .LBB155_146
; %bb.145:                              ;   in Loop: Header=BB155_130 Depth=1
	v_sub_f32_e32 v15, v60, v10
	v_mul_f32_e32 v17, 0x3fb8aa3b, v15
	v_fma_f32 v60, v15, s61, -v17
	v_rndne_f32_e32 v61, v17
	v_fmac_f32_e32 v60, 0x32a5705f, v15
	v_sub_f32_e32 v17, v17, v61
	v_add_f32_e32 v17, v17, v60
	v_cvt_i32_f32_e32 v60, v61
	v_exp_f32_e32 v17, v17
	v_cmp_ngt_f32_e32 vcc, s64, v15
	v_ldexp_f32 v17, v17, v60
	v_cndmask_b32_e32 v17, 0, v17, vcc
	v_cmp_nlt_f32_e32 vcc, s65, v15
	v_cndmask_b32_e32 v17, v59, v17, vcc
	v_add_f32_e32 v15, 1.0, v17
	v_add_f32_e32 v60, -1.0, v15
	v_sub_f32_e32 v61, v60, v15
	v_add_f32_e32 v61, 1.0, v61
	v_sub_f32_e32 v60, v17, v60
	v_add_f32_e32 v62, v60, v61
	v_frexp_mant_f32_e32 v63, v15
	v_cvt_f64_f32_e32 v[60:61], v15
	v_frexp_exp_i32_f64_e32 v60, v[60:61]
	v_cmp_gt_f32_e32 vcc, s67, v63
	v_subbrev_co_u32_e32 v68, vcc, 0, v60, vcc
	v_sub_u32_e32 v60, 0, v68
	v_ldexp_f32 v15, v15, v60
	v_ldexp_f32 v60, v62, v60
	v_add_f32_e32 v62, -1.0, v15
	v_add_f32_e32 v61, 1.0, v62
	v_sub_f32_e32 v61, v15, v61
	v_add_f32_e32 v63, v60, v61
	v_add_f32_e32 v61, 1.0, v15
	v_add_f32_e32 v64, -1.0, v61
	v_sub_f32_e32 v15, v15, v64
	v_add_f32_e32 v15, v60, v15
	v_add_f32_e32 v69, v61, v15
	v_rcp_f32_e32 v70, v69
	v_sub_f32_e32 v60, v61, v69
	v_add_f32_e32 v61, v62, v63
	v_add_f32_e32 v15, v15, v60
	v_mul_f32_e32 v72, v61, v70
	v_sub_f32_e32 v60, v62, v61
	v_mul_f32_e32 v62, v69, v72
	v_fma_f32 v64, v72, v69, -v62
	v_fmac_f32_e32 v64, v72, v15
	v_add_f32_e32 v71, v63, v60
	v_add_f32_e32 v60, v62, v64
	v_sub_f32_e32 v63, v61, v60
	v_pk_add_f32 v[66:67], v[60:61], v[62:63] neg_lo:[0,1] neg_hi:[0,1]
	v_mov_b32_e32 v65, v60
	v_pk_add_f32 v[60:61], v[66:67], v[64:65] neg_lo:[0,1] neg_hi:[0,1]
	v_add_f32_e32 v61, v71, v61
	v_add_f32_e32 v60, v60, v61
	;; [unrolled: 1-line block ×3, first 2 shown]
	v_mul_f32_e32 v71, v70, v61
	v_mul_f32_e32 v62, v69, v71
	v_fma_f32 v64, v71, v69, -v62
	v_fmac_f32_e32 v64, v71, v15
	v_sub_f32_e32 v15, v63, v61
	v_add_f32_e32 v15, v60, v15
	v_add_f32_e32 v60, v62, v64
	v_sub_f32_e32 v63, v61, v60
	v_pk_add_f32 v[66:67], v[60:61], v[62:63] neg_lo:[0,1] neg_hi:[0,1]
	v_mov_b32_e32 v65, v60
	v_pk_add_f32 v[60:61], v[66:67], v[64:65] neg_lo:[0,1] neg_hi:[0,1]
	v_add_f32_e32 v15, v15, v61
	v_add_f32_e32 v15, v60, v15
	;; [unrolled: 1-line block ×4, first 2 shown]
	v_sub_f32_e32 v60, v61, v72
	v_mul_f32_e32 v15, v70, v15
	v_sub_f32_e32 v60, v71, v60
	v_add_f32_e32 v62, v60, v15
	v_add_f32_e32 v64, v61, v62
	v_cvt_f32_i32_e32 v60, v68
	v_mul_f32_e32 v65, v64, v64
	v_mov_b32_e32 v15, 0x3ecc95a3
	v_sub_f32_e32 v61, v64, v61
	v_fmac_f32_e32 v15, 0x3e9b6dac, v65
	v_sub_f32_e32 v61, v62, v61
	v_fma_f32 v15, v65, v15, v57
	v_ldexp_f32 v66, v61, 1
	v_mul_f32_e32 v61, v64, v65
	v_ldexp_f32 v63, v64, 1
	v_pk_mul_f32 v[64:65], v[60:61], v[14:15]
	v_fma_f32 v62, v60, s68, -v64
	v_fmac_f32_e32 v62, 0xb102e308, v60
	v_pk_add_f32 v[60:61], v[64:65], v[62:63]
	v_sub_f32_e32 v15, v61, v63
	v_sub_f32_e32 v15, v65, v15
	v_add_f32_e32 v67, v66, v15
	v_mov_b32_e32 v66, v64
	v_pk_add_f32 v[64:65], v[60:61], v[64:65] neg_lo:[0,1] neg_hi:[0,1]
	v_pk_add_f32 v[68:69], v[60:61], v[66:67]
	v_mov_b32_e32 v65, v69
	v_mov_b32_e32 v63, v60
	v_pk_add_f32 v[70:71], v[62:63], v[64:65] neg_lo:[0,1] neg_hi:[0,1]
	v_pk_add_f32 v[62:63], v[62:63], v[64:65]
	v_mov_b32_e32 v64, v63
	v_pk_add_f32 v[72:73], v[64:65], v[60:61] neg_lo:[0,1] neg_hi:[0,1]
	v_mov_b32_e32 v15, v72
	v_pk_add_f32 v[74:75], v[68:69], v[14:15] neg_lo:[0,1] neg_hi:[0,1]
	v_mov_b32_e32 v62, v69
	v_mov_b32_e32 v68, v61
	v_mov_b32_e32 v69, v72
	v_mov_b32_e32 v71, v63
	v_pk_add_f32 v[62:63], v[62:63], v[68:69] neg_lo:[0,1] neg_hi:[0,1]
	v_mov_b32_e32 v66, v67
	v_mov_b32_e32 v67, v60
	v_pk_add_f32 v[60:61], v[66:67], v[62:63] neg_lo:[0,1] neg_hi:[0,1]
	v_mov_b32_e32 v74, v70
	v_pk_add_f32 v[62:63], v[74:75], v[60:61]
	v_mov_b32_e32 v66, v63
	v_pk_add_f32 v[66:67], v[62:63], v[66:67]
	v_pk_add_f32 v[64:65], v[64:65], v[66:67]
	v_mov_b32_e32 v63, v64
	v_pk_add_f32 v[68:69], v[62:63], v[70:71] neg_lo:[0,1] neg_hi:[0,1]
	v_mov_b32_e32 v61, v66
	v_sub_f32_e32 v15, v62, v68
	v_pk_add_f32 v[60:61], v[60:61], v[68:69] neg_lo:[0,1] neg_hi:[0,1]
	v_sub_f32_e32 v15, v70, v15
	v_add_f32_e32 v15, v60, v15
	v_add_f32_e32 v15, v15, v61
	v_cmp_eq_f32_e32 vcc, s66, v17
	v_cmp_lt_f32_e64 s[70:71], |v17|, s69
	v_add_f32_e32 v15, v64, v15
	s_or_b64 vcc, vcc, s[70:71]
	v_cndmask_b32_e32 v15, v15, v17, vcc
	v_add_f32_e32 v17, v10, v15
.LBB155_146:                            ;   in Loop: Header=BB155_130 Depth=1
	s_or_b64 exec, exec, s[36:37]
	v_mov_b32_e32 v10, v17
	v_mov_b32_e32 v15, v17
.LBB155_147:                            ;   in Loop: Header=BB155_130 Depth=1
	s_or_b64 exec, exec, s[58:59]
	s_waitcnt lgkmcnt(0)
	ds_bpermute_b32 v17, v50, v10
	v_cmp_le_u32_e32 vcc, v51, v16
	s_and_saveexec_b64 s[58:59], vcc
	s_cbranch_execz .LBB155_151
; %bb.148:                              ;   in Loop: Header=BB155_130 Depth=1
	v_max_f32_e32 v10, v15, v15
	s_waitcnt lgkmcnt(0)
	v_max_f32_e32 v61, v17, v17
	v_min_f32_e32 v60, v61, v10
	v_cmp_u_f32_e32 vcc, v17, v17
	v_max_f32_e32 v10, v61, v10
	v_cndmask_b32_e32 v60, v60, v17, vcc
	v_cmp_u_f32_e64 s[36:37], v15, v15
	v_cndmask_b32_e32 v10, v10, v17, vcc
	v_cndmask_b32_e64 v60, v60, v15, s[36:37]
	v_cndmask_b32_e64 v10, v10, v15, s[36:37]
	v_cmp_neq_f32_e32 vcc, v60, v10
	v_cmp_class_f32_e64 s[36:37], v60, s60
	s_or_b64 s[70:71], vcc, s[36:37]
	s_and_saveexec_b64 s[36:37], s[70:71]
	s_cbranch_execz .LBB155_150
; %bb.149:                              ;   in Loop: Header=BB155_130 Depth=1
	v_sub_f32_e32 v15, v60, v10
	v_mul_f32_e32 v17, 0x3fb8aa3b, v15
	v_fma_f32 v60, v15, s61, -v17
	v_rndne_f32_e32 v61, v17
	v_fmac_f32_e32 v60, 0x32a5705f, v15
	v_sub_f32_e32 v17, v17, v61
	v_add_f32_e32 v17, v17, v60
	v_cvt_i32_f32_e32 v60, v61
	v_exp_f32_e32 v17, v17
	v_cmp_ngt_f32_e32 vcc, s64, v15
	v_ldexp_f32 v17, v17, v60
	v_cndmask_b32_e32 v17, 0, v17, vcc
	v_cmp_nlt_f32_e32 vcc, s65, v15
	v_cndmask_b32_e32 v17, v59, v17, vcc
	v_add_f32_e32 v15, 1.0, v17
	v_add_f32_e32 v60, -1.0, v15
	v_sub_f32_e32 v61, v60, v15
	v_add_f32_e32 v61, 1.0, v61
	v_sub_f32_e32 v60, v17, v60
	v_add_f32_e32 v62, v60, v61
	v_frexp_mant_f32_e32 v63, v15
	v_cvt_f64_f32_e32 v[60:61], v15
	v_frexp_exp_i32_f64_e32 v60, v[60:61]
	v_cmp_gt_f32_e32 vcc, s67, v63
	v_subbrev_co_u32_e32 v68, vcc, 0, v60, vcc
	v_sub_u32_e32 v60, 0, v68
	v_ldexp_f32 v15, v15, v60
	v_ldexp_f32 v60, v62, v60
	v_add_f32_e32 v62, -1.0, v15
	v_add_f32_e32 v61, 1.0, v62
	v_sub_f32_e32 v61, v15, v61
	v_add_f32_e32 v63, v60, v61
	v_add_f32_e32 v61, 1.0, v15
	v_add_f32_e32 v64, -1.0, v61
	v_sub_f32_e32 v15, v15, v64
	v_add_f32_e32 v15, v60, v15
	v_add_f32_e32 v69, v61, v15
	v_rcp_f32_e32 v70, v69
	v_sub_f32_e32 v60, v61, v69
	v_add_f32_e32 v61, v62, v63
	v_add_f32_e32 v15, v15, v60
	v_mul_f32_e32 v72, v61, v70
	v_sub_f32_e32 v60, v62, v61
	v_mul_f32_e32 v62, v69, v72
	v_fma_f32 v64, v72, v69, -v62
	v_fmac_f32_e32 v64, v72, v15
	v_add_f32_e32 v71, v63, v60
	v_add_f32_e32 v60, v62, v64
	v_sub_f32_e32 v63, v61, v60
	v_pk_add_f32 v[66:67], v[60:61], v[62:63] neg_lo:[0,1] neg_hi:[0,1]
	v_mov_b32_e32 v65, v60
	v_pk_add_f32 v[60:61], v[66:67], v[64:65] neg_lo:[0,1] neg_hi:[0,1]
	v_add_f32_e32 v61, v71, v61
	v_add_f32_e32 v60, v60, v61
	;; [unrolled: 1-line block ×3, first 2 shown]
	v_mul_f32_e32 v71, v70, v61
	v_mul_f32_e32 v62, v69, v71
	v_fma_f32 v64, v71, v69, -v62
	v_fmac_f32_e32 v64, v71, v15
	v_sub_f32_e32 v15, v63, v61
	v_add_f32_e32 v15, v60, v15
	v_add_f32_e32 v60, v62, v64
	v_sub_f32_e32 v63, v61, v60
	v_pk_add_f32 v[66:67], v[60:61], v[62:63] neg_lo:[0,1] neg_hi:[0,1]
	v_mov_b32_e32 v65, v60
	v_pk_add_f32 v[60:61], v[66:67], v[64:65] neg_lo:[0,1] neg_hi:[0,1]
	v_add_f32_e32 v15, v15, v61
	v_add_f32_e32 v15, v60, v15
	v_add_f32_e32 v61, v72, v71
	v_add_f32_e32 v15, v63, v15
	v_sub_f32_e32 v60, v61, v72
	v_mul_f32_e32 v15, v70, v15
	v_sub_f32_e32 v60, v71, v60
	v_add_f32_e32 v62, v60, v15
	v_add_f32_e32 v64, v61, v62
	v_cvt_f32_i32_e32 v60, v68
	v_mul_f32_e32 v65, v64, v64
	v_mov_b32_e32 v15, 0x3ecc95a3
	v_sub_f32_e32 v61, v64, v61
	v_fmac_f32_e32 v15, 0x3e9b6dac, v65
	v_sub_f32_e32 v61, v62, v61
	v_fma_f32 v15, v65, v15, v57
	v_ldexp_f32 v66, v61, 1
	v_mul_f32_e32 v61, v64, v65
	v_ldexp_f32 v63, v64, 1
	v_pk_mul_f32 v[64:65], v[60:61], v[14:15]
	v_fma_f32 v62, v60, s68, -v64
	v_fmac_f32_e32 v62, 0xb102e308, v60
	v_pk_add_f32 v[60:61], v[64:65], v[62:63]
	v_sub_f32_e32 v15, v61, v63
	v_sub_f32_e32 v15, v65, v15
	v_add_f32_e32 v67, v66, v15
	v_mov_b32_e32 v66, v64
	v_pk_add_f32 v[64:65], v[60:61], v[64:65] neg_lo:[0,1] neg_hi:[0,1]
	v_pk_add_f32 v[68:69], v[60:61], v[66:67]
	v_mov_b32_e32 v65, v69
	v_mov_b32_e32 v63, v60
	v_pk_add_f32 v[70:71], v[62:63], v[64:65] neg_lo:[0,1] neg_hi:[0,1]
	v_pk_add_f32 v[62:63], v[62:63], v[64:65]
	v_mov_b32_e32 v64, v63
	v_pk_add_f32 v[72:73], v[64:65], v[60:61] neg_lo:[0,1] neg_hi:[0,1]
	v_mov_b32_e32 v15, v72
	v_pk_add_f32 v[74:75], v[68:69], v[14:15] neg_lo:[0,1] neg_hi:[0,1]
	v_mov_b32_e32 v62, v69
	v_mov_b32_e32 v68, v61
	;; [unrolled: 1-line block ×4, first 2 shown]
	v_pk_add_f32 v[62:63], v[62:63], v[68:69] neg_lo:[0,1] neg_hi:[0,1]
	v_mov_b32_e32 v66, v67
	v_mov_b32_e32 v67, v60
	v_pk_add_f32 v[60:61], v[66:67], v[62:63] neg_lo:[0,1] neg_hi:[0,1]
	v_mov_b32_e32 v74, v70
	v_pk_add_f32 v[62:63], v[74:75], v[60:61]
	v_mov_b32_e32 v66, v63
	v_pk_add_f32 v[66:67], v[62:63], v[66:67]
	v_pk_add_f32 v[64:65], v[64:65], v[66:67]
	v_mov_b32_e32 v63, v64
	v_pk_add_f32 v[68:69], v[62:63], v[70:71] neg_lo:[0,1] neg_hi:[0,1]
	v_mov_b32_e32 v61, v66
	v_sub_f32_e32 v15, v62, v68
	v_pk_add_f32 v[60:61], v[60:61], v[68:69] neg_lo:[0,1] neg_hi:[0,1]
	v_sub_f32_e32 v15, v70, v15
	v_add_f32_e32 v15, v60, v15
	v_add_f32_e32 v15, v15, v61
	v_cmp_eq_f32_e32 vcc, s66, v17
	v_cmp_lt_f32_e64 s[70:71], |v17|, s69
	v_add_f32_e32 v15, v64, v15
	s_or_b64 vcc, vcc, s[70:71]
	v_cndmask_b32_e32 v15, v15, v17, vcc
	v_add_f32_e32 v17, v10, v15
.LBB155_150:                            ;   in Loop: Header=BB155_130 Depth=1
	s_or_b64 exec, exec, s[36:37]
	v_mov_b32_e32 v10, v17
	v_mov_b32_e32 v15, v17
.LBB155_151:                            ;   in Loop: Header=BB155_130 Depth=1
	s_or_b64 exec, exec, s[58:59]
	s_waitcnt lgkmcnt(0)
	ds_bpermute_b32 v17, v52, v10
	v_cmp_le_u32_e32 vcc, v53, v16
	s_and_saveexec_b64 s[58:59], vcc
	s_cbranch_execz .LBB155_155
; %bb.152:                              ;   in Loop: Header=BB155_130 Depth=1
	v_max_f32_e32 v10, v15, v15
	s_waitcnt lgkmcnt(0)
	v_max_f32_e32 v61, v17, v17
	v_min_f32_e32 v60, v61, v10
	v_cmp_u_f32_e32 vcc, v17, v17
	v_max_f32_e32 v10, v61, v10
	v_cndmask_b32_e32 v60, v60, v17, vcc
	v_cmp_u_f32_e64 s[36:37], v15, v15
	v_cndmask_b32_e32 v10, v10, v17, vcc
	v_cndmask_b32_e64 v60, v60, v15, s[36:37]
	v_cndmask_b32_e64 v10, v10, v15, s[36:37]
	v_cmp_neq_f32_e32 vcc, v60, v10
	v_cmp_class_f32_e64 s[36:37], v60, s60
	s_or_b64 s[70:71], vcc, s[36:37]
	s_and_saveexec_b64 s[36:37], s[70:71]
	s_cbranch_execz .LBB155_154
; %bb.153:                              ;   in Loop: Header=BB155_130 Depth=1
	v_sub_f32_e32 v15, v60, v10
	v_mul_f32_e32 v17, 0x3fb8aa3b, v15
	v_fma_f32 v60, v15, s61, -v17
	v_rndne_f32_e32 v61, v17
	v_fmac_f32_e32 v60, 0x32a5705f, v15
	v_sub_f32_e32 v17, v17, v61
	v_add_f32_e32 v17, v17, v60
	v_cvt_i32_f32_e32 v60, v61
	v_exp_f32_e32 v17, v17
	v_cmp_ngt_f32_e32 vcc, s64, v15
	v_ldexp_f32 v17, v17, v60
	v_cndmask_b32_e32 v17, 0, v17, vcc
	v_cmp_nlt_f32_e32 vcc, s65, v15
	v_cndmask_b32_e32 v17, v59, v17, vcc
	v_add_f32_e32 v15, 1.0, v17
	v_add_f32_e32 v60, -1.0, v15
	v_sub_f32_e32 v61, v60, v15
	v_add_f32_e32 v61, 1.0, v61
	v_sub_f32_e32 v60, v17, v60
	v_add_f32_e32 v62, v60, v61
	v_frexp_mant_f32_e32 v63, v15
	v_cvt_f64_f32_e32 v[60:61], v15
	v_frexp_exp_i32_f64_e32 v60, v[60:61]
	v_cmp_gt_f32_e32 vcc, s67, v63
	v_subbrev_co_u32_e32 v68, vcc, 0, v60, vcc
	v_sub_u32_e32 v60, 0, v68
	v_ldexp_f32 v15, v15, v60
	v_ldexp_f32 v60, v62, v60
	v_add_f32_e32 v62, -1.0, v15
	v_add_f32_e32 v61, 1.0, v62
	v_sub_f32_e32 v61, v15, v61
	v_add_f32_e32 v63, v60, v61
	v_add_f32_e32 v61, 1.0, v15
	v_add_f32_e32 v64, -1.0, v61
	v_sub_f32_e32 v15, v15, v64
	v_add_f32_e32 v15, v60, v15
	v_add_f32_e32 v69, v61, v15
	v_rcp_f32_e32 v70, v69
	v_sub_f32_e32 v60, v61, v69
	v_add_f32_e32 v61, v62, v63
	v_add_f32_e32 v15, v15, v60
	v_mul_f32_e32 v72, v61, v70
	v_sub_f32_e32 v60, v62, v61
	v_mul_f32_e32 v62, v69, v72
	v_fma_f32 v64, v72, v69, -v62
	v_fmac_f32_e32 v64, v72, v15
	v_add_f32_e32 v71, v63, v60
	v_add_f32_e32 v60, v62, v64
	v_sub_f32_e32 v63, v61, v60
	v_pk_add_f32 v[66:67], v[60:61], v[62:63] neg_lo:[0,1] neg_hi:[0,1]
	v_mov_b32_e32 v65, v60
	v_pk_add_f32 v[60:61], v[66:67], v[64:65] neg_lo:[0,1] neg_hi:[0,1]
	v_add_f32_e32 v61, v71, v61
	v_add_f32_e32 v60, v60, v61
	v_add_f32_e32 v61, v63, v60
	v_mul_f32_e32 v71, v70, v61
	v_mul_f32_e32 v62, v69, v71
	v_fma_f32 v64, v71, v69, -v62
	v_fmac_f32_e32 v64, v71, v15
	v_sub_f32_e32 v15, v63, v61
	v_add_f32_e32 v15, v60, v15
	v_add_f32_e32 v60, v62, v64
	v_sub_f32_e32 v63, v61, v60
	v_pk_add_f32 v[66:67], v[60:61], v[62:63] neg_lo:[0,1] neg_hi:[0,1]
	v_mov_b32_e32 v65, v60
	v_pk_add_f32 v[60:61], v[66:67], v[64:65] neg_lo:[0,1] neg_hi:[0,1]
	v_add_f32_e32 v15, v15, v61
	v_add_f32_e32 v15, v60, v15
	;; [unrolled: 1-line block ×4, first 2 shown]
	v_sub_f32_e32 v60, v61, v72
	v_mul_f32_e32 v15, v70, v15
	v_sub_f32_e32 v60, v71, v60
	v_add_f32_e32 v62, v60, v15
	v_add_f32_e32 v64, v61, v62
	v_cvt_f32_i32_e32 v60, v68
	v_mul_f32_e32 v65, v64, v64
	v_mov_b32_e32 v15, 0x3ecc95a3
	v_sub_f32_e32 v61, v64, v61
	v_fmac_f32_e32 v15, 0x3e9b6dac, v65
	v_sub_f32_e32 v61, v62, v61
	v_fma_f32 v15, v65, v15, v57
	v_ldexp_f32 v66, v61, 1
	v_mul_f32_e32 v61, v64, v65
	v_ldexp_f32 v63, v64, 1
	v_pk_mul_f32 v[64:65], v[60:61], v[14:15]
	v_fma_f32 v62, v60, s68, -v64
	v_fmac_f32_e32 v62, 0xb102e308, v60
	v_pk_add_f32 v[60:61], v[64:65], v[62:63]
	v_sub_f32_e32 v15, v61, v63
	v_sub_f32_e32 v15, v65, v15
	v_add_f32_e32 v67, v66, v15
	v_mov_b32_e32 v66, v64
	v_pk_add_f32 v[64:65], v[60:61], v[64:65] neg_lo:[0,1] neg_hi:[0,1]
	v_pk_add_f32 v[68:69], v[60:61], v[66:67]
	v_mov_b32_e32 v65, v69
	v_mov_b32_e32 v63, v60
	v_pk_add_f32 v[70:71], v[62:63], v[64:65] neg_lo:[0,1] neg_hi:[0,1]
	v_pk_add_f32 v[62:63], v[62:63], v[64:65]
	v_mov_b32_e32 v64, v63
	v_pk_add_f32 v[72:73], v[64:65], v[60:61] neg_lo:[0,1] neg_hi:[0,1]
	v_mov_b32_e32 v15, v72
	v_pk_add_f32 v[74:75], v[68:69], v[14:15] neg_lo:[0,1] neg_hi:[0,1]
	v_mov_b32_e32 v62, v69
	v_mov_b32_e32 v68, v61
	v_mov_b32_e32 v69, v72
	v_mov_b32_e32 v71, v63
	v_pk_add_f32 v[62:63], v[62:63], v[68:69] neg_lo:[0,1] neg_hi:[0,1]
	v_mov_b32_e32 v66, v67
	v_mov_b32_e32 v67, v60
	v_pk_add_f32 v[60:61], v[66:67], v[62:63] neg_lo:[0,1] neg_hi:[0,1]
	v_mov_b32_e32 v74, v70
	v_pk_add_f32 v[62:63], v[74:75], v[60:61]
	v_mov_b32_e32 v66, v63
	v_pk_add_f32 v[66:67], v[62:63], v[66:67]
	v_pk_add_f32 v[64:65], v[64:65], v[66:67]
	v_mov_b32_e32 v63, v64
	v_pk_add_f32 v[68:69], v[62:63], v[70:71] neg_lo:[0,1] neg_hi:[0,1]
	v_mov_b32_e32 v61, v66
	v_sub_f32_e32 v15, v62, v68
	v_pk_add_f32 v[60:61], v[60:61], v[68:69] neg_lo:[0,1] neg_hi:[0,1]
	v_sub_f32_e32 v15, v70, v15
	v_add_f32_e32 v15, v60, v15
	v_add_f32_e32 v15, v15, v61
	v_cmp_eq_f32_e32 vcc, s66, v17
	v_cmp_lt_f32_e64 s[70:71], |v17|, s69
	v_add_f32_e32 v15, v64, v15
	s_or_b64 vcc, vcc, s[70:71]
	v_cndmask_b32_e32 v15, v15, v17, vcc
	v_add_f32_e32 v17, v10, v15
.LBB155_154:                            ;   in Loop: Header=BB155_130 Depth=1
	s_or_b64 exec, exec, s[36:37]
	v_mov_b32_e32 v10, v17
	v_mov_b32_e32 v15, v17
.LBB155_155:                            ;   in Loop: Header=BB155_130 Depth=1
	s_or_b64 exec, exec, s[58:59]
	s_waitcnt lgkmcnt(0)
	ds_bpermute_b32 v17, v54, v10
	v_cmp_le_u32_e32 vcc, v55, v16
	s_and_saveexec_b64 s[58:59], vcc
	s_cbranch_execz .LBB155_159
; %bb.156:                              ;   in Loop: Header=BB155_130 Depth=1
	v_max_f32_e32 v10, v15, v15
	s_waitcnt lgkmcnt(0)
	v_max_f32_e32 v60, v17, v17
	v_min_f32_e32 v16, v60, v10
	v_cmp_u_f32_e32 vcc, v17, v17
	v_max_f32_e32 v10, v60, v10
	v_cndmask_b32_e32 v16, v16, v17, vcc
	v_cmp_u_f32_e64 s[36:37], v15, v15
	v_cndmask_b32_e32 v10, v10, v17, vcc
	v_cndmask_b32_e64 v16, v16, v15, s[36:37]
	v_cndmask_b32_e64 v10, v10, v15, s[36:37]
	v_cmp_neq_f32_e32 vcc, v16, v10
	v_cmp_class_f32_e64 s[36:37], v16, s60
	s_or_b64 s[70:71], vcc, s[36:37]
	s_and_saveexec_b64 s[36:37], s[70:71]
	s_cbranch_execz .LBB155_158
; %bb.157:                              ;   in Loop: Header=BB155_130 Depth=1
	v_sub_f32_e32 v15, v16, v10
	v_mul_f32_e32 v16, 0x3fb8aa3b, v15
	v_fma_f32 v17, v15, s61, -v16
	v_rndne_f32_e32 v60, v16
	v_fmac_f32_e32 v17, 0x32a5705f, v15
	v_sub_f32_e32 v16, v16, v60
	v_add_f32_e32 v16, v16, v17
	v_cvt_i32_f32_e32 v17, v60
	v_exp_f32_e32 v16, v16
	v_cmp_ngt_f32_e32 vcc, s64, v15
	v_ldexp_f32 v16, v16, v17
	v_cndmask_b32_e32 v16, 0, v16, vcc
	v_cmp_nlt_f32_e32 vcc, s65, v15
	v_cndmask_b32_e32 v74, v59, v16, vcc
	v_add_f32_e32 v15, 1.0, v74
	v_add_f32_e32 v16, -1.0, v15
	v_sub_f32_e32 v17, v16, v15
	v_add_f32_e32 v17, 1.0, v17
	v_sub_f32_e32 v16, v74, v16
	v_add_f32_e32 v60, v16, v17
	v_frexp_mant_f32_e32 v61, v15
	v_cvt_f64_f32_e32 v[16:17], v15
	v_frexp_exp_i32_f64_e32 v16, v[16:17]
	v_cmp_gt_f32_e32 vcc, s67, v61
	v_subbrev_co_u32_e32 v66, vcc, 0, v16, vcc
	v_sub_u32_e32 v16, 0, v66
	v_ldexp_f32 v15, v15, v16
	v_ldexp_f32 v16, v60, v16
	v_add_f32_e32 v60, -1.0, v15
	v_add_f32_e32 v17, 1.0, v60
	v_sub_f32_e32 v17, v15, v17
	v_add_f32_e32 v61, v16, v17
	v_add_f32_e32 v17, 1.0, v15
	v_add_f32_e32 v62, -1.0, v17
	v_sub_f32_e32 v15, v15, v62
	v_add_f32_e32 v15, v16, v15
	v_add_f32_e32 v67, v17, v15
	v_rcp_f32_e32 v68, v67
	v_sub_f32_e32 v16, v17, v67
	v_add_f32_e32 v17, v60, v61
	v_add_f32_e32 v15, v15, v16
	v_mul_f32_e32 v70, v17, v68
	v_sub_f32_e32 v16, v60, v17
	v_mul_f32_e32 v60, v67, v70
	v_fma_f32 v62, v70, v67, -v60
	v_fmac_f32_e32 v62, v70, v15
	v_add_f32_e32 v69, v61, v16
	v_add_f32_e32 v16, v60, v62
	v_sub_f32_e32 v61, v17, v16
	v_pk_add_f32 v[64:65], v[16:17], v[60:61] neg_lo:[0,1] neg_hi:[0,1]
	v_mov_b32_e32 v63, v16
	v_pk_add_f32 v[16:17], v[64:65], v[62:63] neg_lo:[0,1] neg_hi:[0,1]
	v_add_f32_e32 v17, v69, v17
	v_add_f32_e32 v16, v16, v17
	;; [unrolled: 1-line block ×3, first 2 shown]
	v_mul_f32_e32 v69, v68, v17
	v_mul_f32_e32 v60, v67, v69
	v_fma_f32 v62, v69, v67, -v60
	v_fmac_f32_e32 v62, v69, v15
	v_sub_f32_e32 v15, v61, v17
	v_add_f32_e32 v15, v16, v15
	v_add_f32_e32 v16, v60, v62
	v_sub_f32_e32 v61, v17, v16
	v_pk_add_f32 v[64:65], v[16:17], v[60:61] neg_lo:[0,1] neg_hi:[0,1]
	v_mov_b32_e32 v63, v16
	v_pk_add_f32 v[16:17], v[64:65], v[62:63] neg_lo:[0,1] neg_hi:[0,1]
	v_add_f32_e32 v15, v15, v17
	v_add_f32_e32 v15, v16, v15
	;; [unrolled: 1-line block ×4, first 2 shown]
	v_sub_f32_e32 v16, v17, v70
	v_mul_f32_e32 v15, v68, v15
	v_sub_f32_e32 v16, v69, v16
	v_add_f32_e32 v60, v16, v15
	v_add_f32_e32 v62, v17, v60
	v_cvt_f32_i32_e32 v16, v66
	v_mul_f32_e32 v63, v62, v62
	v_mov_b32_e32 v15, 0x3ecc95a3
	v_sub_f32_e32 v17, v62, v17
	v_fmac_f32_e32 v15, 0x3e9b6dac, v63
	v_sub_f32_e32 v17, v60, v17
	v_fma_f32 v15, v63, v15, v57
	v_ldexp_f32 v64, v17, 1
	v_mul_f32_e32 v17, v62, v63
	v_ldexp_f32 v61, v62, 1
	v_pk_mul_f32 v[62:63], v[16:17], v[14:15]
	v_fma_f32 v60, v16, s68, -v62
	v_fmac_f32_e32 v60, 0xb102e308, v16
	v_pk_add_f32 v[16:17], v[62:63], v[60:61]
	v_sub_f32_e32 v15, v17, v61
	v_sub_f32_e32 v15, v63, v15
	v_add_f32_e32 v65, v64, v15
	v_mov_b32_e32 v64, v62
	v_pk_add_f32 v[62:63], v[16:17], v[62:63] neg_lo:[0,1] neg_hi:[0,1]
	v_pk_add_f32 v[66:67], v[16:17], v[64:65]
	v_mov_b32_e32 v63, v67
	v_mov_b32_e32 v61, v16
	v_pk_add_f32 v[68:69], v[60:61], v[62:63] neg_lo:[0,1] neg_hi:[0,1]
	v_pk_add_f32 v[60:61], v[60:61], v[62:63]
	v_mov_b32_e32 v62, v61
	v_pk_add_f32 v[70:71], v[62:63], v[16:17] neg_lo:[0,1] neg_hi:[0,1]
	v_mov_b32_e32 v15, v70
	v_pk_add_f32 v[72:73], v[66:67], v[14:15] neg_lo:[0,1] neg_hi:[0,1]
	v_mov_b32_e32 v60, v67
	v_mov_b32_e32 v66, v17
	;; [unrolled: 1-line block ×4, first 2 shown]
	v_pk_add_f32 v[60:61], v[60:61], v[66:67] neg_lo:[0,1] neg_hi:[0,1]
	v_mov_b32_e32 v64, v65
	v_mov_b32_e32 v65, v16
	v_pk_add_f32 v[16:17], v[64:65], v[60:61] neg_lo:[0,1] neg_hi:[0,1]
	v_mov_b32_e32 v72, v68
	v_pk_add_f32 v[60:61], v[72:73], v[16:17]
	v_mov_b32_e32 v64, v61
	v_pk_add_f32 v[64:65], v[60:61], v[64:65]
	v_pk_add_f32 v[62:63], v[62:63], v[64:65]
	v_mov_b32_e32 v61, v62
	v_pk_add_f32 v[66:67], v[60:61], v[68:69] neg_lo:[0,1] neg_hi:[0,1]
	v_mov_b32_e32 v17, v64
	v_sub_f32_e32 v15, v60, v66
	v_pk_add_f32 v[16:17], v[16:17], v[66:67] neg_lo:[0,1] neg_hi:[0,1]
	v_sub_f32_e32 v15, v68, v15
	v_add_f32_e32 v15, v16, v15
	v_add_f32_e32 v15, v15, v17
	v_cmp_eq_f32_e32 vcc, s66, v74
	v_cmp_lt_f32_e64 s[70:71], |v74|, s69
	v_add_f32_e32 v15, v62, v15
	s_or_b64 vcc, vcc, s[70:71]
	v_cndmask_b32_e32 v15, v15, v74, vcc
	v_add_f32_e32 v17, v10, v15
.LBB155_158:                            ;   in Loop: Header=BB155_130 Depth=1
	s_or_b64 exec, exec, s[36:37]
	v_mov_b32_e32 v15, v17
.LBB155_159:                            ;   in Loop: Header=BB155_130 Depth=1
	s_or_b64 exec, exec, s[58:59]
	v_max_f32_e32 v10, v56, v56
	s_waitcnt lgkmcnt(0)
	v_max_f32_e32 v17, v15, v15
	v_min_f32_e32 v16, v17, v10
	v_cmp_u_f32_e32 vcc, v15, v15
	v_max_f32_e32 v10, v17, v10
	v_cndmask_b32_e32 v16, v16, v15, vcc
	v_cmp_u_f32_e64 s[36:37], v56, v56
	v_cndmask_b32_e32 v10, v10, v15, vcc
	v_cndmask_b32_e64 v16, v16, v56, s[36:37]
	v_cndmask_b32_e64 v10, v10, v56, s[36:37]
	v_cmp_neq_f32_e32 vcc, v16, v10
	v_cmp_class_f32_e64 s[36:37], v16, s60
	s_or_b64 s[36:37], vcc, s[36:37]
	s_and_saveexec_b64 s[58:59], s[36:37]
	s_xor_b64 s[36:37], exec, s[58:59]
	s_cbranch_execz .LBB155_129
; %bb.160:                              ;   in Loop: Header=BB155_130 Depth=1
	v_sub_f32_e32 v15, v16, v10
	v_mul_f32_e32 v16, 0x3fb8aa3b, v15
	v_fma_f32 v17, v15, s61, -v16
	v_rndne_f32_e32 v60, v16
	v_fmac_f32_e32 v17, 0x32a5705f, v15
	v_sub_f32_e32 v16, v16, v60
	v_add_f32_e32 v16, v16, v17
	v_cvt_i32_f32_e32 v17, v60
	v_exp_f32_e32 v16, v16
	v_cmp_ngt_f32_e32 vcc, s64, v15
	v_ldexp_f32 v16, v16, v17
	v_cndmask_b32_e32 v16, 0, v16, vcc
	v_cmp_nlt_f32_e32 vcc, s65, v15
	v_cndmask_b32_e32 v74, v59, v16, vcc
	v_add_f32_e32 v15, 1.0, v74
	v_add_f32_e32 v16, -1.0, v15
	v_sub_f32_e32 v17, v16, v15
	v_add_f32_e32 v17, 1.0, v17
	v_sub_f32_e32 v16, v74, v16
	v_add_f32_e32 v60, v16, v17
	v_frexp_mant_f32_e32 v61, v15
	v_cvt_f64_f32_e32 v[16:17], v15
	v_frexp_exp_i32_f64_e32 v16, v[16:17]
	v_cmp_gt_f32_e32 vcc, s67, v61
	v_subbrev_co_u32_e32 v16, vcc, 0, v16, vcc
	v_sub_u32_e32 v17, 0, v16
	v_ldexp_f32 v15, v15, v17
	v_ldexp_f32 v17, v60, v17
	v_add_f32_e32 v60, -1.0, v15
	v_add_f32_e32 v63, 1.0, v15
	v_add_f32_e32 v61, 1.0, v60
	v_add_f32_e32 v64, -1.0, v63
	v_sub_f32_e32 v61, v15, v61
	v_sub_f32_e32 v15, v15, v64
	v_add_f32_e32 v15, v17, v15
	v_add_f32_e32 v61, v17, v61
	;; [unrolled: 1-line block ×3, first 2 shown]
	v_rcp_f32_e32 v64, v17
	v_add_f32_e32 v62, v60, v61
	v_sub_f32_e32 v60, v60, v62
	v_add_f32_e32 v60, v61, v60
	v_sub_f32_e32 v61, v63, v17
	v_add_f32_e32 v15, v15, v61
	v_mul_f32_e32 v61, v62, v64
	v_mul_f32_e32 v63, v17, v61
	v_fma_f32 v65, v61, v17, -v63
	v_fmac_f32_e32 v65, v61, v15
	v_add_f32_e32 v66, v63, v65
	v_sub_f32_e32 v67, v62, v66
	v_sub_f32_e32 v62, v62, v67
	;; [unrolled: 1-line block ×4, first 2 shown]
	v_add_f32_e32 v60, v60, v62
	v_sub_f32_e32 v62, v63, v65
	v_add_f32_e32 v60, v62, v60
	v_add_f32_e32 v62, v67, v60
	v_mul_f32_e32 v63, v64, v62
	v_mul_f32_e32 v65, v17, v63
	v_fma_f32 v17, v63, v17, -v65
	v_fmac_f32_e32 v17, v63, v15
	v_sub_f32_e32 v15, v67, v62
	v_add_f32_e32 v15, v60, v15
	v_add_f32_e32 v60, v65, v17
	v_sub_f32_e32 v66, v62, v60
	v_sub_f32_e32 v62, v62, v66
	;; [unrolled: 1-line block ×4, first 2 shown]
	v_add_f32_e32 v15, v15, v60
	v_sub_f32_e32 v17, v65, v17
	v_add_f32_e32 v15, v17, v15
	v_add_f32_e32 v17, v61, v63
	;; [unrolled: 1-line block ×3, first 2 shown]
	v_sub_f32_e32 v60, v17, v61
	v_mul_f32_e32 v15, v64, v15
	v_sub_f32_e32 v60, v63, v60
	v_add_f32_e32 v60, v60, v15
	v_add_f32_e32 v62, v17, v60
	v_cvt_f32_i32_e32 v16, v16
	v_mul_f32_e32 v63, v62, v62
	v_mov_b32_e32 v15, 0x3ecc95a3
	v_sub_f32_e32 v17, v62, v17
	v_fmac_f32_e32 v15, 0x3e9b6dac, v63
	v_sub_f32_e32 v17, v60, v17
	v_fma_f32 v15, v63, v15, v57
	v_ldexp_f32 v64, v17, 1
	v_mul_f32_e32 v17, v62, v63
	v_ldexp_f32 v61, v62, 1
	v_pk_mul_f32 v[62:63], v[16:17], v[14:15]
	v_fma_f32 v60, v16, s68, -v62
	v_fmac_f32_e32 v60, 0xb102e308, v16
	v_pk_add_f32 v[16:17], v[62:63], v[60:61]
	v_sub_f32_e32 v15, v17, v61
	v_sub_f32_e32 v15, v63, v15
	v_add_f32_e32 v65, v64, v15
	v_mov_b32_e32 v64, v62
	v_pk_add_f32 v[62:63], v[16:17], v[62:63] neg_lo:[0,1] neg_hi:[0,1]
	v_pk_add_f32 v[66:67], v[16:17], v[64:65]
	v_mov_b32_e32 v63, v67
	v_mov_b32_e32 v61, v16
	v_pk_add_f32 v[68:69], v[60:61], v[62:63] neg_lo:[0,1] neg_hi:[0,1]
	v_pk_add_f32 v[60:61], v[60:61], v[62:63]
	v_mov_b32_e32 v62, v61
	v_pk_add_f32 v[70:71], v[62:63], v[16:17] neg_lo:[0,1] neg_hi:[0,1]
	v_mov_b32_e32 v15, v70
	v_pk_add_f32 v[72:73], v[66:67], v[14:15] neg_lo:[0,1] neg_hi:[0,1]
	v_mov_b32_e32 v60, v67
	v_mov_b32_e32 v66, v17
	;; [unrolled: 1-line block ×4, first 2 shown]
	v_pk_add_f32 v[60:61], v[60:61], v[66:67] neg_lo:[0,1] neg_hi:[0,1]
	v_mov_b32_e32 v64, v65
	v_mov_b32_e32 v65, v16
	v_pk_add_f32 v[16:17], v[64:65], v[60:61] neg_lo:[0,1] neg_hi:[0,1]
	v_mov_b32_e32 v72, v68
	v_pk_add_f32 v[60:61], v[72:73], v[16:17]
	v_mov_b32_e32 v64, v61
	v_pk_add_f32 v[64:65], v[60:61], v[64:65]
	v_pk_add_f32 v[62:63], v[62:63], v[64:65]
	v_mov_b32_e32 v61, v62
	v_pk_add_f32 v[66:67], v[60:61], v[68:69] neg_lo:[0,1] neg_hi:[0,1]
	v_mov_b32_e32 v17, v64
	v_sub_f32_e32 v15, v60, v66
	v_pk_add_f32 v[16:17], v[16:17], v[66:67] neg_lo:[0,1] neg_hi:[0,1]
	v_sub_f32_e32 v15, v68, v15
	v_add_f32_e32 v15, v16, v15
	v_add_f32_e32 v15, v15, v17
	v_cmp_eq_f32_e32 vcc, s66, v74
	v_cmp_lt_f32_e64 s[58:59], |v74|, s69
	v_add_f32_e32 v15, v62, v15
	s_or_b64 vcc, vcc, s[58:59]
	v_cndmask_b32_e32 v15, v15, v74, vcc
	v_add_f32_e32 v15, v10, v15
	s_branch .LBB155_129
.LBB155_161:                            ;   in Loop: Header=BB155_130 Depth=1
                                        ; implicit-def: $vgpr15
                                        ; implicit-def: $vgpr11
	s_cbranch_execz .LBB155_130
; %bb.162:
	s_and_saveexec_b64 s[36:37], s[34:35]
	s_cbranch_execz .LBB155_166
; %bb.163:
	v_max_f32_e32 v7, v6, v6
	v_max_f32_e32 v9, v56, v56
	v_min_f32_e32 v8, v9, v7
	v_cmp_u_f32_e32 vcc, v56, v56
	v_max_f32_e32 v7, v9, v7
	v_cndmask_b32_e32 v8, v8, v56, vcc
	v_cmp_u_f32_e64 s[34:35], v6, v6
	v_cndmask_b32_e32 v7, v7, v56, vcc
	v_cndmask_b32_e64 v8, v8, v6, s[34:35]
	v_cndmask_b32_e64 v7, v7, v6, s[34:35]
	s_movk_i32 s34, 0x1f8
	v_cmp_neq_f32_e32 vcc, v8, v7
	v_cmp_class_f32_e64 s[34:35], v8, s34
	s_or_b64 s[58:59], vcc, s[34:35]
	v_mov_b32_e32 v6, v56
	s_and_saveexec_b64 s[34:35], s[58:59]
	s_cbranch_execz .LBB155_165
; %bb.164:
	v_sub_f32_e32 v6, v8, v7
	s_mov_b32 s58, 0x3fb8aa3b
	v_mul_f32_e32 v8, 0x3fb8aa3b, v6
	v_fma_f32 v9, v6, s58, -v8
	v_rndne_f32_e32 v10, v8
	v_fmac_f32_e32 v9, 0x32a5705f, v6
	v_sub_f32_e32 v8, v8, v10
	v_add_f32_e32 v8, v8, v9
	v_exp_f32_e32 v8, v8
	v_cvt_i32_f32_e32 v9, v10
	s_mov_b32 s58, 0xc2ce8ed0
	v_cmp_ngt_f32_e32 vcc, s58, v6
	s_mov_b32 s58, 0x42b17218
	v_ldexp_f32 v8, v8, v9
	v_cndmask_b32_e32 v8, 0, v8, vcc
	v_mov_b32_e32 v9, 0x7f800000
	v_cmp_nlt_f32_e32 vcc, s58, v6
	v_cndmask_b32_e32 v45, v9, v8, vcc
	v_add_f32_e32 v6, 1.0, v45
	v_add_f32_e32 v8, -1.0, v6
	v_sub_f32_e32 v9, v8, v6
	v_add_f32_e32 v9, 1.0, v9
	v_sub_f32_e32 v8, v45, v8
	v_add_f32_e32 v10, v8, v9
	v_frexp_mant_f32_e32 v11, v6
	s_mov_b32 s58, 0x3f2aaaab
	v_cvt_f64_f32_e32 v[8:9], v6
	v_frexp_exp_i32_f64_e32 v8, v[8:9]
	v_cmp_gt_f32_e32 vcc, s58, v11
	v_subbrev_co_u32_e32 v16, vcc, 0, v8, vcc
	v_sub_u32_e32 v8, 0, v16
	v_ldexp_f32 v6, v6, v8
	v_ldexp_f32 v8, v10, v8
	v_add_f32_e32 v10, -1.0, v6
	v_add_f32_e32 v9, 1.0, v10
	v_sub_f32_e32 v9, v6, v9
	v_add_f32_e32 v11, v8, v9
	v_add_f32_e32 v9, 1.0, v6
	v_add_f32_e32 v12, -1.0, v9
	v_sub_f32_e32 v6, v6, v12
	v_add_f32_e32 v6, v8, v6
	v_add_f32_e32 v17, v9, v6
	v_rcp_f32_e32 v46, v17
	v_sub_f32_e32 v8, v9, v17
	v_add_f32_e32 v9, v10, v11
	v_add_f32_e32 v6, v6, v8
	v_mul_f32_e32 v48, v9, v46
	v_sub_f32_e32 v8, v10, v9
	v_mul_f32_e32 v10, v17, v48
	v_fma_f32 v12, v48, v17, -v10
	v_fmac_f32_e32 v12, v48, v6
	v_add_f32_e32 v47, v11, v8
	v_add_f32_e32 v8, v10, v12
	v_sub_f32_e32 v11, v9, v8
	v_pk_add_f32 v[14:15], v[8:9], v[10:11] neg_lo:[0,1] neg_hi:[0,1]
	v_mov_b32_e32 v13, v8
	v_pk_add_f32 v[8:9], v[14:15], v[12:13] neg_lo:[0,1] neg_hi:[0,1]
	v_add_f32_e32 v9, v47, v9
	v_add_f32_e32 v8, v8, v9
	;; [unrolled: 1-line block ×3, first 2 shown]
	v_mul_f32_e32 v47, v46, v9
	v_mul_f32_e32 v10, v17, v47
	v_fma_f32 v12, v47, v17, -v10
	v_fmac_f32_e32 v12, v47, v6
	v_sub_f32_e32 v6, v11, v9
	v_add_f32_e32 v6, v8, v6
	v_add_f32_e32 v8, v10, v12
	v_sub_f32_e32 v11, v9, v8
	v_pk_add_f32 v[14:15], v[8:9], v[10:11] neg_lo:[0,1] neg_hi:[0,1]
	v_mov_b32_e32 v13, v8
	v_pk_add_f32 v[8:9], v[14:15], v[12:13] neg_lo:[0,1] neg_hi:[0,1]
	v_add_f32_e32 v6, v6, v9
	v_add_f32_e32 v6, v8, v6
	;; [unrolled: 1-line block ×4, first 2 shown]
	v_sub_f32_e32 v9, v8, v48
	v_mul_f32_e32 v6, v46, v6
	v_sub_f32_e32 v9, v47, v9
	v_add_f32_e32 v6, v9, v6
	v_add_f32_e32 v11, v8, v6
	v_mul_f32_e32 v12, v11, v11
	v_mov_b32_e32 v10, 0x3ecc95a3
	v_fmac_f32_e32 v10, 0x3e9b6dac, v12
	v_mov_b32_e32 v9, 0x3f2aaada
	v_fmac_f32_e32 v9, v12, v10
	v_cvt_f32_i32_e32 v10, v16
	v_sub_f32_e32 v8, v11, v8
	v_sub_f32_e32 v6, v6, v8
	v_ldexp_f32 v13, v11, 1
	v_mul_f32_e32 v11, v11, v12
	v_mov_b32_e32 v8, 0x3f317218
	s_mov_b32 s58, 0x3f317218
	v_pk_mul_f32 v[8:9], v[10:11], v[8:9]
	v_fma_f32 v12, v10, s58, -v8
	v_fmac_f32_e32 v12, 0xb102e308, v10
	v_pk_add_f32 v[10:11], v[8:9], v[12:13]
	v_sub_f32_e32 v13, v11, v13
	v_ldexp_f32 v6, v6, 1
	v_sub_f32_e32 v13, v9, v13
	v_add_f32_e32 v15, v6, v13
	v_mov_b32_e32 v14, v8
	v_pk_add_f32 v[8:9], v[10:11], v[8:9] neg_lo:[0,1] neg_hi:[0,1]
	v_pk_add_f32 v[16:17], v[10:11], v[14:15]
	v_mov_b32_e32 v9, v17
	v_mov_b32_e32 v13, v10
	v_pk_add_f32 v[46:47], v[12:13], v[8:9] neg_lo:[0,1] neg_hi:[0,1]
	v_pk_add_f32 v[8:9], v[12:13], v[8:9]
	v_mov_b32_e32 v6, v9
	v_pk_add_f32 v[12:13], v[6:7], v[10:11] neg_lo:[0,1] neg_hi:[0,1]
	v_mov_b32_e32 v13, v12
	v_pk_add_f32 v[48:49], v[16:17], v[12:13] neg_lo:[0,1] neg_hi:[0,1]
	v_mov_b32_e32 v8, v17
	v_mov_b32_e32 v16, v11
	;; [unrolled: 1-line block ×4, first 2 shown]
	v_pk_add_f32 v[8:9], v[8:9], v[16:17] neg_lo:[0,1] neg_hi:[0,1]
	v_mov_b32_e32 v12, v15
	v_mov_b32_e32 v13, v10
	v_pk_add_f32 v[8:9], v[12:13], v[8:9] neg_lo:[0,1] neg_hi:[0,1]
	v_mov_b32_e32 v48, v46
	v_pk_add_f32 v[10:11], v[48:49], v[8:9]
	v_mov_b32_e32 v12, v11
	v_pk_add_f32 v[12:13], v[10:11], v[12:13]
	v_pk_add_f32 v[14:15], v[6:7], v[12:13]
	v_mov_b32_e32 v11, v14
	v_pk_add_f32 v[16:17], v[10:11], v[46:47] neg_lo:[0,1] neg_hi:[0,1]
	v_mov_b32_e32 v9, v12
	v_sub_f32_e32 v6, v10, v16
	v_pk_add_f32 v[8:9], v[8:9], v[16:17] neg_lo:[0,1] neg_hi:[0,1]
	v_sub_f32_e32 v6, v46, v6
	s_mov_b32 s59, 0x7f800000
	v_add_f32_e32 v6, v8, v6
	s_mov_b32 s58, 0x33800000
	v_add_f32_e32 v6, v6, v9
	v_cmp_eq_f32_e32 vcc, s59, v45
	v_cmp_lt_f32_e64 s[58:59], |v45|, s58
	v_add_f32_e32 v6, v14, v6
	s_or_b64 vcc, vcc, s[58:59]
	v_cndmask_b32_e32 v6, v6, v45, vcc
	v_add_f32_e32 v6, v7, v6
.LBB155_165:
	s_or_b64 exec, exec, s[34:35]
	s_add_i32 s34, s63, 64
	s_mov_b32 s35, 0
	s_lshl_b64 s[34:35], s[34:35], 3
	s_add_u32 s34, s56, s34
	s_addc_u32 s35, s57, s35
	v_mov_b32_e32 v8, 0
	v_mov_b32_e32 v7, 2
	global_store_dwordx2 v8, v[6:7], s[34:35]
.LBB155_166:
	s_or_b64 exec, exec, s[36:37]
	s_and_b64 exec, exec, s[2:3]
	s_cbranch_execz .LBB155_168
; %bb.167:
	v_mov_b32_e32 v6, 0
	ds_write_b32 v6, v56
.LBB155_168:
	s_or_b64 exec, exec, s[38:39]
	v_mov_b32_e32 v6, 0
	s_waitcnt lgkmcnt(0)
	s_barrier
	ds_read_b32 v6, v6
	v_mov_b32_e32 v7, v2
	s_and_saveexec_b64 s[34:35], s[0:1]
	s_cbranch_execz .LBB155_172
; %bb.169:
	v_max_f32_e32 v7, v44, v44
	v_min_f32_e32 v8, v7, v43
	v_cmp_u_f32_e32 vcc, v44, v44
	v_max_f32_e32 v7, v7, v43
	v_cndmask_b32_e32 v8, v8, v44, vcc
	v_cndmask_b32_e32 v7, v7, v44, vcc
	v_cndmask_b32_e64 v8, v8, v2, s[30:31]
	v_cndmask_b32_e64 v7, v7, v2, s[30:31]
	s_movk_i32 s30, 0x1f8
	v_cmp_neq_f32_e32 vcc, v8, v7
	v_cmp_class_f32_e64 s[30:31], v8, s30
	s_or_b64 s[36:37], vcc, s[30:31]
	s_and_saveexec_b64 s[30:31], s[36:37]
	s_cbranch_execz .LBB155_171
; %bb.170:
	v_sub_f32_e32 v8, v8, v7
	s_mov_b32 s36, 0x3fb8aa3b
	v_mul_f32_e32 v9, 0x3fb8aa3b, v8
	v_fma_f32 v10, v8, s36, -v9
	v_rndne_f32_e32 v11, v9
	v_fmac_f32_e32 v10, 0x32a5705f, v8
	v_sub_f32_e32 v9, v9, v11
	v_add_f32_e32 v9, v9, v10
	v_exp_f32_e32 v9, v9
	v_cvt_i32_f32_e32 v10, v11
	s_mov_b32 s36, 0xc2ce8ed0
	v_cmp_ngt_f32_e32 vcc, s36, v8
	s_mov_b32 s36, 0x42b17218
	v_ldexp_f32 v9, v9, v10
	v_cndmask_b32_e32 v9, 0, v9, vcc
	v_mov_b32_e32 v10, 0x7f800000
	v_cmp_nlt_f32_e32 vcc, s36, v8
	v_cndmask_b32_e32 v43, v10, v9, vcc
	v_add_f32_e32 v10, 1.0, v43
	v_add_f32_e32 v8, -1.0, v10
	v_sub_f32_e32 v9, v8, v10
	v_add_f32_e32 v9, 1.0, v9
	v_sub_f32_e32 v8, v43, v8
	v_add_f32_e32 v11, v8, v9
	v_frexp_mant_f32_e32 v12, v10
	s_mov_b32 s36, 0x3f2aaaab
	v_cvt_f64_f32_e32 v[8:9], v10
	v_frexp_exp_i32_f64_e32 v8, v[8:9]
	v_cmp_gt_f32_e32 vcc, s36, v12
	v_subbrev_co_u32_e32 v16, vcc, 0, v8, vcc
	v_sub_u32_e32 v8, 0, v16
	v_ldexp_f32 v9, v10, v8
	v_add_f32_e32 v10, -1.0, v9
	v_add_f32_e32 v12, 1.0, v9
	v_ldexp_f32 v8, v11, v8
	v_add_f32_e32 v11, 1.0, v10
	v_add_f32_e32 v13, -1.0, v12
	v_sub_f32_e32 v11, v9, v11
	v_sub_f32_e32 v9, v9, v13
	v_add_f32_e32 v11, v8, v11
	v_add_f32_e32 v8, v8, v9
	;; [unrolled: 1-line block ×3, first 2 shown]
	v_rcp_f32_e32 v45, v17
	v_sub_f32_e32 v9, v12, v17
	v_add_f32_e32 v44, v8, v9
	v_add_f32_e32 v9, v10, v11
	v_mul_f32_e32 v47, v9, v45
	v_sub_f32_e32 v8, v10, v9
	v_mul_f32_e32 v10, v17, v47
	v_fma_f32 v12, v47, v17, -v10
	v_fmac_f32_e32 v12, v47, v44
	v_add_f32_e32 v46, v11, v8
	v_add_f32_e32 v8, v10, v12
	v_sub_f32_e32 v11, v9, v8
	v_pk_add_f32 v[14:15], v[8:9], v[10:11] neg_lo:[0,1] neg_hi:[0,1]
	v_mov_b32_e32 v13, v8
	v_pk_add_f32 v[8:9], v[14:15], v[12:13] neg_lo:[0,1] neg_hi:[0,1]
	v_add_f32_e32 v9, v46, v9
	v_add_f32_e32 v8, v8, v9
	;; [unrolled: 1-line block ×3, first 2 shown]
	v_mul_f32_e32 v46, v45, v9
	v_mul_f32_e32 v10, v17, v46
	v_fma_f32 v12, v46, v17, -v10
	v_fmac_f32_e32 v12, v46, v44
	v_sub_f32_e32 v11, v11, v9
	v_add_f32_e32 v17, v8, v11
	v_add_f32_e32 v8, v10, v12
	v_sub_f32_e32 v11, v9, v8
	v_pk_add_f32 v[14:15], v[8:9], v[10:11] neg_lo:[0,1] neg_hi:[0,1]
	v_mov_b32_e32 v13, v8
	v_pk_add_f32 v[8:9], v[14:15], v[12:13] neg_lo:[0,1] neg_hi:[0,1]
	v_add_f32_e32 v9, v17, v9
	v_add_f32_e32 v8, v8, v9
	;; [unrolled: 1-line block ×4, first 2 shown]
	v_sub_f32_e32 v9, v11, v47
	v_mul_f32_e32 v8, v45, v8
	v_sub_f32_e32 v9, v46, v9
	v_add_f32_e32 v8, v9, v8
	v_add_f32_e32 v12, v11, v8
	v_mul_f32_e32 v14, v12, v12
	v_mov_b32_e32 v10, 0x3ecc95a3
	v_fmac_f32_e32 v10, 0x3e9b6dac, v14
	v_mov_b32_e32 v9, 0x3f2aaada
	v_fmac_f32_e32 v9, v14, v10
	v_cvt_f32_i32_e32 v10, v16
	v_sub_f32_e32 v11, v12, v11
	v_sub_f32_e32 v8, v8, v11
	v_ldexp_f32 v15, v8, 1
	v_mul_f32_e32 v11, v12, v14
	v_mov_b32_e32 v8, 0x3f317218
	s_mov_b32 s36, 0x3f317218
	v_pk_mul_f32 v[8:9], v[10:11], v[8:9]
	v_ldexp_f32 v13, v12, 1
	v_fma_f32 v12, v10, s36, -v8
	v_fmac_f32_e32 v12, 0xb102e308, v10
	v_pk_add_f32 v[10:11], v[8:9], v[12:13]
	v_sub_f32_e32 v13, v11, v13
	v_sub_f32_e32 v13, v9, v13
	v_add_f32_e32 v15, v15, v13
	v_mov_b32_e32 v14, v8
	v_pk_add_f32 v[8:9], v[10:11], v[8:9] neg_lo:[0,1] neg_hi:[0,1]
	v_pk_add_f32 v[16:17], v[10:11], v[14:15]
	v_mov_b32_e32 v9, v17
	v_mov_b32_e32 v13, v10
	v_pk_add_f32 v[44:45], v[12:13], v[8:9] neg_lo:[0,1] neg_hi:[0,1]
	v_pk_add_f32 v[8:9], v[12:13], v[8:9]
	v_mov_b32_e32 v12, v9
	v_pk_add_f32 v[46:47], v[12:13], v[10:11] neg_lo:[0,1] neg_hi:[0,1]
	v_mov_b32_e32 v13, v46
	v_pk_add_f32 v[48:49], v[16:17], v[12:13] neg_lo:[0,1] neg_hi:[0,1]
	v_mov_b32_e32 v8, v17
	v_mov_b32_e32 v16, v11
	;; [unrolled: 1-line block ×4, first 2 shown]
	v_pk_add_f32 v[8:9], v[8:9], v[16:17] neg_lo:[0,1] neg_hi:[0,1]
	v_mov_b32_e32 v14, v15
	v_mov_b32_e32 v15, v10
	v_pk_add_f32 v[8:9], v[14:15], v[8:9] neg_lo:[0,1] neg_hi:[0,1]
	v_mov_b32_e32 v48, v44
	v_pk_add_f32 v[10:11], v[48:49], v[8:9]
	v_mov_b32_e32 v14, v11
	v_pk_add_f32 v[14:15], v[10:11], v[14:15]
	v_pk_add_f32 v[12:13], v[12:13], v[14:15]
	v_mov_b32_e32 v11, v12
	v_pk_add_f32 v[16:17], v[10:11], v[44:45] neg_lo:[0,1] neg_hi:[0,1]
	v_mov_b32_e32 v9, v14
	v_sub_f32_e32 v10, v10, v16
	v_pk_add_f32 v[8:9], v[8:9], v[16:17] neg_lo:[0,1] neg_hi:[0,1]
	v_sub_f32_e32 v10, v44, v10
	s_mov_b32 s37, 0x7f800000
	v_add_f32_e32 v8, v8, v10
	s_mov_b32 s36, 0x33800000
	v_add_f32_e32 v8, v8, v9
	v_cmp_eq_f32_e32 vcc, s37, v43
	v_cmp_lt_f32_e64 s[36:37], |v43|, s36
	v_add_f32_e32 v8, v12, v8
	s_or_b64 vcc, vcc, s[36:37]
	v_cndmask_b32_e32 v8, v8, v43, vcc
	v_add_f32_e32 v44, v7, v8
.LBB155_171:
	s_or_b64 exec, exec, s[30:31]
	v_mov_b32_e32 v7, v44
.LBB155_172:
	s_or_b64 exec, exec, s[34:35]
	v_max_f32_e32 v9, v7, v7
	s_waitcnt lgkmcnt(0)
	v_max_f32_e32 v10, v6, v6
	v_min_f32_e32 v8, v10, v9
	v_cmp_u_f32_e32 vcc, v6, v6
	v_max_f32_e32 v9, v10, v9
	v_cndmask_b32_e32 v8, v8, v6, vcc
	v_cmp_u_f32_e64 s[30:31], v7, v7
	v_cndmask_b32_e32 v9, v9, v6, vcc
	v_cndmask_b32_e64 v8, v8, v7, s[30:31]
	v_cndmask_b32_e64 v7, v9, v7, s[30:31]
	s_movk_i32 s34, 0x1f8
	v_cmp_neq_f32_e32 vcc, v8, v7
	v_cmp_class_f32_e64 s[30:31], v8, s34
	s_or_b64 s[36:37], vcc, s[30:31]
	s_and_saveexec_b64 s[30:31], s[36:37]
	s_cbranch_execz .LBB155_174
; %bb.173:
	v_sub_f32_e32 v6, v8, v7
	s_mov_b32 s35, 0x3fb8aa3b
	v_mul_f32_e32 v8, 0x3fb8aa3b, v6
	v_fma_f32 v9, v6, s35, -v8
	v_rndne_f32_e32 v10, v8
	v_fmac_f32_e32 v9, 0x32a5705f, v6
	v_sub_f32_e32 v8, v8, v10
	v_add_f32_e32 v8, v8, v9
	v_exp_f32_e32 v8, v8
	v_cvt_i32_f32_e32 v9, v10
	s_mov_b32 s35, 0xc2ce8ed0
	v_cmp_ngt_f32_e32 vcc, s35, v6
	s_mov_b32 s35, 0x42b17218
	v_ldexp_f32 v8, v8, v9
	v_cndmask_b32_e32 v8, 0, v8, vcc
	v_mov_b32_e32 v9, 0x7f800000
	v_cmp_nlt_f32_e32 vcc, s35, v6
	v_cndmask_b32_e32 v43, v9, v8, vcc
	v_add_f32_e32 v6, 1.0, v43
	v_add_f32_e32 v8, -1.0, v6
	v_sub_f32_e32 v9, v8, v6
	v_add_f32_e32 v9, 1.0, v9
	v_sub_f32_e32 v8, v43, v8
	v_add_f32_e32 v10, v8, v9
	v_frexp_mant_f32_e32 v11, v6
	s_mov_b32 s35, 0x3f2aaaab
	v_cvt_f64_f32_e32 v[8:9], v6
	v_frexp_exp_i32_f64_e32 v8, v[8:9]
	v_cmp_gt_f32_e32 vcc, s35, v11
	v_subbrev_co_u32_e32 v16, vcc, 0, v8, vcc
	v_sub_u32_e32 v8, 0, v16
	v_ldexp_f32 v6, v6, v8
	v_ldexp_f32 v8, v10, v8
	v_add_f32_e32 v10, -1.0, v6
	v_add_f32_e32 v9, 1.0, v10
	v_sub_f32_e32 v9, v6, v9
	v_add_f32_e32 v11, v8, v9
	v_add_f32_e32 v9, 1.0, v6
	v_add_f32_e32 v12, -1.0, v9
	v_sub_f32_e32 v6, v6, v12
	v_add_f32_e32 v6, v8, v6
	v_add_f32_e32 v17, v9, v6
	v_rcp_f32_e32 v44, v17
	v_sub_f32_e32 v8, v9, v17
	v_add_f32_e32 v9, v10, v11
	v_add_f32_e32 v6, v6, v8
	v_mul_f32_e32 v46, v9, v44
	v_sub_f32_e32 v8, v10, v9
	v_mul_f32_e32 v10, v17, v46
	v_fma_f32 v12, v46, v17, -v10
	v_fmac_f32_e32 v12, v46, v6
	v_add_f32_e32 v45, v11, v8
	v_add_f32_e32 v8, v10, v12
	v_sub_f32_e32 v11, v9, v8
	v_pk_add_f32 v[14:15], v[8:9], v[10:11] neg_lo:[0,1] neg_hi:[0,1]
	v_mov_b32_e32 v13, v8
	v_pk_add_f32 v[8:9], v[14:15], v[12:13] neg_lo:[0,1] neg_hi:[0,1]
	v_add_f32_e32 v9, v45, v9
	v_add_f32_e32 v8, v8, v9
	;; [unrolled: 1-line block ×3, first 2 shown]
	v_mul_f32_e32 v45, v44, v9
	v_mul_f32_e32 v10, v17, v45
	v_fma_f32 v12, v45, v17, -v10
	v_fmac_f32_e32 v12, v45, v6
	v_sub_f32_e32 v6, v11, v9
	v_add_f32_e32 v6, v8, v6
	v_add_f32_e32 v8, v10, v12
	v_sub_f32_e32 v11, v9, v8
	v_pk_add_f32 v[14:15], v[8:9], v[10:11] neg_lo:[0,1] neg_hi:[0,1]
	v_mov_b32_e32 v13, v8
	v_pk_add_f32 v[8:9], v[14:15], v[12:13] neg_lo:[0,1] neg_hi:[0,1]
	v_add_f32_e32 v6, v6, v9
	v_add_f32_e32 v6, v8, v6
	;; [unrolled: 1-line block ×4, first 2 shown]
	v_sub_f32_e32 v9, v8, v46
	v_mul_f32_e32 v6, v44, v6
	v_sub_f32_e32 v9, v45, v9
	v_add_f32_e32 v6, v9, v6
	v_add_f32_e32 v11, v8, v6
	v_mul_f32_e32 v12, v11, v11
	v_mov_b32_e32 v10, 0x3ecc95a3
	v_fmac_f32_e32 v10, 0x3e9b6dac, v12
	v_mov_b32_e32 v9, 0x3f2aaada
	v_fmac_f32_e32 v9, v12, v10
	v_cvt_f32_i32_e32 v10, v16
	v_sub_f32_e32 v8, v11, v8
	v_sub_f32_e32 v6, v6, v8
	v_ldexp_f32 v13, v11, 1
	v_mul_f32_e32 v11, v11, v12
	v_mov_b32_e32 v8, 0x3f317218
	s_mov_b32 s35, 0x3f317218
	v_pk_mul_f32 v[8:9], v[10:11], v[8:9]
	v_fma_f32 v12, v10, s35, -v8
	v_fmac_f32_e32 v12, 0xb102e308, v10
	v_pk_add_f32 v[10:11], v[8:9], v[12:13]
	v_sub_f32_e32 v13, v11, v13
	v_ldexp_f32 v6, v6, 1
	v_sub_f32_e32 v13, v9, v13
	v_add_f32_e32 v15, v6, v13
	v_mov_b32_e32 v14, v8
	v_pk_add_f32 v[8:9], v[10:11], v[8:9] neg_lo:[0,1] neg_hi:[0,1]
	v_pk_add_f32 v[16:17], v[10:11], v[14:15]
	v_mov_b32_e32 v9, v17
	v_mov_b32_e32 v13, v10
	v_pk_add_f32 v[44:45], v[12:13], v[8:9] neg_lo:[0,1] neg_hi:[0,1]
	v_pk_add_f32 v[8:9], v[12:13], v[8:9]
	v_mov_b32_e32 v6, v9
	v_pk_add_f32 v[12:13], v[6:7], v[10:11] neg_lo:[0,1] neg_hi:[0,1]
	v_mov_b32_e32 v13, v12
	v_pk_add_f32 v[46:47], v[16:17], v[12:13] neg_lo:[0,1] neg_hi:[0,1]
	v_mov_b32_e32 v8, v17
	v_mov_b32_e32 v16, v11
	;; [unrolled: 1-line block ×4, first 2 shown]
	v_pk_add_f32 v[8:9], v[8:9], v[16:17] neg_lo:[0,1] neg_hi:[0,1]
	v_mov_b32_e32 v12, v15
	v_mov_b32_e32 v13, v10
	v_pk_add_f32 v[8:9], v[12:13], v[8:9] neg_lo:[0,1] neg_hi:[0,1]
	v_mov_b32_e32 v46, v44
	v_pk_add_f32 v[10:11], v[46:47], v[8:9]
	v_mov_b32_e32 v12, v11
	v_pk_add_f32 v[12:13], v[10:11], v[12:13]
	v_pk_add_f32 v[14:15], v[6:7], v[12:13]
	v_mov_b32_e32 v11, v14
	v_pk_add_f32 v[16:17], v[10:11], v[44:45] neg_lo:[0,1] neg_hi:[0,1]
	v_mov_b32_e32 v9, v12
	v_sub_f32_e32 v6, v10, v16
	v_pk_add_f32 v[8:9], v[8:9], v[16:17] neg_lo:[0,1] neg_hi:[0,1]
	v_sub_f32_e32 v6, v44, v6
	s_mov_b32 s36, 0x7f800000
	v_add_f32_e32 v6, v8, v6
	s_mov_b32 s35, 0x33800000
	v_add_f32_e32 v6, v6, v9
	v_cmp_eq_f32_e32 vcc, s36, v43
	v_cmp_lt_f32_e64 s[36:37], |v43|, s35
	v_add_f32_e32 v6, v14, v6
	s_or_b64 vcc, vcc, s[36:37]
	v_cndmask_b32_e32 v6, v6, v43, vcc
	v_add_f32_e32 v6, v7, v6
.LBB155_174:
	s_or_b64 exec, exec, s[30:31]
	v_max_f32_e32 v7, v6, v6
	v_min_f32_e32 v8, v7, v18
	v_cmp_u_f32_e32 vcc, v6, v6
	v_max_f32_e32 v7, v7, v18
	v_cndmask_b32_e32 v8, v8, v6, vcc
	v_cndmask_b32_e32 v7, v7, v6, vcc
	v_cndmask_b32_e64 v9, v8, v3, s[4:5]
	v_cndmask_b32_e64 v8, v7, v3, s[4:5]
	v_cmp_neq_f32_e32 vcc, v9, v8
	v_cmp_class_f32_e64 s[4:5], v9, s34
	s_or_b64 s[30:31], vcc, s[4:5]
	v_mov_b32_e32 v7, v6
	s_and_saveexec_b64 s[4:5], s[30:31]
	s_cbranch_execz .LBB155_176
; %bb.175:
	v_sub_f32_e32 v7, v9, v8
	s_mov_b32 s30, 0x3fb8aa3b
	v_mul_f32_e32 v9, 0x3fb8aa3b, v7
	v_fma_f32 v10, v7, s30, -v9
	v_rndne_f32_e32 v11, v9
	v_fmac_f32_e32 v10, 0x32a5705f, v7
	v_sub_f32_e32 v9, v9, v11
	v_add_f32_e32 v9, v9, v10
	v_exp_f32_e32 v9, v9
	v_cvt_i32_f32_e32 v10, v11
	s_mov_b32 s30, 0xc2ce8ed0
	v_cmp_ngt_f32_e32 vcc, s30, v7
	s_mov_b32 s30, 0x42b17218
	v_ldexp_f32 v9, v9, v10
	v_cndmask_b32_e32 v9, 0, v9, vcc
	v_mov_b32_e32 v10, 0x7f800000
	v_cmp_nlt_f32_e32 vcc, s30, v7
	v_cndmask_b32_e32 v9, v10, v9, vcc
	v_add_f32_e32 v7, 1.0, v9
	v_add_f32_e32 v10, -1.0, v7
	v_sub_f32_e32 v11, v10, v7
	v_add_f32_e32 v11, 1.0, v11
	v_sub_f32_e32 v10, v9, v10
	v_add_f32_e32 v12, v10, v11
	v_frexp_mant_f32_e32 v13, v7
	s_mov_b32 s30, 0x3f2aaaab
	v_cvt_f64_f32_e32 v[10:11], v7
	v_frexp_exp_i32_f64_e32 v10, v[10:11]
	v_cmp_gt_f32_e32 vcc, s30, v13
	v_subbrev_co_u32_e32 v18, vcc, 0, v10, vcc
	v_sub_u32_e32 v10, 0, v18
	v_ldexp_f32 v7, v7, v10
	v_ldexp_f32 v10, v12, v10
	v_add_f32_e32 v12, -1.0, v7
	v_add_f32_e32 v11, 1.0, v12
	v_sub_f32_e32 v11, v7, v11
	v_add_f32_e32 v13, v10, v11
	v_add_f32_e32 v11, 1.0, v7
	v_add_f32_e32 v14, -1.0, v11
	v_sub_f32_e32 v7, v7, v14
	v_add_f32_e32 v7, v10, v7
	v_add_f32_e32 v43, v11, v7
	v_rcp_f32_e32 v44, v43
	v_sub_f32_e32 v10, v11, v43
	v_add_f32_e32 v11, v12, v13
	v_add_f32_e32 v7, v7, v10
	v_mul_f32_e32 v46, v11, v44
	v_sub_f32_e32 v10, v12, v11
	v_mul_f32_e32 v12, v43, v46
	v_fma_f32 v14, v46, v43, -v12
	v_fmac_f32_e32 v14, v46, v7
	v_add_f32_e32 v45, v13, v10
	v_add_f32_e32 v10, v12, v14
	v_sub_f32_e32 v13, v11, v10
	v_pk_add_f32 v[16:17], v[10:11], v[12:13] neg_lo:[0,1] neg_hi:[0,1]
	v_mov_b32_e32 v15, v10
	v_pk_add_f32 v[10:11], v[16:17], v[14:15] neg_lo:[0,1] neg_hi:[0,1]
	v_add_f32_e32 v11, v45, v11
	v_add_f32_e32 v10, v10, v11
	;; [unrolled: 1-line block ×3, first 2 shown]
	v_mul_f32_e32 v45, v44, v11
	v_mul_f32_e32 v12, v43, v45
	v_fma_f32 v14, v45, v43, -v12
	v_fmac_f32_e32 v14, v45, v7
	v_sub_f32_e32 v7, v13, v11
	v_add_f32_e32 v7, v10, v7
	v_add_f32_e32 v10, v12, v14
	v_sub_f32_e32 v13, v11, v10
	v_pk_add_f32 v[16:17], v[10:11], v[12:13] neg_lo:[0,1] neg_hi:[0,1]
	v_mov_b32_e32 v15, v10
	v_pk_add_f32 v[10:11], v[16:17], v[14:15] neg_lo:[0,1] neg_hi:[0,1]
	v_add_f32_e32 v7, v7, v11
	v_add_f32_e32 v7, v10, v7
	;; [unrolled: 1-line block ×4, first 2 shown]
	v_sub_f32_e32 v11, v10, v46
	v_mul_f32_e32 v7, v44, v7
	v_sub_f32_e32 v11, v45, v11
	v_add_f32_e32 v7, v11, v7
	v_add_f32_e32 v13, v10, v7
	v_mul_f32_e32 v14, v13, v13
	v_mov_b32_e32 v12, 0x3ecc95a3
	v_fmac_f32_e32 v12, 0x3e9b6dac, v14
	v_mov_b32_e32 v11, 0x3f2aaada
	v_fmac_f32_e32 v11, v14, v12
	v_cvt_f32_i32_e32 v12, v18
	v_sub_f32_e32 v10, v13, v10
	v_sub_f32_e32 v7, v7, v10
	v_ldexp_f32 v15, v13, 1
	v_mul_f32_e32 v13, v13, v14
	v_mov_b32_e32 v10, 0x3f317218
	s_mov_b32 s30, 0x3f317218
	v_pk_mul_f32 v[10:11], v[12:13], v[10:11]
	v_fma_f32 v14, v12, s30, -v10
	v_fmac_f32_e32 v14, 0xb102e308, v12
	v_pk_add_f32 v[12:13], v[10:11], v[14:15]
	v_sub_f32_e32 v15, v13, v15
	v_ldexp_f32 v7, v7, 1
	v_sub_f32_e32 v15, v11, v15
	v_add_f32_e32 v17, v7, v15
	v_mov_b32_e32 v16, v10
	v_pk_add_f32 v[10:11], v[12:13], v[10:11] neg_lo:[0,1] neg_hi:[0,1]
	v_pk_add_f32 v[44:45], v[12:13], v[16:17]
	v_mov_b32_e32 v11, v45
	v_mov_b32_e32 v15, v12
	v_pk_add_f32 v[46:47], v[14:15], v[10:11] neg_lo:[0,1] neg_hi:[0,1]
	v_pk_add_f32 v[10:11], v[14:15], v[10:11]
	v_mov_b32_e32 v14, v11
	v_pk_add_f32 v[48:49], v[14:15], v[12:13] neg_lo:[0,1] neg_hi:[0,1]
	v_mov_b32_e32 v7, v48
	v_pk_add_f32 v[50:51], v[44:45], v[6:7] neg_lo:[0,1] neg_hi:[0,1]
	v_mov_b32_e32 v10, v45
	v_mov_b32_e32 v44, v13
	;; [unrolled: 1-line block ×4, first 2 shown]
	v_pk_add_f32 v[10:11], v[10:11], v[44:45] neg_lo:[0,1] neg_hi:[0,1]
	v_mov_b32_e32 v16, v17
	v_mov_b32_e32 v17, v12
	v_pk_add_f32 v[10:11], v[16:17], v[10:11] neg_lo:[0,1] neg_hi:[0,1]
	v_mov_b32_e32 v50, v46
	v_pk_add_f32 v[12:13], v[50:51], v[10:11]
	v_mov_b32_e32 v16, v13
	v_pk_add_f32 v[16:17], v[12:13], v[16:17]
	v_pk_add_f32 v[14:15], v[14:15], v[16:17]
	v_mov_b32_e32 v13, v14
	v_pk_add_f32 v[44:45], v[12:13], v[46:47] neg_lo:[0,1] neg_hi:[0,1]
	v_mov_b32_e32 v11, v16
	v_sub_f32_e32 v7, v12, v44
	v_pk_add_f32 v[10:11], v[10:11], v[44:45] neg_lo:[0,1] neg_hi:[0,1]
	v_sub_f32_e32 v7, v46, v7
	s_mov_b32 s31, 0x7f800000
	v_add_f32_e32 v7, v10, v7
	s_mov_b32 s30, 0x33800000
	v_add_f32_e32 v7, v7, v11
	v_cmp_eq_f32_e32 vcc, s31, v9
	v_cmp_lt_f32_e64 s[30:31], |v9|, s30
	v_add_f32_e32 v7, v14, v7
	s_or_b64 vcc, vcc, s[30:31]
	v_cndmask_b32_e32 v7, v7, v9, vcc
	v_add_f32_e32 v7, v8, v7
.LBB155_176:
	s_or_b64 exec, exec, s[4:5]
	v_max_f32_e32 v8, v7, v7
	v_min_f32_e32 v9, v8, v19
	v_cmp_u_f32_e32 vcc, v7, v7
	v_max_f32_e32 v8, v8, v19
	v_cndmask_b32_e32 v9, v9, v7, vcc
	v_cndmask_b32_e32 v8, v8, v7, vcc
	v_cndmask_b32_e64 v10, v9, v4, s[6:7]
	v_cndmask_b32_e64 v9, v8, v4, s[6:7]
	s_movk_i32 s6, 0x1f8
	v_cmp_neq_f32_e32 vcc, v10, v9
	v_cmp_class_f32_e64 s[4:5], v10, s6
	s_or_b64 s[30:31], vcc, s[4:5]
	v_mov_b32_e32 v8, v7
	s_and_saveexec_b64 s[4:5], s[30:31]
	s_cbranch_execz .LBB155_178
; %bb.177:
	v_sub_f32_e32 v8, v10, v9
	s_mov_b32 s7, 0x3fb8aa3b
	v_mul_f32_e32 v10, 0x3fb8aa3b, v8
	v_fma_f32 v11, v8, s7, -v10
	v_rndne_f32_e32 v12, v10
	v_fmac_f32_e32 v11, 0x32a5705f, v8
	v_sub_f32_e32 v10, v10, v12
	v_add_f32_e32 v10, v10, v11
	v_exp_f32_e32 v10, v10
	v_cvt_i32_f32_e32 v11, v12
	s_mov_b32 s7, 0xc2ce8ed0
	v_cmp_ngt_f32_e32 vcc, s7, v8
	s_mov_b32 s7, 0x42b17218
	v_ldexp_f32 v10, v10, v11
	v_cndmask_b32_e32 v10, 0, v10, vcc
	v_mov_b32_e32 v11, 0x7f800000
	v_cmp_nlt_f32_e32 vcc, s7, v8
	v_cndmask_b32_e32 v43, v11, v10, vcc
	v_add_f32_e32 v8, 1.0, v43
	v_add_f32_e32 v10, -1.0, v8
	v_sub_f32_e32 v11, v10, v8
	v_add_f32_e32 v11, 1.0, v11
	v_sub_f32_e32 v10, v43, v10
	v_add_f32_e32 v12, v10, v11
	v_frexp_mant_f32_e32 v13, v8
	s_mov_b32 s7, 0x3f2aaaab
	v_cvt_f64_f32_e32 v[10:11], v8
	v_frexp_exp_i32_f64_e32 v10, v[10:11]
	v_cmp_gt_f32_e32 vcc, s7, v13
	v_subbrev_co_u32_e32 v18, vcc, 0, v10, vcc
	v_sub_u32_e32 v10, 0, v18
	v_ldexp_f32 v8, v8, v10
	v_ldexp_f32 v10, v12, v10
	v_add_f32_e32 v12, -1.0, v8
	v_add_f32_e32 v11, 1.0, v12
	v_sub_f32_e32 v11, v8, v11
	v_add_f32_e32 v13, v10, v11
	v_add_f32_e32 v11, 1.0, v8
	v_add_f32_e32 v14, -1.0, v11
	v_sub_f32_e32 v8, v8, v14
	v_add_f32_e32 v8, v10, v8
	v_add_f32_e32 v19, v11, v8
	v_rcp_f32_e32 v44, v19
	v_sub_f32_e32 v10, v11, v19
	v_add_f32_e32 v11, v12, v13
	v_add_f32_e32 v8, v8, v10
	v_mul_f32_e32 v46, v11, v44
	v_sub_f32_e32 v10, v12, v11
	v_mul_f32_e32 v12, v19, v46
	v_fma_f32 v14, v46, v19, -v12
	v_fmac_f32_e32 v14, v46, v8
	v_add_f32_e32 v45, v13, v10
	v_add_f32_e32 v10, v12, v14
	v_sub_f32_e32 v13, v11, v10
	v_pk_add_f32 v[16:17], v[10:11], v[12:13] neg_lo:[0,1] neg_hi:[0,1]
	v_mov_b32_e32 v15, v10
	v_pk_add_f32 v[10:11], v[16:17], v[14:15] neg_lo:[0,1] neg_hi:[0,1]
	v_add_f32_e32 v11, v45, v11
	v_add_f32_e32 v10, v10, v11
	;; [unrolled: 1-line block ×3, first 2 shown]
	v_mul_f32_e32 v45, v44, v11
	v_mul_f32_e32 v12, v19, v45
	v_fma_f32 v14, v45, v19, -v12
	v_fmac_f32_e32 v14, v45, v8
	v_sub_f32_e32 v8, v13, v11
	v_add_f32_e32 v8, v10, v8
	v_add_f32_e32 v10, v12, v14
	v_sub_f32_e32 v13, v11, v10
	v_pk_add_f32 v[16:17], v[10:11], v[12:13] neg_lo:[0,1] neg_hi:[0,1]
	v_mov_b32_e32 v15, v10
	v_pk_add_f32 v[10:11], v[16:17], v[14:15] neg_lo:[0,1] neg_hi:[0,1]
	v_add_f32_e32 v8, v8, v11
	v_add_f32_e32 v8, v10, v8
	v_add_f32_e32 v10, v46, v45
	v_add_f32_e32 v8, v13, v8
	v_sub_f32_e32 v11, v10, v46
	v_mul_f32_e32 v8, v44, v8
	v_sub_f32_e32 v11, v45, v11
	v_add_f32_e32 v8, v11, v8
	v_add_f32_e32 v13, v10, v8
	v_mul_f32_e32 v14, v13, v13
	v_mov_b32_e32 v12, 0x3ecc95a3
	v_fmac_f32_e32 v12, 0x3e9b6dac, v14
	v_mov_b32_e32 v11, 0x3f2aaada
	v_fmac_f32_e32 v11, v14, v12
	v_cvt_f32_i32_e32 v12, v18
	v_sub_f32_e32 v10, v13, v10
	v_sub_f32_e32 v8, v8, v10
	v_ldexp_f32 v15, v13, 1
	v_mul_f32_e32 v13, v13, v14
	v_mov_b32_e32 v10, 0x3f317218
	s_mov_b32 s7, 0x3f317218
	v_pk_mul_f32 v[10:11], v[12:13], v[10:11]
	v_fma_f32 v14, v12, s7, -v10
	v_fmac_f32_e32 v14, 0xb102e308, v12
	v_pk_add_f32 v[12:13], v[10:11], v[14:15]
	v_sub_f32_e32 v15, v13, v15
	v_ldexp_f32 v8, v8, 1
	v_sub_f32_e32 v15, v11, v15
	v_add_f32_e32 v17, v8, v15
	v_mov_b32_e32 v16, v10
	v_pk_add_f32 v[10:11], v[12:13], v[10:11] neg_lo:[0,1] neg_hi:[0,1]
	v_pk_add_f32 v[18:19], v[12:13], v[16:17]
	v_mov_b32_e32 v11, v19
	v_mov_b32_e32 v15, v12
	v_pk_add_f32 v[44:45], v[14:15], v[10:11] neg_lo:[0,1] neg_hi:[0,1]
	v_pk_add_f32 v[10:11], v[14:15], v[10:11]
	v_mov_b32_e32 v8, v11
	v_pk_add_f32 v[14:15], v[8:9], v[12:13] neg_lo:[0,1] neg_hi:[0,1]
	v_mov_b32_e32 v15, v14
	v_pk_add_f32 v[46:47], v[18:19], v[14:15] neg_lo:[0,1] neg_hi:[0,1]
	v_mov_b32_e32 v10, v19
	v_mov_b32_e32 v18, v13
	;; [unrolled: 1-line block ×4, first 2 shown]
	v_pk_add_f32 v[10:11], v[10:11], v[18:19] neg_lo:[0,1] neg_hi:[0,1]
	v_mov_b32_e32 v14, v17
	v_mov_b32_e32 v15, v12
	v_pk_add_f32 v[10:11], v[14:15], v[10:11] neg_lo:[0,1] neg_hi:[0,1]
	v_mov_b32_e32 v46, v44
	v_pk_add_f32 v[12:13], v[46:47], v[10:11]
	v_mov_b32_e32 v14, v13
	v_pk_add_f32 v[14:15], v[12:13], v[14:15]
	v_pk_add_f32 v[16:17], v[8:9], v[14:15]
	v_mov_b32_e32 v13, v16
	v_pk_add_f32 v[18:19], v[12:13], v[44:45] neg_lo:[0,1] neg_hi:[0,1]
	v_mov_b32_e32 v11, v14
	v_sub_f32_e32 v8, v12, v18
	v_pk_add_f32 v[10:11], v[10:11], v[18:19] neg_lo:[0,1] neg_hi:[0,1]
	v_sub_f32_e32 v8, v44, v8
	s_mov_b32 s30, 0x7f800000
	v_add_f32_e32 v8, v10, v8
	s_mov_b32 s7, 0x33800000
	v_add_f32_e32 v8, v8, v11
	v_cmp_eq_f32_e32 vcc, s30, v43
	v_cmp_lt_f32_e64 s[30:31], |v43|, s7
	v_add_f32_e32 v8, v16, v8
	s_or_b64 vcc, vcc, s[30:31]
	v_cndmask_b32_e32 v8, v8, v43, vcc
	v_add_f32_e32 v8, v9, v8
.LBB155_178:
	s_or_b64 exec, exec, s[4:5]
	v_max_f32_e32 v9, v8, v8
	v_min_f32_e32 v10, v9, v20
	v_cmp_u_f32_e32 vcc, v8, v8
	v_max_f32_e32 v9, v9, v20
	v_cndmask_b32_e32 v10, v10, v8, vcc
	v_cndmask_b32_e32 v9, v9, v8, vcc
	v_cndmask_b32_e64 v11, v10, v5, s[8:9]
	v_cndmask_b32_e64 v10, v9, v5, s[8:9]
	v_cmp_neq_f32_e32 vcc, v11, v10
	v_cmp_class_f32_e64 s[4:5], v11, s6
	s_or_b64 s[6:7], vcc, s[4:5]
	v_mov_b32_e32 v9, v8
	s_and_saveexec_b64 s[4:5], s[6:7]
	s_cbranch_execz .LBB155_180
; %bb.179:
	v_sub_f32_e32 v9, v11, v10
	s_mov_b32 s6, 0x3fb8aa3b
	v_mul_f32_e32 v11, 0x3fb8aa3b, v9
	v_fma_f32 v12, v9, s6, -v11
	v_rndne_f32_e32 v13, v11
	v_fmac_f32_e32 v12, 0x32a5705f, v9
	v_sub_f32_e32 v11, v11, v13
	v_add_f32_e32 v11, v11, v12
	v_exp_f32_e32 v11, v11
	v_cvt_i32_f32_e32 v12, v13
	s_mov_b32 s6, 0xc2ce8ed0
	v_cmp_ngt_f32_e32 vcc, s6, v9
	s_mov_b32 s6, 0x42b17218
	v_ldexp_f32 v11, v11, v12
	v_cndmask_b32_e32 v11, 0, v11, vcc
	v_mov_b32_e32 v12, 0x7f800000
	v_cmp_nlt_f32_e32 vcc, s6, v9
	v_cndmask_b32_e32 v11, v12, v11, vcc
	v_add_f32_e32 v9, 1.0, v11
	v_add_f32_e32 v12, -1.0, v9
	v_sub_f32_e32 v13, v12, v9
	v_add_f32_e32 v13, 1.0, v13
	v_sub_f32_e32 v12, v11, v12
	v_add_f32_e32 v14, v12, v13
	v_frexp_mant_f32_e32 v15, v9
	s_mov_b32 s6, 0x3f2aaaab
	v_cvt_f64_f32_e32 v[12:13], v9
	v_frexp_exp_i32_f64_e32 v12, v[12:13]
	v_cmp_gt_f32_e32 vcc, s6, v15
	v_subbrev_co_u32_e32 v20, vcc, 0, v12, vcc
	v_sub_u32_e32 v12, 0, v20
	v_ldexp_f32 v9, v9, v12
	v_ldexp_f32 v12, v14, v12
	v_add_f32_e32 v14, -1.0, v9
	v_add_f32_e32 v13, 1.0, v14
	v_sub_f32_e32 v13, v9, v13
	v_add_f32_e32 v15, v12, v13
	v_add_f32_e32 v13, 1.0, v9
	v_add_f32_e32 v16, -1.0, v13
	v_sub_f32_e32 v9, v9, v16
	v_add_f32_e32 v9, v12, v9
	v_add_f32_e32 v43, v13, v9
	v_rcp_f32_e32 v44, v43
	v_sub_f32_e32 v12, v13, v43
	v_add_f32_e32 v13, v14, v15
	v_add_f32_e32 v9, v9, v12
	v_mul_f32_e32 v46, v13, v44
	v_sub_f32_e32 v12, v14, v13
	v_mul_f32_e32 v14, v43, v46
	v_fma_f32 v16, v46, v43, -v14
	v_fmac_f32_e32 v16, v46, v9
	v_add_f32_e32 v45, v15, v12
	v_add_f32_e32 v12, v14, v16
	v_sub_f32_e32 v15, v13, v12
	v_pk_add_f32 v[18:19], v[12:13], v[14:15] neg_lo:[0,1] neg_hi:[0,1]
	v_mov_b32_e32 v17, v12
	v_pk_add_f32 v[12:13], v[18:19], v[16:17] neg_lo:[0,1] neg_hi:[0,1]
	v_add_f32_e32 v13, v45, v13
	v_add_f32_e32 v12, v12, v13
	;; [unrolled: 1-line block ×3, first 2 shown]
	v_mul_f32_e32 v45, v44, v13
	v_mul_f32_e32 v14, v43, v45
	v_fma_f32 v16, v45, v43, -v14
	v_fmac_f32_e32 v16, v45, v9
	v_sub_f32_e32 v9, v15, v13
	v_add_f32_e32 v9, v12, v9
	v_add_f32_e32 v12, v14, v16
	v_sub_f32_e32 v15, v13, v12
	v_pk_add_f32 v[18:19], v[12:13], v[14:15] neg_lo:[0,1] neg_hi:[0,1]
	v_mov_b32_e32 v17, v12
	v_pk_add_f32 v[12:13], v[18:19], v[16:17] neg_lo:[0,1] neg_hi:[0,1]
	v_add_f32_e32 v9, v9, v13
	v_add_f32_e32 v9, v12, v9
	;; [unrolled: 1-line block ×4, first 2 shown]
	v_sub_f32_e32 v13, v12, v46
	v_mul_f32_e32 v9, v44, v9
	v_sub_f32_e32 v13, v45, v13
	v_add_f32_e32 v9, v13, v9
	v_add_f32_e32 v15, v12, v9
	v_mul_f32_e32 v16, v15, v15
	v_mov_b32_e32 v14, 0x3ecc95a3
	v_fmac_f32_e32 v14, 0x3e9b6dac, v16
	v_mov_b32_e32 v13, 0x3f2aaada
	v_fmac_f32_e32 v13, v16, v14
	v_cvt_f32_i32_e32 v14, v20
	v_sub_f32_e32 v12, v15, v12
	v_sub_f32_e32 v9, v9, v12
	v_ldexp_f32 v17, v15, 1
	v_mul_f32_e32 v15, v15, v16
	v_mov_b32_e32 v12, 0x3f317218
	s_mov_b32 s6, 0x3f317218
	v_pk_mul_f32 v[12:13], v[14:15], v[12:13]
	v_fma_f32 v16, v14, s6, -v12
	v_fmac_f32_e32 v16, 0xb102e308, v14
	v_pk_add_f32 v[14:15], v[12:13], v[16:17]
	v_sub_f32_e32 v17, v15, v17
	v_ldexp_f32 v9, v9, 1
	v_sub_f32_e32 v17, v13, v17
	v_add_f32_e32 v19, v9, v17
	v_mov_b32_e32 v18, v12
	v_pk_add_f32 v[12:13], v[14:15], v[12:13] neg_lo:[0,1] neg_hi:[0,1]
	v_pk_add_f32 v[44:45], v[14:15], v[18:19]
	v_mov_b32_e32 v13, v45
	v_mov_b32_e32 v17, v14
	v_pk_add_f32 v[46:47], v[16:17], v[12:13] neg_lo:[0,1] neg_hi:[0,1]
	v_pk_add_f32 v[12:13], v[16:17], v[12:13]
	v_mov_b32_e32 v16, v13
	v_pk_add_f32 v[48:49], v[16:17], v[14:15] neg_lo:[0,1] neg_hi:[0,1]
	v_mov_b32_e32 v9, v48
	v_pk_add_f32 v[50:51], v[44:45], v[8:9] neg_lo:[0,1] neg_hi:[0,1]
	v_mov_b32_e32 v12, v45
	v_mov_b32_e32 v44, v15
	;; [unrolled: 1-line block ×4, first 2 shown]
	v_pk_add_f32 v[12:13], v[12:13], v[44:45] neg_lo:[0,1] neg_hi:[0,1]
	v_mov_b32_e32 v18, v19
	v_mov_b32_e32 v19, v14
	v_pk_add_f32 v[12:13], v[18:19], v[12:13] neg_lo:[0,1] neg_hi:[0,1]
	v_mov_b32_e32 v50, v46
	v_pk_add_f32 v[14:15], v[50:51], v[12:13]
	v_mov_b32_e32 v18, v15
	v_pk_add_f32 v[18:19], v[14:15], v[18:19]
	v_pk_add_f32 v[16:17], v[16:17], v[18:19]
	v_mov_b32_e32 v15, v16
	v_pk_add_f32 v[44:45], v[14:15], v[46:47] neg_lo:[0,1] neg_hi:[0,1]
	v_mov_b32_e32 v13, v18
	v_sub_f32_e32 v9, v14, v44
	v_pk_add_f32 v[12:13], v[12:13], v[44:45] neg_lo:[0,1] neg_hi:[0,1]
	v_sub_f32_e32 v9, v46, v9
	s_mov_b32 s7, 0x7f800000
	v_add_f32_e32 v9, v12, v9
	s_mov_b32 s6, 0x33800000
	v_add_f32_e32 v9, v9, v13
	v_cmp_eq_f32_e32 vcc, s7, v11
	v_cmp_lt_f32_e64 s[6:7], |v11|, s6
	v_add_f32_e32 v9, v16, v9
	s_or_b64 vcc, vcc, s[6:7]
	v_cndmask_b32_e32 v9, v9, v11, vcc
	v_add_f32_e32 v9, v10, v9
.LBB155_180:
	s_or_b64 exec, exec, s[4:5]
	v_max_f32_e32 v10, v9, v9
	v_min_f32_e32 v11, v10, v21
	v_cmp_u_f32_e32 vcc, v9, v9
	v_max_f32_e32 v10, v10, v21
	v_cndmask_b32_e32 v11, v11, v9, vcc
	v_cndmask_b32_e32 v10, v10, v9, vcc
	v_cndmask_b32_e64 v12, v11, v26, s[10:11]
	v_cndmask_b32_e64 v11, v10, v26, s[10:11]
	s_movk_i32 s6, 0x1f8
	v_cmp_neq_f32_e32 vcc, v12, v11
	v_cmp_class_f32_e64 s[4:5], v12, s6
	s_or_b64 s[8:9], vcc, s[4:5]
	v_mov_b32_e32 v10, v9
	s_and_saveexec_b64 s[4:5], s[8:9]
	s_cbranch_execz .LBB155_182
; %bb.181:
	v_sub_f32_e32 v10, v12, v11
	s_mov_b32 s7, 0x3fb8aa3b
	v_mul_f32_e32 v12, 0x3fb8aa3b, v10
	v_fma_f32 v13, v10, s7, -v12
	v_rndne_f32_e32 v14, v12
	v_fmac_f32_e32 v13, 0x32a5705f, v10
	v_sub_f32_e32 v12, v12, v14
	v_add_f32_e32 v12, v12, v13
	v_exp_f32_e32 v12, v12
	v_cvt_i32_f32_e32 v13, v14
	s_mov_b32 s7, 0xc2ce8ed0
	v_cmp_ngt_f32_e32 vcc, s7, v10
	s_mov_b32 s7, 0x42b17218
	v_ldexp_f32 v12, v12, v13
	v_cndmask_b32_e32 v12, 0, v12, vcc
	v_mov_b32_e32 v13, 0x7f800000
	v_cmp_nlt_f32_e32 vcc, s7, v10
	v_cndmask_b32_e32 v43, v13, v12, vcc
	v_add_f32_e32 v10, 1.0, v43
	v_add_f32_e32 v12, -1.0, v10
	v_sub_f32_e32 v13, v12, v10
	v_add_f32_e32 v13, 1.0, v13
	v_sub_f32_e32 v12, v43, v12
	v_add_f32_e32 v14, v12, v13
	v_frexp_mant_f32_e32 v15, v10
	s_mov_b32 s7, 0x3f2aaaab
	v_cvt_f64_f32_e32 v[12:13], v10
	v_frexp_exp_i32_f64_e32 v12, v[12:13]
	v_cmp_gt_f32_e32 vcc, s7, v15
	v_subbrev_co_u32_e32 v20, vcc, 0, v12, vcc
	v_sub_u32_e32 v12, 0, v20
	v_ldexp_f32 v10, v10, v12
	v_ldexp_f32 v12, v14, v12
	v_add_f32_e32 v14, -1.0, v10
	v_add_f32_e32 v13, 1.0, v14
	v_sub_f32_e32 v13, v10, v13
	v_add_f32_e32 v15, v12, v13
	v_add_f32_e32 v13, 1.0, v10
	v_add_f32_e32 v16, -1.0, v13
	v_sub_f32_e32 v10, v10, v16
	v_add_f32_e32 v10, v12, v10
	v_add_f32_e32 v21, v13, v10
	v_rcp_f32_e32 v44, v21
	v_sub_f32_e32 v12, v13, v21
	v_add_f32_e32 v13, v14, v15
	v_add_f32_e32 v10, v10, v12
	v_mul_f32_e32 v46, v13, v44
	v_sub_f32_e32 v12, v14, v13
	v_mul_f32_e32 v14, v21, v46
	v_fma_f32 v16, v46, v21, -v14
	v_fmac_f32_e32 v16, v46, v10
	v_add_f32_e32 v45, v15, v12
	v_add_f32_e32 v12, v14, v16
	v_sub_f32_e32 v15, v13, v12
	v_pk_add_f32 v[18:19], v[12:13], v[14:15] neg_lo:[0,1] neg_hi:[0,1]
	v_mov_b32_e32 v17, v12
	v_pk_add_f32 v[12:13], v[18:19], v[16:17] neg_lo:[0,1] neg_hi:[0,1]
	v_add_f32_e32 v13, v45, v13
	v_add_f32_e32 v12, v12, v13
	;; [unrolled: 1-line block ×3, first 2 shown]
	v_mul_f32_e32 v45, v44, v13
	v_mul_f32_e32 v14, v21, v45
	v_fma_f32 v16, v45, v21, -v14
	v_fmac_f32_e32 v16, v45, v10
	v_sub_f32_e32 v10, v15, v13
	v_add_f32_e32 v10, v12, v10
	v_add_f32_e32 v12, v14, v16
	v_sub_f32_e32 v15, v13, v12
	v_pk_add_f32 v[18:19], v[12:13], v[14:15] neg_lo:[0,1] neg_hi:[0,1]
	v_mov_b32_e32 v17, v12
	v_pk_add_f32 v[12:13], v[18:19], v[16:17] neg_lo:[0,1] neg_hi:[0,1]
	v_add_f32_e32 v10, v10, v13
	v_add_f32_e32 v10, v12, v10
	;; [unrolled: 1-line block ×4, first 2 shown]
	v_sub_f32_e32 v13, v12, v46
	v_mul_f32_e32 v10, v44, v10
	v_sub_f32_e32 v13, v45, v13
	v_add_f32_e32 v10, v13, v10
	v_add_f32_e32 v15, v12, v10
	v_mul_f32_e32 v16, v15, v15
	v_mov_b32_e32 v14, 0x3ecc95a3
	v_fmac_f32_e32 v14, 0x3e9b6dac, v16
	v_mov_b32_e32 v13, 0x3f2aaada
	v_fmac_f32_e32 v13, v16, v14
	v_cvt_f32_i32_e32 v14, v20
	v_sub_f32_e32 v12, v15, v12
	v_sub_f32_e32 v10, v10, v12
	v_ldexp_f32 v17, v15, 1
	v_mul_f32_e32 v15, v15, v16
	v_mov_b32_e32 v12, 0x3f317218
	s_mov_b32 s7, 0x3f317218
	v_pk_mul_f32 v[12:13], v[14:15], v[12:13]
	v_fma_f32 v16, v14, s7, -v12
	v_fmac_f32_e32 v16, 0xb102e308, v14
	v_pk_add_f32 v[14:15], v[12:13], v[16:17]
	v_sub_f32_e32 v17, v15, v17
	v_ldexp_f32 v10, v10, 1
	v_sub_f32_e32 v17, v13, v17
	v_add_f32_e32 v19, v10, v17
	v_mov_b32_e32 v18, v12
	v_pk_add_f32 v[12:13], v[14:15], v[12:13] neg_lo:[0,1] neg_hi:[0,1]
	v_pk_add_f32 v[20:21], v[14:15], v[18:19]
	v_mov_b32_e32 v13, v21
	v_mov_b32_e32 v17, v14
	v_pk_add_f32 v[44:45], v[16:17], v[12:13] neg_lo:[0,1] neg_hi:[0,1]
	v_pk_add_f32 v[12:13], v[16:17], v[12:13]
	v_mov_b32_e32 v10, v13
	v_pk_add_f32 v[16:17], v[10:11], v[14:15] neg_lo:[0,1] neg_hi:[0,1]
	v_mov_b32_e32 v17, v16
	v_pk_add_f32 v[46:47], v[20:21], v[16:17] neg_lo:[0,1] neg_hi:[0,1]
	v_mov_b32_e32 v12, v21
	v_mov_b32_e32 v20, v15
	;; [unrolled: 1-line block ×4, first 2 shown]
	v_pk_add_f32 v[12:13], v[12:13], v[20:21] neg_lo:[0,1] neg_hi:[0,1]
	v_mov_b32_e32 v16, v19
	v_mov_b32_e32 v17, v14
	v_pk_add_f32 v[12:13], v[16:17], v[12:13] neg_lo:[0,1] neg_hi:[0,1]
	v_mov_b32_e32 v46, v44
	v_pk_add_f32 v[14:15], v[46:47], v[12:13]
	v_mov_b32_e32 v16, v15
	v_pk_add_f32 v[16:17], v[14:15], v[16:17]
	v_pk_add_f32 v[18:19], v[10:11], v[16:17]
	v_mov_b32_e32 v15, v18
	v_pk_add_f32 v[20:21], v[14:15], v[44:45] neg_lo:[0,1] neg_hi:[0,1]
	v_mov_b32_e32 v13, v16
	v_sub_f32_e32 v10, v14, v20
	v_pk_add_f32 v[12:13], v[12:13], v[20:21] neg_lo:[0,1] neg_hi:[0,1]
	v_sub_f32_e32 v10, v44, v10
	s_mov_b32 s8, 0x7f800000
	v_add_f32_e32 v10, v12, v10
	s_mov_b32 s7, 0x33800000
	v_add_f32_e32 v10, v10, v13
	v_cmp_eq_f32_e32 vcc, s8, v43
	v_cmp_lt_f32_e64 s[8:9], |v43|, s7
	v_add_f32_e32 v10, v18, v10
	s_or_b64 vcc, vcc, s[8:9]
	v_cndmask_b32_e32 v10, v10, v43, vcc
	v_add_f32_e32 v10, v11, v10
.LBB155_182:
	s_or_b64 exec, exec, s[4:5]
	v_max_f32_e32 v11, v10, v10
	v_min_f32_e32 v12, v11, v34
	v_cmp_u_f32_e32 vcc, v10, v10
	v_max_f32_e32 v11, v11, v34
	v_cndmask_b32_e32 v12, v12, v10, vcc
	v_cndmask_b32_e32 v11, v11, v10, vcc
	v_cndmask_b32_e64 v13, v12, v27, s[12:13]
	v_cndmask_b32_e64 v12, v11, v27, s[12:13]
	v_cmp_neq_f32_e32 vcc, v13, v12
	v_cmp_class_f32_e64 s[4:5], v13, s6
	s_or_b64 s[6:7], vcc, s[4:5]
	v_mov_b32_e32 v11, v10
	s_and_saveexec_b64 s[4:5], s[6:7]
	s_cbranch_execz .LBB155_184
; %bb.183:
	v_sub_f32_e32 v11, v13, v12
	s_mov_b32 s6, 0x3fb8aa3b
	v_mul_f32_e32 v13, 0x3fb8aa3b, v11
	v_fma_f32 v14, v11, s6, -v13
	v_rndne_f32_e32 v15, v13
	v_fmac_f32_e32 v14, 0x32a5705f, v11
	v_sub_f32_e32 v13, v13, v15
	v_add_f32_e32 v13, v13, v14
	v_exp_f32_e32 v13, v13
	v_cvt_i32_f32_e32 v14, v15
	s_mov_b32 s6, 0xc2ce8ed0
	v_cmp_ngt_f32_e32 vcc, s6, v11
	s_mov_b32 s6, 0x42b17218
	v_ldexp_f32 v13, v13, v14
	v_cndmask_b32_e32 v13, 0, v13, vcc
	v_mov_b32_e32 v14, 0x7f800000
	v_cmp_nlt_f32_e32 vcc, s6, v11
	v_cndmask_b32_e32 v13, v14, v13, vcc
	v_add_f32_e32 v11, 1.0, v13
	v_add_f32_e32 v14, -1.0, v11
	v_sub_f32_e32 v15, v14, v11
	v_add_f32_e32 v15, 1.0, v15
	v_sub_f32_e32 v14, v13, v14
	v_add_f32_e32 v16, v14, v15
	v_frexp_mant_f32_e32 v17, v11
	s_mov_b32 s6, 0x3f2aaaab
	v_cvt_f64_f32_e32 v[14:15], v11
	v_frexp_exp_i32_f64_e32 v14, v[14:15]
	v_cmp_gt_f32_e32 vcc, s6, v17
	v_subbrev_co_u32_e32 v34, vcc, 0, v14, vcc
	v_sub_u32_e32 v14, 0, v34
	v_ldexp_f32 v11, v11, v14
	v_ldexp_f32 v14, v16, v14
	v_add_f32_e32 v16, -1.0, v11
	v_add_f32_e32 v15, 1.0, v16
	v_sub_f32_e32 v15, v11, v15
	v_add_f32_e32 v17, v14, v15
	v_add_f32_e32 v15, 1.0, v11
	v_add_f32_e32 v18, -1.0, v15
	v_sub_f32_e32 v11, v11, v18
	v_add_f32_e32 v11, v14, v11
	v_add_f32_e32 v43, v15, v11
	v_rcp_f32_e32 v44, v43
	v_sub_f32_e32 v14, v15, v43
	v_add_f32_e32 v15, v16, v17
	v_add_f32_e32 v11, v11, v14
	v_mul_f32_e32 v46, v15, v44
	v_sub_f32_e32 v14, v16, v15
	v_mul_f32_e32 v16, v43, v46
	v_fma_f32 v18, v46, v43, -v16
	v_fmac_f32_e32 v18, v46, v11
	v_add_f32_e32 v45, v17, v14
	v_add_f32_e32 v14, v16, v18
	v_sub_f32_e32 v17, v15, v14
	v_pk_add_f32 v[20:21], v[14:15], v[16:17] neg_lo:[0,1] neg_hi:[0,1]
	v_mov_b32_e32 v19, v14
	v_pk_add_f32 v[14:15], v[20:21], v[18:19] neg_lo:[0,1] neg_hi:[0,1]
	v_add_f32_e32 v15, v45, v15
	v_add_f32_e32 v14, v14, v15
	;; [unrolled: 1-line block ×3, first 2 shown]
	v_mul_f32_e32 v45, v44, v15
	v_mul_f32_e32 v16, v43, v45
	v_fma_f32 v18, v45, v43, -v16
	v_fmac_f32_e32 v18, v45, v11
	v_sub_f32_e32 v11, v17, v15
	v_add_f32_e32 v11, v14, v11
	v_add_f32_e32 v14, v16, v18
	v_sub_f32_e32 v17, v15, v14
	v_pk_add_f32 v[20:21], v[14:15], v[16:17] neg_lo:[0,1] neg_hi:[0,1]
	v_mov_b32_e32 v19, v14
	v_pk_add_f32 v[14:15], v[20:21], v[18:19] neg_lo:[0,1] neg_hi:[0,1]
	v_add_f32_e32 v11, v11, v15
	v_add_f32_e32 v11, v14, v11
	;; [unrolled: 1-line block ×4, first 2 shown]
	v_sub_f32_e32 v15, v14, v46
	v_mul_f32_e32 v11, v44, v11
	v_sub_f32_e32 v15, v45, v15
	v_add_f32_e32 v11, v15, v11
	v_add_f32_e32 v17, v14, v11
	v_mul_f32_e32 v18, v17, v17
	v_mov_b32_e32 v16, 0x3ecc95a3
	v_fmac_f32_e32 v16, 0x3e9b6dac, v18
	v_mov_b32_e32 v15, 0x3f2aaada
	v_fmac_f32_e32 v15, v18, v16
	v_cvt_f32_i32_e32 v16, v34
	v_sub_f32_e32 v14, v17, v14
	v_sub_f32_e32 v11, v11, v14
	v_ldexp_f32 v19, v17, 1
	v_mul_f32_e32 v17, v17, v18
	v_mov_b32_e32 v14, 0x3f317218
	s_mov_b32 s6, 0x3f317218
	v_pk_mul_f32 v[14:15], v[16:17], v[14:15]
	v_fma_f32 v18, v16, s6, -v14
	v_fmac_f32_e32 v18, 0xb102e308, v16
	v_pk_add_f32 v[16:17], v[14:15], v[18:19]
	v_sub_f32_e32 v19, v17, v19
	v_ldexp_f32 v11, v11, 1
	v_sub_f32_e32 v19, v15, v19
	v_add_f32_e32 v21, v11, v19
	v_mov_b32_e32 v20, v14
	v_pk_add_f32 v[14:15], v[16:17], v[14:15] neg_lo:[0,1] neg_hi:[0,1]
	v_pk_add_f32 v[44:45], v[16:17], v[20:21]
	v_mov_b32_e32 v15, v45
	v_mov_b32_e32 v19, v16
	v_pk_add_f32 v[46:47], v[18:19], v[14:15] neg_lo:[0,1] neg_hi:[0,1]
	v_pk_add_f32 v[14:15], v[18:19], v[14:15]
	v_mov_b32_e32 v18, v15
	v_pk_add_f32 v[48:49], v[18:19], v[16:17] neg_lo:[0,1] neg_hi:[0,1]
	v_mov_b32_e32 v11, v48
	v_pk_add_f32 v[50:51], v[44:45], v[10:11] neg_lo:[0,1] neg_hi:[0,1]
	v_mov_b32_e32 v14, v45
	v_mov_b32_e32 v44, v17
	;; [unrolled: 1-line block ×4, first 2 shown]
	v_pk_add_f32 v[14:15], v[14:15], v[44:45] neg_lo:[0,1] neg_hi:[0,1]
	v_mov_b32_e32 v20, v21
	v_mov_b32_e32 v21, v16
	v_pk_add_f32 v[14:15], v[20:21], v[14:15] neg_lo:[0,1] neg_hi:[0,1]
	v_mov_b32_e32 v50, v46
	v_pk_add_f32 v[16:17], v[50:51], v[14:15]
	v_mov_b32_e32 v20, v17
	v_pk_add_f32 v[20:21], v[16:17], v[20:21]
	v_pk_add_f32 v[18:19], v[18:19], v[20:21]
	v_mov_b32_e32 v17, v18
	v_pk_add_f32 v[44:45], v[16:17], v[46:47] neg_lo:[0,1] neg_hi:[0,1]
	v_mov_b32_e32 v15, v20
	v_sub_f32_e32 v11, v16, v44
	v_pk_add_f32 v[14:15], v[14:15], v[44:45] neg_lo:[0,1] neg_hi:[0,1]
	v_sub_f32_e32 v11, v46, v11
	s_mov_b32 s7, 0x7f800000
	v_add_f32_e32 v11, v14, v11
	s_mov_b32 s6, 0x33800000
	v_add_f32_e32 v11, v11, v15
	v_cmp_eq_f32_e32 vcc, s7, v13
	v_cmp_lt_f32_e64 s[6:7], |v13|, s6
	v_add_f32_e32 v11, v18, v11
	s_or_b64 vcc, vcc, s[6:7]
	v_cndmask_b32_e32 v11, v11, v13, vcc
	v_add_f32_e32 v11, v12, v11
.LBB155_184:
	s_or_b64 exec, exec, s[4:5]
	v_max_f32_e32 v12, v11, v11
	v_min_f32_e32 v13, v12, v35
	v_cmp_u_f32_e32 vcc, v11, v11
	v_max_f32_e32 v12, v12, v35
	v_cndmask_b32_e32 v13, v13, v11, vcc
	v_cndmask_b32_e32 v12, v12, v11, vcc
	v_cndmask_b32_e64 v14, v13, v28, s[14:15]
	v_cndmask_b32_e64 v13, v12, v28, s[14:15]
	s_movk_i32 s6, 0x1f8
	v_cmp_neq_f32_e32 vcc, v14, v13
	v_cmp_class_f32_e64 s[4:5], v14, s6
	s_or_b64 s[8:9], vcc, s[4:5]
	v_mov_b32_e32 v12, v11
	s_and_saveexec_b64 s[4:5], s[8:9]
	s_cbranch_execz .LBB155_186
; %bb.185:
	v_sub_f32_e32 v12, v14, v13
	s_mov_b32 s7, 0x3fb8aa3b
	v_mul_f32_e32 v14, 0x3fb8aa3b, v12
	v_fma_f32 v15, v12, s7, -v14
	v_rndne_f32_e32 v16, v14
	v_fmac_f32_e32 v15, 0x32a5705f, v12
	v_sub_f32_e32 v14, v14, v16
	v_add_f32_e32 v14, v14, v15
	v_exp_f32_e32 v14, v14
	v_cvt_i32_f32_e32 v15, v16
	s_mov_b32 s7, 0xc2ce8ed0
	v_cmp_ngt_f32_e32 vcc, s7, v12
	s_mov_b32 s7, 0x42b17218
	v_ldexp_f32 v14, v14, v15
	v_cndmask_b32_e32 v14, 0, v14, vcc
	v_mov_b32_e32 v15, 0x7f800000
	v_cmp_nlt_f32_e32 vcc, s7, v12
	v_cndmask_b32_e32 v43, v15, v14, vcc
	v_add_f32_e32 v12, 1.0, v43
	v_add_f32_e32 v14, -1.0, v12
	v_sub_f32_e32 v15, v14, v12
	v_add_f32_e32 v15, 1.0, v15
	v_sub_f32_e32 v14, v43, v14
	v_add_f32_e32 v16, v14, v15
	v_frexp_mant_f32_e32 v17, v12
	s_mov_b32 s7, 0x3f2aaaab
	v_cvt_f64_f32_e32 v[14:15], v12
	v_frexp_exp_i32_f64_e32 v14, v[14:15]
	v_cmp_gt_f32_e32 vcc, s7, v17
	v_subbrev_co_u32_e32 v34, vcc, 0, v14, vcc
	v_sub_u32_e32 v14, 0, v34
	v_ldexp_f32 v12, v12, v14
	v_ldexp_f32 v14, v16, v14
	v_add_f32_e32 v16, -1.0, v12
	v_add_f32_e32 v15, 1.0, v16
	v_sub_f32_e32 v15, v12, v15
	v_add_f32_e32 v17, v14, v15
	v_add_f32_e32 v15, 1.0, v12
	v_add_f32_e32 v18, -1.0, v15
	v_sub_f32_e32 v12, v12, v18
	v_add_f32_e32 v12, v14, v12
	v_add_f32_e32 v35, v15, v12
	v_rcp_f32_e32 v44, v35
	v_sub_f32_e32 v14, v15, v35
	v_add_f32_e32 v15, v16, v17
	v_add_f32_e32 v12, v12, v14
	v_mul_f32_e32 v46, v15, v44
	v_sub_f32_e32 v14, v16, v15
	v_mul_f32_e32 v16, v35, v46
	v_fma_f32 v18, v46, v35, -v16
	v_fmac_f32_e32 v18, v46, v12
	v_add_f32_e32 v45, v17, v14
	v_add_f32_e32 v14, v16, v18
	v_sub_f32_e32 v17, v15, v14
	v_pk_add_f32 v[20:21], v[14:15], v[16:17] neg_lo:[0,1] neg_hi:[0,1]
	v_mov_b32_e32 v19, v14
	v_pk_add_f32 v[14:15], v[20:21], v[18:19] neg_lo:[0,1] neg_hi:[0,1]
	v_add_f32_e32 v15, v45, v15
	v_add_f32_e32 v14, v14, v15
	;; [unrolled: 1-line block ×3, first 2 shown]
	v_mul_f32_e32 v45, v44, v15
	v_mul_f32_e32 v16, v35, v45
	v_fma_f32 v18, v45, v35, -v16
	v_fmac_f32_e32 v18, v45, v12
	v_sub_f32_e32 v12, v17, v15
	v_add_f32_e32 v12, v14, v12
	v_add_f32_e32 v14, v16, v18
	v_sub_f32_e32 v17, v15, v14
	v_pk_add_f32 v[20:21], v[14:15], v[16:17] neg_lo:[0,1] neg_hi:[0,1]
	v_mov_b32_e32 v19, v14
	v_pk_add_f32 v[14:15], v[20:21], v[18:19] neg_lo:[0,1] neg_hi:[0,1]
	v_add_f32_e32 v12, v12, v15
	v_add_f32_e32 v12, v14, v12
	;; [unrolled: 1-line block ×4, first 2 shown]
	v_sub_f32_e32 v15, v14, v46
	v_mul_f32_e32 v12, v44, v12
	v_sub_f32_e32 v15, v45, v15
	v_add_f32_e32 v12, v15, v12
	v_add_f32_e32 v17, v14, v12
	v_mul_f32_e32 v18, v17, v17
	v_mov_b32_e32 v16, 0x3ecc95a3
	v_fmac_f32_e32 v16, 0x3e9b6dac, v18
	v_mov_b32_e32 v15, 0x3f2aaada
	v_fmac_f32_e32 v15, v18, v16
	v_cvt_f32_i32_e32 v16, v34
	v_sub_f32_e32 v14, v17, v14
	v_sub_f32_e32 v12, v12, v14
	v_ldexp_f32 v19, v17, 1
	v_mul_f32_e32 v17, v17, v18
	v_mov_b32_e32 v14, 0x3f317218
	s_mov_b32 s7, 0x3f317218
	v_pk_mul_f32 v[14:15], v[16:17], v[14:15]
	v_fma_f32 v18, v16, s7, -v14
	v_fmac_f32_e32 v18, 0xb102e308, v16
	v_pk_add_f32 v[16:17], v[14:15], v[18:19]
	v_sub_f32_e32 v19, v17, v19
	v_ldexp_f32 v12, v12, 1
	v_sub_f32_e32 v19, v15, v19
	v_add_f32_e32 v21, v12, v19
	v_mov_b32_e32 v20, v14
	v_pk_add_f32 v[14:15], v[16:17], v[14:15] neg_lo:[0,1] neg_hi:[0,1]
	v_pk_add_f32 v[34:35], v[16:17], v[20:21]
	v_mov_b32_e32 v15, v35
	v_mov_b32_e32 v19, v16
	v_pk_add_f32 v[44:45], v[18:19], v[14:15] neg_lo:[0,1] neg_hi:[0,1]
	v_pk_add_f32 v[14:15], v[18:19], v[14:15]
	v_mov_b32_e32 v12, v15
	v_pk_add_f32 v[18:19], v[12:13], v[16:17] neg_lo:[0,1] neg_hi:[0,1]
	v_mov_b32_e32 v19, v18
	v_pk_add_f32 v[46:47], v[34:35], v[18:19] neg_lo:[0,1] neg_hi:[0,1]
	v_mov_b32_e32 v14, v35
	v_mov_b32_e32 v34, v17
	;; [unrolled: 1-line block ×4, first 2 shown]
	v_pk_add_f32 v[14:15], v[14:15], v[34:35] neg_lo:[0,1] neg_hi:[0,1]
	v_mov_b32_e32 v18, v21
	v_mov_b32_e32 v19, v16
	v_pk_add_f32 v[14:15], v[18:19], v[14:15] neg_lo:[0,1] neg_hi:[0,1]
	v_mov_b32_e32 v46, v44
	v_pk_add_f32 v[16:17], v[46:47], v[14:15]
	v_mov_b32_e32 v18, v17
	v_pk_add_f32 v[18:19], v[16:17], v[18:19]
	v_pk_add_f32 v[20:21], v[12:13], v[18:19]
	v_mov_b32_e32 v17, v20
	v_pk_add_f32 v[34:35], v[16:17], v[44:45] neg_lo:[0,1] neg_hi:[0,1]
	v_mov_b32_e32 v15, v18
	v_sub_f32_e32 v12, v16, v34
	v_pk_add_f32 v[14:15], v[14:15], v[34:35] neg_lo:[0,1] neg_hi:[0,1]
	v_sub_f32_e32 v12, v44, v12
	s_mov_b32 s8, 0x7f800000
	v_add_f32_e32 v12, v14, v12
	s_mov_b32 s7, 0x33800000
	v_add_f32_e32 v12, v12, v15
	v_cmp_eq_f32_e32 vcc, s8, v43
	v_cmp_lt_f32_e64 s[8:9], |v43|, s7
	v_add_f32_e32 v12, v20, v12
	s_or_b64 vcc, vcc, s[8:9]
	v_cndmask_b32_e32 v12, v12, v43, vcc
	v_add_f32_e32 v12, v13, v12
.LBB155_186:
	s_or_b64 exec, exec, s[4:5]
	v_max_f32_e32 v13, v12, v12
	v_min_f32_e32 v14, v13, v36
	v_cmp_u_f32_e32 vcc, v12, v12
	v_max_f32_e32 v13, v13, v36
	v_cndmask_b32_e32 v14, v14, v12, vcc
	v_cndmask_b32_e32 v13, v13, v12, vcc
	v_cndmask_b32_e64 v15, v14, v29, s[16:17]
	v_cndmask_b32_e64 v14, v13, v29, s[16:17]
	v_cmp_neq_f32_e32 vcc, v15, v14
	v_cmp_class_f32_e64 s[4:5], v15, s6
	s_or_b64 s[6:7], vcc, s[4:5]
	v_mov_b32_e32 v13, v12
	s_and_saveexec_b64 s[4:5], s[6:7]
	s_cbranch_execz .LBB155_188
; %bb.187:
	v_sub_f32_e32 v13, v15, v14
	s_mov_b32 s6, 0x3fb8aa3b
	v_mul_f32_e32 v15, 0x3fb8aa3b, v13
	v_fma_f32 v16, v13, s6, -v15
	v_rndne_f32_e32 v17, v15
	v_fmac_f32_e32 v16, 0x32a5705f, v13
	v_sub_f32_e32 v15, v15, v17
	v_add_f32_e32 v15, v15, v16
	v_exp_f32_e32 v15, v15
	v_cvt_i32_f32_e32 v16, v17
	s_mov_b32 s6, 0xc2ce8ed0
	v_cmp_ngt_f32_e32 vcc, s6, v13
	s_mov_b32 s6, 0x42b17218
	v_ldexp_f32 v15, v15, v16
	v_cndmask_b32_e32 v15, 0, v15, vcc
	v_mov_b32_e32 v16, 0x7f800000
	v_cmp_nlt_f32_e32 vcc, s6, v13
	v_cndmask_b32_e32 v15, v16, v15, vcc
	v_add_f32_e32 v13, 1.0, v15
	v_add_f32_e32 v16, -1.0, v13
	v_sub_f32_e32 v17, v16, v13
	v_add_f32_e32 v17, 1.0, v17
	v_sub_f32_e32 v16, v15, v16
	v_add_f32_e32 v18, v16, v17
	v_frexp_mant_f32_e32 v19, v13
	s_mov_b32 s6, 0x3f2aaaab
	v_cvt_f64_f32_e32 v[16:17], v13
	v_frexp_exp_i32_f64_e32 v16, v[16:17]
	v_cmp_gt_f32_e32 vcc, s6, v19
	v_subbrev_co_u32_e32 v36, vcc, 0, v16, vcc
	v_sub_u32_e32 v16, 0, v36
	v_ldexp_f32 v13, v13, v16
	v_ldexp_f32 v16, v18, v16
	v_add_f32_e32 v18, -1.0, v13
	v_add_f32_e32 v17, 1.0, v18
	v_sub_f32_e32 v17, v13, v17
	v_add_f32_e32 v19, v16, v17
	v_add_f32_e32 v17, 1.0, v13
	v_add_f32_e32 v20, -1.0, v17
	v_sub_f32_e32 v13, v13, v20
	v_add_f32_e32 v13, v16, v13
	v_add_f32_e32 v43, v17, v13
	v_rcp_f32_e32 v44, v43
	v_sub_f32_e32 v16, v17, v43
	v_add_f32_e32 v17, v18, v19
	v_add_f32_e32 v13, v13, v16
	v_mul_f32_e32 v46, v17, v44
	v_sub_f32_e32 v16, v18, v17
	v_mul_f32_e32 v18, v43, v46
	v_fma_f32 v20, v46, v43, -v18
	v_fmac_f32_e32 v20, v46, v13
	v_add_f32_e32 v45, v19, v16
	v_add_f32_e32 v16, v18, v20
	v_sub_f32_e32 v19, v17, v16
	v_pk_add_f32 v[34:35], v[16:17], v[18:19] neg_lo:[0,1] neg_hi:[0,1]
	v_mov_b32_e32 v21, v16
	v_pk_add_f32 v[16:17], v[34:35], v[20:21] neg_lo:[0,1] neg_hi:[0,1]
	v_add_f32_e32 v17, v45, v17
	v_add_f32_e32 v16, v16, v17
	;; [unrolled: 1-line block ×3, first 2 shown]
	v_mul_f32_e32 v45, v44, v17
	v_mul_f32_e32 v18, v43, v45
	v_fma_f32 v20, v45, v43, -v18
	v_fmac_f32_e32 v20, v45, v13
	v_sub_f32_e32 v13, v19, v17
	v_add_f32_e32 v13, v16, v13
	v_add_f32_e32 v16, v18, v20
	v_sub_f32_e32 v19, v17, v16
	v_pk_add_f32 v[34:35], v[16:17], v[18:19] neg_lo:[0,1] neg_hi:[0,1]
	v_mov_b32_e32 v21, v16
	v_pk_add_f32 v[16:17], v[34:35], v[20:21] neg_lo:[0,1] neg_hi:[0,1]
	v_add_f32_e32 v13, v13, v17
	v_add_f32_e32 v13, v16, v13
	;; [unrolled: 1-line block ×4, first 2 shown]
	v_sub_f32_e32 v17, v16, v46
	v_mul_f32_e32 v13, v44, v13
	v_sub_f32_e32 v17, v45, v17
	v_add_f32_e32 v13, v17, v13
	v_add_f32_e32 v19, v16, v13
	v_mul_f32_e32 v20, v19, v19
	v_mov_b32_e32 v18, 0x3ecc95a3
	v_fmac_f32_e32 v18, 0x3e9b6dac, v20
	v_mov_b32_e32 v17, 0x3f2aaada
	v_fmac_f32_e32 v17, v20, v18
	v_cvt_f32_i32_e32 v18, v36
	v_sub_f32_e32 v16, v19, v16
	v_sub_f32_e32 v13, v13, v16
	v_ldexp_f32 v21, v19, 1
	v_mul_f32_e32 v19, v19, v20
	v_mov_b32_e32 v16, 0x3f317218
	s_mov_b32 s6, 0x3f317218
	v_pk_mul_f32 v[16:17], v[18:19], v[16:17]
	v_fma_f32 v20, v18, s6, -v16
	v_fmac_f32_e32 v20, 0xb102e308, v18
	v_pk_add_f32 v[18:19], v[16:17], v[20:21]
	v_sub_f32_e32 v21, v19, v21
	v_ldexp_f32 v13, v13, 1
	v_sub_f32_e32 v21, v17, v21
	v_add_f32_e32 v35, v13, v21
	v_mov_b32_e32 v34, v16
	v_pk_add_f32 v[16:17], v[18:19], v[16:17] neg_lo:[0,1] neg_hi:[0,1]
	v_pk_add_f32 v[44:45], v[18:19], v[34:35]
	v_mov_b32_e32 v17, v45
	v_mov_b32_e32 v21, v18
	v_pk_add_f32 v[46:47], v[20:21], v[16:17] neg_lo:[0,1] neg_hi:[0,1]
	v_pk_add_f32 v[16:17], v[20:21], v[16:17]
	v_mov_b32_e32 v20, v17
	v_pk_add_f32 v[48:49], v[20:21], v[18:19] neg_lo:[0,1] neg_hi:[0,1]
	v_mov_b32_e32 v13, v48
	v_pk_add_f32 v[50:51], v[44:45], v[12:13] neg_lo:[0,1] neg_hi:[0,1]
	v_mov_b32_e32 v16, v45
	v_mov_b32_e32 v44, v19
	;; [unrolled: 1-line block ×4, first 2 shown]
	v_pk_add_f32 v[16:17], v[16:17], v[44:45] neg_lo:[0,1] neg_hi:[0,1]
	v_mov_b32_e32 v34, v35
	v_mov_b32_e32 v35, v18
	v_pk_add_f32 v[16:17], v[34:35], v[16:17] neg_lo:[0,1] neg_hi:[0,1]
	v_mov_b32_e32 v50, v46
	v_pk_add_f32 v[18:19], v[50:51], v[16:17]
	v_mov_b32_e32 v34, v19
	v_pk_add_f32 v[34:35], v[18:19], v[34:35]
	v_pk_add_f32 v[20:21], v[20:21], v[34:35]
	v_mov_b32_e32 v19, v20
	v_pk_add_f32 v[44:45], v[18:19], v[46:47] neg_lo:[0,1] neg_hi:[0,1]
	v_mov_b32_e32 v17, v34
	v_sub_f32_e32 v13, v18, v44
	v_pk_add_f32 v[16:17], v[16:17], v[44:45] neg_lo:[0,1] neg_hi:[0,1]
	v_sub_f32_e32 v13, v46, v13
	s_mov_b32 s7, 0x7f800000
	v_add_f32_e32 v13, v16, v13
	s_mov_b32 s6, 0x33800000
	v_add_f32_e32 v13, v13, v17
	v_cmp_eq_f32_e32 vcc, s7, v15
	v_cmp_lt_f32_e64 s[6:7], |v15|, s6
	v_add_f32_e32 v13, v20, v13
	s_or_b64 vcc, vcc, s[6:7]
	v_cndmask_b32_e32 v13, v13, v15, vcc
	v_add_f32_e32 v13, v14, v13
.LBB155_188:
	s_or_b64 exec, exec, s[4:5]
	v_max_f32_e32 v14, v13, v13
	v_min_f32_e32 v15, v14, v37
	v_cmp_u_f32_e32 vcc, v13, v13
	v_max_f32_e32 v14, v14, v37
	v_cndmask_b32_e32 v15, v15, v13, vcc
	v_cndmask_b32_e32 v14, v14, v13, vcc
	v_cndmask_b32_e64 v16, v15, v22, s[18:19]
	v_cndmask_b32_e64 v15, v14, v22, s[18:19]
	s_movk_i32 s6, 0x1f8
	v_cmp_neq_f32_e32 vcc, v16, v15
	v_cmp_class_f32_e64 s[4:5], v16, s6
	s_or_b64 s[8:9], vcc, s[4:5]
	v_mov_b32_e32 v14, v13
	s_and_saveexec_b64 s[4:5], s[8:9]
	s_cbranch_execz .LBB155_190
; %bb.189:
	v_sub_f32_e32 v14, v16, v15
	s_mov_b32 s7, 0x3fb8aa3b
	v_mul_f32_e32 v16, 0x3fb8aa3b, v14
	v_fma_f32 v17, v14, s7, -v16
	v_rndne_f32_e32 v18, v16
	v_fmac_f32_e32 v17, 0x32a5705f, v14
	v_sub_f32_e32 v16, v16, v18
	v_add_f32_e32 v16, v16, v17
	v_exp_f32_e32 v16, v16
	v_cvt_i32_f32_e32 v17, v18
	s_mov_b32 s7, 0xc2ce8ed0
	v_cmp_ngt_f32_e32 vcc, s7, v14
	s_mov_b32 s7, 0x42b17218
	v_ldexp_f32 v16, v16, v17
	v_cndmask_b32_e32 v16, 0, v16, vcc
	v_mov_b32_e32 v17, 0x7f800000
	v_cmp_nlt_f32_e32 vcc, s7, v14
	v_cndmask_b32_e32 v43, v17, v16, vcc
	v_add_f32_e32 v14, 1.0, v43
	v_add_f32_e32 v16, -1.0, v14
	v_sub_f32_e32 v17, v16, v14
	v_add_f32_e32 v17, 1.0, v17
	v_sub_f32_e32 v16, v43, v16
	v_add_f32_e32 v18, v16, v17
	v_frexp_mant_f32_e32 v19, v14
	s_mov_b32 s7, 0x3f2aaaab
	v_cvt_f64_f32_e32 v[16:17], v14
	v_frexp_exp_i32_f64_e32 v16, v[16:17]
	v_cmp_gt_f32_e32 vcc, s7, v19
	v_subbrev_co_u32_e32 v36, vcc, 0, v16, vcc
	v_sub_u32_e32 v16, 0, v36
	v_ldexp_f32 v14, v14, v16
	v_ldexp_f32 v16, v18, v16
	v_add_f32_e32 v18, -1.0, v14
	v_add_f32_e32 v17, 1.0, v18
	v_sub_f32_e32 v17, v14, v17
	v_add_f32_e32 v19, v16, v17
	v_add_f32_e32 v17, 1.0, v14
	v_add_f32_e32 v20, -1.0, v17
	v_sub_f32_e32 v14, v14, v20
	v_add_f32_e32 v14, v16, v14
	v_add_f32_e32 v37, v17, v14
	v_rcp_f32_e32 v44, v37
	v_sub_f32_e32 v16, v17, v37
	v_add_f32_e32 v17, v18, v19
	v_add_f32_e32 v14, v14, v16
	v_mul_f32_e32 v46, v17, v44
	v_sub_f32_e32 v16, v18, v17
	v_mul_f32_e32 v18, v37, v46
	v_fma_f32 v20, v46, v37, -v18
	v_fmac_f32_e32 v20, v46, v14
	v_add_f32_e32 v45, v19, v16
	v_add_f32_e32 v16, v18, v20
	v_sub_f32_e32 v19, v17, v16
	v_pk_add_f32 v[34:35], v[16:17], v[18:19] neg_lo:[0,1] neg_hi:[0,1]
	v_mov_b32_e32 v21, v16
	v_pk_add_f32 v[16:17], v[34:35], v[20:21] neg_lo:[0,1] neg_hi:[0,1]
	v_add_f32_e32 v17, v45, v17
	v_add_f32_e32 v16, v16, v17
	;; [unrolled: 1-line block ×3, first 2 shown]
	v_mul_f32_e32 v45, v44, v17
	v_mul_f32_e32 v18, v37, v45
	v_fma_f32 v20, v45, v37, -v18
	v_fmac_f32_e32 v20, v45, v14
	v_sub_f32_e32 v14, v19, v17
	v_add_f32_e32 v14, v16, v14
	v_add_f32_e32 v16, v18, v20
	v_sub_f32_e32 v19, v17, v16
	v_pk_add_f32 v[34:35], v[16:17], v[18:19] neg_lo:[0,1] neg_hi:[0,1]
	v_mov_b32_e32 v21, v16
	v_pk_add_f32 v[16:17], v[34:35], v[20:21] neg_lo:[0,1] neg_hi:[0,1]
	v_add_f32_e32 v14, v14, v17
	v_add_f32_e32 v14, v16, v14
	;; [unrolled: 1-line block ×4, first 2 shown]
	v_sub_f32_e32 v17, v16, v46
	v_mul_f32_e32 v14, v44, v14
	v_sub_f32_e32 v17, v45, v17
	v_add_f32_e32 v14, v17, v14
	v_add_f32_e32 v19, v16, v14
	v_mul_f32_e32 v20, v19, v19
	v_mov_b32_e32 v18, 0x3ecc95a3
	v_fmac_f32_e32 v18, 0x3e9b6dac, v20
	v_mov_b32_e32 v17, 0x3f2aaada
	v_fmac_f32_e32 v17, v20, v18
	v_cvt_f32_i32_e32 v18, v36
	v_sub_f32_e32 v16, v19, v16
	v_sub_f32_e32 v14, v14, v16
	v_ldexp_f32 v21, v19, 1
	v_mul_f32_e32 v19, v19, v20
	v_mov_b32_e32 v16, 0x3f317218
	s_mov_b32 s7, 0x3f317218
	v_pk_mul_f32 v[16:17], v[18:19], v[16:17]
	v_fma_f32 v20, v18, s7, -v16
	v_fmac_f32_e32 v20, 0xb102e308, v18
	v_pk_add_f32 v[18:19], v[16:17], v[20:21]
	v_sub_f32_e32 v21, v19, v21
	v_ldexp_f32 v14, v14, 1
	v_sub_f32_e32 v21, v17, v21
	v_add_f32_e32 v35, v14, v21
	v_mov_b32_e32 v34, v16
	v_pk_add_f32 v[16:17], v[18:19], v[16:17] neg_lo:[0,1] neg_hi:[0,1]
	v_pk_add_f32 v[36:37], v[18:19], v[34:35]
	v_mov_b32_e32 v17, v37
	v_mov_b32_e32 v21, v18
	v_pk_add_f32 v[44:45], v[20:21], v[16:17] neg_lo:[0,1] neg_hi:[0,1]
	v_pk_add_f32 v[16:17], v[20:21], v[16:17]
	v_mov_b32_e32 v14, v17
	v_pk_add_f32 v[20:21], v[14:15], v[18:19] neg_lo:[0,1] neg_hi:[0,1]
	v_mov_b32_e32 v21, v20
	v_pk_add_f32 v[46:47], v[36:37], v[20:21] neg_lo:[0,1] neg_hi:[0,1]
	v_mov_b32_e32 v16, v37
	v_mov_b32_e32 v36, v19
	;; [unrolled: 1-line block ×4, first 2 shown]
	v_pk_add_f32 v[16:17], v[16:17], v[36:37] neg_lo:[0,1] neg_hi:[0,1]
	v_mov_b32_e32 v20, v35
	v_mov_b32_e32 v21, v18
	v_pk_add_f32 v[16:17], v[20:21], v[16:17] neg_lo:[0,1] neg_hi:[0,1]
	v_mov_b32_e32 v46, v44
	v_pk_add_f32 v[18:19], v[46:47], v[16:17]
	v_mov_b32_e32 v20, v19
	v_pk_add_f32 v[20:21], v[18:19], v[20:21]
	v_pk_add_f32 v[34:35], v[14:15], v[20:21]
	v_mov_b32_e32 v19, v34
	v_pk_add_f32 v[36:37], v[18:19], v[44:45] neg_lo:[0,1] neg_hi:[0,1]
	v_mov_b32_e32 v17, v20
	v_sub_f32_e32 v14, v18, v36
	v_pk_add_f32 v[16:17], v[16:17], v[36:37] neg_lo:[0,1] neg_hi:[0,1]
	v_sub_f32_e32 v14, v44, v14
	s_mov_b32 s8, 0x7f800000
	v_add_f32_e32 v14, v16, v14
	s_mov_b32 s7, 0x33800000
	v_add_f32_e32 v14, v14, v17
	v_cmp_eq_f32_e32 vcc, s8, v43
	v_cmp_lt_f32_e64 s[8:9], |v43|, s7
	v_add_f32_e32 v14, v34, v14
	s_or_b64 vcc, vcc, s[8:9]
	v_cndmask_b32_e32 v14, v14, v43, vcc
	v_add_f32_e32 v14, v15, v14
.LBB155_190:
	s_or_b64 exec, exec, s[4:5]
	v_max_f32_e32 v15, v14, v14
	v_min_f32_e32 v16, v15, v38
	v_cmp_u_f32_e32 vcc, v14, v14
	v_max_f32_e32 v15, v15, v38
	v_cndmask_b32_e32 v16, v16, v14, vcc
	v_cndmask_b32_e32 v15, v15, v14, vcc
	v_cndmask_b32_e64 v17, v16, v23, s[20:21]
	v_cndmask_b32_e64 v16, v15, v23, s[20:21]
	v_cmp_neq_f32_e32 vcc, v17, v16
	v_cmp_class_f32_e64 s[4:5], v17, s6
	s_or_b64 s[6:7], vcc, s[4:5]
	v_mov_b32_e32 v15, v14
	s_and_saveexec_b64 s[4:5], s[6:7]
	s_cbranch_execz .LBB155_192
; %bb.191:
	v_sub_f32_e32 v15, v17, v16
	s_mov_b32 s6, 0x3fb8aa3b
	v_mul_f32_e32 v17, 0x3fb8aa3b, v15
	v_fma_f32 v18, v15, s6, -v17
	v_rndne_f32_e32 v19, v17
	v_fmac_f32_e32 v18, 0x32a5705f, v15
	v_sub_f32_e32 v17, v17, v19
	v_add_f32_e32 v17, v17, v18
	v_exp_f32_e32 v17, v17
	v_cvt_i32_f32_e32 v18, v19
	s_mov_b32 s6, 0xc2ce8ed0
	v_cmp_ngt_f32_e32 vcc, s6, v15
	s_mov_b32 s6, 0x42b17218
	v_ldexp_f32 v17, v17, v18
	v_cndmask_b32_e32 v17, 0, v17, vcc
	v_mov_b32_e32 v18, 0x7f800000
	v_cmp_nlt_f32_e32 vcc, s6, v15
	v_cndmask_b32_e32 v17, v18, v17, vcc
	v_add_f32_e32 v15, 1.0, v17
	v_add_f32_e32 v18, -1.0, v15
	v_sub_f32_e32 v19, v18, v15
	v_add_f32_e32 v19, 1.0, v19
	v_sub_f32_e32 v18, v17, v18
	v_add_f32_e32 v20, v18, v19
	v_frexp_mant_f32_e32 v21, v15
	s_mov_b32 s6, 0x3f2aaaab
	v_cvt_f64_f32_e32 v[18:19], v15
	v_frexp_exp_i32_f64_e32 v18, v[18:19]
	v_cmp_gt_f32_e32 vcc, s6, v21
	v_subbrev_co_u32_e32 v38, vcc, 0, v18, vcc
	v_sub_u32_e32 v18, 0, v38
	v_ldexp_f32 v15, v15, v18
	v_ldexp_f32 v18, v20, v18
	v_add_f32_e32 v20, -1.0, v15
	v_add_f32_e32 v19, 1.0, v20
	v_sub_f32_e32 v19, v15, v19
	v_add_f32_e32 v21, v18, v19
	v_add_f32_e32 v19, 1.0, v15
	v_add_f32_e32 v34, -1.0, v19
	v_sub_f32_e32 v15, v15, v34
	v_add_f32_e32 v15, v18, v15
	v_add_f32_e32 v43, v19, v15
	v_rcp_f32_e32 v44, v43
	v_sub_f32_e32 v18, v19, v43
	v_add_f32_e32 v19, v20, v21
	v_add_f32_e32 v15, v15, v18
	v_mul_f32_e32 v46, v19, v44
	v_sub_f32_e32 v18, v20, v19
	v_mul_f32_e32 v20, v43, v46
	v_fma_f32 v34, v46, v43, -v20
	v_fmac_f32_e32 v34, v46, v15
	v_add_f32_e32 v45, v21, v18
	v_add_f32_e32 v18, v20, v34
	v_sub_f32_e32 v21, v19, v18
	v_pk_add_f32 v[36:37], v[18:19], v[20:21] neg_lo:[0,1] neg_hi:[0,1]
	v_mov_b32_e32 v35, v18
	v_pk_add_f32 v[18:19], v[36:37], v[34:35] neg_lo:[0,1] neg_hi:[0,1]
	v_add_f32_e32 v19, v45, v19
	v_add_f32_e32 v18, v18, v19
	;; [unrolled: 1-line block ×3, first 2 shown]
	v_mul_f32_e32 v45, v44, v19
	v_mul_f32_e32 v20, v43, v45
	v_fma_f32 v34, v45, v43, -v20
	v_fmac_f32_e32 v34, v45, v15
	v_sub_f32_e32 v15, v21, v19
	v_add_f32_e32 v15, v18, v15
	v_add_f32_e32 v18, v20, v34
	v_sub_f32_e32 v21, v19, v18
	v_pk_add_f32 v[36:37], v[18:19], v[20:21] neg_lo:[0,1] neg_hi:[0,1]
	v_mov_b32_e32 v35, v18
	v_pk_add_f32 v[18:19], v[36:37], v[34:35] neg_lo:[0,1] neg_hi:[0,1]
	v_add_f32_e32 v15, v15, v19
	v_add_f32_e32 v15, v18, v15
	;; [unrolled: 1-line block ×4, first 2 shown]
	v_sub_f32_e32 v19, v18, v46
	v_mul_f32_e32 v15, v44, v15
	v_sub_f32_e32 v19, v45, v19
	v_add_f32_e32 v15, v19, v15
	v_add_f32_e32 v21, v18, v15
	v_mul_f32_e32 v34, v21, v21
	v_mov_b32_e32 v20, 0x3ecc95a3
	v_fmac_f32_e32 v20, 0x3e9b6dac, v34
	v_mov_b32_e32 v19, 0x3f2aaada
	v_fmac_f32_e32 v19, v34, v20
	v_cvt_f32_i32_e32 v20, v38
	v_sub_f32_e32 v18, v21, v18
	v_sub_f32_e32 v15, v15, v18
	v_ldexp_f32 v35, v21, 1
	v_mul_f32_e32 v21, v21, v34
	v_mov_b32_e32 v18, 0x3f317218
	s_mov_b32 s6, 0x3f317218
	v_pk_mul_f32 v[18:19], v[20:21], v[18:19]
	v_fma_f32 v34, v20, s6, -v18
	v_fmac_f32_e32 v34, 0xb102e308, v20
	v_pk_add_f32 v[20:21], v[18:19], v[34:35]
	v_sub_f32_e32 v35, v21, v35
	v_ldexp_f32 v15, v15, 1
	v_sub_f32_e32 v35, v19, v35
	v_add_f32_e32 v37, v15, v35
	v_mov_b32_e32 v36, v18
	v_pk_add_f32 v[18:19], v[20:21], v[18:19] neg_lo:[0,1] neg_hi:[0,1]
	v_pk_add_f32 v[44:45], v[20:21], v[36:37]
	v_mov_b32_e32 v19, v45
	v_mov_b32_e32 v35, v20
	v_pk_add_f32 v[46:47], v[34:35], v[18:19] neg_lo:[0,1] neg_hi:[0,1]
	v_pk_add_f32 v[18:19], v[34:35], v[18:19]
	v_mov_b32_e32 v34, v19
	v_pk_add_f32 v[48:49], v[34:35], v[20:21] neg_lo:[0,1] neg_hi:[0,1]
	v_mov_b32_e32 v15, v48
	v_pk_add_f32 v[50:51], v[44:45], v[14:15] neg_lo:[0,1] neg_hi:[0,1]
	v_mov_b32_e32 v18, v45
	v_mov_b32_e32 v44, v21
	;; [unrolled: 1-line block ×4, first 2 shown]
	v_pk_add_f32 v[18:19], v[18:19], v[44:45] neg_lo:[0,1] neg_hi:[0,1]
	v_mov_b32_e32 v36, v37
	v_mov_b32_e32 v37, v20
	v_pk_add_f32 v[18:19], v[36:37], v[18:19] neg_lo:[0,1] neg_hi:[0,1]
	v_mov_b32_e32 v50, v46
	v_pk_add_f32 v[20:21], v[50:51], v[18:19]
	v_mov_b32_e32 v36, v21
	v_pk_add_f32 v[36:37], v[20:21], v[36:37]
	v_pk_add_f32 v[34:35], v[34:35], v[36:37]
	v_mov_b32_e32 v21, v34
	v_pk_add_f32 v[44:45], v[20:21], v[46:47] neg_lo:[0,1] neg_hi:[0,1]
	v_mov_b32_e32 v19, v36
	v_sub_f32_e32 v15, v20, v44
	v_pk_add_f32 v[18:19], v[18:19], v[44:45] neg_lo:[0,1] neg_hi:[0,1]
	v_sub_f32_e32 v15, v46, v15
	s_mov_b32 s7, 0x7f800000
	v_add_f32_e32 v15, v18, v15
	s_mov_b32 s6, 0x33800000
	v_add_f32_e32 v15, v15, v19
	v_cmp_eq_f32_e32 vcc, s7, v17
	v_cmp_lt_f32_e64 s[6:7], |v17|, s6
	v_add_f32_e32 v15, v34, v15
	s_or_b64 vcc, vcc, s[6:7]
	v_cndmask_b32_e32 v15, v15, v17, vcc
	v_add_f32_e32 v15, v16, v15
.LBB155_192:
	s_or_b64 exec, exec, s[4:5]
	v_max_f32_e32 v16, v15, v15
	v_min_f32_e32 v17, v16, v39
	v_cmp_u_f32_e32 vcc, v15, v15
	v_max_f32_e32 v16, v16, v39
	v_cndmask_b32_e32 v17, v17, v15, vcc
	v_cndmask_b32_e32 v16, v16, v15, vcc
	v_cndmask_b32_e64 v18, v17, v24, s[22:23]
	v_cndmask_b32_e64 v17, v16, v24, s[22:23]
	s_movk_i32 s6, 0x1f8
	v_cmp_neq_f32_e32 vcc, v18, v17
	v_cmp_class_f32_e64 s[4:5], v18, s6
	s_or_b64 s[8:9], vcc, s[4:5]
	v_mov_b32_e32 v16, v15
	s_and_saveexec_b64 s[4:5], s[8:9]
	s_cbranch_execz .LBB155_194
; %bb.193:
	v_sub_f32_e32 v16, v18, v17
	s_mov_b32 s7, 0x3fb8aa3b
	v_mul_f32_e32 v18, 0x3fb8aa3b, v16
	v_fma_f32 v19, v16, s7, -v18
	v_rndne_f32_e32 v20, v18
	v_fmac_f32_e32 v19, 0x32a5705f, v16
	v_sub_f32_e32 v18, v18, v20
	v_add_f32_e32 v18, v18, v19
	v_exp_f32_e32 v18, v18
	v_cvt_i32_f32_e32 v19, v20
	s_mov_b32 s7, 0xc2ce8ed0
	v_cmp_ngt_f32_e32 vcc, s7, v16
	s_mov_b32 s7, 0x42b17218
	v_ldexp_f32 v18, v18, v19
	v_cndmask_b32_e32 v18, 0, v18, vcc
	v_mov_b32_e32 v19, 0x7f800000
	v_cmp_nlt_f32_e32 vcc, s7, v16
	v_cndmask_b32_e32 v43, v19, v18, vcc
	v_add_f32_e32 v16, 1.0, v43
	v_add_f32_e32 v18, -1.0, v16
	v_sub_f32_e32 v19, v18, v16
	v_add_f32_e32 v19, 1.0, v19
	v_sub_f32_e32 v18, v43, v18
	v_add_f32_e32 v20, v18, v19
	v_frexp_mant_f32_e32 v21, v16
	s_mov_b32 s7, 0x3f2aaaab
	v_cvt_f64_f32_e32 v[18:19], v16
	v_frexp_exp_i32_f64_e32 v18, v[18:19]
	v_cmp_gt_f32_e32 vcc, s7, v21
	v_subbrev_co_u32_e32 v38, vcc, 0, v18, vcc
	v_sub_u32_e32 v18, 0, v38
	v_ldexp_f32 v16, v16, v18
	v_ldexp_f32 v18, v20, v18
	v_add_f32_e32 v20, -1.0, v16
	v_add_f32_e32 v19, 1.0, v20
	v_sub_f32_e32 v19, v16, v19
	v_add_f32_e32 v21, v18, v19
	v_add_f32_e32 v19, 1.0, v16
	v_add_f32_e32 v34, -1.0, v19
	v_sub_f32_e32 v16, v16, v34
	v_add_f32_e32 v16, v18, v16
	v_add_f32_e32 v39, v19, v16
	v_rcp_f32_e32 v44, v39
	v_sub_f32_e32 v18, v19, v39
	v_add_f32_e32 v19, v20, v21
	v_add_f32_e32 v16, v16, v18
	v_mul_f32_e32 v46, v19, v44
	v_sub_f32_e32 v18, v20, v19
	v_mul_f32_e32 v20, v39, v46
	v_fma_f32 v34, v46, v39, -v20
	v_fmac_f32_e32 v34, v46, v16
	v_add_f32_e32 v45, v21, v18
	v_add_f32_e32 v18, v20, v34
	v_sub_f32_e32 v21, v19, v18
	v_pk_add_f32 v[36:37], v[18:19], v[20:21] neg_lo:[0,1] neg_hi:[0,1]
	v_mov_b32_e32 v35, v18
	v_pk_add_f32 v[18:19], v[36:37], v[34:35] neg_lo:[0,1] neg_hi:[0,1]
	v_add_f32_e32 v19, v45, v19
	v_add_f32_e32 v18, v18, v19
	;; [unrolled: 1-line block ×3, first 2 shown]
	v_mul_f32_e32 v45, v44, v19
	v_mul_f32_e32 v20, v39, v45
	v_fma_f32 v34, v45, v39, -v20
	v_fmac_f32_e32 v34, v45, v16
	v_sub_f32_e32 v16, v21, v19
	v_add_f32_e32 v16, v18, v16
	v_add_f32_e32 v18, v20, v34
	v_sub_f32_e32 v21, v19, v18
	v_pk_add_f32 v[36:37], v[18:19], v[20:21] neg_lo:[0,1] neg_hi:[0,1]
	v_mov_b32_e32 v35, v18
	v_pk_add_f32 v[18:19], v[36:37], v[34:35] neg_lo:[0,1] neg_hi:[0,1]
	v_add_f32_e32 v16, v16, v19
	v_add_f32_e32 v16, v18, v16
	;; [unrolled: 1-line block ×4, first 2 shown]
	v_sub_f32_e32 v19, v18, v46
	v_mul_f32_e32 v16, v44, v16
	v_sub_f32_e32 v19, v45, v19
	v_add_f32_e32 v16, v19, v16
	v_add_f32_e32 v21, v18, v16
	v_mul_f32_e32 v34, v21, v21
	v_mov_b32_e32 v20, 0x3ecc95a3
	v_fmac_f32_e32 v20, 0x3e9b6dac, v34
	v_mov_b32_e32 v19, 0x3f2aaada
	v_fmac_f32_e32 v19, v34, v20
	v_cvt_f32_i32_e32 v20, v38
	v_sub_f32_e32 v18, v21, v18
	v_sub_f32_e32 v16, v16, v18
	v_ldexp_f32 v35, v21, 1
	v_mul_f32_e32 v21, v21, v34
	v_mov_b32_e32 v18, 0x3f317218
	s_mov_b32 s7, 0x3f317218
	v_pk_mul_f32 v[18:19], v[20:21], v[18:19]
	v_fma_f32 v34, v20, s7, -v18
	v_fmac_f32_e32 v34, 0xb102e308, v20
	v_pk_add_f32 v[20:21], v[18:19], v[34:35]
	v_sub_f32_e32 v35, v21, v35
	v_ldexp_f32 v16, v16, 1
	v_sub_f32_e32 v35, v19, v35
	v_add_f32_e32 v37, v16, v35
	v_mov_b32_e32 v36, v18
	v_pk_add_f32 v[18:19], v[20:21], v[18:19] neg_lo:[0,1] neg_hi:[0,1]
	v_pk_add_f32 v[38:39], v[20:21], v[36:37]
	v_mov_b32_e32 v19, v39
	v_mov_b32_e32 v35, v20
	v_pk_add_f32 v[44:45], v[34:35], v[18:19] neg_lo:[0,1] neg_hi:[0,1]
	v_pk_add_f32 v[18:19], v[34:35], v[18:19]
	v_mov_b32_e32 v16, v19
	v_pk_add_f32 v[34:35], v[16:17], v[20:21] neg_lo:[0,1] neg_hi:[0,1]
	v_mov_b32_e32 v35, v34
	v_pk_add_f32 v[46:47], v[38:39], v[34:35] neg_lo:[0,1] neg_hi:[0,1]
	v_mov_b32_e32 v18, v39
	v_mov_b32_e32 v38, v21
	;; [unrolled: 1-line block ×4, first 2 shown]
	v_pk_add_f32 v[18:19], v[18:19], v[38:39] neg_lo:[0,1] neg_hi:[0,1]
	v_mov_b32_e32 v34, v37
	v_mov_b32_e32 v35, v20
	v_pk_add_f32 v[18:19], v[34:35], v[18:19] neg_lo:[0,1] neg_hi:[0,1]
	v_mov_b32_e32 v46, v44
	v_pk_add_f32 v[20:21], v[46:47], v[18:19]
	v_mov_b32_e32 v34, v21
	v_pk_add_f32 v[34:35], v[20:21], v[34:35]
	v_pk_add_f32 v[36:37], v[16:17], v[34:35]
	v_mov_b32_e32 v21, v36
	v_pk_add_f32 v[38:39], v[20:21], v[44:45] neg_lo:[0,1] neg_hi:[0,1]
	v_mov_b32_e32 v19, v34
	v_sub_f32_e32 v16, v20, v38
	v_pk_add_f32 v[18:19], v[18:19], v[38:39] neg_lo:[0,1] neg_hi:[0,1]
	v_sub_f32_e32 v16, v44, v16
	s_mov_b32 s8, 0x7f800000
	v_add_f32_e32 v16, v18, v16
	s_mov_b32 s7, 0x33800000
	v_add_f32_e32 v16, v16, v19
	v_cmp_eq_f32_e32 vcc, s8, v43
	v_cmp_lt_f32_e64 s[8:9], |v43|, s7
	v_add_f32_e32 v16, v36, v16
	s_or_b64 vcc, vcc, s[8:9]
	v_cndmask_b32_e32 v16, v16, v43, vcc
	v_add_f32_e32 v16, v17, v16
.LBB155_194:
	s_or_b64 exec, exec, s[4:5]
	v_max_f32_e32 v17, v16, v16
	v_min_f32_e32 v18, v17, v40
	v_cmp_u_f32_e32 vcc, v16, v16
	v_max_f32_e32 v17, v17, v40
	v_cndmask_b32_e32 v18, v18, v16, vcc
	v_cndmask_b32_e32 v17, v17, v16, vcc
	v_cndmask_b32_e64 v19, v18, v25, s[24:25]
	v_cndmask_b32_e64 v18, v17, v25, s[24:25]
	v_cmp_neq_f32_e32 vcc, v19, v18
	v_cmp_class_f32_e64 s[4:5], v19, s6
	s_or_b64 s[6:7], vcc, s[4:5]
	v_mov_b32_e32 v17, v16
	s_and_saveexec_b64 s[4:5], s[6:7]
	s_cbranch_execz .LBB155_196
; %bb.195:
	v_sub_f32_e32 v17, v19, v18
	s_mov_b32 s6, 0x3fb8aa3b
	v_mul_f32_e32 v19, 0x3fb8aa3b, v17
	v_fma_f32 v20, v17, s6, -v19
	v_rndne_f32_e32 v21, v19
	v_fmac_f32_e32 v20, 0x32a5705f, v17
	v_sub_f32_e32 v19, v19, v21
	v_add_f32_e32 v19, v19, v20
	v_exp_f32_e32 v19, v19
	v_cvt_i32_f32_e32 v20, v21
	s_mov_b32 s6, 0xc2ce8ed0
	v_cmp_ngt_f32_e32 vcc, s6, v17
	s_mov_b32 s6, 0x42b17218
	v_ldexp_f32 v19, v19, v20
	v_cndmask_b32_e32 v19, 0, v19, vcc
	v_mov_b32_e32 v20, 0x7f800000
	v_cmp_nlt_f32_e32 vcc, s6, v17
	v_cndmask_b32_e32 v19, v20, v19, vcc
	v_add_f32_e32 v17, 1.0, v19
	v_add_f32_e32 v20, -1.0, v17
	v_sub_f32_e32 v21, v20, v17
	v_add_f32_e32 v21, 1.0, v21
	v_sub_f32_e32 v20, v19, v20
	v_add_f32_e32 v34, v20, v21
	v_frexp_mant_f32_e32 v35, v17
	s_mov_b32 s6, 0x3f2aaaab
	v_cvt_f64_f32_e32 v[20:21], v17
	v_frexp_exp_i32_f64_e32 v20, v[20:21]
	v_cmp_gt_f32_e32 vcc, s6, v35
	v_subbrev_co_u32_e32 v40, vcc, 0, v20, vcc
	v_sub_u32_e32 v20, 0, v40
	v_ldexp_f32 v17, v17, v20
	v_ldexp_f32 v20, v34, v20
	v_add_f32_e32 v34, -1.0, v17
	v_add_f32_e32 v21, 1.0, v34
	v_sub_f32_e32 v21, v17, v21
	v_add_f32_e32 v35, v20, v21
	v_add_f32_e32 v21, 1.0, v17
	v_add_f32_e32 v36, -1.0, v21
	v_sub_f32_e32 v17, v17, v36
	v_add_f32_e32 v17, v20, v17
	v_add_f32_e32 v43, v21, v17
	v_rcp_f32_e32 v44, v43
	v_sub_f32_e32 v20, v21, v43
	v_add_f32_e32 v21, v34, v35
	v_add_f32_e32 v17, v17, v20
	v_mul_f32_e32 v46, v21, v44
	v_sub_f32_e32 v20, v34, v21
	v_mul_f32_e32 v34, v43, v46
	v_fma_f32 v36, v46, v43, -v34
	v_fmac_f32_e32 v36, v46, v17
	v_add_f32_e32 v45, v35, v20
	v_add_f32_e32 v20, v34, v36
	v_sub_f32_e32 v35, v21, v20
	v_pk_add_f32 v[38:39], v[20:21], v[34:35] neg_lo:[0,1] neg_hi:[0,1]
	v_mov_b32_e32 v37, v20
	v_pk_add_f32 v[20:21], v[38:39], v[36:37] neg_lo:[0,1] neg_hi:[0,1]
	v_add_f32_e32 v21, v45, v21
	v_add_f32_e32 v20, v20, v21
	;; [unrolled: 1-line block ×3, first 2 shown]
	v_mul_f32_e32 v45, v44, v21
	v_mul_f32_e32 v34, v43, v45
	v_fma_f32 v36, v45, v43, -v34
	v_fmac_f32_e32 v36, v45, v17
	v_sub_f32_e32 v17, v35, v21
	v_add_f32_e32 v17, v20, v17
	v_add_f32_e32 v20, v34, v36
	v_sub_f32_e32 v35, v21, v20
	v_pk_add_f32 v[38:39], v[20:21], v[34:35] neg_lo:[0,1] neg_hi:[0,1]
	v_mov_b32_e32 v37, v20
	v_pk_add_f32 v[20:21], v[38:39], v[36:37] neg_lo:[0,1] neg_hi:[0,1]
	v_add_f32_e32 v17, v17, v21
	v_add_f32_e32 v17, v20, v17
	;; [unrolled: 1-line block ×4, first 2 shown]
	v_sub_f32_e32 v21, v20, v46
	v_mul_f32_e32 v17, v44, v17
	v_sub_f32_e32 v21, v45, v21
	v_add_f32_e32 v17, v21, v17
	v_add_f32_e32 v35, v20, v17
	v_mul_f32_e32 v36, v35, v35
	v_mov_b32_e32 v34, 0x3ecc95a3
	v_fmac_f32_e32 v34, 0x3e9b6dac, v36
	v_mov_b32_e32 v21, 0x3f2aaada
	v_fmac_f32_e32 v21, v36, v34
	v_cvt_f32_i32_e32 v34, v40
	v_sub_f32_e32 v20, v35, v20
	v_sub_f32_e32 v17, v17, v20
	v_ldexp_f32 v37, v35, 1
	v_mul_f32_e32 v35, v35, v36
	v_mov_b32_e32 v20, 0x3f317218
	s_mov_b32 s6, 0x3f317218
	v_pk_mul_f32 v[20:21], v[34:35], v[20:21]
	v_fma_f32 v36, v34, s6, -v20
	v_fmac_f32_e32 v36, 0xb102e308, v34
	v_pk_add_f32 v[34:35], v[20:21], v[36:37]
	v_sub_f32_e32 v37, v35, v37
	v_ldexp_f32 v17, v17, 1
	v_sub_f32_e32 v37, v21, v37
	v_add_f32_e32 v39, v17, v37
	v_mov_b32_e32 v38, v20
	v_pk_add_f32 v[20:21], v[34:35], v[20:21] neg_lo:[0,1] neg_hi:[0,1]
	v_pk_add_f32 v[44:45], v[34:35], v[38:39]
	v_mov_b32_e32 v21, v45
	v_mov_b32_e32 v37, v34
	v_pk_add_f32 v[46:47], v[36:37], v[20:21] neg_lo:[0,1] neg_hi:[0,1]
	v_pk_add_f32 v[20:21], v[36:37], v[20:21]
	v_mov_b32_e32 v36, v21
	v_pk_add_f32 v[48:49], v[36:37], v[34:35] neg_lo:[0,1] neg_hi:[0,1]
	v_mov_b32_e32 v17, v48
	v_pk_add_f32 v[50:51], v[44:45], v[16:17] neg_lo:[0,1] neg_hi:[0,1]
	v_mov_b32_e32 v20, v45
	v_mov_b32_e32 v44, v35
	;; [unrolled: 1-line block ×4, first 2 shown]
	v_pk_add_f32 v[20:21], v[20:21], v[44:45] neg_lo:[0,1] neg_hi:[0,1]
	v_mov_b32_e32 v38, v39
	v_mov_b32_e32 v39, v34
	v_pk_add_f32 v[20:21], v[38:39], v[20:21] neg_lo:[0,1] neg_hi:[0,1]
	v_mov_b32_e32 v50, v46
	v_pk_add_f32 v[34:35], v[50:51], v[20:21]
	v_mov_b32_e32 v38, v35
	v_pk_add_f32 v[38:39], v[34:35], v[38:39]
	v_pk_add_f32 v[36:37], v[36:37], v[38:39]
	v_mov_b32_e32 v35, v36
	v_pk_add_f32 v[44:45], v[34:35], v[46:47] neg_lo:[0,1] neg_hi:[0,1]
	v_mov_b32_e32 v21, v38
	v_sub_f32_e32 v17, v34, v44
	v_pk_add_f32 v[20:21], v[20:21], v[44:45] neg_lo:[0,1] neg_hi:[0,1]
	v_sub_f32_e32 v17, v46, v17
	s_mov_b32 s7, 0x7f800000
	v_add_f32_e32 v17, v20, v17
	s_mov_b32 s6, 0x33800000
	v_add_f32_e32 v17, v17, v21
	v_cmp_eq_f32_e32 vcc, s7, v19
	v_cmp_lt_f32_e64 s[6:7], |v19|, s6
	v_add_f32_e32 v17, v36, v17
	s_or_b64 vcc, vcc, s[6:7]
	v_cndmask_b32_e32 v17, v17, v19, vcc
	v_add_f32_e32 v17, v18, v17
.LBB155_196:
	s_or_b64 exec, exec, s[4:5]
	v_max_f32_e32 v18, v17, v17
	v_min_f32_e32 v19, v18, v41
	v_cmp_u_f32_e32 vcc, v17, v17
	v_max_f32_e32 v18, v18, v41
	v_cndmask_b32_e32 v19, v19, v17, vcc
	v_cndmask_b32_e32 v18, v18, v17, vcc
	v_cndmask_b32_e64 v20, v19, v30, s[26:27]
	v_cndmask_b32_e64 v19, v18, v30, s[26:27]
	s_movk_i32 s6, 0x1f8
	v_cmp_neq_f32_e32 vcc, v20, v19
	v_cmp_class_f32_e64 s[4:5], v20, s6
	s_or_b64 s[8:9], vcc, s[4:5]
	v_mov_b32_e32 v18, v17
	s_and_saveexec_b64 s[4:5], s[8:9]
	s_cbranch_execz .LBB155_198
; %bb.197:
	v_sub_f32_e32 v18, v20, v19
	s_mov_b32 s7, 0x3fb8aa3b
	v_mul_f32_e32 v20, 0x3fb8aa3b, v18
	v_fma_f32 v21, v18, s7, -v20
	v_rndne_f32_e32 v34, v20
	v_fmac_f32_e32 v21, 0x32a5705f, v18
	v_sub_f32_e32 v20, v20, v34
	v_add_f32_e32 v20, v20, v21
	v_exp_f32_e32 v20, v20
	v_cvt_i32_f32_e32 v21, v34
	s_mov_b32 s7, 0xc2ce8ed0
	v_cmp_ngt_f32_e32 vcc, s7, v18
	s_mov_b32 s7, 0x42b17218
	v_ldexp_f32 v20, v20, v21
	v_cndmask_b32_e32 v20, 0, v20, vcc
	v_mov_b32_e32 v21, 0x7f800000
	v_cmp_nlt_f32_e32 vcc, s7, v18
	v_cndmask_b32_e32 v43, v21, v20, vcc
	v_add_f32_e32 v18, 1.0, v43
	v_add_f32_e32 v20, -1.0, v18
	v_sub_f32_e32 v21, v20, v18
	v_add_f32_e32 v21, 1.0, v21
	v_sub_f32_e32 v20, v43, v20
	v_add_f32_e32 v34, v20, v21
	v_frexp_mant_f32_e32 v35, v18
	s_mov_b32 s7, 0x3f2aaaab
	v_cvt_f64_f32_e32 v[20:21], v18
	v_frexp_exp_i32_f64_e32 v20, v[20:21]
	v_cmp_gt_f32_e32 vcc, s7, v35
	v_subbrev_co_u32_e32 v40, vcc, 0, v20, vcc
	v_sub_u32_e32 v20, 0, v40
	v_ldexp_f32 v18, v18, v20
	v_ldexp_f32 v20, v34, v20
	v_add_f32_e32 v34, -1.0, v18
	v_add_f32_e32 v21, 1.0, v34
	v_sub_f32_e32 v21, v18, v21
	v_add_f32_e32 v35, v20, v21
	v_add_f32_e32 v21, 1.0, v18
	v_add_f32_e32 v36, -1.0, v21
	v_sub_f32_e32 v18, v18, v36
	v_add_f32_e32 v18, v20, v18
	v_add_f32_e32 v41, v21, v18
	v_rcp_f32_e32 v44, v41
	v_sub_f32_e32 v20, v21, v41
	v_add_f32_e32 v21, v34, v35
	v_add_f32_e32 v18, v18, v20
	v_mul_f32_e32 v46, v21, v44
	v_sub_f32_e32 v20, v34, v21
	v_mul_f32_e32 v34, v41, v46
	v_fma_f32 v36, v46, v41, -v34
	v_fmac_f32_e32 v36, v46, v18
	v_add_f32_e32 v45, v35, v20
	v_add_f32_e32 v20, v34, v36
	v_sub_f32_e32 v35, v21, v20
	v_pk_add_f32 v[38:39], v[20:21], v[34:35] neg_lo:[0,1] neg_hi:[0,1]
	v_mov_b32_e32 v37, v20
	v_pk_add_f32 v[20:21], v[38:39], v[36:37] neg_lo:[0,1] neg_hi:[0,1]
	v_add_f32_e32 v21, v45, v21
	v_add_f32_e32 v20, v20, v21
	;; [unrolled: 1-line block ×3, first 2 shown]
	v_mul_f32_e32 v45, v44, v21
	v_mul_f32_e32 v34, v41, v45
	v_fma_f32 v36, v45, v41, -v34
	v_fmac_f32_e32 v36, v45, v18
	v_sub_f32_e32 v18, v35, v21
	v_add_f32_e32 v18, v20, v18
	v_add_f32_e32 v20, v34, v36
	v_sub_f32_e32 v35, v21, v20
	v_pk_add_f32 v[38:39], v[20:21], v[34:35] neg_lo:[0,1] neg_hi:[0,1]
	v_mov_b32_e32 v37, v20
	v_pk_add_f32 v[20:21], v[38:39], v[36:37] neg_lo:[0,1] neg_hi:[0,1]
	v_add_f32_e32 v18, v18, v21
	v_add_f32_e32 v18, v20, v18
	;; [unrolled: 1-line block ×4, first 2 shown]
	v_sub_f32_e32 v21, v20, v46
	v_mul_f32_e32 v18, v44, v18
	v_sub_f32_e32 v21, v45, v21
	v_add_f32_e32 v18, v21, v18
	v_add_f32_e32 v35, v20, v18
	v_mul_f32_e32 v36, v35, v35
	v_mov_b32_e32 v34, 0x3ecc95a3
	v_fmac_f32_e32 v34, 0x3e9b6dac, v36
	v_mov_b32_e32 v21, 0x3f2aaada
	v_fmac_f32_e32 v21, v36, v34
	v_cvt_f32_i32_e32 v34, v40
	v_sub_f32_e32 v20, v35, v20
	v_sub_f32_e32 v18, v18, v20
	v_ldexp_f32 v37, v35, 1
	v_mul_f32_e32 v35, v35, v36
	v_mov_b32_e32 v20, 0x3f317218
	s_mov_b32 s7, 0x3f317218
	v_pk_mul_f32 v[20:21], v[34:35], v[20:21]
	v_fma_f32 v36, v34, s7, -v20
	v_fmac_f32_e32 v36, 0xb102e308, v34
	v_pk_add_f32 v[34:35], v[20:21], v[36:37]
	v_sub_f32_e32 v37, v35, v37
	v_ldexp_f32 v18, v18, 1
	v_sub_f32_e32 v37, v21, v37
	v_add_f32_e32 v39, v18, v37
	v_mov_b32_e32 v38, v20
	v_pk_add_f32 v[20:21], v[34:35], v[20:21] neg_lo:[0,1] neg_hi:[0,1]
	v_pk_add_f32 v[40:41], v[34:35], v[38:39]
	v_mov_b32_e32 v21, v41
	v_mov_b32_e32 v37, v34
	v_pk_add_f32 v[44:45], v[36:37], v[20:21] neg_lo:[0,1] neg_hi:[0,1]
	v_pk_add_f32 v[20:21], v[36:37], v[20:21]
	v_mov_b32_e32 v18, v21
	v_pk_add_f32 v[36:37], v[18:19], v[34:35] neg_lo:[0,1] neg_hi:[0,1]
	v_mov_b32_e32 v37, v36
	v_pk_add_f32 v[46:47], v[40:41], v[36:37] neg_lo:[0,1] neg_hi:[0,1]
	v_mov_b32_e32 v20, v41
	v_mov_b32_e32 v40, v35
	;; [unrolled: 1-line block ×4, first 2 shown]
	v_pk_add_f32 v[20:21], v[20:21], v[40:41] neg_lo:[0,1] neg_hi:[0,1]
	v_mov_b32_e32 v36, v39
	v_mov_b32_e32 v37, v34
	v_pk_add_f32 v[20:21], v[36:37], v[20:21] neg_lo:[0,1] neg_hi:[0,1]
	v_mov_b32_e32 v46, v44
	v_pk_add_f32 v[34:35], v[46:47], v[20:21]
	v_mov_b32_e32 v36, v35
	v_pk_add_f32 v[36:37], v[34:35], v[36:37]
	v_pk_add_f32 v[38:39], v[18:19], v[36:37]
	v_mov_b32_e32 v35, v38
	v_pk_add_f32 v[40:41], v[34:35], v[44:45] neg_lo:[0,1] neg_hi:[0,1]
	v_mov_b32_e32 v21, v36
	v_sub_f32_e32 v18, v34, v40
	v_pk_add_f32 v[20:21], v[20:21], v[40:41] neg_lo:[0,1] neg_hi:[0,1]
	v_sub_f32_e32 v18, v44, v18
	s_mov_b32 s8, 0x7f800000
	v_add_f32_e32 v18, v20, v18
	s_mov_b32 s7, 0x33800000
	v_add_f32_e32 v18, v18, v21
	v_cmp_eq_f32_e32 vcc, s8, v43
	v_cmp_lt_f32_e64 s[8:9], |v43|, s7
	v_add_f32_e32 v18, v38, v18
	s_or_b64 vcc, vcc, s[8:9]
	v_cndmask_b32_e32 v18, v18, v43, vcc
	v_add_f32_e32 v18, v19, v18
.LBB155_198:
	s_or_b64 exec, exec, s[4:5]
	v_max_f32_e32 v19, v18, v18
	v_min_f32_e32 v20, v19, v42
	v_cmp_u_f32_e32 vcc, v18, v18
	v_max_f32_e32 v19, v19, v42
	v_cndmask_b32_e32 v20, v20, v18, vcc
	v_cndmask_b32_e32 v19, v19, v18, vcc
	v_cndmask_b32_e64 v21, v20, v31, s[28:29]
	v_cndmask_b32_e64 v20, v19, v31, s[28:29]
	v_cmp_neq_f32_e32 vcc, v21, v20
	v_cmp_class_f32_e64 s[4:5], v21, s6
	s_or_b64 s[6:7], vcc, s[4:5]
	v_mov_b32_e32 v19, v18
	s_and_saveexec_b64 s[4:5], s[6:7]
	s_cbranch_execz .LBB155_200
; %bb.199:
	v_sub_f32_e32 v19, v21, v20
	s_mov_b32 s6, 0x3fb8aa3b
	v_mul_f32_e32 v21, 0x3fb8aa3b, v19
	v_fma_f32 v34, v19, s6, -v21
	v_rndne_f32_e32 v35, v21
	v_fmac_f32_e32 v34, 0x32a5705f, v19
	v_sub_f32_e32 v21, v21, v35
	v_add_f32_e32 v21, v21, v34
	v_exp_f32_e32 v21, v21
	v_cvt_i32_f32_e32 v34, v35
	s_mov_b32 s6, 0xc2ce8ed0
	v_cmp_ngt_f32_e32 vcc, s6, v19
	s_mov_b32 s6, 0x42b17218
	v_ldexp_f32 v21, v21, v34
	v_cndmask_b32_e32 v21, 0, v21, vcc
	v_mov_b32_e32 v34, 0x7f800000
	v_cmp_nlt_f32_e32 vcc, s6, v19
	v_cndmask_b32_e32 v21, v34, v21, vcc
	v_add_f32_e32 v19, 1.0, v21
	v_add_f32_e32 v34, -1.0, v19
	v_sub_f32_e32 v35, v34, v19
	v_add_f32_e32 v35, 1.0, v35
	v_sub_f32_e32 v34, v21, v34
	v_add_f32_e32 v36, v34, v35
	v_frexp_mant_f32_e32 v37, v19
	s_mov_b32 s6, 0x3f2aaaab
	v_cvt_f64_f32_e32 v[34:35], v19
	v_frexp_exp_i32_f64_e32 v34, v[34:35]
	v_cmp_gt_f32_e32 vcc, s6, v37
	v_subbrev_co_u32_e32 v42, vcc, 0, v34, vcc
	v_sub_u32_e32 v34, 0, v42
	v_ldexp_f32 v19, v19, v34
	v_ldexp_f32 v34, v36, v34
	v_add_f32_e32 v36, -1.0, v19
	v_add_f32_e32 v35, 1.0, v36
	v_sub_f32_e32 v35, v19, v35
	v_add_f32_e32 v37, v34, v35
	v_add_f32_e32 v35, 1.0, v19
	v_add_f32_e32 v38, -1.0, v35
	v_sub_f32_e32 v19, v19, v38
	v_add_f32_e32 v19, v34, v19
	v_add_f32_e32 v43, v35, v19
	v_rcp_f32_e32 v44, v43
	v_sub_f32_e32 v34, v35, v43
	v_add_f32_e32 v35, v36, v37
	v_add_f32_e32 v19, v19, v34
	v_mul_f32_e32 v46, v35, v44
	v_sub_f32_e32 v34, v36, v35
	v_mul_f32_e32 v36, v43, v46
	v_fma_f32 v38, v46, v43, -v36
	v_fmac_f32_e32 v38, v46, v19
	v_add_f32_e32 v45, v37, v34
	v_add_f32_e32 v34, v36, v38
	v_sub_f32_e32 v37, v35, v34
	v_pk_add_f32 v[40:41], v[34:35], v[36:37] neg_lo:[0,1] neg_hi:[0,1]
	v_mov_b32_e32 v39, v34
	v_pk_add_f32 v[34:35], v[40:41], v[38:39] neg_lo:[0,1] neg_hi:[0,1]
	v_add_f32_e32 v35, v45, v35
	v_add_f32_e32 v34, v34, v35
	;; [unrolled: 1-line block ×3, first 2 shown]
	v_mul_f32_e32 v45, v44, v35
	v_mul_f32_e32 v36, v43, v45
	v_fma_f32 v38, v45, v43, -v36
	v_fmac_f32_e32 v38, v45, v19
	v_sub_f32_e32 v19, v37, v35
	v_add_f32_e32 v19, v34, v19
	v_add_f32_e32 v34, v36, v38
	v_sub_f32_e32 v37, v35, v34
	v_pk_add_f32 v[40:41], v[34:35], v[36:37] neg_lo:[0,1] neg_hi:[0,1]
	v_mov_b32_e32 v39, v34
	v_pk_add_f32 v[34:35], v[40:41], v[38:39] neg_lo:[0,1] neg_hi:[0,1]
	v_add_f32_e32 v19, v19, v35
	v_add_f32_e32 v19, v34, v19
	;; [unrolled: 1-line block ×4, first 2 shown]
	v_sub_f32_e32 v35, v34, v46
	v_mul_f32_e32 v19, v44, v19
	v_sub_f32_e32 v35, v45, v35
	v_add_f32_e32 v19, v35, v19
	v_add_f32_e32 v37, v34, v19
	v_mul_f32_e32 v38, v37, v37
	v_mov_b32_e32 v36, 0x3ecc95a3
	v_fmac_f32_e32 v36, 0x3e9b6dac, v38
	v_mov_b32_e32 v35, 0x3f2aaada
	v_fmac_f32_e32 v35, v38, v36
	v_cvt_f32_i32_e32 v36, v42
	v_sub_f32_e32 v34, v37, v34
	v_sub_f32_e32 v19, v19, v34
	v_ldexp_f32 v39, v37, 1
	v_mul_f32_e32 v37, v37, v38
	v_mov_b32_e32 v34, 0x3f317218
	s_mov_b32 s6, 0x3f317218
	v_pk_mul_f32 v[34:35], v[36:37], v[34:35]
	v_fma_f32 v38, v36, s6, -v34
	v_fmac_f32_e32 v38, 0xb102e308, v36
	v_pk_add_f32 v[36:37], v[34:35], v[38:39]
	v_sub_f32_e32 v39, v37, v39
	v_ldexp_f32 v19, v19, 1
	v_sub_f32_e32 v39, v35, v39
	v_add_f32_e32 v41, v19, v39
	v_mov_b32_e32 v40, v34
	v_pk_add_f32 v[34:35], v[36:37], v[34:35] neg_lo:[0,1] neg_hi:[0,1]
	v_pk_add_f32 v[42:43], v[36:37], v[40:41]
	v_mov_b32_e32 v35, v43
	v_mov_b32_e32 v39, v36
	v_pk_add_f32 v[44:45], v[38:39], v[34:35] neg_lo:[0,1] neg_hi:[0,1]
	v_pk_add_f32 v[34:35], v[38:39], v[34:35]
	v_mov_b32_e32 v38, v35
	v_pk_add_f32 v[46:47], v[38:39], v[36:37] neg_lo:[0,1] neg_hi:[0,1]
	v_mov_b32_e32 v19, v46
	v_pk_add_f32 v[48:49], v[42:43], v[18:19] neg_lo:[0,1] neg_hi:[0,1]
	v_mov_b32_e32 v34, v43
	v_mov_b32_e32 v42, v37
	;; [unrolled: 1-line block ×4, first 2 shown]
	v_pk_add_f32 v[34:35], v[34:35], v[42:43] neg_lo:[0,1] neg_hi:[0,1]
	v_mov_b32_e32 v40, v41
	v_mov_b32_e32 v41, v36
	v_pk_add_f32 v[34:35], v[40:41], v[34:35] neg_lo:[0,1] neg_hi:[0,1]
	v_mov_b32_e32 v48, v44
	v_pk_add_f32 v[36:37], v[48:49], v[34:35]
	v_mov_b32_e32 v40, v37
	v_pk_add_f32 v[40:41], v[36:37], v[40:41]
	v_pk_add_f32 v[38:39], v[38:39], v[40:41]
	v_mov_b32_e32 v37, v38
	v_pk_add_f32 v[42:43], v[36:37], v[44:45] neg_lo:[0,1] neg_hi:[0,1]
	v_mov_b32_e32 v35, v40
	v_sub_f32_e32 v19, v36, v42
	v_pk_add_f32 v[34:35], v[34:35], v[42:43] neg_lo:[0,1] neg_hi:[0,1]
	v_sub_f32_e32 v19, v44, v19
	s_mov_b32 s7, 0x7f800000
	v_add_f32_e32 v19, v34, v19
	s_mov_b32 s6, 0x33800000
	v_add_f32_e32 v19, v19, v35
	v_cmp_eq_f32_e32 vcc, s7, v21
	v_cmp_lt_f32_e64 s[6:7], |v21|, s6
	v_add_f32_e32 v19, v38, v19
	s_or_b64 vcc, vcc, s[6:7]
	v_cndmask_b32_e32 v19, v19, v21, vcc
	v_add_f32_e32 v19, v20, v19
.LBB155_200:
	s_or_b64 exec, exec, s[4:5]
	s_branch .LBB155_299
.LBB155_201:
                                        ; implicit-def: $vgpr6_vgpr7_vgpr8_vgpr9_vgpr10_vgpr11_vgpr12_vgpr13_vgpr14_vgpr15_vgpr16_vgpr17_vgpr18_vgpr19_vgpr20_vgpr21
	s_cbranch_execz .LBB155_299
; %bb.202:
	s_cmp_lg_u64 s[44:45], 0
	s_cselect_b64 s[4:5], -1, 0
	s_and_b64 s[6:7], s[2:3], s[4:5]
	s_and_saveexec_b64 s[4:5], s[6:7]
	s_cbranch_execz .LBB155_206
; %bb.203:
	v_mov_b32_e32 v6, 0
	global_load_dword v6, v6, s[40:41]
	v_max_f32_e32 v7, v2, v2
	s_movk_i32 s6, 0x1f8
	s_waitcnt vmcnt(0)
	v_max_f32_e32 v8, v6, v6
	v_min_f32_e32 v9, v8, v7
	v_max_f32_e32 v7, v8, v7
	v_cmp_u_f32_e32 vcc, v6, v6
	v_cndmask_b32_e32 v8, v9, v6, vcc
	v_cndmask_b32_e32 v9, v7, v6, vcc
	v_cmp_u_f32_e32 vcc, v2, v2
	v_cndmask_b32_e32 v7, v8, v2, vcc
	v_cndmask_b32_e32 v2, v9, v2, vcc
	v_cmp_neq_f32_e32 vcc, v7, v2
	v_cmp_class_f32_e64 s[6:7], v7, s6
	s_or_b64 s[8:9], vcc, s[6:7]
	s_and_saveexec_b64 s[6:7], s[8:9]
	s_cbranch_execz .LBB155_205
; %bb.204:
	v_sub_f32_e32 v6, v7, v2
	s_mov_b32 s8, 0x3fb8aa3b
	v_mul_f32_e32 v7, 0x3fb8aa3b, v6
	v_fma_f32 v8, v6, s8, -v7
	v_rndne_f32_e32 v9, v7
	v_fmac_f32_e32 v8, 0x32a5705f, v6
	v_sub_f32_e32 v7, v7, v9
	v_add_f32_e32 v7, v7, v8
	v_exp_f32_e32 v7, v7
	v_cvt_i32_f32_e32 v8, v9
	s_mov_b32 s8, 0xc2ce8ed0
	v_cmp_ngt_f32_e32 vcc, s8, v6
	s_mov_b32 s8, 0x42b17218
	v_ldexp_f32 v7, v7, v8
	v_cndmask_b32_e32 v7, 0, v7, vcc
	v_mov_b32_e32 v8, 0x7f800000
	v_cmp_nlt_f32_e32 vcc, s8, v6
	v_cndmask_b32_e32 v34, v8, v7, vcc
	v_add_f32_e32 v8, 1.0, v34
	v_add_f32_e32 v6, -1.0, v8
	v_sub_f32_e32 v7, v6, v8
	v_add_f32_e32 v7, 1.0, v7
	v_sub_f32_e32 v6, v34, v6
	v_add_f32_e32 v9, v6, v7
	v_frexp_mant_f32_e32 v10, v8
	s_mov_b32 s8, 0x3f2aaaab
	v_cvt_f64_f32_e32 v[6:7], v8
	v_frexp_exp_i32_f64_e32 v6, v[6:7]
	v_cmp_gt_f32_e32 vcc, s8, v10
	v_subbrev_co_u32_e32 v14, vcc, 0, v6, vcc
	v_sub_u32_e32 v6, 0, v14
	v_ldexp_f32 v7, v8, v6
	v_add_f32_e32 v8, -1.0, v7
	v_add_f32_e32 v10, 1.0, v7
	v_ldexp_f32 v6, v9, v6
	v_add_f32_e32 v9, 1.0, v8
	v_add_f32_e32 v11, -1.0, v10
	v_sub_f32_e32 v9, v7, v9
	v_sub_f32_e32 v7, v7, v11
	v_add_f32_e32 v9, v6, v9
	v_add_f32_e32 v6, v6, v7
	;; [unrolled: 1-line block ×3, first 2 shown]
	v_rcp_f32_e32 v17, v15
	v_sub_f32_e32 v7, v10, v15
	v_add_f32_e32 v16, v6, v7
	v_add_f32_e32 v7, v8, v9
	v_mul_f32_e32 v19, v7, v17
	v_sub_f32_e32 v6, v8, v7
	v_mul_f32_e32 v8, v15, v19
	v_fma_f32 v10, v19, v15, -v8
	v_fmac_f32_e32 v10, v19, v16
	v_add_f32_e32 v18, v9, v6
	v_add_f32_e32 v6, v8, v10
	v_sub_f32_e32 v9, v7, v6
	v_pk_add_f32 v[12:13], v[6:7], v[8:9] neg_lo:[0,1] neg_hi:[0,1]
	v_mov_b32_e32 v11, v6
	v_pk_add_f32 v[6:7], v[12:13], v[10:11] neg_lo:[0,1] neg_hi:[0,1]
	v_add_f32_e32 v7, v18, v7
	v_add_f32_e32 v6, v6, v7
	v_add_f32_e32 v7, v9, v6
	v_mul_f32_e32 v18, v17, v7
	v_mul_f32_e32 v8, v15, v18
	v_fma_f32 v10, v18, v15, -v8
	v_fmac_f32_e32 v10, v18, v16
	v_sub_f32_e32 v9, v9, v7
	v_add_f32_e32 v15, v6, v9
	v_add_f32_e32 v6, v8, v10
	v_sub_f32_e32 v9, v7, v6
	v_pk_add_f32 v[12:13], v[6:7], v[8:9] neg_lo:[0,1] neg_hi:[0,1]
	v_mov_b32_e32 v11, v6
	v_pk_add_f32 v[6:7], v[12:13], v[10:11] neg_lo:[0,1] neg_hi:[0,1]
	v_add_f32_e32 v7, v15, v7
	v_add_f32_e32 v6, v6, v7
	;; [unrolled: 1-line block ×4, first 2 shown]
	v_sub_f32_e32 v7, v9, v19
	v_mul_f32_e32 v6, v17, v6
	v_sub_f32_e32 v7, v18, v7
	v_add_f32_e32 v6, v7, v6
	v_add_f32_e32 v10, v9, v6
	v_mul_f32_e32 v12, v10, v10
	v_mov_b32_e32 v8, 0x3ecc95a3
	v_fmac_f32_e32 v8, 0x3e9b6dac, v12
	v_mov_b32_e32 v7, 0x3f2aaada
	v_fmac_f32_e32 v7, v12, v8
	v_cvt_f32_i32_e32 v8, v14
	v_sub_f32_e32 v9, v10, v9
	v_sub_f32_e32 v6, v6, v9
	v_ldexp_f32 v13, v6, 1
	v_mul_f32_e32 v9, v10, v12
	v_mov_b32_e32 v6, 0x3f317218
	s_mov_b32 s8, 0x3f317218
	v_pk_mul_f32 v[6:7], v[8:9], v[6:7]
	v_ldexp_f32 v11, v10, 1
	v_fma_f32 v10, v8, s8, -v6
	v_fmac_f32_e32 v10, 0xb102e308, v8
	v_pk_add_f32 v[8:9], v[6:7], v[10:11]
	v_sub_f32_e32 v11, v9, v11
	v_sub_f32_e32 v11, v7, v11
	v_add_f32_e32 v13, v13, v11
	v_mov_b32_e32 v12, v6
	v_pk_add_f32 v[6:7], v[8:9], v[6:7] neg_lo:[0,1] neg_hi:[0,1]
	v_pk_add_f32 v[14:15], v[8:9], v[12:13]
	v_mov_b32_e32 v7, v15
	v_mov_b32_e32 v11, v8
	v_pk_add_f32 v[16:17], v[10:11], v[6:7] neg_lo:[0,1] neg_hi:[0,1]
	v_pk_add_f32 v[6:7], v[10:11], v[6:7]
	v_mov_b32_e32 v10, v7
	v_pk_add_f32 v[18:19], v[10:11], v[8:9] neg_lo:[0,1] neg_hi:[0,1]
	v_mov_b32_e32 v11, v18
	v_pk_add_f32 v[20:21], v[14:15], v[10:11] neg_lo:[0,1] neg_hi:[0,1]
	v_mov_b32_e32 v6, v15
	v_mov_b32_e32 v14, v9
	;; [unrolled: 1-line block ×4, first 2 shown]
	v_pk_add_f32 v[6:7], v[6:7], v[14:15] neg_lo:[0,1] neg_hi:[0,1]
	v_mov_b32_e32 v12, v13
	v_mov_b32_e32 v13, v8
	v_pk_add_f32 v[6:7], v[12:13], v[6:7] neg_lo:[0,1] neg_hi:[0,1]
	v_mov_b32_e32 v20, v16
	v_pk_add_f32 v[8:9], v[20:21], v[6:7]
	v_mov_b32_e32 v12, v9
	v_pk_add_f32 v[12:13], v[8:9], v[12:13]
	v_pk_add_f32 v[10:11], v[10:11], v[12:13]
	v_mov_b32_e32 v9, v10
	v_pk_add_f32 v[14:15], v[8:9], v[16:17] neg_lo:[0,1] neg_hi:[0,1]
	v_mov_b32_e32 v7, v12
	v_sub_f32_e32 v8, v8, v14
	v_pk_add_f32 v[6:7], v[6:7], v[14:15] neg_lo:[0,1] neg_hi:[0,1]
	v_sub_f32_e32 v8, v16, v8
	s_mov_b32 s9, 0x7f800000
	v_add_f32_e32 v6, v6, v8
	s_mov_b32 s8, 0x33800000
	v_add_f32_e32 v6, v6, v7
	v_cmp_eq_f32_e32 vcc, s9, v34
	v_cmp_lt_f32_e64 s[8:9], |v34|, s8
	v_add_f32_e32 v6, v10, v6
	s_or_b64 vcc, vcc, s[8:9]
	v_cndmask_b32_e32 v6, v6, v34, vcc
	v_add_f32_e32 v6, v2, v6
.LBB155_205:
	s_or_b64 exec, exec, s[6:7]
	v_mov_b32_e32 v2, v6
.LBB155_206:
	s_or_b64 exec, exec, s[4:5]
	v_max_f32_e32 v14, v3, v3
	v_max_f32_e32 v35, v2, v2
	v_min_f32_e32 v21, v35, v14
	v_cmp_u_f32_e64 s[28:29], v2, v2
	v_cndmask_b32_e64 v6, v21, v2, s[28:29]
	v_cmp_u_f32_e32 vcc, v3, v3
	v_max_f32_e32 v34, v35, v14
	v_cndmask_b32_e32 v7, v6, v3, vcc
	v_cndmask_b32_e64 v6, v34, v2, s[28:29]
	v_cndmask_b32_e32 v6, v6, v3, vcc
	s_movk_i32 s8, 0x1f8
	v_cmp_neq_f32_e64 s[4:5], v7, v6
	v_cmp_class_f32_e64 s[6:7], v7, s8
	s_or_b64 s[4:5], s[4:5], s[6:7]
	v_mov_b32_e32 v36, v2
	s_and_saveexec_b64 s[6:7], s[4:5]
	s_cbranch_execz .LBB155_208
; %bb.207:
	v_sub_f32_e32 v7, v7, v6
	s_mov_b32 s4, 0x3fb8aa3b
	v_mul_f32_e32 v8, 0x3fb8aa3b, v7
	v_fma_f32 v9, v7, s4, -v8
	v_rndne_f32_e32 v10, v8
	v_fmac_f32_e32 v9, 0x32a5705f, v7
	v_sub_f32_e32 v8, v8, v10
	v_add_f32_e32 v8, v8, v9
	v_exp_f32_e32 v8, v8
	v_cvt_i32_f32_e32 v9, v10
	s_mov_b32 s4, 0xc2ce8ed0
	v_cmp_ngt_f32_e64 s[4:5], s4, v7
	s_mov_b32 s9, 0x7f800000
	v_ldexp_f32 v8, v8, v9
	v_cndmask_b32_e64 v8, 0, v8, s[4:5]
	s_mov_b32 s4, 0x42b17218
	v_mov_b32_e32 v9, 0x7f800000
	v_cmp_nlt_f32_e64 s[4:5], s4, v7
	v_cndmask_b32_e64 v15, v9, v8, s[4:5]
	v_add_f32_e32 v7, 1.0, v15
	v_add_f32_e32 v8, -1.0, v7
	v_sub_f32_e32 v9, v8, v7
	v_add_f32_e32 v9, 1.0, v9
	v_sub_f32_e32 v8, v15, v8
	v_add_f32_e32 v10, v8, v9
	v_frexp_mant_f32_e32 v11, v7
	s_mov_b32 s4, 0x3f2aaaab
	v_cvt_f64_f32_e32 v[8:9], v7
	v_frexp_exp_i32_f64_e32 v8, v[8:9]
	v_cmp_gt_f32_e64 s[4:5], s4, v11
	v_subbrev_co_u32_e64 v18, s[4:5], 0, v8, s[4:5]
	v_sub_u32_e32 v8, 0, v18
	v_ldexp_f32 v7, v7, v8
	v_ldexp_f32 v8, v10, v8
	v_add_f32_e32 v10, -1.0, v7
	v_add_f32_e32 v9, 1.0, v10
	v_sub_f32_e32 v9, v7, v9
	v_add_f32_e32 v11, v8, v9
	v_add_f32_e32 v9, 1.0, v7
	v_add_f32_e32 v12, -1.0, v9
	v_sub_f32_e32 v7, v7, v12
	v_add_f32_e32 v7, v8, v7
	v_add_f32_e32 v19, v9, v7
	v_rcp_f32_e32 v20, v19
	v_sub_f32_e32 v8, v9, v19
	v_add_f32_e32 v9, v10, v11
	v_add_f32_e32 v7, v7, v8
	v_mul_f32_e32 v37, v9, v20
	v_sub_f32_e32 v8, v10, v9
	v_mul_f32_e32 v10, v19, v37
	v_fma_f32 v12, v37, v19, -v10
	v_fmac_f32_e32 v12, v37, v7
	v_add_f32_e32 v36, v11, v8
	v_add_f32_e32 v8, v10, v12
	v_sub_f32_e32 v11, v9, v8
	v_pk_add_f32 v[16:17], v[8:9], v[10:11] neg_lo:[0,1] neg_hi:[0,1]
	v_mov_b32_e32 v13, v8
	v_pk_add_f32 v[8:9], v[16:17], v[12:13] neg_lo:[0,1] neg_hi:[0,1]
	v_add_f32_e32 v9, v36, v9
	v_add_f32_e32 v8, v8, v9
	;; [unrolled: 1-line block ×3, first 2 shown]
	v_mul_f32_e32 v36, v20, v9
	v_mul_f32_e32 v10, v19, v36
	v_fma_f32 v12, v36, v19, -v10
	v_fmac_f32_e32 v12, v36, v7
	v_sub_f32_e32 v7, v11, v9
	v_add_f32_e32 v7, v8, v7
	v_add_f32_e32 v8, v10, v12
	v_sub_f32_e32 v11, v9, v8
	v_pk_add_f32 v[16:17], v[8:9], v[10:11] neg_lo:[0,1] neg_hi:[0,1]
	v_mov_b32_e32 v13, v8
	v_pk_add_f32 v[8:9], v[16:17], v[12:13] neg_lo:[0,1] neg_hi:[0,1]
	v_add_f32_e32 v7, v7, v9
	v_add_f32_e32 v7, v8, v7
	;; [unrolled: 1-line block ×4, first 2 shown]
	v_sub_f32_e32 v9, v8, v37
	v_mul_f32_e32 v7, v20, v7
	v_sub_f32_e32 v9, v36, v9
	v_add_f32_e32 v7, v9, v7
	v_add_f32_e32 v11, v8, v7
	v_mul_f32_e32 v12, v11, v11
	v_mov_b32_e32 v10, 0x3ecc95a3
	v_fmac_f32_e32 v10, 0x3e9b6dac, v12
	v_mov_b32_e32 v9, 0x3f2aaada
	v_fmac_f32_e32 v9, v12, v10
	v_cvt_f32_i32_e32 v10, v18
	v_sub_f32_e32 v8, v11, v8
	v_sub_f32_e32 v7, v7, v8
	v_ldexp_f32 v13, v11, 1
	v_mul_f32_e32 v11, v11, v12
	v_mov_b32_e32 v8, 0x3f317218
	s_mov_b32 s4, 0x3f317218
	v_pk_mul_f32 v[8:9], v[10:11], v[8:9]
	v_fma_f32 v12, v10, s4, -v8
	v_fmac_f32_e32 v12, 0xb102e308, v10
	v_pk_add_f32 v[10:11], v[8:9], v[12:13]
	v_sub_f32_e32 v13, v11, v13
	v_ldexp_f32 v7, v7, 1
	v_sub_f32_e32 v13, v9, v13
	v_add_f32_e32 v17, v7, v13
	v_mov_b32_e32 v16, v8
	v_pk_add_f32 v[8:9], v[10:11], v[8:9] neg_lo:[0,1] neg_hi:[0,1]
	v_pk_add_f32 v[18:19], v[10:11], v[16:17]
	v_mov_b32_e32 v9, v19
	v_mov_b32_e32 v13, v10
	v_pk_add_f32 v[36:37], v[12:13], v[8:9] neg_lo:[0,1] neg_hi:[0,1]
	v_pk_add_f32 v[8:9], v[12:13], v[8:9]
	v_mov_b32_e32 v12, v9
	v_pk_add_f32 v[38:39], v[12:13], v[10:11] neg_lo:[0,1] neg_hi:[0,1]
	v_mov_b32_e32 v7, v38
	v_pk_add_f32 v[40:41], v[18:19], v[6:7] neg_lo:[0,1] neg_hi:[0,1]
	v_mov_b32_e32 v8, v19
	v_mov_b32_e32 v18, v11
	;; [unrolled: 1-line block ×4, first 2 shown]
	v_pk_add_f32 v[8:9], v[8:9], v[18:19] neg_lo:[0,1] neg_hi:[0,1]
	v_mov_b32_e32 v16, v17
	v_mov_b32_e32 v17, v10
	v_pk_add_f32 v[8:9], v[16:17], v[8:9] neg_lo:[0,1] neg_hi:[0,1]
	v_mov_b32_e32 v40, v36
	v_pk_add_f32 v[10:11], v[40:41], v[8:9]
	v_mov_b32_e32 v16, v11
	v_pk_add_f32 v[16:17], v[10:11], v[16:17]
	v_pk_add_f32 v[12:13], v[12:13], v[16:17]
	v_mov_b32_e32 v11, v12
	v_pk_add_f32 v[18:19], v[10:11], v[36:37] neg_lo:[0,1] neg_hi:[0,1]
	v_mov_b32_e32 v9, v16
	v_sub_f32_e32 v7, v10, v18
	v_pk_add_f32 v[8:9], v[8:9], v[18:19] neg_lo:[0,1] neg_hi:[0,1]
	v_sub_f32_e32 v7, v36, v7
	v_add_f32_e32 v7, v8, v7
	v_cmp_eq_f32_e64 s[4:5], s9, v15
	s_mov_b32 s9, 0x33800000
	v_add_f32_e32 v7, v7, v9
	v_cmp_lt_f32_e64 s[10:11], |v15|, s9
	v_add_f32_e32 v7, v12, v7
	s_or_b64 s[4:5], s[4:5], s[10:11]
	v_cndmask_b32_e64 v7, v7, v15, s[4:5]
	v_add_f32_e32 v36, v6, v7
.LBB155_208:
	s_or_b64 exec, exec, s[6:7]
	v_max_f32_e32 v8, v4, v4
	v_max_f32_e32 v6, v36, v36
	v_min_f32_e32 v7, v6, v8
	v_cmp_u_f32_e64 s[6:7], v36, v36
	v_max_f32_e32 v6, v6, v8
	v_cndmask_b32_e64 v7, v7, v36, s[6:7]
	v_cmp_u_f32_e64 s[4:5], v4, v4
	v_cndmask_b32_e64 v6, v6, v36, s[6:7]
	v_cndmask_b32_e64 v7, v7, v4, s[4:5]
	;; [unrolled: 1-line block ×3, first 2 shown]
	v_cmp_neq_f32_e64 s[6:7], v7, v6
	v_cmp_class_f32_e64 s[8:9], v7, s8
	s_or_b64 s[6:7], s[6:7], s[8:9]
	s_and_saveexec_b64 s[8:9], s[6:7]
	s_cbranch_execz .LBB155_210
; %bb.209:
	v_sub_f32_e32 v7, v7, v6
	s_mov_b32 s6, 0x3fb8aa3b
	v_mul_f32_e32 v9, 0x3fb8aa3b, v7
	v_fma_f32 v10, v7, s6, -v9
	v_rndne_f32_e32 v11, v9
	v_fmac_f32_e32 v10, 0x32a5705f, v7
	v_sub_f32_e32 v9, v9, v11
	v_add_f32_e32 v9, v9, v10
	v_exp_f32_e32 v9, v9
	v_cvt_i32_f32_e32 v10, v11
	s_mov_b32 s6, 0xc2ce8ed0
	v_cmp_ngt_f32_e64 s[6:7], s6, v7
	s_mov_b32 s10, 0x7f800000
	v_ldexp_f32 v9, v9, v10
	v_cndmask_b32_e64 v9, 0, v9, s[6:7]
	s_mov_b32 s6, 0x42b17218
	v_mov_b32_e32 v10, 0x7f800000
	v_cmp_nlt_f32_e64 s[6:7], s6, v7
	v_cndmask_b32_e64 v9, v10, v9, s[6:7]
	v_add_f32_e32 v7, 1.0, v9
	v_add_f32_e32 v10, -1.0, v7
	v_sub_f32_e32 v11, v10, v7
	v_add_f32_e32 v11, 1.0, v11
	v_sub_f32_e32 v10, v9, v10
	v_add_f32_e32 v12, v10, v11
	v_frexp_mant_f32_e32 v13, v7
	s_mov_b32 s6, 0x3f2aaaab
	v_cvt_f64_f32_e32 v[10:11], v7
	v_frexp_exp_i32_f64_e32 v10, v[10:11]
	v_cmp_gt_f32_e64 s[6:7], s6, v13
	v_subbrev_co_u32_e64 v15, s[6:7], 0, v10, s[6:7]
	v_sub_u32_e32 v10, 0, v15
	v_ldexp_f32 v7, v7, v10
	v_ldexp_f32 v10, v12, v10
	v_add_f32_e32 v12, -1.0, v7
	v_add_f32_e32 v11, 1.0, v12
	v_sub_f32_e32 v11, v7, v11
	v_add_f32_e32 v13, v10, v11
	v_add_f32_e32 v11, 1.0, v7
	v_add_f32_e32 v16, -1.0, v11
	v_sub_f32_e32 v7, v7, v16
	v_add_f32_e32 v7, v10, v7
	v_add_f32_e32 v20, v11, v7
	v_rcp_f32_e32 v36, v20
	v_sub_f32_e32 v10, v11, v20
	v_add_f32_e32 v11, v12, v13
	v_add_f32_e32 v7, v7, v10
	v_mul_f32_e32 v38, v11, v36
	v_sub_f32_e32 v10, v12, v11
	v_mul_f32_e32 v12, v20, v38
	v_fma_f32 v16, v38, v20, -v12
	v_fmac_f32_e32 v16, v38, v7
	v_add_f32_e32 v37, v13, v10
	v_add_f32_e32 v10, v12, v16
	v_sub_f32_e32 v13, v11, v10
	v_pk_add_f32 v[18:19], v[10:11], v[12:13] neg_lo:[0,1] neg_hi:[0,1]
	v_mov_b32_e32 v17, v10
	v_pk_add_f32 v[10:11], v[18:19], v[16:17] neg_lo:[0,1] neg_hi:[0,1]
	v_add_f32_e32 v11, v37, v11
	v_add_f32_e32 v10, v10, v11
	;; [unrolled: 1-line block ×3, first 2 shown]
	v_mul_f32_e32 v37, v36, v11
	v_mul_f32_e32 v12, v20, v37
	v_fma_f32 v16, v37, v20, -v12
	v_fmac_f32_e32 v16, v37, v7
	v_sub_f32_e32 v7, v13, v11
	v_add_f32_e32 v7, v10, v7
	v_add_f32_e32 v10, v12, v16
	v_sub_f32_e32 v13, v11, v10
	v_pk_add_f32 v[18:19], v[10:11], v[12:13] neg_lo:[0,1] neg_hi:[0,1]
	v_mov_b32_e32 v17, v10
	v_pk_add_f32 v[10:11], v[18:19], v[16:17] neg_lo:[0,1] neg_hi:[0,1]
	v_add_f32_e32 v7, v7, v11
	v_add_f32_e32 v7, v10, v7
	;; [unrolled: 1-line block ×4, first 2 shown]
	v_sub_f32_e32 v11, v10, v38
	v_mul_f32_e32 v7, v36, v7
	v_sub_f32_e32 v11, v37, v11
	v_add_f32_e32 v7, v11, v7
	v_add_f32_e32 v13, v10, v7
	v_mul_f32_e32 v16, v13, v13
	v_mov_b32_e32 v12, 0x3ecc95a3
	v_fmac_f32_e32 v12, 0x3e9b6dac, v16
	v_mov_b32_e32 v11, 0x3f2aaada
	v_fmac_f32_e32 v11, v16, v12
	v_cvt_f32_i32_e32 v12, v15
	v_sub_f32_e32 v10, v13, v10
	v_sub_f32_e32 v7, v7, v10
	v_ldexp_f32 v17, v13, 1
	v_mul_f32_e32 v13, v13, v16
	v_mov_b32_e32 v10, 0x3f317218
	s_mov_b32 s6, 0x3f317218
	v_pk_mul_f32 v[10:11], v[12:13], v[10:11]
	v_fma_f32 v16, v12, s6, -v10
	v_fmac_f32_e32 v16, 0xb102e308, v12
	v_pk_add_f32 v[12:13], v[10:11], v[16:17]
	v_sub_f32_e32 v15, v13, v17
	v_ldexp_f32 v7, v7, 1
	v_sub_f32_e32 v15, v11, v15
	v_add_f32_e32 v19, v7, v15
	v_mov_b32_e32 v18, v10
	v_pk_add_f32 v[10:11], v[12:13], v[10:11] neg_lo:[0,1] neg_hi:[0,1]
	v_pk_add_f32 v[36:37], v[12:13], v[18:19]
	v_mov_b32_e32 v11, v37
	v_mov_b32_e32 v17, v12
	v_pk_add_f32 v[38:39], v[16:17], v[10:11] neg_lo:[0,1] neg_hi:[0,1]
	v_pk_add_f32 v[10:11], v[16:17], v[10:11]
	v_mov_b32_e32 v16, v11
	v_pk_add_f32 v[40:41], v[16:17], v[12:13] neg_lo:[0,1] neg_hi:[0,1]
	v_mov_b32_e32 v7, v40
	v_pk_add_f32 v[42:43], v[36:37], v[6:7] neg_lo:[0,1] neg_hi:[0,1]
	v_mov_b32_e32 v10, v37
	v_mov_b32_e32 v36, v13
	v_mov_b32_e32 v37, v40
	v_mov_b32_e32 v39, v11
	v_pk_add_f32 v[10:11], v[10:11], v[36:37] neg_lo:[0,1] neg_hi:[0,1]
	v_mov_b32_e32 v18, v19
	v_mov_b32_e32 v19, v12
	v_pk_add_f32 v[10:11], v[18:19], v[10:11] neg_lo:[0,1] neg_hi:[0,1]
	v_mov_b32_e32 v42, v38
	v_pk_add_f32 v[12:13], v[42:43], v[10:11]
	v_mov_b32_e32 v18, v13
	v_pk_add_f32 v[18:19], v[12:13], v[18:19]
	v_pk_add_f32 v[16:17], v[16:17], v[18:19]
	v_mov_b32_e32 v13, v16
	v_pk_add_f32 v[36:37], v[12:13], v[38:39] neg_lo:[0,1] neg_hi:[0,1]
	v_mov_b32_e32 v11, v18
	v_sub_f32_e32 v7, v12, v36
	v_pk_add_f32 v[10:11], v[10:11], v[36:37] neg_lo:[0,1] neg_hi:[0,1]
	v_sub_f32_e32 v7, v38, v7
	v_add_f32_e32 v7, v10, v7
	v_cmp_eq_f32_e64 s[6:7], s10, v9
	s_mov_b32 s10, 0x33800000
	v_add_f32_e32 v7, v7, v11
	v_cmp_lt_f32_e64 s[10:11], |v9|, s10
	v_add_f32_e32 v7, v16, v7
	s_or_b64 s[6:7], s[6:7], s[10:11]
	v_cndmask_b32_e64 v7, v7, v9, s[6:7]
	v_add_f32_e32 v36, v6, v7
.LBB155_210:
	s_or_b64 exec, exec, s[8:9]
	v_max_f32_e32 v9, v5, v5
	v_max_f32_e32 v6, v36, v36
	v_min_f32_e32 v7, v6, v9
	v_cmp_u_f32_e64 s[8:9], v36, v36
	v_max_f32_e32 v6, v6, v9
	v_cndmask_b32_e64 v7, v7, v36, s[8:9]
	v_cmp_u_f32_e64 s[6:7], v5, v5
	v_cndmask_b32_e64 v6, v6, v36, s[8:9]
	v_cndmask_b32_e64 v7, v7, v5, s[6:7]
	;; [unrolled: 1-line block ×3, first 2 shown]
	s_movk_i32 s12, 0x1f8
	v_cmp_neq_f32_e64 s[8:9], v7, v6
	v_cmp_class_f32_e64 s[10:11], v7, s12
	s_or_b64 s[8:9], s[8:9], s[10:11]
	s_and_saveexec_b64 s[10:11], s[8:9]
	s_cbranch_execz .LBB155_212
; %bb.211:
	v_sub_f32_e32 v7, v7, v6
	s_mov_b32 s8, 0x3fb8aa3b
	v_mul_f32_e32 v10, 0x3fb8aa3b, v7
	v_fma_f32 v11, v7, s8, -v10
	v_rndne_f32_e32 v12, v10
	v_fmac_f32_e32 v11, 0x32a5705f, v7
	v_sub_f32_e32 v10, v10, v12
	v_add_f32_e32 v10, v10, v11
	v_exp_f32_e32 v10, v10
	v_cvt_i32_f32_e32 v11, v12
	s_mov_b32 s8, 0xc2ce8ed0
	v_cmp_ngt_f32_e64 s[8:9], s8, v7
	s_mov_b32 s13, 0x7f800000
	v_ldexp_f32 v10, v10, v11
	v_cndmask_b32_e64 v10, 0, v10, s[8:9]
	s_mov_b32 s8, 0x42b17218
	v_mov_b32_e32 v11, 0x7f800000
	v_cmp_nlt_f32_e64 s[8:9], s8, v7
	v_cndmask_b32_e64 v15, v11, v10, s[8:9]
	v_add_f32_e32 v7, 1.0, v15
	v_add_f32_e32 v10, -1.0, v7
	v_sub_f32_e32 v11, v10, v7
	v_add_f32_e32 v11, 1.0, v11
	v_sub_f32_e32 v10, v15, v10
	v_add_f32_e32 v12, v10, v11
	v_frexp_mant_f32_e32 v13, v7
	s_mov_b32 s8, 0x3f2aaaab
	v_cvt_f64_f32_e32 v[10:11], v7
	v_frexp_exp_i32_f64_e32 v10, v[10:11]
	v_cmp_gt_f32_e64 s[8:9], s8, v13
	v_subbrev_co_u32_e64 v20, s[8:9], 0, v10, s[8:9]
	v_sub_u32_e32 v10, 0, v20
	v_ldexp_f32 v7, v7, v10
	v_ldexp_f32 v10, v12, v10
	v_add_f32_e32 v12, -1.0, v7
	v_add_f32_e32 v11, 1.0, v12
	v_sub_f32_e32 v11, v7, v11
	v_add_f32_e32 v13, v10, v11
	v_add_f32_e32 v11, 1.0, v7
	v_add_f32_e32 v16, -1.0, v11
	v_sub_f32_e32 v7, v7, v16
	v_add_f32_e32 v7, v10, v7
	v_add_f32_e32 v36, v11, v7
	v_rcp_f32_e32 v37, v36
	v_sub_f32_e32 v10, v11, v36
	v_add_f32_e32 v11, v12, v13
	v_add_f32_e32 v7, v7, v10
	v_mul_f32_e32 v39, v11, v37
	v_sub_f32_e32 v10, v12, v11
	v_mul_f32_e32 v12, v36, v39
	v_fma_f32 v16, v39, v36, -v12
	v_fmac_f32_e32 v16, v39, v7
	v_add_f32_e32 v38, v13, v10
	v_add_f32_e32 v10, v12, v16
	v_sub_f32_e32 v13, v11, v10
	v_pk_add_f32 v[18:19], v[10:11], v[12:13] neg_lo:[0,1] neg_hi:[0,1]
	v_mov_b32_e32 v17, v10
	v_pk_add_f32 v[10:11], v[18:19], v[16:17] neg_lo:[0,1] neg_hi:[0,1]
	v_add_f32_e32 v11, v38, v11
	v_add_f32_e32 v10, v10, v11
	;; [unrolled: 1-line block ×3, first 2 shown]
	v_mul_f32_e32 v38, v37, v11
	v_mul_f32_e32 v12, v36, v38
	v_fma_f32 v16, v38, v36, -v12
	v_fmac_f32_e32 v16, v38, v7
	v_sub_f32_e32 v7, v13, v11
	v_add_f32_e32 v7, v10, v7
	v_add_f32_e32 v10, v12, v16
	v_sub_f32_e32 v13, v11, v10
	v_pk_add_f32 v[18:19], v[10:11], v[12:13] neg_lo:[0,1] neg_hi:[0,1]
	v_mov_b32_e32 v17, v10
	v_pk_add_f32 v[10:11], v[18:19], v[16:17] neg_lo:[0,1] neg_hi:[0,1]
	v_add_f32_e32 v7, v7, v11
	v_add_f32_e32 v7, v10, v7
	;; [unrolled: 1-line block ×4, first 2 shown]
	v_sub_f32_e32 v11, v10, v39
	v_mul_f32_e32 v7, v37, v7
	v_sub_f32_e32 v11, v38, v11
	v_add_f32_e32 v7, v11, v7
	v_add_f32_e32 v13, v10, v7
	v_mul_f32_e32 v16, v13, v13
	v_mov_b32_e32 v12, 0x3ecc95a3
	v_fmac_f32_e32 v12, 0x3e9b6dac, v16
	v_mov_b32_e32 v11, 0x3f2aaada
	v_fmac_f32_e32 v11, v16, v12
	v_cvt_f32_i32_e32 v12, v20
	v_sub_f32_e32 v10, v13, v10
	v_sub_f32_e32 v7, v7, v10
	v_ldexp_f32 v17, v13, 1
	v_mul_f32_e32 v13, v13, v16
	v_mov_b32_e32 v10, 0x3f317218
	s_mov_b32 s8, 0x3f317218
	v_pk_mul_f32 v[10:11], v[12:13], v[10:11]
	v_fma_f32 v16, v12, s8, -v10
	v_fmac_f32_e32 v16, 0xb102e308, v12
	v_pk_add_f32 v[12:13], v[10:11], v[16:17]
	v_sub_f32_e32 v17, v13, v17
	v_ldexp_f32 v7, v7, 1
	v_sub_f32_e32 v17, v11, v17
	v_add_f32_e32 v19, v7, v17
	v_mov_b32_e32 v18, v10
	v_pk_add_f32 v[10:11], v[12:13], v[10:11] neg_lo:[0,1] neg_hi:[0,1]
	v_pk_add_f32 v[36:37], v[12:13], v[18:19]
	v_mov_b32_e32 v11, v37
	v_mov_b32_e32 v17, v12
	v_pk_add_f32 v[38:39], v[16:17], v[10:11] neg_lo:[0,1] neg_hi:[0,1]
	v_pk_add_f32 v[10:11], v[16:17], v[10:11]
	v_mov_b32_e32 v16, v11
	v_pk_add_f32 v[40:41], v[16:17], v[12:13] neg_lo:[0,1] neg_hi:[0,1]
	v_mov_b32_e32 v7, v40
	v_pk_add_f32 v[42:43], v[36:37], v[6:7] neg_lo:[0,1] neg_hi:[0,1]
	v_mov_b32_e32 v10, v37
	v_mov_b32_e32 v36, v13
	;; [unrolled: 1-line block ×4, first 2 shown]
	v_pk_add_f32 v[10:11], v[10:11], v[36:37] neg_lo:[0,1] neg_hi:[0,1]
	v_mov_b32_e32 v18, v19
	v_mov_b32_e32 v19, v12
	v_pk_add_f32 v[10:11], v[18:19], v[10:11] neg_lo:[0,1] neg_hi:[0,1]
	v_mov_b32_e32 v42, v38
	v_pk_add_f32 v[12:13], v[42:43], v[10:11]
	v_mov_b32_e32 v18, v13
	v_pk_add_f32 v[18:19], v[12:13], v[18:19]
	v_pk_add_f32 v[16:17], v[16:17], v[18:19]
	v_mov_b32_e32 v13, v16
	v_pk_add_f32 v[36:37], v[12:13], v[38:39] neg_lo:[0,1] neg_hi:[0,1]
	v_mov_b32_e32 v11, v18
	v_sub_f32_e32 v7, v12, v36
	v_pk_add_f32 v[10:11], v[10:11], v[36:37] neg_lo:[0,1] neg_hi:[0,1]
	v_sub_f32_e32 v7, v38, v7
	v_add_f32_e32 v7, v10, v7
	v_cmp_eq_f32_e64 s[8:9], s13, v15
	s_mov_b32 s13, 0x33800000
	v_add_f32_e32 v7, v7, v11
	v_cmp_lt_f32_e64 s[14:15], |v15|, s13
	v_add_f32_e32 v7, v16, v7
	s_or_b64 s[8:9], s[8:9], s[14:15]
	v_cndmask_b32_e64 v7, v7, v15, s[8:9]
	v_add_f32_e32 v36, v6, v7
.LBB155_212:
	s_or_b64 exec, exec, s[10:11]
	v_max_f32_e32 v10, v26, v26
	v_max_f32_e32 v6, v36, v36
	v_min_f32_e32 v7, v6, v10
	v_cmp_u_f32_e64 s[10:11], v36, v36
	v_max_f32_e32 v6, v6, v10
	v_cndmask_b32_e64 v7, v7, v36, s[10:11]
	v_cmp_u_f32_e64 s[8:9], v26, v26
	v_cndmask_b32_e64 v6, v6, v36, s[10:11]
	v_cndmask_b32_e64 v7, v7, v26, s[8:9]
	;; [unrolled: 1-line block ×3, first 2 shown]
	v_cmp_neq_f32_e64 s[10:11], v7, v6
	v_cmp_class_f32_e64 s[12:13], v7, s12
	s_or_b64 s[10:11], s[10:11], s[12:13]
	s_and_saveexec_b64 s[12:13], s[10:11]
	s_cbranch_execz .LBB155_214
; %bb.213:
	v_sub_f32_e32 v7, v7, v6
	s_mov_b32 s10, 0x3fb8aa3b
	v_mul_f32_e32 v11, 0x3fb8aa3b, v7
	v_fma_f32 v12, v7, s10, -v11
	v_rndne_f32_e32 v13, v11
	v_fmac_f32_e32 v12, 0x32a5705f, v7
	v_sub_f32_e32 v11, v11, v13
	v_add_f32_e32 v11, v11, v12
	v_exp_f32_e32 v11, v11
	v_cvt_i32_f32_e32 v12, v13
	s_mov_b32 s10, 0xc2ce8ed0
	v_cmp_ngt_f32_e64 s[10:11], s10, v7
	s_mov_b32 s14, 0x7f800000
	v_ldexp_f32 v11, v11, v12
	v_cndmask_b32_e64 v11, 0, v11, s[10:11]
	s_mov_b32 s10, 0x42b17218
	v_mov_b32_e32 v12, 0x7f800000
	v_cmp_nlt_f32_e64 s[10:11], s10, v7
	v_cndmask_b32_e64 v11, v12, v11, s[10:11]
	v_add_f32_e32 v7, 1.0, v11
	v_add_f32_e32 v12, -1.0, v7
	v_sub_f32_e32 v13, v12, v7
	v_add_f32_e32 v13, 1.0, v13
	v_sub_f32_e32 v12, v11, v12
	v_add_f32_e32 v15, v12, v13
	v_frexp_mant_f32_e32 v16, v7
	s_mov_b32 s10, 0x3f2aaaab
	v_cvt_f64_f32_e32 v[12:13], v7
	v_frexp_exp_i32_f64_e32 v12, v[12:13]
	v_cmp_gt_f32_e64 s[10:11], s10, v16
	v_subbrev_co_u32_e64 v20, s[10:11], 0, v12, s[10:11]
	v_sub_u32_e32 v12, 0, v20
	v_ldexp_f32 v7, v7, v12
	v_ldexp_f32 v12, v15, v12
	v_add_f32_e32 v15, -1.0, v7
	v_add_f32_e32 v13, 1.0, v15
	v_sub_f32_e32 v13, v7, v13
	v_add_f32_e32 v16, v12, v13
	v_add_f32_e32 v13, 1.0, v7
	v_add_f32_e32 v17, -1.0, v13
	v_sub_f32_e32 v7, v7, v17
	v_add_f32_e32 v7, v12, v7
	v_add_f32_e32 v38, v13, v7
	v_rcp_f32_e32 v39, v38
	v_sub_f32_e32 v12, v13, v38
	v_add_f32_e32 v13, v15, v16
	v_add_f32_e32 v7, v7, v12
	v_sub_f32_e32 v12, v15, v13
	v_mul_f32_e32 v40, v13, v39
	v_add_f32_e32 v15, v16, v12
	v_mul_f32_e32 v16, v38, v40
	v_fma_f32 v18, v40, v38, -v16
	v_fmac_f32_e32 v18, v40, v7
	v_add_f32_e32 v12, v16, v18
	v_sub_f32_e32 v17, v13, v12
	v_pk_add_f32 v[36:37], v[12:13], v[16:17] neg_lo:[0,1] neg_hi:[0,1]
	v_mov_b32_e32 v19, v12
	v_pk_add_f32 v[12:13], v[36:37], v[18:19] neg_lo:[0,1] neg_hi:[0,1]
	v_add_f32_e32 v13, v15, v13
	v_add_f32_e32 v12, v12, v13
	;; [unrolled: 1-line block ×3, first 2 shown]
	v_mul_f32_e32 v15, v39, v13
	v_mul_f32_e32 v16, v38, v15
	v_fma_f32 v18, v15, v38, -v16
	v_fmac_f32_e32 v18, v15, v7
	v_sub_f32_e32 v7, v17, v13
	v_add_f32_e32 v7, v12, v7
	v_add_f32_e32 v12, v16, v18
	v_sub_f32_e32 v17, v13, v12
	v_pk_add_f32 v[36:37], v[12:13], v[16:17] neg_lo:[0,1] neg_hi:[0,1]
	v_mov_b32_e32 v19, v12
	v_pk_add_f32 v[12:13], v[36:37], v[18:19] neg_lo:[0,1] neg_hi:[0,1]
	v_add_f32_e32 v7, v7, v13
	v_add_f32_e32 v7, v12, v7
	;; [unrolled: 1-line block ×4, first 2 shown]
	v_sub_f32_e32 v13, v12, v40
	v_mul_f32_e32 v7, v39, v7
	v_sub_f32_e32 v13, v15, v13
	v_add_f32_e32 v7, v13, v7
	v_add_f32_e32 v15, v12, v7
	v_mul_f32_e32 v17, v15, v15
	v_mov_b32_e32 v16, 0x3ecc95a3
	v_fmac_f32_e32 v16, 0x3e9b6dac, v17
	v_mov_b32_e32 v13, 0x3f2aaada
	v_fmac_f32_e32 v13, v17, v16
	v_cvt_f32_i32_e32 v16, v20
	v_sub_f32_e32 v12, v15, v12
	v_sub_f32_e32 v7, v7, v12
	v_mul_f32_e32 v17, v15, v17
	v_mov_b32_e32 v12, 0x3f317218
	s_mov_b32 s10, 0x3f317218
	v_pk_mul_f32 v[12:13], v[16:17], v[12:13]
	v_fma_f32 v18, v16, s10, -v12
	v_ldexp_f32 v19, v15, 1
	v_fmac_f32_e32 v18, 0xb102e308, v16
	v_pk_add_f32 v[16:17], v[12:13], v[18:19]
	v_sub_f32_e32 v15, v17, v19
	v_ldexp_f32 v7, v7, 1
	v_sub_f32_e32 v15, v13, v15
	v_add_f32_e32 v37, v7, v15
	v_mov_b32_e32 v36, v12
	v_pk_add_f32 v[12:13], v[16:17], v[12:13] neg_lo:[0,1] neg_hi:[0,1]
	v_pk_add_f32 v[38:39], v[16:17], v[36:37]
	v_mov_b32_e32 v13, v39
	v_mov_b32_e32 v19, v16
	v_pk_add_f32 v[40:41], v[18:19], v[12:13] neg_lo:[0,1] neg_hi:[0,1]
	v_pk_add_f32 v[12:13], v[18:19], v[12:13]
	v_mov_b32_e32 v18, v13
	v_pk_add_f32 v[42:43], v[18:19], v[16:17] neg_lo:[0,1] neg_hi:[0,1]
	v_mov_b32_e32 v7, v42
	v_pk_add_f32 v[44:45], v[38:39], v[6:7] neg_lo:[0,1] neg_hi:[0,1]
	v_mov_b32_e32 v12, v39
	v_mov_b32_e32 v38, v17
	v_mov_b32_e32 v39, v42
	v_mov_b32_e32 v41, v13
	v_pk_add_f32 v[12:13], v[12:13], v[38:39] neg_lo:[0,1] neg_hi:[0,1]
	v_mov_b32_e32 v36, v37
	v_mov_b32_e32 v37, v16
	v_pk_add_f32 v[12:13], v[36:37], v[12:13] neg_lo:[0,1] neg_hi:[0,1]
	v_mov_b32_e32 v44, v40
	v_pk_add_f32 v[16:17], v[44:45], v[12:13]
	v_mov_b32_e32 v20, v17
	v_pk_add_f32 v[36:37], v[16:17], v[20:21]
	v_pk_add_f32 v[18:19], v[18:19], v[36:37]
	v_mov_b32_e32 v17, v18
	v_pk_add_f32 v[38:39], v[16:17], v[40:41] neg_lo:[0,1] neg_hi:[0,1]
	v_mov_b32_e32 v13, v36
	v_sub_f32_e32 v7, v16, v38
	v_pk_add_f32 v[12:13], v[12:13], v[38:39] neg_lo:[0,1] neg_hi:[0,1]
	v_sub_f32_e32 v7, v40, v7
	v_add_f32_e32 v7, v12, v7
	v_cmp_eq_f32_e64 s[10:11], s14, v11
	s_mov_b32 s14, 0x33800000
	v_add_f32_e32 v7, v7, v13
	v_cmp_lt_f32_e64 s[14:15], |v11|, s14
	v_add_f32_e32 v7, v18, v7
	s_or_b64 s[10:11], s[10:11], s[14:15]
	v_cndmask_b32_e64 v7, v7, v11, s[10:11]
	v_add_f32_e32 v36, v6, v7
.LBB155_214:
	s_or_b64 exec, exec, s[12:13]
	v_max_f32_e32 v11, v27, v27
	v_max_f32_e32 v6, v36, v36
	v_min_f32_e32 v7, v6, v11
	v_cmp_u_f32_e64 s[12:13], v36, v36
	v_max_f32_e32 v6, v6, v11
	v_cndmask_b32_e64 v7, v7, v36, s[12:13]
	v_cmp_u_f32_e64 s[10:11], v27, v27
	v_cndmask_b32_e64 v6, v6, v36, s[12:13]
	v_cndmask_b32_e64 v7, v7, v27, s[10:11]
	;; [unrolled: 1-line block ×3, first 2 shown]
	s_movk_i32 s16, 0x1f8
	v_cmp_neq_f32_e64 s[12:13], v7, v6
	v_cmp_class_f32_e64 s[14:15], v7, s16
	s_or_b64 s[12:13], s[12:13], s[14:15]
	s_and_saveexec_b64 s[14:15], s[12:13]
	s_cbranch_execz .LBB155_216
; %bb.215:
	v_sub_f32_e32 v7, v7, v6
	s_mov_b32 s12, 0x3fb8aa3b
	v_mul_f32_e32 v12, 0x3fb8aa3b, v7
	v_fma_f32 v13, v7, s12, -v12
	v_rndne_f32_e32 v15, v12
	v_fmac_f32_e32 v13, 0x32a5705f, v7
	v_sub_f32_e32 v12, v12, v15
	v_add_f32_e32 v12, v12, v13
	v_exp_f32_e32 v12, v12
	v_cvt_i32_f32_e32 v13, v15
	s_mov_b32 s12, 0xc2ce8ed0
	v_cmp_ngt_f32_e64 s[12:13], s12, v7
	s_mov_b32 s17, 0x7f800000
	v_ldexp_f32 v12, v12, v13
	v_cndmask_b32_e64 v12, 0, v12, s[12:13]
	s_mov_b32 s12, 0x42b17218
	v_mov_b32_e32 v13, 0x7f800000
	v_cmp_nlt_f32_e64 s[12:13], s12, v7
	v_cndmask_b32_e64 v15, v13, v12, s[12:13]
	v_add_f32_e32 v7, 1.0, v15
	v_add_f32_e32 v12, -1.0, v7
	v_sub_f32_e32 v13, v12, v7
	v_add_f32_e32 v13, 1.0, v13
	v_sub_f32_e32 v12, v15, v12
	v_add_f32_e32 v16, v12, v13
	v_frexp_mant_f32_e32 v17, v7
	s_mov_b32 s12, 0x3f2aaaab
	v_cvt_f64_f32_e32 v[12:13], v7
	v_frexp_exp_i32_f64_e32 v12, v[12:13]
	v_cmp_gt_f32_e64 s[12:13], s12, v17
	v_subbrev_co_u32_e64 v20, s[12:13], 0, v12, s[12:13]
	v_sub_u32_e32 v12, 0, v20
	v_ldexp_f32 v7, v7, v12
	v_ldexp_f32 v12, v16, v12
	v_add_f32_e32 v16, -1.0, v7
	v_add_f32_e32 v13, 1.0, v16
	v_sub_f32_e32 v13, v7, v13
	v_add_f32_e32 v17, v12, v13
	v_add_f32_e32 v13, 1.0, v7
	v_add_f32_e32 v18, -1.0, v13
	v_sub_f32_e32 v7, v7, v18
	v_add_f32_e32 v7, v12, v7
	v_add_f32_e32 v38, v13, v7
	v_rcp_f32_e32 v39, v38
	v_sub_f32_e32 v12, v13, v38
	v_add_f32_e32 v13, v16, v17
	v_add_f32_e32 v7, v7, v12
	v_mul_f32_e32 v41, v13, v39
	v_sub_f32_e32 v12, v16, v13
	v_mul_f32_e32 v16, v38, v41
	v_fma_f32 v18, v41, v38, -v16
	v_fmac_f32_e32 v18, v41, v7
	v_add_f32_e32 v40, v17, v12
	v_add_f32_e32 v12, v16, v18
	v_sub_f32_e32 v17, v13, v12
	v_pk_add_f32 v[36:37], v[12:13], v[16:17] neg_lo:[0,1] neg_hi:[0,1]
	v_mov_b32_e32 v19, v12
	v_pk_add_f32 v[12:13], v[36:37], v[18:19] neg_lo:[0,1] neg_hi:[0,1]
	v_add_f32_e32 v13, v40, v13
	v_add_f32_e32 v12, v12, v13
	;; [unrolled: 1-line block ×3, first 2 shown]
	v_mul_f32_e32 v40, v39, v13
	v_mul_f32_e32 v16, v38, v40
	v_fma_f32 v18, v40, v38, -v16
	v_fmac_f32_e32 v18, v40, v7
	v_sub_f32_e32 v7, v17, v13
	v_add_f32_e32 v7, v12, v7
	v_add_f32_e32 v12, v16, v18
	v_sub_f32_e32 v17, v13, v12
	v_pk_add_f32 v[36:37], v[12:13], v[16:17] neg_lo:[0,1] neg_hi:[0,1]
	v_mov_b32_e32 v19, v12
	v_pk_add_f32 v[12:13], v[36:37], v[18:19] neg_lo:[0,1] neg_hi:[0,1]
	v_add_f32_e32 v7, v7, v13
	v_add_f32_e32 v7, v12, v7
	;; [unrolled: 1-line block ×4, first 2 shown]
	v_sub_f32_e32 v13, v12, v41
	v_mul_f32_e32 v7, v39, v7
	v_sub_f32_e32 v13, v40, v13
	v_add_f32_e32 v7, v13, v7
	v_add_f32_e32 v17, v12, v7
	v_mul_f32_e32 v18, v17, v17
	v_mov_b32_e32 v16, 0x3ecc95a3
	v_fmac_f32_e32 v16, 0x3e9b6dac, v18
	v_mov_b32_e32 v13, 0x3f2aaada
	v_fmac_f32_e32 v13, v18, v16
	v_cvt_f32_i32_e32 v16, v20
	v_sub_f32_e32 v12, v17, v12
	v_sub_f32_e32 v7, v7, v12
	v_ldexp_f32 v19, v17, 1
	v_mul_f32_e32 v17, v17, v18
	v_mov_b32_e32 v12, 0x3f317218
	s_mov_b32 s12, 0x3f317218
	v_pk_mul_f32 v[12:13], v[16:17], v[12:13]
	v_fma_f32 v18, v16, s12, -v12
	v_fmac_f32_e32 v18, 0xb102e308, v16
	v_pk_add_f32 v[16:17], v[12:13], v[18:19]
	v_sub_f32_e32 v19, v17, v19
	v_ldexp_f32 v7, v7, 1
	v_sub_f32_e32 v19, v13, v19
	v_add_f32_e32 v37, v7, v19
	v_mov_b32_e32 v36, v12
	v_pk_add_f32 v[12:13], v[16:17], v[12:13] neg_lo:[0,1] neg_hi:[0,1]
	v_pk_add_f32 v[38:39], v[16:17], v[36:37]
	v_mov_b32_e32 v13, v39
	v_mov_b32_e32 v19, v16
	v_pk_add_f32 v[40:41], v[18:19], v[12:13] neg_lo:[0,1] neg_hi:[0,1]
	v_pk_add_f32 v[12:13], v[18:19], v[12:13]
	v_mov_b32_e32 v18, v13
	v_pk_add_f32 v[42:43], v[18:19], v[16:17] neg_lo:[0,1] neg_hi:[0,1]
	v_mov_b32_e32 v7, v42
	v_pk_add_f32 v[44:45], v[38:39], v[6:7] neg_lo:[0,1] neg_hi:[0,1]
	v_mov_b32_e32 v12, v39
	v_mov_b32_e32 v38, v17
	v_mov_b32_e32 v39, v42
	v_mov_b32_e32 v41, v13
	v_pk_add_f32 v[12:13], v[12:13], v[38:39] neg_lo:[0,1] neg_hi:[0,1]
	v_mov_b32_e32 v36, v37
	v_mov_b32_e32 v37, v16
	v_pk_add_f32 v[12:13], v[36:37], v[12:13] neg_lo:[0,1] neg_hi:[0,1]
	v_mov_b32_e32 v44, v40
	v_pk_add_f32 v[16:17], v[44:45], v[12:13]
	v_mov_b32_e32 v20, v17
	v_pk_add_f32 v[36:37], v[16:17], v[20:21]
	v_pk_add_f32 v[18:19], v[18:19], v[36:37]
	v_mov_b32_e32 v17, v18
	v_pk_add_f32 v[38:39], v[16:17], v[40:41] neg_lo:[0,1] neg_hi:[0,1]
	v_mov_b32_e32 v13, v36
	v_sub_f32_e32 v7, v16, v38
	v_pk_add_f32 v[12:13], v[12:13], v[38:39] neg_lo:[0,1] neg_hi:[0,1]
	v_sub_f32_e32 v7, v40, v7
	v_add_f32_e32 v7, v12, v7
	v_cmp_eq_f32_e64 s[12:13], s17, v15
	s_mov_b32 s17, 0x33800000
	v_add_f32_e32 v7, v7, v13
	v_cmp_lt_f32_e64 s[18:19], |v15|, s17
	v_add_f32_e32 v7, v18, v7
	s_or_b64 s[12:13], s[12:13], s[18:19]
	v_cndmask_b32_e64 v7, v7, v15, s[12:13]
	v_add_f32_e32 v36, v6, v7
.LBB155_216:
	s_or_b64 exec, exec, s[14:15]
	v_max_f32_e32 v12, v28, v28
	v_max_f32_e32 v6, v36, v36
	v_min_f32_e32 v7, v6, v12
	v_cmp_u_f32_e64 s[14:15], v36, v36
	v_max_f32_e32 v6, v6, v12
	v_cndmask_b32_e64 v7, v7, v36, s[14:15]
	v_cmp_u_f32_e64 s[12:13], v28, v28
	v_cndmask_b32_e64 v6, v6, v36, s[14:15]
	v_cndmask_b32_e64 v7, v7, v28, s[12:13]
	;; [unrolled: 1-line block ×3, first 2 shown]
	v_cmp_neq_f32_e64 s[14:15], v7, v6
	v_cmp_class_f32_e64 s[16:17], v7, s16
	s_or_b64 s[14:15], s[14:15], s[16:17]
	s_and_saveexec_b64 s[16:17], s[14:15]
	s_cbranch_execz .LBB155_218
; %bb.217:
	v_sub_f32_e32 v7, v7, v6
	s_mov_b32 s14, 0x3fb8aa3b
	v_mul_f32_e32 v13, 0x3fb8aa3b, v7
	v_fma_f32 v15, v7, s14, -v13
	v_rndne_f32_e32 v16, v13
	v_fmac_f32_e32 v15, 0x32a5705f, v7
	v_sub_f32_e32 v13, v13, v16
	v_add_f32_e32 v13, v13, v15
	v_exp_f32_e32 v13, v13
	v_cvt_i32_f32_e32 v15, v16
	s_mov_b32 s14, 0xc2ce8ed0
	v_cmp_ngt_f32_e64 s[14:15], s14, v7
	s_mov_b32 s18, 0x7f800000
	v_ldexp_f32 v13, v13, v15
	v_cndmask_b32_e64 v13, 0, v13, s[14:15]
	s_mov_b32 s14, 0x42b17218
	v_mov_b32_e32 v15, 0x7f800000
	v_cmp_nlt_f32_e64 s[14:15], s14, v7
	v_cndmask_b32_e64 v13, v15, v13, s[14:15]
	v_add_f32_e32 v7, 1.0, v13
	v_add_f32_e32 v15, -1.0, v7
	v_sub_f32_e32 v16, v15, v7
	v_add_f32_e32 v16, 1.0, v16
	v_sub_f32_e32 v15, v13, v15
	v_add_f32_e32 v15, v15, v16
	v_frexp_mant_f32_e32 v18, v7
	s_mov_b32 s14, 0x3f2aaaab
	v_cvt_f64_f32_e32 v[16:17], v7
	v_frexp_exp_i32_f64_e32 v16, v[16:17]
	v_cmp_gt_f32_e64 s[14:15], s14, v18
	v_subbrev_co_u32_e64 v20, s[14:15], 0, v16, s[14:15]
	v_sub_u32_e32 v16, 0, v20
	v_ldexp_f32 v7, v7, v16
	v_ldexp_f32 v15, v15, v16
	v_add_f32_e32 v16, -1.0, v7
	v_add_f32_e32 v17, 1.0, v16
	v_sub_f32_e32 v17, v7, v17
	v_add_f32_e32 v18, v15, v17
	v_add_f32_e32 v17, 1.0, v7
	v_add_f32_e32 v19, -1.0, v17
	v_sub_f32_e32 v7, v7, v19
	v_add_f32_e32 v7, v15, v7
	v_add_f32_e32 v15, v17, v7
	v_rcp_f32_e32 v40, v15
	v_sub_f32_e32 v17, v17, v15
	v_add_f32_e32 v7, v7, v17
	v_add_f32_e32 v17, v16, v18
	v_sub_f32_e32 v16, v16, v17
	v_mul_f32_e32 v42, v17, v40
	v_add_f32_e32 v41, v18, v16
	v_mul_f32_e32 v18, v15, v42
	v_fma_f32 v36, v42, v15, -v18
	v_fmac_f32_e32 v36, v42, v7
	v_add_f32_e32 v16, v18, v36
	v_sub_f32_e32 v19, v17, v16
	v_pk_add_f32 v[38:39], v[16:17], v[18:19] neg_lo:[0,1] neg_hi:[0,1]
	v_mov_b32_e32 v37, v16
	v_pk_add_f32 v[16:17], v[38:39], v[36:37] neg_lo:[0,1] neg_hi:[0,1]
	v_add_f32_e32 v17, v41, v17
	v_add_f32_e32 v16, v16, v17
	;; [unrolled: 1-line block ×3, first 2 shown]
	v_mul_f32_e32 v41, v40, v17
	v_mul_f32_e32 v18, v15, v41
	v_fma_f32 v36, v41, v15, -v18
	v_fmac_f32_e32 v36, v41, v7
	v_sub_f32_e32 v7, v19, v17
	v_add_f32_e32 v7, v16, v7
	v_add_f32_e32 v16, v18, v36
	v_sub_f32_e32 v19, v17, v16
	v_pk_add_f32 v[38:39], v[16:17], v[18:19] neg_lo:[0,1] neg_hi:[0,1]
	v_mov_b32_e32 v37, v16
	v_pk_add_f32 v[16:17], v[38:39], v[36:37] neg_lo:[0,1] neg_hi:[0,1]
	v_add_f32_e32 v7, v7, v17
	v_add_f32_e32 v7, v16, v7
	;; [unrolled: 1-line block ×4, first 2 shown]
	v_sub_f32_e32 v16, v15, v42
	v_mul_f32_e32 v7, v40, v7
	v_sub_f32_e32 v16, v41, v16
	v_add_f32_e32 v7, v16, v7
	v_add_f32_e32 v16, v15, v7
	v_mul_f32_e32 v19, v16, v16
	v_mov_b32_e32 v18, 0x3ecc95a3
	v_fmac_f32_e32 v18, 0x3e9b6dac, v19
	v_mov_b32_e32 v17, 0x3f2aaada
	v_fmac_f32_e32 v17, v19, v18
	v_cvt_f32_i32_e32 v18, v20
	v_sub_f32_e32 v15, v16, v15
	v_ldexp_f32 v37, v16, 1
	v_mul_f32_e32 v19, v16, v19
	v_mov_b32_e32 v16, 0x3f317218
	s_mov_b32 s14, 0x3f317218
	v_pk_mul_f32 v[16:17], v[18:19], v[16:17]
	v_fma_f32 v36, v18, s14, -v16
	v_fmac_f32_e32 v36, 0xb102e308, v18
	v_pk_add_f32 v[18:19], v[16:17], v[36:37]
	v_sub_f32_e32 v7, v7, v15
	v_sub_f32_e32 v15, v19, v37
	v_ldexp_f32 v7, v7, 1
	v_sub_f32_e32 v15, v17, v15
	v_add_f32_e32 v39, v7, v15
	v_mov_b32_e32 v38, v16
	v_pk_add_f32 v[16:17], v[18:19], v[16:17] neg_lo:[0,1] neg_hi:[0,1]
	v_pk_add_f32 v[40:41], v[18:19], v[38:39]
	v_mov_b32_e32 v17, v41
	v_mov_b32_e32 v37, v18
	v_pk_add_f32 v[42:43], v[36:37], v[16:17] neg_lo:[0,1] neg_hi:[0,1]
	v_pk_add_f32 v[16:17], v[36:37], v[16:17]
	v_mov_b32_e32 v20, v17
	v_pk_add_f32 v[36:37], v[20:21], v[18:19] neg_lo:[0,1] neg_hi:[0,1]
	v_mov_b32_e32 v7, v36
	v_pk_add_f32 v[44:45], v[40:41], v[6:7] neg_lo:[0,1] neg_hi:[0,1]
	v_mov_b32_e32 v16, v41
	v_mov_b32_e32 v40, v19
	v_mov_b32_e32 v41, v36
	v_mov_b32_e32 v43, v17
	v_pk_add_f32 v[16:17], v[16:17], v[40:41] neg_lo:[0,1] neg_hi:[0,1]
	v_mov_b32_e32 v36, v39
	v_mov_b32_e32 v37, v18
	v_pk_add_f32 v[16:17], v[36:37], v[16:17] neg_lo:[0,1] neg_hi:[0,1]
	v_mov_b32_e32 v44, v42
	v_pk_add_f32 v[18:19], v[44:45], v[16:17]
	v_mov_b32_e32 v36, v19
	v_pk_add_f32 v[36:37], v[18:19], v[36:37]
	v_pk_add_f32 v[38:39], v[20:21], v[36:37]
	v_mov_b32_e32 v19, v38
	v_pk_add_f32 v[40:41], v[18:19], v[42:43] neg_lo:[0,1] neg_hi:[0,1]
	v_mov_b32_e32 v17, v36
	v_sub_f32_e32 v7, v18, v40
	v_pk_add_f32 v[16:17], v[16:17], v[40:41] neg_lo:[0,1] neg_hi:[0,1]
	v_sub_f32_e32 v7, v42, v7
	v_add_f32_e32 v7, v16, v7
	v_cmp_eq_f32_e64 s[14:15], s18, v13
	s_mov_b32 s18, 0x33800000
	v_add_f32_e32 v7, v7, v17
	v_cmp_lt_f32_e64 s[18:19], |v13|, s18
	v_add_f32_e32 v7, v38, v7
	s_or_b64 s[14:15], s[14:15], s[18:19]
	v_cndmask_b32_e64 v7, v7, v13, s[14:15]
	v_add_f32_e32 v36, v6, v7
.LBB155_218:
	s_or_b64 exec, exec, s[16:17]
	v_max_f32_e32 v13, v29, v29
	v_max_f32_e32 v6, v36, v36
	v_min_f32_e32 v7, v6, v13
	v_cmp_u_f32_e64 s[16:17], v36, v36
	v_max_f32_e32 v6, v6, v13
	v_cndmask_b32_e64 v7, v7, v36, s[16:17]
	v_cmp_u_f32_e64 s[14:15], v29, v29
	v_cndmask_b32_e64 v6, v6, v36, s[16:17]
	v_cndmask_b32_e64 v7, v7, v29, s[14:15]
	;; [unrolled: 1-line block ×3, first 2 shown]
	s_movk_i32 s20, 0x1f8
	v_cmp_neq_f32_e64 s[16:17], v7, v6
	v_cmp_class_f32_e64 s[18:19], v7, s20
	s_or_b64 s[16:17], s[16:17], s[18:19]
	s_and_saveexec_b64 s[18:19], s[16:17]
	s_cbranch_execz .LBB155_220
; %bb.219:
	v_sub_f32_e32 v7, v7, v6
	s_mov_b32 s16, 0x3fb8aa3b
	v_mul_f32_e32 v15, 0x3fb8aa3b, v7
	v_fma_f32 v16, v7, s16, -v15
	v_rndne_f32_e32 v17, v15
	v_fmac_f32_e32 v16, 0x32a5705f, v7
	v_sub_f32_e32 v15, v15, v17
	v_add_f32_e32 v15, v15, v16
	v_exp_f32_e32 v15, v15
	v_cvt_i32_f32_e32 v16, v17
	s_mov_b32 s16, 0xc2ce8ed0
	v_cmp_ngt_f32_e64 s[16:17], s16, v7
	s_mov_b32 s21, 0x7f800000
	v_ldexp_f32 v15, v15, v16
	v_cndmask_b32_e64 v15, 0, v15, s[16:17]
	s_mov_b32 s16, 0x42b17218
	v_mov_b32_e32 v16, 0x7f800000
	v_cmp_nlt_f32_e64 s[16:17], s16, v7
	v_cndmask_b32_e64 v15, v16, v15, s[16:17]
	v_add_f32_e32 v7, 1.0, v15
	v_add_f32_e32 v16, -1.0, v7
	v_sub_f32_e32 v17, v16, v7
	v_add_f32_e32 v17, 1.0, v17
	v_sub_f32_e32 v16, v15, v16
	v_add_f32_e32 v18, v16, v17
	v_frexp_mant_f32_e32 v19, v7
	s_mov_b32 s16, 0x3f2aaaab
	v_cvt_f64_f32_e32 v[16:17], v7
	v_frexp_exp_i32_f64_e32 v16, v[16:17]
	v_cmp_gt_f32_e64 s[16:17], s16, v19
	v_subbrev_co_u32_e64 v20, s[16:17], 0, v16, s[16:17]
	v_sub_u32_e32 v16, 0, v20
	v_ldexp_f32 v7, v7, v16
	v_ldexp_f32 v16, v18, v16
	v_add_f32_e32 v18, -1.0, v7
	v_add_f32_e32 v17, 1.0, v18
	v_sub_f32_e32 v17, v7, v17
	v_add_f32_e32 v19, v16, v17
	v_add_f32_e32 v17, 1.0, v7
	v_add_f32_e32 v36, -1.0, v17
	v_sub_f32_e32 v7, v7, v36
	v_add_f32_e32 v7, v16, v7
	v_add_f32_e32 v40, v17, v7
	v_rcp_f32_e32 v41, v40
	v_sub_f32_e32 v16, v17, v40
	v_add_f32_e32 v17, v18, v19
	v_add_f32_e32 v7, v7, v16
	v_mul_f32_e32 v43, v17, v41
	v_sub_f32_e32 v16, v18, v17
	v_mul_f32_e32 v18, v40, v43
	v_fma_f32 v36, v43, v40, -v18
	v_fmac_f32_e32 v36, v43, v7
	v_add_f32_e32 v42, v19, v16
	v_add_f32_e32 v16, v18, v36
	v_sub_f32_e32 v19, v17, v16
	v_pk_add_f32 v[38:39], v[16:17], v[18:19] neg_lo:[0,1] neg_hi:[0,1]
	v_mov_b32_e32 v37, v16
	v_pk_add_f32 v[16:17], v[38:39], v[36:37] neg_lo:[0,1] neg_hi:[0,1]
	v_add_f32_e32 v17, v42, v17
	v_add_f32_e32 v16, v16, v17
	;; [unrolled: 1-line block ×3, first 2 shown]
	v_mul_f32_e32 v42, v41, v17
	v_mul_f32_e32 v18, v40, v42
	v_fma_f32 v36, v42, v40, -v18
	v_fmac_f32_e32 v36, v42, v7
	v_sub_f32_e32 v7, v19, v17
	v_add_f32_e32 v7, v16, v7
	v_add_f32_e32 v16, v18, v36
	v_sub_f32_e32 v19, v17, v16
	v_pk_add_f32 v[38:39], v[16:17], v[18:19] neg_lo:[0,1] neg_hi:[0,1]
	v_mov_b32_e32 v37, v16
	v_pk_add_f32 v[16:17], v[38:39], v[36:37] neg_lo:[0,1] neg_hi:[0,1]
	v_add_f32_e32 v7, v7, v17
	v_add_f32_e32 v7, v16, v7
	;; [unrolled: 1-line block ×4, first 2 shown]
	v_sub_f32_e32 v17, v16, v43
	v_mul_f32_e32 v7, v41, v7
	v_sub_f32_e32 v17, v42, v17
	v_add_f32_e32 v7, v17, v7
	v_add_f32_e32 v19, v16, v7
	v_mul_f32_e32 v36, v19, v19
	v_mov_b32_e32 v18, 0x3ecc95a3
	v_fmac_f32_e32 v18, 0x3e9b6dac, v36
	v_mov_b32_e32 v17, 0x3f2aaada
	v_fmac_f32_e32 v17, v36, v18
	v_cvt_f32_i32_e32 v18, v20
	v_sub_f32_e32 v16, v19, v16
	v_sub_f32_e32 v7, v7, v16
	v_ldexp_f32 v37, v19, 1
	v_mul_f32_e32 v19, v19, v36
	v_mov_b32_e32 v16, 0x3f317218
	s_mov_b32 s16, 0x3f317218
	v_pk_mul_f32 v[16:17], v[18:19], v[16:17]
	v_fma_f32 v36, v18, s16, -v16
	v_fmac_f32_e32 v36, 0xb102e308, v18
	v_pk_add_f32 v[18:19], v[16:17], v[36:37]
	v_sub_f32_e32 v20, v19, v37
	v_ldexp_f32 v7, v7, 1
	v_sub_f32_e32 v20, v17, v20
	v_add_f32_e32 v39, v7, v20
	v_mov_b32_e32 v38, v16
	v_pk_add_f32 v[16:17], v[18:19], v[16:17] neg_lo:[0,1] neg_hi:[0,1]
	v_pk_add_f32 v[40:41], v[18:19], v[38:39]
	v_mov_b32_e32 v17, v41
	v_mov_b32_e32 v37, v18
	v_pk_add_f32 v[42:43], v[36:37], v[16:17] neg_lo:[0,1] neg_hi:[0,1]
	v_pk_add_f32 v[16:17], v[36:37], v[16:17]
	v_mov_b32_e32 v20, v17
	v_pk_add_f32 v[36:37], v[20:21], v[18:19] neg_lo:[0,1] neg_hi:[0,1]
	v_mov_b32_e32 v7, v36
	v_pk_add_f32 v[44:45], v[40:41], v[6:7] neg_lo:[0,1] neg_hi:[0,1]
	v_mov_b32_e32 v16, v41
	v_mov_b32_e32 v40, v19
	;; [unrolled: 1-line block ×4, first 2 shown]
	v_pk_add_f32 v[16:17], v[16:17], v[40:41] neg_lo:[0,1] neg_hi:[0,1]
	v_mov_b32_e32 v36, v39
	v_mov_b32_e32 v37, v18
	v_pk_add_f32 v[16:17], v[36:37], v[16:17] neg_lo:[0,1] neg_hi:[0,1]
	v_mov_b32_e32 v44, v42
	v_pk_add_f32 v[18:19], v[44:45], v[16:17]
	v_mov_b32_e32 v36, v19
	v_pk_add_f32 v[36:37], v[18:19], v[36:37]
	v_pk_add_f32 v[38:39], v[20:21], v[36:37]
	v_mov_b32_e32 v19, v38
	v_pk_add_f32 v[40:41], v[18:19], v[42:43] neg_lo:[0,1] neg_hi:[0,1]
	v_mov_b32_e32 v17, v36
	v_sub_f32_e32 v7, v18, v40
	v_pk_add_f32 v[16:17], v[16:17], v[40:41] neg_lo:[0,1] neg_hi:[0,1]
	v_sub_f32_e32 v7, v42, v7
	v_add_f32_e32 v7, v16, v7
	v_cmp_eq_f32_e64 s[16:17], s21, v15
	s_mov_b32 s21, 0x33800000
	v_add_f32_e32 v7, v7, v17
	v_cmp_lt_f32_e64 s[22:23], |v15|, s21
	v_add_f32_e32 v7, v38, v7
	s_or_b64 s[16:17], s[16:17], s[22:23]
	v_cndmask_b32_e64 v7, v7, v15, s[16:17]
	v_add_f32_e32 v36, v6, v7
.LBB155_220:
	s_or_b64 exec, exec, s[18:19]
	v_max_f32_e32 v15, v22, v22
	v_max_f32_e32 v6, v36, v36
	v_min_f32_e32 v7, v6, v15
	v_cmp_u_f32_e64 s[18:19], v36, v36
	v_max_f32_e32 v6, v6, v15
	v_cndmask_b32_e64 v7, v7, v36, s[18:19]
	v_cmp_u_f32_e64 s[16:17], v22, v22
	v_cndmask_b32_e64 v6, v6, v36, s[18:19]
	v_cndmask_b32_e64 v7, v7, v22, s[16:17]
	;; [unrolled: 1-line block ×3, first 2 shown]
	v_cmp_neq_f32_e64 s[18:19], v7, v6
	v_cmp_class_f32_e64 s[20:21], v7, s20
	s_or_b64 s[18:19], s[18:19], s[20:21]
	s_and_saveexec_b64 s[20:21], s[18:19]
	s_cbranch_execz .LBB155_222
; %bb.221:
	v_sub_f32_e32 v7, v7, v6
	s_mov_b32 s18, 0x3fb8aa3b
	v_mul_f32_e32 v16, 0x3fb8aa3b, v7
	v_fma_f32 v17, v7, s18, -v16
	v_rndne_f32_e32 v18, v16
	v_fmac_f32_e32 v17, 0x32a5705f, v7
	v_sub_f32_e32 v16, v16, v18
	v_add_f32_e32 v16, v16, v17
	v_exp_f32_e32 v16, v16
	v_cvt_i32_f32_e32 v17, v18
	s_mov_b32 s18, 0xc2ce8ed0
	v_cmp_ngt_f32_e64 s[18:19], s18, v7
	s_mov_b32 s22, 0x7f800000
	v_ldexp_f32 v16, v16, v17
	v_cndmask_b32_e64 v16, 0, v16, s[18:19]
	s_mov_b32 s18, 0x42b17218
	v_mov_b32_e32 v17, 0x7f800000
	v_cmp_nlt_f32_e64 s[18:19], s18, v7
	v_cndmask_b32_e64 v46, v17, v16, s[18:19]
	v_add_f32_e32 v7, 1.0, v46
	v_add_f32_e32 v16, -1.0, v7
	v_sub_f32_e32 v17, v16, v7
	v_add_f32_e32 v17, 1.0, v17
	v_sub_f32_e32 v16, v46, v16
	v_add_f32_e32 v18, v16, v17
	v_frexp_mant_f32_e32 v19, v7
	s_mov_b32 s18, 0x3f2aaaab
	v_cvt_f64_f32_e32 v[16:17], v7
	v_frexp_exp_i32_f64_e32 v16, v[16:17]
	v_cmp_gt_f32_e64 s[18:19], s18, v19
	v_subbrev_co_u32_e64 v20, s[18:19], 0, v16, s[18:19]
	v_sub_u32_e32 v16, 0, v20
	v_ldexp_f32 v7, v7, v16
	v_ldexp_f32 v16, v18, v16
	v_add_f32_e32 v18, -1.0, v7
	v_add_f32_e32 v17, 1.0, v18
	v_sub_f32_e32 v17, v7, v17
	v_add_f32_e32 v19, v16, v17
	v_add_f32_e32 v17, 1.0, v7
	v_add_f32_e32 v36, -1.0, v17
	v_sub_f32_e32 v7, v7, v36
	v_add_f32_e32 v7, v16, v7
	v_add_f32_e32 v40, v17, v7
	v_rcp_f32_e32 v41, v40
	v_sub_f32_e32 v16, v17, v40
	v_add_f32_e32 v17, v18, v19
	v_add_f32_e32 v7, v7, v16
	v_mul_f32_e32 v43, v17, v41
	v_sub_f32_e32 v16, v18, v17
	v_mul_f32_e32 v18, v40, v43
	v_fma_f32 v36, v43, v40, -v18
	v_fmac_f32_e32 v36, v43, v7
	v_add_f32_e32 v42, v19, v16
	v_add_f32_e32 v16, v18, v36
	v_sub_f32_e32 v19, v17, v16
	v_pk_add_f32 v[38:39], v[16:17], v[18:19] neg_lo:[0,1] neg_hi:[0,1]
	v_mov_b32_e32 v37, v16
	v_pk_add_f32 v[16:17], v[38:39], v[36:37] neg_lo:[0,1] neg_hi:[0,1]
	v_add_f32_e32 v17, v42, v17
	v_add_f32_e32 v16, v16, v17
	;; [unrolled: 1-line block ×3, first 2 shown]
	v_mul_f32_e32 v42, v41, v17
	v_mul_f32_e32 v18, v40, v42
	v_fma_f32 v36, v42, v40, -v18
	v_fmac_f32_e32 v36, v42, v7
	v_sub_f32_e32 v7, v19, v17
	v_add_f32_e32 v7, v16, v7
	v_add_f32_e32 v16, v18, v36
	v_sub_f32_e32 v19, v17, v16
	v_pk_add_f32 v[38:39], v[16:17], v[18:19] neg_lo:[0,1] neg_hi:[0,1]
	v_mov_b32_e32 v37, v16
	v_pk_add_f32 v[16:17], v[38:39], v[36:37] neg_lo:[0,1] neg_hi:[0,1]
	v_add_f32_e32 v7, v7, v17
	v_add_f32_e32 v7, v16, v7
	;; [unrolled: 1-line block ×4, first 2 shown]
	v_sub_f32_e32 v17, v16, v43
	v_mul_f32_e32 v7, v41, v7
	v_sub_f32_e32 v17, v42, v17
	v_add_f32_e32 v7, v17, v7
	v_add_f32_e32 v19, v16, v7
	v_mul_f32_e32 v36, v19, v19
	v_mov_b32_e32 v18, 0x3ecc95a3
	v_fmac_f32_e32 v18, 0x3e9b6dac, v36
	v_mov_b32_e32 v17, 0x3f2aaada
	v_fmac_f32_e32 v17, v36, v18
	v_cvt_f32_i32_e32 v18, v20
	v_sub_f32_e32 v16, v19, v16
	v_sub_f32_e32 v7, v7, v16
	v_ldexp_f32 v37, v19, 1
	v_mul_f32_e32 v19, v19, v36
	v_mov_b32_e32 v16, 0x3f317218
	s_mov_b32 s18, 0x3f317218
	v_pk_mul_f32 v[16:17], v[18:19], v[16:17]
	v_fma_f32 v36, v18, s18, -v16
	v_fmac_f32_e32 v36, 0xb102e308, v18
	v_pk_add_f32 v[18:19], v[16:17], v[36:37]
	v_sub_f32_e32 v20, v19, v37
	v_ldexp_f32 v7, v7, 1
	v_sub_f32_e32 v20, v17, v20
	v_add_f32_e32 v39, v7, v20
	v_mov_b32_e32 v38, v16
	v_pk_add_f32 v[16:17], v[18:19], v[16:17] neg_lo:[0,1] neg_hi:[0,1]
	v_pk_add_f32 v[40:41], v[18:19], v[38:39]
	v_mov_b32_e32 v17, v41
	v_mov_b32_e32 v37, v18
	v_pk_add_f32 v[42:43], v[36:37], v[16:17] neg_lo:[0,1] neg_hi:[0,1]
	v_pk_add_f32 v[16:17], v[36:37], v[16:17]
	v_mov_b32_e32 v20, v17
	v_pk_add_f32 v[36:37], v[20:21], v[18:19] neg_lo:[0,1] neg_hi:[0,1]
	v_mov_b32_e32 v7, v36
	v_pk_add_f32 v[44:45], v[40:41], v[6:7] neg_lo:[0,1] neg_hi:[0,1]
	v_mov_b32_e32 v16, v41
	v_mov_b32_e32 v40, v19
	;; [unrolled: 1-line block ×4, first 2 shown]
	v_pk_add_f32 v[16:17], v[16:17], v[40:41] neg_lo:[0,1] neg_hi:[0,1]
	v_mov_b32_e32 v36, v39
	v_mov_b32_e32 v37, v18
	v_pk_add_f32 v[16:17], v[36:37], v[16:17] neg_lo:[0,1] neg_hi:[0,1]
	v_mov_b32_e32 v44, v42
	v_pk_add_f32 v[18:19], v[44:45], v[16:17]
	v_mov_b32_e32 v36, v19
	v_pk_add_f32 v[36:37], v[18:19], v[36:37]
	v_pk_add_f32 v[38:39], v[20:21], v[36:37]
	v_mov_b32_e32 v19, v38
	v_pk_add_f32 v[40:41], v[18:19], v[42:43] neg_lo:[0,1] neg_hi:[0,1]
	v_mov_b32_e32 v17, v36
	v_sub_f32_e32 v7, v18, v40
	v_pk_add_f32 v[16:17], v[16:17], v[40:41] neg_lo:[0,1] neg_hi:[0,1]
	v_sub_f32_e32 v7, v42, v7
	v_add_f32_e32 v7, v16, v7
	v_cmp_eq_f32_e64 s[18:19], s22, v46
	s_mov_b32 s22, 0x33800000
	v_add_f32_e32 v7, v7, v17
	v_cmp_lt_f32_e64 s[22:23], |v46|, s22
	v_add_f32_e32 v7, v38, v7
	s_or_b64 s[18:19], s[18:19], s[22:23]
	v_cndmask_b32_e64 v7, v7, v46, s[18:19]
	v_add_f32_e32 v36, v6, v7
.LBB155_222:
	s_or_b64 exec, exec, s[20:21]
	v_max_f32_e32 v16, v23, v23
	v_max_f32_e32 v6, v36, v36
	v_min_f32_e32 v7, v6, v16
	v_cmp_u_f32_e64 s[20:21], v36, v36
	v_max_f32_e32 v6, v6, v16
	v_cndmask_b32_e64 v7, v7, v36, s[20:21]
	v_cmp_u_f32_e64 s[18:19], v23, v23
	v_cndmask_b32_e64 v6, v6, v36, s[20:21]
	v_cndmask_b32_e64 v7, v7, v23, s[18:19]
	;; [unrolled: 1-line block ×3, first 2 shown]
	s_movk_i32 s24, 0x1f8
	v_cmp_neq_f32_e64 s[20:21], v7, v6
	v_cmp_class_f32_e64 s[22:23], v7, s24
	s_or_b64 s[20:21], s[20:21], s[22:23]
	s_and_saveexec_b64 s[22:23], s[20:21]
	s_cbranch_execz .LBB155_224
; %bb.223:
	v_sub_f32_e32 v7, v7, v6
	s_mov_b32 s20, 0x3fb8aa3b
	v_mul_f32_e32 v17, 0x3fb8aa3b, v7
	v_fma_f32 v18, v7, s20, -v17
	v_rndne_f32_e32 v19, v17
	v_fmac_f32_e32 v18, 0x32a5705f, v7
	v_sub_f32_e32 v17, v17, v19
	v_add_f32_e32 v17, v17, v18
	v_exp_f32_e32 v17, v17
	v_cvt_i32_f32_e32 v18, v19
	s_mov_b32 s20, 0xc2ce8ed0
	v_cmp_ngt_f32_e64 s[20:21], s20, v7
	s_mov_b32 s25, 0x7f800000
	v_ldexp_f32 v17, v17, v18
	v_cndmask_b32_e64 v17, 0, v17, s[20:21]
	s_mov_b32 s20, 0x42b17218
	v_mov_b32_e32 v18, 0x7f800000
	v_cmp_nlt_f32_e64 s[20:21], s20, v7
	v_cndmask_b32_e64 v17, v18, v17, s[20:21]
	v_add_f32_e32 v7, 1.0, v17
	v_add_f32_e32 v18, -1.0, v7
	v_sub_f32_e32 v19, v18, v7
	v_add_f32_e32 v19, 1.0, v19
	v_sub_f32_e32 v18, v17, v18
	v_add_f32_e32 v20, v18, v19
	v_frexp_mant_f32_e32 v36, v7
	s_mov_b32 s20, 0x3f2aaaab
	v_cvt_f64_f32_e32 v[18:19], v7
	v_frexp_exp_i32_f64_e32 v18, v[18:19]
	v_cmp_gt_f32_e64 s[20:21], s20, v36
	v_subbrev_co_u32_e64 v42, s[20:21], 0, v18, s[20:21]
	v_sub_u32_e32 v18, 0, v42
	v_ldexp_f32 v7, v7, v18
	v_ldexp_f32 v18, v20, v18
	v_add_f32_e32 v20, -1.0, v7
	v_add_f32_e32 v19, 1.0, v20
	v_sub_f32_e32 v19, v7, v19
	v_add_f32_e32 v36, v18, v19
	v_add_f32_e32 v19, 1.0, v7
	v_add_f32_e32 v37, -1.0, v19
	v_sub_f32_e32 v7, v7, v37
	v_add_f32_e32 v7, v18, v7
	v_add_f32_e32 v43, v19, v7
	v_rcp_f32_e32 v44, v43
	v_sub_f32_e32 v18, v19, v43
	v_add_f32_e32 v19, v20, v36
	v_add_f32_e32 v7, v7, v18
	v_sub_f32_e32 v18, v20, v19
	v_mul_f32_e32 v45, v19, v44
	v_add_f32_e32 v20, v36, v18
	v_mul_f32_e32 v36, v43, v45
	v_fma_f32 v38, v45, v43, -v36
	v_fmac_f32_e32 v38, v45, v7
	v_add_f32_e32 v18, v36, v38
	v_sub_f32_e32 v37, v19, v18
	v_pk_add_f32 v[40:41], v[18:19], v[36:37] neg_lo:[0,1] neg_hi:[0,1]
	v_mov_b32_e32 v39, v18
	v_pk_add_f32 v[18:19], v[40:41], v[38:39] neg_lo:[0,1] neg_hi:[0,1]
	v_add_f32_e32 v19, v20, v19
	v_add_f32_e32 v18, v18, v19
	v_add_f32_e32 v19, v37, v18
	v_mul_f32_e32 v20, v44, v19
	v_mul_f32_e32 v36, v43, v20
	v_fma_f32 v38, v20, v43, -v36
	v_fmac_f32_e32 v38, v20, v7
	v_sub_f32_e32 v7, v37, v19
	v_add_f32_e32 v7, v18, v7
	v_add_f32_e32 v18, v36, v38
	v_sub_f32_e32 v37, v19, v18
	v_pk_add_f32 v[40:41], v[18:19], v[36:37] neg_lo:[0,1] neg_hi:[0,1]
	v_mov_b32_e32 v39, v18
	v_pk_add_f32 v[18:19], v[40:41], v[38:39] neg_lo:[0,1] neg_hi:[0,1]
	v_add_f32_e32 v7, v7, v19
	v_add_f32_e32 v7, v18, v7
	;; [unrolled: 1-line block ×4, first 2 shown]
	v_sub_f32_e32 v19, v18, v45
	v_mul_f32_e32 v7, v44, v7
	v_sub_f32_e32 v19, v20, v19
	v_add_f32_e32 v7, v19, v7
	v_add_f32_e32 v20, v18, v7
	v_mul_f32_e32 v37, v20, v20
	v_mov_b32_e32 v36, 0x3ecc95a3
	v_fmac_f32_e32 v36, 0x3e9b6dac, v37
	v_mov_b32_e32 v19, 0x3f2aaada
	v_fmac_f32_e32 v19, v37, v36
	v_cvt_f32_i32_e32 v36, v42
	v_sub_f32_e32 v18, v20, v18
	v_sub_f32_e32 v7, v7, v18
	v_mul_f32_e32 v37, v20, v37
	v_mov_b32_e32 v18, 0x3f317218
	s_mov_b32 s20, 0x3f317218
	v_pk_mul_f32 v[18:19], v[36:37], v[18:19]
	v_fma_f32 v38, v36, s20, -v18
	v_ldexp_f32 v39, v20, 1
	v_fmac_f32_e32 v38, 0xb102e308, v36
	v_pk_add_f32 v[36:37], v[18:19], v[38:39]
	v_sub_f32_e32 v20, v37, v39
	v_ldexp_f32 v7, v7, 1
	v_sub_f32_e32 v20, v19, v20
	v_add_f32_e32 v41, v7, v20
	v_mov_b32_e32 v40, v18
	v_pk_add_f32 v[18:19], v[36:37], v[18:19] neg_lo:[0,1] neg_hi:[0,1]
	v_pk_add_f32 v[42:43], v[36:37], v[40:41]
	v_mov_b32_e32 v19, v43
	v_mov_b32_e32 v39, v36
	v_pk_add_f32 v[44:45], v[38:39], v[18:19] neg_lo:[0,1] neg_hi:[0,1]
	v_pk_add_f32 v[18:19], v[38:39], v[18:19]
	v_mov_b32_e32 v20, v19
	v_pk_add_f32 v[38:39], v[20:21], v[36:37] neg_lo:[0,1] neg_hi:[0,1]
	v_mov_b32_e32 v7, v38
	v_pk_add_f32 v[46:47], v[42:43], v[6:7] neg_lo:[0,1] neg_hi:[0,1]
	v_mov_b32_e32 v18, v43
	v_mov_b32_e32 v42, v37
	;; [unrolled: 1-line block ×4, first 2 shown]
	v_pk_add_f32 v[18:19], v[18:19], v[42:43] neg_lo:[0,1] neg_hi:[0,1]
	v_mov_b32_e32 v38, v41
	v_mov_b32_e32 v39, v36
	v_pk_add_f32 v[18:19], v[38:39], v[18:19] neg_lo:[0,1] neg_hi:[0,1]
	v_mov_b32_e32 v46, v44
	v_pk_add_f32 v[36:37], v[46:47], v[18:19]
	v_mov_b32_e32 v38, v37
	v_pk_add_f32 v[38:39], v[36:37], v[38:39]
	v_pk_add_f32 v[40:41], v[20:21], v[38:39]
	v_mov_b32_e32 v37, v40
	v_pk_add_f32 v[42:43], v[36:37], v[44:45] neg_lo:[0,1] neg_hi:[0,1]
	v_mov_b32_e32 v19, v38
	v_sub_f32_e32 v7, v36, v42
	v_pk_add_f32 v[18:19], v[18:19], v[42:43] neg_lo:[0,1] neg_hi:[0,1]
	v_sub_f32_e32 v7, v44, v7
	v_add_f32_e32 v7, v18, v7
	v_cmp_eq_f32_e64 s[20:21], s25, v17
	s_mov_b32 s25, 0x33800000
	v_add_f32_e32 v7, v7, v19
	v_cmp_lt_f32_e64 s[26:27], |v17|, s25
	v_add_f32_e32 v7, v40, v7
	s_or_b64 s[20:21], s[20:21], s[26:27]
	v_cndmask_b32_e64 v7, v7, v17, s[20:21]
	v_add_f32_e32 v36, v6, v7
.LBB155_224:
	s_or_b64 exec, exec, s[22:23]
	v_max_f32_e32 v17, v24, v24
	v_max_f32_e32 v6, v36, v36
	v_min_f32_e32 v7, v6, v17
	v_cmp_u_f32_e64 s[22:23], v36, v36
	v_max_f32_e32 v6, v6, v17
	v_cndmask_b32_e64 v7, v7, v36, s[22:23]
	v_cmp_u_f32_e64 s[20:21], v24, v24
	v_cndmask_b32_e64 v6, v6, v36, s[22:23]
	v_cndmask_b32_e64 v7, v7, v24, s[20:21]
	;; [unrolled: 1-line block ×3, first 2 shown]
	v_cmp_neq_f32_e64 s[22:23], v7, v6
	v_cmp_class_f32_e64 s[24:25], v7, s24
	s_or_b64 s[22:23], s[22:23], s[24:25]
	s_and_saveexec_b64 s[24:25], s[22:23]
	s_cbranch_execz .LBB155_226
; %bb.225:
	v_sub_f32_e32 v7, v7, v6
	s_mov_b32 s22, 0x3fb8aa3b
	v_mul_f32_e32 v18, 0x3fb8aa3b, v7
	v_fma_f32 v19, v7, s22, -v18
	v_rndne_f32_e32 v20, v18
	v_fmac_f32_e32 v19, 0x32a5705f, v7
	v_sub_f32_e32 v18, v18, v20
	v_add_f32_e32 v18, v18, v19
	v_exp_f32_e32 v18, v18
	v_cvt_i32_f32_e32 v19, v20
	s_mov_b32 s22, 0xc2ce8ed0
	v_cmp_ngt_f32_e64 s[22:23], s22, v7
	s_mov_b32 s26, 0x7f800000
	v_ldexp_f32 v18, v18, v19
	v_cndmask_b32_e64 v18, 0, v18, s[22:23]
	s_mov_b32 s22, 0x42b17218
	v_mov_b32_e32 v19, 0x7f800000
	v_cmp_nlt_f32_e64 s[22:23], s22, v7
	v_cndmask_b32_e64 v48, v19, v18, s[22:23]
	v_add_f32_e32 v7, 1.0, v48
	v_add_f32_e32 v18, -1.0, v7
	v_sub_f32_e32 v19, v18, v7
	v_add_f32_e32 v19, 1.0, v19
	v_sub_f32_e32 v18, v48, v18
	v_add_f32_e32 v20, v18, v19
	v_frexp_mant_f32_e32 v36, v7
	s_mov_b32 s22, 0x3f2aaaab
	v_cvt_f64_f32_e32 v[18:19], v7
	v_frexp_exp_i32_f64_e32 v18, v[18:19]
	v_cmp_gt_f32_e64 s[22:23], s22, v36
	v_subbrev_co_u32_e64 v42, s[22:23], 0, v18, s[22:23]
	v_sub_u32_e32 v18, 0, v42
	v_ldexp_f32 v7, v7, v18
	v_ldexp_f32 v18, v20, v18
	v_add_f32_e32 v20, -1.0, v7
	v_add_f32_e32 v19, 1.0, v20
	v_sub_f32_e32 v19, v7, v19
	v_add_f32_e32 v36, v18, v19
	v_add_f32_e32 v19, 1.0, v7
	v_add_f32_e32 v37, -1.0, v19
	v_sub_f32_e32 v7, v7, v37
	v_add_f32_e32 v7, v18, v7
	v_add_f32_e32 v43, v19, v7
	v_rcp_f32_e32 v44, v43
	v_sub_f32_e32 v18, v19, v43
	v_add_f32_e32 v19, v20, v36
	v_add_f32_e32 v7, v7, v18
	v_sub_f32_e32 v18, v20, v19
	v_mul_f32_e32 v45, v19, v44
	v_add_f32_e32 v20, v36, v18
	v_mul_f32_e32 v36, v43, v45
	v_fma_f32 v38, v45, v43, -v36
	v_fmac_f32_e32 v38, v45, v7
	v_add_f32_e32 v18, v36, v38
	v_sub_f32_e32 v37, v19, v18
	v_pk_add_f32 v[40:41], v[18:19], v[36:37] neg_lo:[0,1] neg_hi:[0,1]
	v_mov_b32_e32 v39, v18
	v_pk_add_f32 v[18:19], v[40:41], v[38:39] neg_lo:[0,1] neg_hi:[0,1]
	v_add_f32_e32 v19, v20, v19
	v_add_f32_e32 v18, v18, v19
	;; [unrolled: 1-line block ×3, first 2 shown]
	v_mul_f32_e32 v20, v44, v19
	v_mul_f32_e32 v36, v43, v20
	v_fma_f32 v38, v20, v43, -v36
	v_fmac_f32_e32 v38, v20, v7
	v_sub_f32_e32 v7, v37, v19
	v_add_f32_e32 v7, v18, v7
	v_add_f32_e32 v18, v36, v38
	v_sub_f32_e32 v37, v19, v18
	v_pk_add_f32 v[40:41], v[18:19], v[36:37] neg_lo:[0,1] neg_hi:[0,1]
	v_mov_b32_e32 v39, v18
	v_pk_add_f32 v[18:19], v[40:41], v[38:39] neg_lo:[0,1] neg_hi:[0,1]
	v_add_f32_e32 v7, v7, v19
	v_add_f32_e32 v7, v18, v7
	;; [unrolled: 1-line block ×4, first 2 shown]
	v_sub_f32_e32 v19, v18, v45
	v_mul_f32_e32 v7, v44, v7
	v_sub_f32_e32 v19, v20, v19
	v_add_f32_e32 v7, v19, v7
	v_add_f32_e32 v20, v18, v7
	v_mul_f32_e32 v37, v20, v20
	v_mov_b32_e32 v36, 0x3ecc95a3
	v_fmac_f32_e32 v36, 0x3e9b6dac, v37
	v_mov_b32_e32 v19, 0x3f2aaada
	v_fmac_f32_e32 v19, v37, v36
	v_cvt_f32_i32_e32 v36, v42
	v_sub_f32_e32 v18, v20, v18
	v_sub_f32_e32 v7, v7, v18
	v_mul_f32_e32 v37, v20, v37
	v_mov_b32_e32 v18, 0x3f317218
	s_mov_b32 s22, 0x3f317218
	v_pk_mul_f32 v[18:19], v[36:37], v[18:19]
	v_fma_f32 v38, v36, s22, -v18
	v_ldexp_f32 v39, v20, 1
	v_fmac_f32_e32 v38, 0xb102e308, v36
	v_pk_add_f32 v[36:37], v[18:19], v[38:39]
	v_sub_f32_e32 v20, v37, v39
	v_ldexp_f32 v7, v7, 1
	v_sub_f32_e32 v20, v19, v20
	v_add_f32_e32 v41, v7, v20
	v_mov_b32_e32 v40, v18
	v_pk_add_f32 v[18:19], v[36:37], v[18:19] neg_lo:[0,1] neg_hi:[0,1]
	v_pk_add_f32 v[42:43], v[36:37], v[40:41]
	v_mov_b32_e32 v19, v43
	v_mov_b32_e32 v39, v36
	v_pk_add_f32 v[44:45], v[38:39], v[18:19] neg_lo:[0,1] neg_hi:[0,1]
	v_pk_add_f32 v[18:19], v[38:39], v[18:19]
	v_mov_b32_e32 v20, v19
	v_pk_add_f32 v[38:39], v[20:21], v[36:37] neg_lo:[0,1] neg_hi:[0,1]
	v_mov_b32_e32 v7, v38
	v_pk_add_f32 v[46:47], v[42:43], v[6:7] neg_lo:[0,1] neg_hi:[0,1]
	v_mov_b32_e32 v18, v43
	v_mov_b32_e32 v42, v37
	;; [unrolled: 1-line block ×4, first 2 shown]
	v_pk_add_f32 v[18:19], v[18:19], v[42:43] neg_lo:[0,1] neg_hi:[0,1]
	v_mov_b32_e32 v38, v41
	v_mov_b32_e32 v39, v36
	v_pk_add_f32 v[18:19], v[38:39], v[18:19] neg_lo:[0,1] neg_hi:[0,1]
	v_mov_b32_e32 v46, v44
	v_pk_add_f32 v[36:37], v[46:47], v[18:19]
	v_mov_b32_e32 v38, v37
	v_pk_add_f32 v[38:39], v[36:37], v[38:39]
	v_pk_add_f32 v[40:41], v[20:21], v[38:39]
	v_mov_b32_e32 v37, v40
	v_pk_add_f32 v[42:43], v[36:37], v[44:45] neg_lo:[0,1] neg_hi:[0,1]
	v_mov_b32_e32 v19, v38
	v_sub_f32_e32 v7, v36, v42
	v_pk_add_f32 v[18:19], v[18:19], v[42:43] neg_lo:[0,1] neg_hi:[0,1]
	v_sub_f32_e32 v7, v44, v7
	v_add_f32_e32 v7, v18, v7
	v_cmp_eq_f32_e64 s[22:23], s26, v48
	s_mov_b32 s26, 0x33800000
	v_add_f32_e32 v7, v7, v19
	v_cmp_lt_f32_e64 s[26:27], |v48|, s26
	v_add_f32_e32 v7, v40, v7
	s_or_b64 s[22:23], s[22:23], s[26:27]
	v_cndmask_b32_e64 v7, v7, v48, s[22:23]
	v_add_f32_e32 v36, v6, v7
.LBB155_226:
	s_or_b64 exec, exec, s[24:25]
	v_max_f32_e32 v18, v25, v25
	v_max_f32_e32 v6, v36, v36
	v_min_f32_e32 v7, v6, v18
	v_cmp_u_f32_e64 s[24:25], v36, v36
	v_max_f32_e32 v6, v6, v18
	v_cndmask_b32_e64 v7, v7, v36, s[24:25]
	v_cmp_u_f32_e64 s[22:23], v25, v25
	v_cndmask_b32_e64 v6, v6, v36, s[24:25]
	v_cndmask_b32_e64 v7, v7, v25, s[22:23]
	;; [unrolled: 1-line block ×3, first 2 shown]
	s_movk_i32 s30, 0x1f8
	v_cmp_neq_f32_e64 s[24:25], v7, v6
	v_cmp_class_f32_e64 s[26:27], v7, s30
	s_or_b64 s[24:25], s[24:25], s[26:27]
	s_and_saveexec_b64 s[26:27], s[24:25]
	s_cbranch_execz .LBB155_228
; %bb.227:
	v_sub_f32_e32 v7, v7, v6
	s_mov_b32 s24, 0x3fb8aa3b
	v_mul_f32_e32 v19, 0x3fb8aa3b, v7
	v_fma_f32 v20, v7, s24, -v19
	v_rndne_f32_e32 v36, v19
	v_fmac_f32_e32 v20, 0x32a5705f, v7
	v_sub_f32_e32 v19, v19, v36
	v_add_f32_e32 v19, v19, v20
	v_exp_f32_e32 v19, v19
	v_cvt_i32_f32_e32 v20, v36
	s_mov_b32 s24, 0xc2ce8ed0
	v_cmp_ngt_f32_e64 s[24:25], s24, v7
	s_mov_b32 s31, 0x7f800000
	v_ldexp_f32 v19, v19, v20
	v_cndmask_b32_e64 v19, 0, v19, s[24:25]
	s_mov_b32 s24, 0x42b17218
	v_mov_b32_e32 v20, 0x7f800000
	v_cmp_nlt_f32_e64 s[24:25], s24, v7
	v_cndmask_b32_e64 v19, v20, v19, s[24:25]
	v_add_f32_e32 v7, 1.0, v19
	v_add_f32_e32 v20, -1.0, v7
	v_sub_f32_e32 v36, v20, v7
	v_add_f32_e32 v36, 1.0, v36
	v_sub_f32_e32 v20, v19, v20
	v_add_f32_e32 v20, v20, v36
	v_frexp_mant_f32_e32 v38, v7
	s_mov_b32 s24, 0x3f2aaaab
	v_cvt_f64_f32_e32 v[36:37], v7
	v_frexp_exp_i32_f64_e32 v36, v[36:37]
	v_cmp_gt_f32_e64 s[24:25], s24, v38
	v_subbrev_co_u32_e64 v44, s[24:25], 0, v36, s[24:25]
	v_sub_u32_e32 v36, 0, v44
	v_ldexp_f32 v7, v7, v36
	v_ldexp_f32 v20, v20, v36
	v_add_f32_e32 v36, -1.0, v7
	v_add_f32_e32 v37, 1.0, v36
	v_sub_f32_e32 v37, v7, v37
	v_add_f32_e32 v38, v20, v37
	v_add_f32_e32 v37, 1.0, v7
	v_add_f32_e32 v39, -1.0, v37
	v_sub_f32_e32 v7, v7, v39
	v_add_f32_e32 v7, v20, v7
	v_add_f32_e32 v20, v37, v7
	v_rcp_f32_e32 v45, v20
	v_sub_f32_e32 v37, v37, v20
	v_add_f32_e32 v7, v7, v37
	v_add_f32_e32 v37, v36, v38
	v_sub_f32_e32 v36, v36, v37
	v_mul_f32_e32 v47, v37, v45
	v_add_f32_e32 v46, v38, v36
	v_mul_f32_e32 v38, v20, v47
	v_fma_f32 v40, v47, v20, -v38
	v_fmac_f32_e32 v40, v47, v7
	v_add_f32_e32 v36, v38, v40
	v_sub_f32_e32 v39, v37, v36
	v_pk_add_f32 v[42:43], v[36:37], v[38:39] neg_lo:[0,1] neg_hi:[0,1]
	v_mov_b32_e32 v41, v36
	v_pk_add_f32 v[36:37], v[42:43], v[40:41] neg_lo:[0,1] neg_hi:[0,1]
	v_add_f32_e32 v37, v46, v37
	v_add_f32_e32 v36, v36, v37
	;; [unrolled: 1-line block ×3, first 2 shown]
	v_mul_f32_e32 v46, v45, v37
	v_mul_f32_e32 v38, v20, v46
	v_fma_f32 v40, v46, v20, -v38
	v_fmac_f32_e32 v40, v46, v7
	v_sub_f32_e32 v7, v39, v37
	v_add_f32_e32 v7, v36, v7
	v_add_f32_e32 v36, v38, v40
	v_sub_f32_e32 v39, v37, v36
	v_pk_add_f32 v[42:43], v[36:37], v[38:39] neg_lo:[0,1] neg_hi:[0,1]
	v_mov_b32_e32 v41, v36
	v_pk_add_f32 v[36:37], v[42:43], v[40:41] neg_lo:[0,1] neg_hi:[0,1]
	v_add_f32_e32 v7, v7, v37
	v_add_f32_e32 v7, v36, v7
	;; [unrolled: 1-line block ×4, first 2 shown]
	v_sub_f32_e32 v36, v20, v47
	v_mul_f32_e32 v7, v45, v7
	v_sub_f32_e32 v36, v46, v36
	v_add_f32_e32 v7, v36, v7
	v_add_f32_e32 v36, v20, v7
	v_mul_f32_e32 v39, v36, v36
	v_mov_b32_e32 v38, 0x3ecc95a3
	v_fmac_f32_e32 v38, 0x3e9b6dac, v39
	v_mov_b32_e32 v37, 0x3f2aaada
	v_fmac_f32_e32 v37, v39, v38
	v_cvt_f32_i32_e32 v38, v44
	v_sub_f32_e32 v20, v36, v20
	v_ldexp_f32 v41, v36, 1
	v_mul_f32_e32 v39, v36, v39
	v_mov_b32_e32 v36, 0x3f317218
	s_mov_b32 s24, 0x3f317218
	v_pk_mul_f32 v[36:37], v[38:39], v[36:37]
	v_fma_f32 v40, v38, s24, -v36
	v_fmac_f32_e32 v40, 0xb102e308, v38
	v_pk_add_f32 v[38:39], v[36:37], v[40:41]
	v_sub_f32_e32 v7, v7, v20
	v_sub_f32_e32 v20, v39, v41
	v_ldexp_f32 v7, v7, 1
	v_sub_f32_e32 v20, v37, v20
	v_add_f32_e32 v43, v7, v20
	v_mov_b32_e32 v42, v36
	v_pk_add_f32 v[36:37], v[38:39], v[36:37] neg_lo:[0,1] neg_hi:[0,1]
	v_pk_add_f32 v[44:45], v[38:39], v[42:43]
	v_mov_b32_e32 v37, v45
	v_mov_b32_e32 v41, v38
	v_pk_add_f32 v[46:47], v[40:41], v[36:37] neg_lo:[0,1] neg_hi:[0,1]
	v_pk_add_f32 v[36:37], v[40:41], v[36:37]
	v_mov_b32_e32 v20, v37
	v_pk_add_f32 v[40:41], v[20:21], v[38:39] neg_lo:[0,1] neg_hi:[0,1]
	v_mov_b32_e32 v7, v40
	v_pk_add_f32 v[48:49], v[44:45], v[6:7] neg_lo:[0,1] neg_hi:[0,1]
	v_mov_b32_e32 v36, v45
	v_mov_b32_e32 v44, v39
	;; [unrolled: 1-line block ×4, first 2 shown]
	v_pk_add_f32 v[36:37], v[36:37], v[44:45] neg_lo:[0,1] neg_hi:[0,1]
	v_mov_b32_e32 v40, v43
	v_mov_b32_e32 v41, v38
	v_pk_add_f32 v[36:37], v[40:41], v[36:37] neg_lo:[0,1] neg_hi:[0,1]
	v_mov_b32_e32 v48, v46
	v_pk_add_f32 v[38:39], v[48:49], v[36:37]
	v_mov_b32_e32 v40, v39
	v_pk_add_f32 v[40:41], v[38:39], v[40:41]
	v_pk_add_f32 v[42:43], v[20:21], v[40:41]
	v_mov_b32_e32 v39, v42
	v_pk_add_f32 v[44:45], v[38:39], v[46:47] neg_lo:[0,1] neg_hi:[0,1]
	v_mov_b32_e32 v37, v40
	v_sub_f32_e32 v7, v38, v44
	v_pk_add_f32 v[36:37], v[36:37], v[44:45] neg_lo:[0,1] neg_hi:[0,1]
	v_sub_f32_e32 v7, v46, v7
	v_add_f32_e32 v7, v36, v7
	v_cmp_eq_f32_e64 s[24:25], s31, v19
	s_mov_b32 s31, 0x33800000
	v_add_f32_e32 v7, v7, v37
	v_cmp_lt_f32_e64 s[34:35], |v19|, s31
	v_add_f32_e32 v7, v42, v7
	s_or_b64 s[24:25], s[24:25], s[34:35]
	v_cndmask_b32_e64 v7, v7, v19, s[24:25]
	v_add_f32_e32 v36, v6, v7
.LBB155_228:
	s_or_b64 exec, exec, s[26:27]
	v_max_f32_e32 v19, v30, v30
	v_max_f32_e32 v6, v36, v36
	v_min_f32_e32 v7, v6, v19
	v_cmp_u_f32_e64 s[26:27], v36, v36
	v_max_f32_e32 v6, v6, v19
	v_cndmask_b32_e64 v7, v7, v36, s[26:27]
	v_cmp_u_f32_e64 s[24:25], v30, v30
	v_cndmask_b32_e64 v6, v6, v36, s[26:27]
	v_cndmask_b32_e64 v7, v7, v30, s[24:25]
	;; [unrolled: 1-line block ×3, first 2 shown]
	v_cmp_neq_f32_e64 s[26:27], v7, v6
	v_cmp_class_f32_e64 s[30:31], v7, s30
	s_or_b64 s[26:27], s[26:27], s[30:31]
	s_and_saveexec_b64 s[30:31], s[26:27]
	s_cbranch_execz .LBB155_230
; %bb.229:
	v_sub_f32_e32 v7, v7, v6
	s_mov_b32 s26, 0x3fb8aa3b
	v_mul_f32_e32 v20, 0x3fb8aa3b, v7
	v_fma_f32 v36, v7, s26, -v20
	v_rndne_f32_e32 v37, v20
	v_fmac_f32_e32 v36, 0x32a5705f, v7
	v_sub_f32_e32 v20, v20, v37
	v_add_f32_e32 v20, v20, v36
	v_exp_f32_e32 v20, v20
	v_cvt_i32_f32_e32 v36, v37
	s_mov_b32 s26, 0xc2ce8ed0
	v_cmp_ngt_f32_e64 s[26:27], s26, v7
	s_mov_b32 s34, 0x7f800000
	v_ldexp_f32 v20, v20, v36
	v_cndmask_b32_e64 v20, 0, v20, s[26:27]
	s_mov_b32 s26, 0x42b17218
	v_mov_b32_e32 v36, 0x7f800000
	v_cmp_nlt_f32_e64 s[26:27], s26, v7
	v_cndmask_b32_e64 v50, v36, v20, s[26:27]
	v_add_f32_e32 v7, 1.0, v50
	v_add_f32_e32 v20, -1.0, v7
	v_sub_f32_e32 v36, v20, v7
	v_add_f32_e32 v36, 1.0, v36
	v_sub_f32_e32 v20, v50, v20
	v_add_f32_e32 v20, v20, v36
	v_frexp_mant_f32_e32 v38, v7
	s_mov_b32 s26, 0x3f2aaaab
	v_cvt_f64_f32_e32 v[36:37], v7
	v_frexp_exp_i32_f64_e32 v36, v[36:37]
	v_cmp_gt_f32_e64 s[26:27], s26, v38
	v_subbrev_co_u32_e64 v44, s[26:27], 0, v36, s[26:27]
	v_sub_u32_e32 v36, 0, v44
	v_ldexp_f32 v7, v7, v36
	v_ldexp_f32 v20, v20, v36
	v_add_f32_e32 v36, -1.0, v7
	v_add_f32_e32 v37, 1.0, v36
	v_sub_f32_e32 v37, v7, v37
	v_add_f32_e32 v38, v20, v37
	v_add_f32_e32 v37, 1.0, v7
	v_add_f32_e32 v39, -1.0, v37
	v_sub_f32_e32 v7, v7, v39
	v_add_f32_e32 v7, v20, v7
	v_add_f32_e32 v20, v37, v7
	v_rcp_f32_e32 v45, v20
	v_sub_f32_e32 v37, v37, v20
	v_add_f32_e32 v7, v7, v37
	v_add_f32_e32 v37, v36, v38
	v_sub_f32_e32 v36, v36, v37
	v_mul_f32_e32 v47, v37, v45
	v_add_f32_e32 v46, v38, v36
	v_mul_f32_e32 v38, v20, v47
	v_fma_f32 v40, v47, v20, -v38
	v_fmac_f32_e32 v40, v47, v7
	v_add_f32_e32 v36, v38, v40
	v_sub_f32_e32 v39, v37, v36
	v_pk_add_f32 v[42:43], v[36:37], v[38:39] neg_lo:[0,1] neg_hi:[0,1]
	v_mov_b32_e32 v41, v36
	v_pk_add_f32 v[36:37], v[42:43], v[40:41] neg_lo:[0,1] neg_hi:[0,1]
	v_add_f32_e32 v37, v46, v37
	v_add_f32_e32 v36, v36, v37
	;; [unrolled: 1-line block ×3, first 2 shown]
	v_mul_f32_e32 v46, v45, v37
	v_mul_f32_e32 v38, v20, v46
	v_fma_f32 v40, v46, v20, -v38
	v_fmac_f32_e32 v40, v46, v7
	v_sub_f32_e32 v7, v39, v37
	v_add_f32_e32 v7, v36, v7
	v_add_f32_e32 v36, v38, v40
	v_sub_f32_e32 v39, v37, v36
	v_pk_add_f32 v[42:43], v[36:37], v[38:39] neg_lo:[0,1] neg_hi:[0,1]
	v_mov_b32_e32 v41, v36
	v_pk_add_f32 v[36:37], v[42:43], v[40:41] neg_lo:[0,1] neg_hi:[0,1]
	v_add_f32_e32 v7, v7, v37
	v_add_f32_e32 v7, v36, v7
	;; [unrolled: 1-line block ×4, first 2 shown]
	v_sub_f32_e32 v36, v20, v47
	v_mul_f32_e32 v7, v45, v7
	v_sub_f32_e32 v36, v46, v36
	v_add_f32_e32 v7, v36, v7
	v_add_f32_e32 v36, v20, v7
	v_mul_f32_e32 v39, v36, v36
	v_mov_b32_e32 v38, 0x3ecc95a3
	v_fmac_f32_e32 v38, 0x3e9b6dac, v39
	v_mov_b32_e32 v37, 0x3f2aaada
	v_fmac_f32_e32 v37, v39, v38
	v_cvt_f32_i32_e32 v38, v44
	v_sub_f32_e32 v20, v36, v20
	v_ldexp_f32 v41, v36, 1
	v_mul_f32_e32 v39, v36, v39
	v_mov_b32_e32 v36, 0x3f317218
	s_mov_b32 s26, 0x3f317218
	v_pk_mul_f32 v[36:37], v[38:39], v[36:37]
	v_fma_f32 v40, v38, s26, -v36
	v_fmac_f32_e32 v40, 0xb102e308, v38
	v_pk_add_f32 v[38:39], v[36:37], v[40:41]
	v_sub_f32_e32 v7, v7, v20
	v_sub_f32_e32 v20, v39, v41
	v_ldexp_f32 v7, v7, 1
	v_sub_f32_e32 v20, v37, v20
	v_add_f32_e32 v43, v7, v20
	v_mov_b32_e32 v42, v36
	v_pk_add_f32 v[36:37], v[38:39], v[36:37] neg_lo:[0,1] neg_hi:[0,1]
	v_pk_add_f32 v[44:45], v[38:39], v[42:43]
	v_mov_b32_e32 v37, v45
	v_mov_b32_e32 v41, v38
	v_pk_add_f32 v[46:47], v[40:41], v[36:37] neg_lo:[0,1] neg_hi:[0,1]
	v_pk_add_f32 v[36:37], v[40:41], v[36:37]
	v_mov_b32_e32 v20, v37
	v_pk_add_f32 v[40:41], v[20:21], v[38:39] neg_lo:[0,1] neg_hi:[0,1]
	v_mov_b32_e32 v7, v40
	v_pk_add_f32 v[48:49], v[44:45], v[6:7] neg_lo:[0,1] neg_hi:[0,1]
	v_mov_b32_e32 v36, v45
	v_mov_b32_e32 v44, v39
	;; [unrolled: 1-line block ×4, first 2 shown]
	v_pk_add_f32 v[36:37], v[36:37], v[44:45] neg_lo:[0,1] neg_hi:[0,1]
	v_mov_b32_e32 v40, v43
	v_mov_b32_e32 v41, v38
	v_pk_add_f32 v[36:37], v[40:41], v[36:37] neg_lo:[0,1] neg_hi:[0,1]
	v_mov_b32_e32 v48, v46
	v_pk_add_f32 v[38:39], v[48:49], v[36:37]
	v_mov_b32_e32 v40, v39
	v_pk_add_f32 v[40:41], v[38:39], v[40:41]
	v_pk_add_f32 v[42:43], v[20:21], v[40:41]
	v_mov_b32_e32 v39, v42
	v_pk_add_f32 v[44:45], v[38:39], v[46:47] neg_lo:[0,1] neg_hi:[0,1]
	v_mov_b32_e32 v37, v40
	v_sub_f32_e32 v7, v38, v44
	v_pk_add_f32 v[36:37], v[36:37], v[44:45] neg_lo:[0,1] neg_hi:[0,1]
	v_sub_f32_e32 v7, v46, v7
	v_add_f32_e32 v7, v36, v7
	v_cmp_eq_f32_e64 s[26:27], s34, v50
	s_mov_b32 s34, 0x33800000
	v_add_f32_e32 v7, v7, v37
	v_cmp_lt_f32_e64 s[34:35], |v50|, s34
	v_add_f32_e32 v7, v42, v7
	s_or_b64 s[26:27], s[26:27], s[34:35]
	v_cndmask_b32_e64 v7, v7, v50, s[26:27]
	v_add_f32_e32 v36, v6, v7
.LBB155_230:
	s_or_b64 exec, exec, s[30:31]
	v_max_f32_e32 v20, v31, v31
	v_max_f32_e32 v6, v36, v36
	v_min_f32_e32 v7, v6, v20
	v_cmp_u_f32_e64 s[30:31], v36, v36
	v_max_f32_e32 v6, v6, v20
	v_cndmask_b32_e64 v7, v7, v36, s[30:31]
	v_cmp_u_f32_e64 s[26:27], v31, v31
	v_cndmask_b32_e64 v6, v6, v36, s[30:31]
	v_cndmask_b32_e64 v7, v7, v31, s[26:27]
	;; [unrolled: 1-line block ×3, first 2 shown]
	s_movk_i32 s34, 0x1f8
	v_cmp_neq_f32_e64 s[30:31], v7, v6
	v_cmp_class_f32_e64 s[34:35], v7, s34
	s_or_b64 s[30:31], s[30:31], s[34:35]
	s_and_saveexec_b64 s[34:35], s[30:31]
	s_cbranch_execz .LBB155_232
; %bb.231:
	v_sub_f32_e32 v7, v7, v6
	s_mov_b32 s30, 0x3fb8aa3b
	v_mul_f32_e32 v36, 0x3fb8aa3b, v7
	v_fma_f32 v37, v7, s30, -v36
	v_rndne_f32_e32 v38, v36
	v_fmac_f32_e32 v37, 0x32a5705f, v7
	v_sub_f32_e32 v36, v36, v38
	v_add_f32_e32 v36, v36, v37
	v_exp_f32_e32 v36, v36
	v_cvt_i32_f32_e32 v37, v38
	s_mov_b32 s30, 0xc2ce8ed0
	v_cmp_ngt_f32_e64 s[30:31], s30, v7
	s_mov_b32 s36, 0x7f800000
	v_ldexp_f32 v36, v36, v37
	v_cndmask_b32_e64 v36, 0, v36, s[30:31]
	s_mov_b32 s30, 0x42b17218
	v_mov_b32_e32 v37, 0x7f800000
	v_cmp_nlt_f32_e64 s[30:31], s30, v7
	v_cndmask_b32_e64 v52, v37, v36, s[30:31]
	v_add_f32_e32 v7, 1.0, v52
	v_add_f32_e32 v36, -1.0, v7
	v_sub_f32_e32 v37, v36, v7
	v_add_f32_e32 v37, 1.0, v37
	v_sub_f32_e32 v36, v52, v36
	v_add_f32_e32 v38, v36, v37
	v_frexp_mant_f32_e32 v39, v7
	s_mov_b32 s30, 0x3f2aaaab
	v_cvt_f64_f32_e32 v[36:37], v7
	v_frexp_exp_i32_f64_e32 v36, v[36:37]
	v_cmp_gt_f32_e64 s[30:31], s30, v39
	v_subbrev_co_u32_e64 v44, s[30:31], 0, v36, s[30:31]
	v_sub_u32_e32 v36, 0, v44
	v_ldexp_f32 v7, v7, v36
	v_ldexp_f32 v36, v38, v36
	v_add_f32_e32 v38, -1.0, v7
	v_add_f32_e32 v37, 1.0, v38
	v_sub_f32_e32 v37, v7, v37
	v_add_f32_e32 v39, v36, v37
	v_add_f32_e32 v37, 1.0, v7
	v_add_f32_e32 v40, -1.0, v37
	v_sub_f32_e32 v7, v7, v40
	v_add_f32_e32 v7, v36, v7
	v_add_f32_e32 v45, v37, v7
	v_rcp_f32_e32 v46, v45
	v_sub_f32_e32 v36, v37, v45
	v_add_f32_e32 v37, v38, v39
	v_add_f32_e32 v7, v7, v36
	v_mul_f32_e32 v48, v37, v46
	v_sub_f32_e32 v36, v38, v37
	v_mul_f32_e32 v38, v45, v48
	v_fma_f32 v40, v48, v45, -v38
	v_fmac_f32_e32 v40, v48, v7
	v_add_f32_e32 v47, v39, v36
	v_add_f32_e32 v36, v38, v40
	v_sub_f32_e32 v39, v37, v36
	v_pk_add_f32 v[42:43], v[36:37], v[38:39] neg_lo:[0,1] neg_hi:[0,1]
	v_mov_b32_e32 v41, v36
	v_pk_add_f32 v[36:37], v[42:43], v[40:41] neg_lo:[0,1] neg_hi:[0,1]
	v_add_f32_e32 v37, v47, v37
	v_add_f32_e32 v36, v36, v37
	;; [unrolled: 1-line block ×3, first 2 shown]
	v_mul_f32_e32 v47, v46, v37
	v_mul_f32_e32 v38, v45, v47
	v_fma_f32 v40, v47, v45, -v38
	v_fmac_f32_e32 v40, v47, v7
	v_sub_f32_e32 v7, v39, v37
	v_add_f32_e32 v7, v36, v7
	v_add_f32_e32 v36, v38, v40
	v_sub_f32_e32 v39, v37, v36
	v_pk_add_f32 v[42:43], v[36:37], v[38:39] neg_lo:[0,1] neg_hi:[0,1]
	v_mov_b32_e32 v41, v36
	v_pk_add_f32 v[36:37], v[42:43], v[40:41] neg_lo:[0,1] neg_hi:[0,1]
	v_add_f32_e32 v7, v7, v37
	v_add_f32_e32 v7, v36, v7
	;; [unrolled: 1-line block ×4, first 2 shown]
	v_sub_f32_e32 v37, v36, v48
	v_mul_f32_e32 v7, v46, v7
	v_sub_f32_e32 v37, v47, v37
	v_add_f32_e32 v7, v37, v7
	v_add_f32_e32 v39, v36, v7
	v_mul_f32_e32 v40, v39, v39
	v_mov_b32_e32 v38, 0x3ecc95a3
	v_fmac_f32_e32 v38, 0x3e9b6dac, v40
	v_mov_b32_e32 v37, 0x3f2aaada
	v_fmac_f32_e32 v37, v40, v38
	v_cvt_f32_i32_e32 v38, v44
	v_sub_f32_e32 v36, v39, v36
	v_sub_f32_e32 v7, v7, v36
	v_ldexp_f32 v41, v39, 1
	v_mul_f32_e32 v39, v39, v40
	v_mov_b32_e32 v36, 0x3f317218
	s_mov_b32 s30, 0x3f317218
	v_pk_mul_f32 v[36:37], v[38:39], v[36:37]
	v_fma_f32 v40, v38, s30, -v36
	v_fmac_f32_e32 v40, 0xb102e308, v38
	v_pk_add_f32 v[38:39], v[36:37], v[40:41]
	v_sub_f32_e32 v41, v39, v41
	v_ldexp_f32 v7, v7, 1
	v_sub_f32_e32 v41, v37, v41
	v_add_f32_e32 v43, v7, v41
	v_mov_b32_e32 v42, v36
	v_pk_add_f32 v[36:37], v[38:39], v[36:37] neg_lo:[0,1] neg_hi:[0,1]
	v_pk_add_f32 v[44:45], v[38:39], v[42:43]
	v_mov_b32_e32 v37, v45
	v_mov_b32_e32 v41, v38
	v_pk_add_f32 v[46:47], v[40:41], v[36:37] neg_lo:[0,1] neg_hi:[0,1]
	v_pk_add_f32 v[36:37], v[40:41], v[36:37]
	v_mov_b32_e32 v40, v37
	v_pk_add_f32 v[48:49], v[40:41], v[38:39] neg_lo:[0,1] neg_hi:[0,1]
	v_mov_b32_e32 v7, v48
	v_pk_add_f32 v[50:51], v[44:45], v[6:7] neg_lo:[0,1] neg_hi:[0,1]
	v_mov_b32_e32 v36, v45
	v_mov_b32_e32 v44, v39
	v_mov_b32_e32 v45, v48
	v_mov_b32_e32 v47, v37
	v_pk_add_f32 v[36:37], v[36:37], v[44:45] neg_lo:[0,1] neg_hi:[0,1]
	v_mov_b32_e32 v42, v43
	v_mov_b32_e32 v43, v38
	v_pk_add_f32 v[36:37], v[42:43], v[36:37] neg_lo:[0,1] neg_hi:[0,1]
	v_mov_b32_e32 v50, v46
	v_pk_add_f32 v[38:39], v[50:51], v[36:37]
	v_mov_b32_e32 v42, v39
	v_pk_add_f32 v[42:43], v[38:39], v[42:43]
	v_pk_add_f32 v[40:41], v[40:41], v[42:43]
	v_mov_b32_e32 v39, v40
	v_pk_add_f32 v[44:45], v[38:39], v[46:47] neg_lo:[0,1] neg_hi:[0,1]
	v_mov_b32_e32 v37, v42
	v_sub_f32_e32 v7, v38, v44
	v_pk_add_f32 v[36:37], v[36:37], v[44:45] neg_lo:[0,1] neg_hi:[0,1]
	v_sub_f32_e32 v7, v46, v7
	v_add_f32_e32 v7, v36, v7
	v_cmp_eq_f32_e64 s[30:31], s36, v52
	s_mov_b32 s36, 0x33800000
	v_add_f32_e32 v7, v7, v37
	v_cmp_lt_f32_e64 s[36:37], |v52|, s36
	v_add_f32_e32 v7, v40, v7
	s_or_b64 s[30:31], s[30:31], s[36:37]
	v_cndmask_b32_e64 v7, v7, v52, s[30:31]
	v_add_f32_e32 v36, v6, v7
.LBB155_232:
	s_or_b64 exec, exec, s[34:35]
	v_lshrrev_b32_e32 v6, 5, v0
	v_add_lshl_u32 v6, v6, v0, 2
	v_cmp_gt_u32_e64 s[30:31], 64, v0
	ds_write_b32 v6, v36
	s_waitcnt lgkmcnt(0)
	s_barrier
	s_and_saveexec_b64 s[38:39], s[30:31]
	s_cbranch_execz .LBB155_264
; %bb.233:
	v_lshlrev_b32_e32 v6, 1, v0
	v_lshrrev_b32_e32 v7, 4, v0
	v_add_lshl_u32 v37, v7, v6, 2
	ds_read2_b32 v[6:7], v37 offset1:1
	s_movk_i32 s36, 0x1f8
	s_waitcnt lgkmcnt(0)
	v_max_f32_e32 v40, v7, v7
	v_max_f32_e32 v38, v6, v6
	v_min_f32_e32 v39, v38, v40
	v_cmp_u_f32_e64 s[30:31], v6, v6
	v_max_f32_e32 v40, v38, v40
	v_cndmask_b32_e64 v39, v39, v6, s[30:31]
	v_cmp_u_f32_e64 s[34:35], v7, v7
	v_cndmask_b32_e64 v40, v40, v6, s[30:31]
	v_cndmask_b32_e64 v39, v39, v7, s[34:35]
	;; [unrolled: 1-line block ×3, first 2 shown]
	v_cmp_neq_f32_e64 s[34:35], v39, v7
	v_cmp_class_f32_e64 s[36:37], v39, s36
	s_or_b64 s[34:35], s[34:35], s[36:37]
	v_mov_b32_e32 v40, v6
	s_and_saveexec_b64 s[36:37], s[34:35]
	s_cbranch_execz .LBB155_235
; %bb.234:
	v_sub_f32_e32 v39, v39, v7
	s_mov_b32 s34, 0x3fb8aa3b
	v_mul_f32_e32 v40, 0x3fb8aa3b, v39
	v_fma_f32 v41, v39, s34, -v40
	v_rndne_f32_e32 v42, v40
	v_fmac_f32_e32 v41, 0x32a5705f, v39
	v_sub_f32_e32 v40, v40, v42
	v_add_f32_e32 v40, v40, v41
	v_exp_f32_e32 v40, v40
	v_cvt_i32_f32_e32 v41, v42
	s_mov_b32 s34, 0xc2ce8ed0
	v_cmp_ngt_f32_e64 s[34:35], s34, v39
	s_mov_b32 s40, 0x7f800000
	v_ldexp_f32 v40, v40, v41
	v_cndmask_b32_e64 v40, 0, v40, s[34:35]
	s_mov_b32 s34, 0x42b17218
	v_mov_b32_e32 v41, 0x7f800000
	v_cmp_nlt_f32_e64 s[34:35], s34, v39
	v_cndmask_b32_e64 v56, v41, v40, s[34:35]
	v_add_f32_e32 v39, 1.0, v56
	v_add_f32_e32 v40, -1.0, v39
	v_sub_f32_e32 v41, v40, v39
	v_add_f32_e32 v41, 1.0, v41
	v_sub_f32_e32 v40, v56, v40
	v_add_f32_e32 v42, v40, v41
	v_frexp_mant_f32_e32 v43, v39
	s_mov_b32 s34, 0x3f2aaaab
	v_cvt_f64_f32_e32 v[40:41], v39
	v_frexp_exp_i32_f64_e32 v40, v[40:41]
	v_cmp_gt_f32_e64 s[34:35], s34, v43
	v_subbrev_co_u32_e64 v48, s[34:35], 0, v40, s[34:35]
	v_sub_u32_e32 v40, 0, v48
	v_ldexp_f32 v39, v39, v40
	v_ldexp_f32 v40, v42, v40
	v_add_f32_e32 v42, -1.0, v39
	v_add_f32_e32 v41, 1.0, v42
	v_sub_f32_e32 v41, v39, v41
	v_add_f32_e32 v43, v40, v41
	v_add_f32_e32 v41, 1.0, v39
	v_add_f32_e32 v44, -1.0, v41
	v_sub_f32_e32 v39, v39, v44
	v_add_f32_e32 v39, v40, v39
	v_add_f32_e32 v49, v41, v39
	v_rcp_f32_e32 v50, v49
	v_sub_f32_e32 v40, v41, v49
	v_add_f32_e32 v41, v42, v43
	v_add_f32_e32 v39, v39, v40
	v_mul_f32_e32 v52, v41, v50
	v_sub_f32_e32 v40, v42, v41
	v_mul_f32_e32 v42, v49, v52
	v_fma_f32 v44, v52, v49, -v42
	v_fmac_f32_e32 v44, v52, v39
	v_add_f32_e32 v51, v43, v40
	v_add_f32_e32 v40, v42, v44
	v_sub_f32_e32 v43, v41, v40
	v_pk_add_f32 v[46:47], v[40:41], v[42:43] neg_lo:[0,1] neg_hi:[0,1]
	v_mov_b32_e32 v45, v40
	v_pk_add_f32 v[40:41], v[46:47], v[44:45] neg_lo:[0,1] neg_hi:[0,1]
	v_add_f32_e32 v41, v51, v41
	v_add_f32_e32 v40, v40, v41
	;; [unrolled: 1-line block ×3, first 2 shown]
	v_mul_f32_e32 v51, v50, v41
	v_mul_f32_e32 v42, v49, v51
	v_fma_f32 v44, v51, v49, -v42
	v_fmac_f32_e32 v44, v51, v39
	v_sub_f32_e32 v39, v43, v41
	v_add_f32_e32 v39, v40, v39
	v_add_f32_e32 v40, v42, v44
	v_sub_f32_e32 v43, v41, v40
	v_pk_add_f32 v[46:47], v[40:41], v[42:43] neg_lo:[0,1] neg_hi:[0,1]
	v_mov_b32_e32 v45, v40
	v_pk_add_f32 v[40:41], v[46:47], v[44:45] neg_lo:[0,1] neg_hi:[0,1]
	v_add_f32_e32 v39, v39, v41
	v_add_f32_e32 v39, v40, v39
	;; [unrolled: 1-line block ×4, first 2 shown]
	v_sub_f32_e32 v41, v40, v52
	v_mul_f32_e32 v39, v50, v39
	v_sub_f32_e32 v41, v51, v41
	v_add_f32_e32 v39, v41, v39
	v_add_f32_e32 v43, v40, v39
	v_mul_f32_e32 v44, v43, v43
	v_mov_b32_e32 v42, 0x3ecc95a3
	v_fmac_f32_e32 v42, 0x3e9b6dac, v44
	v_mov_b32_e32 v41, 0x3f2aaada
	v_fmac_f32_e32 v41, v44, v42
	v_cvt_f32_i32_e32 v42, v48
	v_sub_f32_e32 v40, v43, v40
	v_sub_f32_e32 v39, v39, v40
	v_ldexp_f32 v45, v43, 1
	v_mul_f32_e32 v43, v43, v44
	v_mov_b32_e32 v40, 0x3f317218
	s_mov_b32 s34, 0x3f317218
	v_pk_mul_f32 v[40:41], v[42:43], v[40:41]
	v_fma_f32 v44, v42, s34, -v40
	v_fmac_f32_e32 v44, 0xb102e308, v42
	v_pk_add_f32 v[42:43], v[40:41], v[44:45]
	v_sub_f32_e32 v45, v43, v45
	v_ldexp_f32 v39, v39, 1
	v_sub_f32_e32 v45, v41, v45
	v_add_f32_e32 v47, v39, v45
	v_mov_b32_e32 v46, v40
	v_pk_add_f32 v[40:41], v[42:43], v[40:41] neg_lo:[0,1] neg_hi:[0,1]
	v_pk_add_f32 v[48:49], v[42:43], v[46:47]
	v_mov_b32_e32 v41, v49
	v_mov_b32_e32 v45, v42
	v_pk_add_f32 v[50:51], v[44:45], v[40:41] neg_lo:[0,1] neg_hi:[0,1]
	v_pk_add_f32 v[40:41], v[44:45], v[40:41]
	v_mov_b32_e32 v44, v41
	v_pk_add_f32 v[52:53], v[44:45], v[42:43] neg_lo:[0,1] neg_hi:[0,1]
	v_mov_b32_e32 v39, v52
	v_pk_add_f32 v[54:55], v[48:49], v[38:39] neg_lo:[0,1] neg_hi:[0,1]
	v_mov_b32_e32 v40, v49
	v_mov_b32_e32 v48, v43
	;; [unrolled: 1-line block ×4, first 2 shown]
	v_pk_add_f32 v[40:41], v[40:41], v[48:49] neg_lo:[0,1] neg_hi:[0,1]
	v_mov_b32_e32 v46, v47
	v_mov_b32_e32 v47, v42
	v_pk_add_f32 v[40:41], v[46:47], v[40:41] neg_lo:[0,1] neg_hi:[0,1]
	v_mov_b32_e32 v54, v50
	v_pk_add_f32 v[42:43], v[54:55], v[40:41]
	v_mov_b32_e32 v46, v43
	v_pk_add_f32 v[46:47], v[42:43], v[46:47]
	v_pk_add_f32 v[44:45], v[44:45], v[46:47]
	v_mov_b32_e32 v43, v44
	v_pk_add_f32 v[48:49], v[42:43], v[50:51] neg_lo:[0,1] neg_hi:[0,1]
	v_mov_b32_e32 v41, v46
	v_sub_f32_e32 v39, v42, v48
	v_pk_add_f32 v[40:41], v[40:41], v[48:49] neg_lo:[0,1] neg_hi:[0,1]
	v_sub_f32_e32 v39, v50, v39
	v_add_f32_e32 v39, v40, v39
	v_cmp_eq_f32_e64 s[34:35], s40, v56
	s_mov_b32 s40, 0x33800000
	v_add_f32_e32 v39, v39, v41
	v_cmp_lt_f32_e64 s[40:41], |v56|, s40
	v_add_f32_e32 v39, v44, v39
	s_or_b64 s[34:35], s[34:35], s[40:41]
	v_cndmask_b32_e64 v39, v39, v56, s[34:35]
	v_add_f32_e32 v40, v7, v39
.LBB155_235:
	s_or_b64 exec, exec, s[36:37]
	v_mbcnt_lo_u32_b32 v7, -1, 0
	v_mbcnt_hi_u32_b32 v7, -1, v7
	v_and_b32_e32 v39, 15, v7
	v_mov_b32_dpp v41, v40 row_shr:1 row_mask:0xf bank_mask:0xf
	v_cmp_ne_u32_e64 s[34:35], 0, v39
	s_and_saveexec_b64 s[40:41], s[34:35]
	s_cbranch_execz .LBB155_239
; %bb.236:
	v_max_f32_e32 v43, v40, v40
	v_max_f32_e32 v44, v41, v41
	v_min_f32_e32 v42, v44, v43
	v_cmp_u_f32_e64 s[34:35], v41, v41
	v_max_f32_e32 v43, v44, v43
	v_cndmask_b32_e64 v42, v42, v41, s[34:35]
	v_cmp_u_f32_e64 s[36:37], v40, v40
	v_cndmask_b32_e64 v43, v43, v41, s[34:35]
	v_cndmask_b32_e64 v42, v42, v40, s[36:37]
	;; [unrolled: 1-line block ×3, first 2 shown]
	s_movk_i32 s36, 0x1f8
	v_cmp_neq_f32_e64 s[34:35], v42, v40
	v_cmp_class_f32_e64 s[36:37], v42, s36
	s_or_b64 s[34:35], s[34:35], s[36:37]
	s_and_saveexec_b64 s[36:37], s[34:35]
	s_cbranch_execz .LBB155_238
; %bb.237:
	v_sub_f32_e32 v41, v42, v40
	s_mov_b32 s34, 0x3fb8aa3b
	v_mul_f32_e32 v42, 0x3fb8aa3b, v41
	v_fma_f32 v43, v41, s34, -v42
	v_rndne_f32_e32 v44, v42
	v_fmac_f32_e32 v43, 0x32a5705f, v41
	v_sub_f32_e32 v42, v42, v44
	v_add_f32_e32 v42, v42, v43
	v_exp_f32_e32 v42, v42
	v_cvt_i32_f32_e32 v43, v44
	s_mov_b32 s34, 0xc2ce8ed0
	v_cmp_ngt_f32_e64 s[34:35], s34, v41
	s_mov_b32 s44, 0x7f800000
	v_ldexp_f32 v42, v42, v43
	v_cndmask_b32_e64 v42, 0, v42, s[34:35]
	s_mov_b32 s34, 0x42b17218
	v_mov_b32_e32 v43, 0x7f800000
	v_cmp_nlt_f32_e64 s[34:35], s34, v41
	v_cndmask_b32_e64 v58, v43, v42, s[34:35]
	v_add_f32_e32 v41, 1.0, v58
	v_add_f32_e32 v42, -1.0, v41
	v_sub_f32_e32 v43, v42, v41
	v_add_f32_e32 v43, 1.0, v43
	v_sub_f32_e32 v42, v58, v42
	v_add_f32_e32 v44, v42, v43
	v_frexp_mant_f32_e32 v45, v41
	s_mov_b32 s34, 0x3f2aaaab
	v_cvt_f64_f32_e32 v[42:43], v41
	v_frexp_exp_i32_f64_e32 v42, v[42:43]
	v_cmp_gt_f32_e64 s[34:35], s34, v45
	v_subbrev_co_u32_e64 v50, s[34:35], 0, v42, s[34:35]
	v_sub_u32_e32 v42, 0, v50
	v_ldexp_f32 v41, v41, v42
	v_ldexp_f32 v42, v44, v42
	v_add_f32_e32 v44, -1.0, v41
	v_add_f32_e32 v43, 1.0, v44
	v_sub_f32_e32 v43, v41, v43
	v_add_f32_e32 v45, v42, v43
	v_add_f32_e32 v43, 1.0, v41
	v_add_f32_e32 v46, -1.0, v43
	v_sub_f32_e32 v41, v41, v46
	v_add_f32_e32 v41, v42, v41
	v_add_f32_e32 v51, v43, v41
	v_rcp_f32_e32 v52, v51
	v_sub_f32_e32 v42, v43, v51
	v_add_f32_e32 v43, v44, v45
	v_add_f32_e32 v41, v41, v42
	v_mul_f32_e32 v54, v43, v52
	v_sub_f32_e32 v42, v44, v43
	v_mul_f32_e32 v44, v51, v54
	v_fma_f32 v46, v54, v51, -v44
	v_fmac_f32_e32 v46, v54, v41
	v_add_f32_e32 v53, v45, v42
	v_add_f32_e32 v42, v44, v46
	v_sub_f32_e32 v45, v43, v42
	v_pk_add_f32 v[48:49], v[42:43], v[44:45] neg_lo:[0,1] neg_hi:[0,1]
	v_mov_b32_e32 v47, v42
	v_pk_add_f32 v[42:43], v[48:49], v[46:47] neg_lo:[0,1] neg_hi:[0,1]
	v_add_f32_e32 v43, v53, v43
	v_add_f32_e32 v42, v42, v43
	;; [unrolled: 1-line block ×3, first 2 shown]
	v_mul_f32_e32 v53, v52, v43
	v_mul_f32_e32 v44, v51, v53
	v_fma_f32 v46, v53, v51, -v44
	v_fmac_f32_e32 v46, v53, v41
	v_sub_f32_e32 v41, v45, v43
	v_add_f32_e32 v41, v42, v41
	v_add_f32_e32 v42, v44, v46
	v_sub_f32_e32 v45, v43, v42
	v_pk_add_f32 v[48:49], v[42:43], v[44:45] neg_lo:[0,1] neg_hi:[0,1]
	v_mov_b32_e32 v47, v42
	v_pk_add_f32 v[42:43], v[48:49], v[46:47] neg_lo:[0,1] neg_hi:[0,1]
	v_add_f32_e32 v41, v41, v43
	v_add_f32_e32 v41, v42, v41
	v_add_f32_e32 v42, v54, v53
	v_add_f32_e32 v41, v45, v41
	v_sub_f32_e32 v43, v42, v54
	v_mul_f32_e32 v41, v52, v41
	v_sub_f32_e32 v43, v53, v43
	v_add_f32_e32 v41, v43, v41
	v_add_f32_e32 v45, v42, v41
	v_mul_f32_e32 v46, v45, v45
	v_mov_b32_e32 v44, 0x3ecc95a3
	v_fmac_f32_e32 v44, 0x3e9b6dac, v46
	v_mov_b32_e32 v43, 0x3f2aaada
	v_fmac_f32_e32 v43, v46, v44
	v_cvt_f32_i32_e32 v44, v50
	v_sub_f32_e32 v42, v45, v42
	v_sub_f32_e32 v41, v41, v42
	v_ldexp_f32 v47, v45, 1
	v_mul_f32_e32 v45, v45, v46
	v_mov_b32_e32 v42, 0x3f317218
	s_mov_b32 s34, 0x3f317218
	v_pk_mul_f32 v[42:43], v[44:45], v[42:43]
	v_fma_f32 v46, v44, s34, -v42
	v_fmac_f32_e32 v46, 0xb102e308, v44
	v_pk_add_f32 v[44:45], v[42:43], v[46:47]
	v_sub_f32_e32 v47, v45, v47
	v_ldexp_f32 v41, v41, 1
	v_sub_f32_e32 v47, v43, v47
	v_add_f32_e32 v49, v41, v47
	v_mov_b32_e32 v48, v42
	v_pk_add_f32 v[42:43], v[44:45], v[42:43] neg_lo:[0,1] neg_hi:[0,1]
	v_pk_add_f32 v[50:51], v[44:45], v[48:49]
	v_mov_b32_e32 v43, v51
	v_mov_b32_e32 v47, v44
	v_pk_add_f32 v[52:53], v[46:47], v[42:43] neg_lo:[0,1] neg_hi:[0,1]
	v_pk_add_f32 v[42:43], v[46:47], v[42:43]
	v_mov_b32_e32 v46, v43
	v_pk_add_f32 v[54:55], v[46:47], v[44:45] neg_lo:[0,1] neg_hi:[0,1]
	v_mov_b32_e32 v41, v54
	v_pk_add_f32 v[56:57], v[50:51], v[40:41] neg_lo:[0,1] neg_hi:[0,1]
	v_mov_b32_e32 v42, v51
	v_mov_b32_e32 v50, v45
	;; [unrolled: 1-line block ×4, first 2 shown]
	v_pk_add_f32 v[42:43], v[42:43], v[50:51] neg_lo:[0,1] neg_hi:[0,1]
	v_mov_b32_e32 v48, v49
	v_mov_b32_e32 v49, v44
	v_pk_add_f32 v[42:43], v[48:49], v[42:43] neg_lo:[0,1] neg_hi:[0,1]
	v_mov_b32_e32 v56, v52
	v_pk_add_f32 v[44:45], v[56:57], v[42:43]
	v_mov_b32_e32 v48, v45
	v_pk_add_f32 v[48:49], v[44:45], v[48:49]
	v_pk_add_f32 v[46:47], v[46:47], v[48:49]
	v_mov_b32_e32 v45, v46
	v_pk_add_f32 v[50:51], v[44:45], v[52:53] neg_lo:[0,1] neg_hi:[0,1]
	v_mov_b32_e32 v43, v48
	v_sub_f32_e32 v41, v44, v50
	v_pk_add_f32 v[42:43], v[42:43], v[50:51] neg_lo:[0,1] neg_hi:[0,1]
	v_sub_f32_e32 v41, v52, v41
	v_add_f32_e32 v41, v42, v41
	v_cmp_eq_f32_e64 s[34:35], s44, v58
	s_mov_b32 s44, 0x33800000
	v_add_f32_e32 v41, v41, v43
	v_cmp_lt_f32_e64 s[44:45], |v58|, s44
	v_add_f32_e32 v41, v46, v41
	s_or_b64 s[34:35], s[34:35], s[44:45]
	v_cndmask_b32_e64 v41, v41, v58, s[34:35]
	v_add_f32_e32 v41, v40, v41
.LBB155_238:
	s_or_b64 exec, exec, s[36:37]
	v_mov_b32_e32 v40, v41
.LBB155_239:
	s_or_b64 exec, exec, s[40:41]
	s_nop 0
	v_mov_b32_dpp v41, v40 row_shr:2 row_mask:0xf bank_mask:0xf
	v_cmp_lt_u32_e64 s[34:35], 1, v39
	s_and_saveexec_b64 s[40:41], s[34:35]
	s_cbranch_execz .LBB155_243
; %bb.240:
	v_max_f32_e32 v43, v40, v40
	v_max_f32_e32 v44, v41, v41
	v_min_f32_e32 v42, v44, v43
	v_cmp_u_f32_e64 s[34:35], v41, v41
	v_max_f32_e32 v43, v44, v43
	v_cndmask_b32_e64 v42, v42, v41, s[34:35]
	v_cmp_u_f32_e64 s[36:37], v40, v40
	v_cndmask_b32_e64 v43, v43, v41, s[34:35]
	v_cndmask_b32_e64 v42, v42, v40, s[36:37]
	;; [unrolled: 1-line block ×3, first 2 shown]
	s_movk_i32 s36, 0x1f8
	v_cmp_neq_f32_e64 s[34:35], v42, v40
	v_cmp_class_f32_e64 s[36:37], v42, s36
	s_or_b64 s[34:35], s[34:35], s[36:37]
	s_and_saveexec_b64 s[36:37], s[34:35]
	s_cbranch_execz .LBB155_242
; %bb.241:
	v_sub_f32_e32 v41, v42, v40
	s_mov_b32 s34, 0x3fb8aa3b
	v_mul_f32_e32 v42, 0x3fb8aa3b, v41
	v_fma_f32 v43, v41, s34, -v42
	v_rndne_f32_e32 v44, v42
	v_fmac_f32_e32 v43, 0x32a5705f, v41
	v_sub_f32_e32 v42, v42, v44
	v_add_f32_e32 v42, v42, v43
	v_exp_f32_e32 v42, v42
	v_cvt_i32_f32_e32 v43, v44
	s_mov_b32 s34, 0xc2ce8ed0
	v_cmp_ngt_f32_e64 s[34:35], s34, v41
	s_mov_b32 s44, 0x7f800000
	v_ldexp_f32 v42, v42, v43
	v_cndmask_b32_e64 v42, 0, v42, s[34:35]
	s_mov_b32 s34, 0x42b17218
	v_mov_b32_e32 v43, 0x7f800000
	v_cmp_nlt_f32_e64 s[34:35], s34, v41
	v_cndmask_b32_e64 v58, v43, v42, s[34:35]
	v_add_f32_e32 v41, 1.0, v58
	v_add_f32_e32 v42, -1.0, v41
	v_sub_f32_e32 v43, v42, v41
	v_add_f32_e32 v43, 1.0, v43
	v_sub_f32_e32 v42, v58, v42
	v_add_f32_e32 v44, v42, v43
	v_frexp_mant_f32_e32 v45, v41
	s_mov_b32 s34, 0x3f2aaaab
	v_cvt_f64_f32_e32 v[42:43], v41
	v_frexp_exp_i32_f64_e32 v42, v[42:43]
	v_cmp_gt_f32_e64 s[34:35], s34, v45
	v_subbrev_co_u32_e64 v50, s[34:35], 0, v42, s[34:35]
	v_sub_u32_e32 v42, 0, v50
	v_ldexp_f32 v41, v41, v42
	v_ldexp_f32 v42, v44, v42
	v_add_f32_e32 v44, -1.0, v41
	v_add_f32_e32 v43, 1.0, v44
	v_sub_f32_e32 v43, v41, v43
	v_add_f32_e32 v45, v42, v43
	v_add_f32_e32 v43, 1.0, v41
	v_add_f32_e32 v46, -1.0, v43
	v_sub_f32_e32 v41, v41, v46
	v_add_f32_e32 v41, v42, v41
	v_add_f32_e32 v51, v43, v41
	v_rcp_f32_e32 v52, v51
	v_sub_f32_e32 v42, v43, v51
	v_add_f32_e32 v43, v44, v45
	v_add_f32_e32 v41, v41, v42
	v_mul_f32_e32 v54, v43, v52
	v_sub_f32_e32 v42, v44, v43
	v_mul_f32_e32 v44, v51, v54
	v_fma_f32 v46, v54, v51, -v44
	v_fmac_f32_e32 v46, v54, v41
	v_add_f32_e32 v53, v45, v42
	v_add_f32_e32 v42, v44, v46
	v_sub_f32_e32 v45, v43, v42
	v_pk_add_f32 v[48:49], v[42:43], v[44:45] neg_lo:[0,1] neg_hi:[0,1]
	v_mov_b32_e32 v47, v42
	v_pk_add_f32 v[42:43], v[48:49], v[46:47] neg_lo:[0,1] neg_hi:[0,1]
	v_add_f32_e32 v43, v53, v43
	v_add_f32_e32 v42, v42, v43
	;; [unrolled: 1-line block ×3, first 2 shown]
	v_mul_f32_e32 v53, v52, v43
	v_mul_f32_e32 v44, v51, v53
	v_fma_f32 v46, v53, v51, -v44
	v_fmac_f32_e32 v46, v53, v41
	v_sub_f32_e32 v41, v45, v43
	v_add_f32_e32 v41, v42, v41
	v_add_f32_e32 v42, v44, v46
	v_sub_f32_e32 v45, v43, v42
	v_pk_add_f32 v[48:49], v[42:43], v[44:45] neg_lo:[0,1] neg_hi:[0,1]
	v_mov_b32_e32 v47, v42
	v_pk_add_f32 v[42:43], v[48:49], v[46:47] neg_lo:[0,1] neg_hi:[0,1]
	v_add_f32_e32 v41, v41, v43
	v_add_f32_e32 v41, v42, v41
	;; [unrolled: 1-line block ×4, first 2 shown]
	v_sub_f32_e32 v43, v42, v54
	v_mul_f32_e32 v41, v52, v41
	v_sub_f32_e32 v43, v53, v43
	v_add_f32_e32 v41, v43, v41
	v_add_f32_e32 v45, v42, v41
	v_mul_f32_e32 v46, v45, v45
	v_mov_b32_e32 v44, 0x3ecc95a3
	v_fmac_f32_e32 v44, 0x3e9b6dac, v46
	v_mov_b32_e32 v43, 0x3f2aaada
	v_fmac_f32_e32 v43, v46, v44
	v_cvt_f32_i32_e32 v44, v50
	v_sub_f32_e32 v42, v45, v42
	v_sub_f32_e32 v41, v41, v42
	v_ldexp_f32 v47, v45, 1
	v_mul_f32_e32 v45, v45, v46
	v_mov_b32_e32 v42, 0x3f317218
	s_mov_b32 s34, 0x3f317218
	v_pk_mul_f32 v[42:43], v[44:45], v[42:43]
	v_fma_f32 v46, v44, s34, -v42
	v_fmac_f32_e32 v46, 0xb102e308, v44
	v_pk_add_f32 v[44:45], v[42:43], v[46:47]
	v_sub_f32_e32 v47, v45, v47
	v_ldexp_f32 v41, v41, 1
	v_sub_f32_e32 v47, v43, v47
	v_add_f32_e32 v49, v41, v47
	v_mov_b32_e32 v48, v42
	v_pk_add_f32 v[42:43], v[44:45], v[42:43] neg_lo:[0,1] neg_hi:[0,1]
	v_pk_add_f32 v[50:51], v[44:45], v[48:49]
	v_mov_b32_e32 v43, v51
	v_mov_b32_e32 v47, v44
	v_pk_add_f32 v[52:53], v[46:47], v[42:43] neg_lo:[0,1] neg_hi:[0,1]
	v_pk_add_f32 v[42:43], v[46:47], v[42:43]
	v_mov_b32_e32 v46, v43
	v_pk_add_f32 v[54:55], v[46:47], v[44:45] neg_lo:[0,1] neg_hi:[0,1]
	v_mov_b32_e32 v41, v54
	v_pk_add_f32 v[56:57], v[50:51], v[40:41] neg_lo:[0,1] neg_hi:[0,1]
	v_mov_b32_e32 v42, v51
	v_mov_b32_e32 v50, v45
	;; [unrolled: 1-line block ×4, first 2 shown]
	v_pk_add_f32 v[42:43], v[42:43], v[50:51] neg_lo:[0,1] neg_hi:[0,1]
	v_mov_b32_e32 v48, v49
	v_mov_b32_e32 v49, v44
	v_pk_add_f32 v[42:43], v[48:49], v[42:43] neg_lo:[0,1] neg_hi:[0,1]
	v_mov_b32_e32 v56, v52
	v_pk_add_f32 v[44:45], v[56:57], v[42:43]
	v_mov_b32_e32 v48, v45
	v_pk_add_f32 v[48:49], v[44:45], v[48:49]
	v_pk_add_f32 v[46:47], v[46:47], v[48:49]
	v_mov_b32_e32 v45, v46
	v_pk_add_f32 v[50:51], v[44:45], v[52:53] neg_lo:[0,1] neg_hi:[0,1]
	v_mov_b32_e32 v43, v48
	v_sub_f32_e32 v41, v44, v50
	v_pk_add_f32 v[42:43], v[42:43], v[50:51] neg_lo:[0,1] neg_hi:[0,1]
	v_sub_f32_e32 v41, v52, v41
	v_add_f32_e32 v41, v42, v41
	v_cmp_eq_f32_e64 s[34:35], s44, v58
	s_mov_b32 s44, 0x33800000
	v_add_f32_e32 v41, v41, v43
	v_cmp_lt_f32_e64 s[44:45], |v58|, s44
	v_add_f32_e32 v41, v46, v41
	s_or_b64 s[34:35], s[34:35], s[44:45]
	v_cndmask_b32_e64 v41, v41, v58, s[34:35]
	v_add_f32_e32 v41, v40, v41
.LBB155_242:
	s_or_b64 exec, exec, s[36:37]
	v_mov_b32_e32 v40, v41
.LBB155_243:
	s_or_b64 exec, exec, s[40:41]
	s_nop 0
	v_mov_b32_dpp v41, v40 row_shr:4 row_mask:0xf bank_mask:0xf
	v_cmp_lt_u32_e64 s[34:35], 3, v39
	s_and_saveexec_b64 s[40:41], s[34:35]
	s_cbranch_execz .LBB155_247
; %bb.244:
	v_max_f32_e32 v43, v40, v40
	v_max_f32_e32 v44, v41, v41
	v_min_f32_e32 v42, v44, v43
	v_cmp_u_f32_e64 s[34:35], v41, v41
	v_max_f32_e32 v43, v44, v43
	v_cndmask_b32_e64 v42, v42, v41, s[34:35]
	v_cmp_u_f32_e64 s[36:37], v40, v40
	v_cndmask_b32_e64 v43, v43, v41, s[34:35]
	v_cndmask_b32_e64 v42, v42, v40, s[36:37]
	;; [unrolled: 1-line block ×3, first 2 shown]
	s_movk_i32 s36, 0x1f8
	v_cmp_neq_f32_e64 s[34:35], v42, v40
	v_cmp_class_f32_e64 s[36:37], v42, s36
	s_or_b64 s[34:35], s[34:35], s[36:37]
	s_and_saveexec_b64 s[36:37], s[34:35]
	s_cbranch_execz .LBB155_246
; %bb.245:
	v_sub_f32_e32 v41, v42, v40
	s_mov_b32 s34, 0x3fb8aa3b
	v_mul_f32_e32 v42, 0x3fb8aa3b, v41
	v_fma_f32 v43, v41, s34, -v42
	v_rndne_f32_e32 v44, v42
	v_fmac_f32_e32 v43, 0x32a5705f, v41
	v_sub_f32_e32 v42, v42, v44
	v_add_f32_e32 v42, v42, v43
	v_exp_f32_e32 v42, v42
	v_cvt_i32_f32_e32 v43, v44
	s_mov_b32 s34, 0xc2ce8ed0
	v_cmp_ngt_f32_e64 s[34:35], s34, v41
	s_mov_b32 s44, 0x7f800000
	v_ldexp_f32 v42, v42, v43
	v_cndmask_b32_e64 v42, 0, v42, s[34:35]
	s_mov_b32 s34, 0x42b17218
	v_mov_b32_e32 v43, 0x7f800000
	v_cmp_nlt_f32_e64 s[34:35], s34, v41
	v_cndmask_b32_e64 v58, v43, v42, s[34:35]
	v_add_f32_e32 v41, 1.0, v58
	v_add_f32_e32 v42, -1.0, v41
	v_sub_f32_e32 v43, v42, v41
	v_add_f32_e32 v43, 1.0, v43
	v_sub_f32_e32 v42, v58, v42
	v_add_f32_e32 v44, v42, v43
	v_frexp_mant_f32_e32 v45, v41
	s_mov_b32 s34, 0x3f2aaaab
	v_cvt_f64_f32_e32 v[42:43], v41
	v_frexp_exp_i32_f64_e32 v42, v[42:43]
	v_cmp_gt_f32_e64 s[34:35], s34, v45
	v_subbrev_co_u32_e64 v50, s[34:35], 0, v42, s[34:35]
	v_sub_u32_e32 v42, 0, v50
	v_ldexp_f32 v41, v41, v42
	v_ldexp_f32 v42, v44, v42
	v_add_f32_e32 v44, -1.0, v41
	v_add_f32_e32 v43, 1.0, v44
	v_sub_f32_e32 v43, v41, v43
	v_add_f32_e32 v45, v42, v43
	v_add_f32_e32 v43, 1.0, v41
	v_add_f32_e32 v46, -1.0, v43
	v_sub_f32_e32 v41, v41, v46
	v_add_f32_e32 v41, v42, v41
	v_add_f32_e32 v51, v43, v41
	v_rcp_f32_e32 v52, v51
	v_sub_f32_e32 v42, v43, v51
	v_add_f32_e32 v43, v44, v45
	v_add_f32_e32 v41, v41, v42
	v_mul_f32_e32 v54, v43, v52
	v_sub_f32_e32 v42, v44, v43
	v_mul_f32_e32 v44, v51, v54
	v_fma_f32 v46, v54, v51, -v44
	v_fmac_f32_e32 v46, v54, v41
	v_add_f32_e32 v53, v45, v42
	v_add_f32_e32 v42, v44, v46
	v_sub_f32_e32 v45, v43, v42
	v_pk_add_f32 v[48:49], v[42:43], v[44:45] neg_lo:[0,1] neg_hi:[0,1]
	v_mov_b32_e32 v47, v42
	v_pk_add_f32 v[42:43], v[48:49], v[46:47] neg_lo:[0,1] neg_hi:[0,1]
	v_add_f32_e32 v43, v53, v43
	v_add_f32_e32 v42, v42, v43
	;; [unrolled: 1-line block ×3, first 2 shown]
	v_mul_f32_e32 v53, v52, v43
	v_mul_f32_e32 v44, v51, v53
	v_fma_f32 v46, v53, v51, -v44
	v_fmac_f32_e32 v46, v53, v41
	v_sub_f32_e32 v41, v45, v43
	v_add_f32_e32 v41, v42, v41
	v_add_f32_e32 v42, v44, v46
	v_sub_f32_e32 v45, v43, v42
	v_pk_add_f32 v[48:49], v[42:43], v[44:45] neg_lo:[0,1] neg_hi:[0,1]
	v_mov_b32_e32 v47, v42
	v_pk_add_f32 v[42:43], v[48:49], v[46:47] neg_lo:[0,1] neg_hi:[0,1]
	v_add_f32_e32 v41, v41, v43
	v_add_f32_e32 v41, v42, v41
	;; [unrolled: 1-line block ×4, first 2 shown]
	v_sub_f32_e32 v43, v42, v54
	v_mul_f32_e32 v41, v52, v41
	v_sub_f32_e32 v43, v53, v43
	v_add_f32_e32 v41, v43, v41
	v_add_f32_e32 v45, v42, v41
	v_mul_f32_e32 v46, v45, v45
	v_mov_b32_e32 v44, 0x3ecc95a3
	v_fmac_f32_e32 v44, 0x3e9b6dac, v46
	v_mov_b32_e32 v43, 0x3f2aaada
	v_fmac_f32_e32 v43, v46, v44
	v_cvt_f32_i32_e32 v44, v50
	v_sub_f32_e32 v42, v45, v42
	v_sub_f32_e32 v41, v41, v42
	v_ldexp_f32 v47, v45, 1
	v_mul_f32_e32 v45, v45, v46
	v_mov_b32_e32 v42, 0x3f317218
	s_mov_b32 s34, 0x3f317218
	v_pk_mul_f32 v[42:43], v[44:45], v[42:43]
	v_fma_f32 v46, v44, s34, -v42
	v_fmac_f32_e32 v46, 0xb102e308, v44
	v_pk_add_f32 v[44:45], v[42:43], v[46:47]
	v_sub_f32_e32 v47, v45, v47
	v_ldexp_f32 v41, v41, 1
	v_sub_f32_e32 v47, v43, v47
	v_add_f32_e32 v49, v41, v47
	v_mov_b32_e32 v48, v42
	v_pk_add_f32 v[42:43], v[44:45], v[42:43] neg_lo:[0,1] neg_hi:[0,1]
	v_pk_add_f32 v[50:51], v[44:45], v[48:49]
	v_mov_b32_e32 v43, v51
	v_mov_b32_e32 v47, v44
	v_pk_add_f32 v[52:53], v[46:47], v[42:43] neg_lo:[0,1] neg_hi:[0,1]
	v_pk_add_f32 v[42:43], v[46:47], v[42:43]
	v_mov_b32_e32 v46, v43
	v_pk_add_f32 v[54:55], v[46:47], v[44:45] neg_lo:[0,1] neg_hi:[0,1]
	v_mov_b32_e32 v41, v54
	v_pk_add_f32 v[56:57], v[50:51], v[40:41] neg_lo:[0,1] neg_hi:[0,1]
	v_mov_b32_e32 v42, v51
	v_mov_b32_e32 v50, v45
	;; [unrolled: 1-line block ×4, first 2 shown]
	v_pk_add_f32 v[42:43], v[42:43], v[50:51] neg_lo:[0,1] neg_hi:[0,1]
	v_mov_b32_e32 v48, v49
	v_mov_b32_e32 v49, v44
	v_pk_add_f32 v[42:43], v[48:49], v[42:43] neg_lo:[0,1] neg_hi:[0,1]
	v_mov_b32_e32 v56, v52
	v_pk_add_f32 v[44:45], v[56:57], v[42:43]
	v_mov_b32_e32 v48, v45
	v_pk_add_f32 v[48:49], v[44:45], v[48:49]
	v_pk_add_f32 v[46:47], v[46:47], v[48:49]
	v_mov_b32_e32 v45, v46
	v_pk_add_f32 v[50:51], v[44:45], v[52:53] neg_lo:[0,1] neg_hi:[0,1]
	v_mov_b32_e32 v43, v48
	v_sub_f32_e32 v41, v44, v50
	v_pk_add_f32 v[42:43], v[42:43], v[50:51] neg_lo:[0,1] neg_hi:[0,1]
	v_sub_f32_e32 v41, v52, v41
	v_add_f32_e32 v41, v42, v41
	v_cmp_eq_f32_e64 s[34:35], s44, v58
	s_mov_b32 s44, 0x33800000
	v_add_f32_e32 v41, v41, v43
	v_cmp_lt_f32_e64 s[44:45], |v58|, s44
	v_add_f32_e32 v41, v46, v41
	s_or_b64 s[34:35], s[34:35], s[44:45]
	v_cndmask_b32_e64 v41, v41, v58, s[34:35]
	v_add_f32_e32 v41, v40, v41
.LBB155_246:
	s_or_b64 exec, exec, s[36:37]
	v_mov_b32_e32 v40, v41
.LBB155_247:
	s_or_b64 exec, exec, s[40:41]
	s_nop 0
	v_mov_b32_dpp v41, v40 row_shr:8 row_mask:0xf bank_mask:0xf
	v_cmp_lt_u32_e64 s[34:35], 7, v39
	s_and_saveexec_b64 s[40:41], s[34:35]
	s_cbranch_execz .LBB155_251
; %bb.248:
	v_max_f32_e32 v39, v40, v40
	v_max_f32_e32 v43, v41, v41
	v_min_f32_e32 v42, v43, v39
	v_cmp_u_f32_e64 s[34:35], v41, v41
	v_max_f32_e32 v39, v43, v39
	v_cndmask_b32_e64 v42, v42, v41, s[34:35]
	v_cmp_u_f32_e64 s[36:37], v40, v40
	v_cndmask_b32_e64 v39, v39, v41, s[34:35]
	v_cndmask_b32_e64 v42, v42, v40, s[36:37]
	;; [unrolled: 1-line block ×3, first 2 shown]
	s_movk_i32 s36, 0x1f8
	v_cmp_neq_f32_e64 s[34:35], v42, v39
	v_cmp_class_f32_e64 s[36:37], v42, s36
	s_or_b64 s[34:35], s[34:35], s[36:37]
	s_and_saveexec_b64 s[36:37], s[34:35]
	s_cbranch_execz .LBB155_250
; %bb.249:
	v_sub_f32_e32 v40, v42, v39
	s_mov_b32 s34, 0x3fb8aa3b
	v_mul_f32_e32 v41, 0x3fb8aa3b, v40
	v_fma_f32 v42, v40, s34, -v41
	v_rndne_f32_e32 v43, v41
	v_fmac_f32_e32 v42, 0x32a5705f, v40
	v_sub_f32_e32 v41, v41, v43
	v_add_f32_e32 v41, v41, v42
	v_exp_f32_e32 v41, v41
	v_cvt_i32_f32_e32 v42, v43
	s_mov_b32 s34, 0xc2ce8ed0
	v_cmp_ngt_f32_e64 s[34:35], s34, v40
	s_mov_b32 s44, 0x7f800000
	v_ldexp_f32 v41, v41, v42
	v_cndmask_b32_e64 v41, 0, v41, s[34:35]
	s_mov_b32 s34, 0x42b17218
	v_mov_b32_e32 v42, 0x7f800000
	v_cmp_nlt_f32_e64 s[34:35], s34, v40
	v_cndmask_b32_e64 v56, v42, v41, s[34:35]
	v_add_f32_e32 v42, 1.0, v56
	v_add_f32_e32 v40, -1.0, v42
	v_sub_f32_e32 v41, v40, v42
	v_add_f32_e32 v41, 1.0, v41
	v_sub_f32_e32 v40, v56, v40
	v_add_f32_e32 v43, v40, v41
	v_frexp_mant_f32_e32 v44, v42
	s_mov_b32 s34, 0x3f2aaaab
	v_cvt_f64_f32_e32 v[40:41], v42
	v_frexp_exp_i32_f64_e32 v40, v[40:41]
	v_cmp_gt_f32_e64 s[34:35], s34, v44
	v_subbrev_co_u32_e64 v48, s[34:35], 0, v40, s[34:35]
	v_sub_u32_e32 v40, 0, v48
	v_ldexp_f32 v41, v42, v40
	v_add_f32_e32 v42, -1.0, v41
	v_add_f32_e32 v44, 1.0, v41
	v_ldexp_f32 v40, v43, v40
	v_add_f32_e32 v43, 1.0, v42
	v_add_f32_e32 v45, -1.0, v44
	v_sub_f32_e32 v43, v41, v43
	v_sub_f32_e32 v41, v41, v45
	v_add_f32_e32 v43, v40, v43
	v_add_f32_e32 v40, v40, v41
	;; [unrolled: 1-line block ×3, first 2 shown]
	v_rcp_f32_e32 v51, v49
	v_sub_f32_e32 v41, v44, v49
	v_add_f32_e32 v50, v40, v41
	v_add_f32_e32 v41, v42, v43
	v_mul_f32_e32 v53, v41, v51
	v_sub_f32_e32 v40, v42, v41
	v_mul_f32_e32 v42, v49, v53
	v_fma_f32 v44, v53, v49, -v42
	v_fmac_f32_e32 v44, v53, v50
	v_add_f32_e32 v52, v43, v40
	v_add_f32_e32 v40, v42, v44
	v_sub_f32_e32 v43, v41, v40
	v_pk_add_f32 v[46:47], v[40:41], v[42:43] neg_lo:[0,1] neg_hi:[0,1]
	v_mov_b32_e32 v45, v40
	v_pk_add_f32 v[40:41], v[46:47], v[44:45] neg_lo:[0,1] neg_hi:[0,1]
	v_add_f32_e32 v41, v52, v41
	v_add_f32_e32 v40, v40, v41
	;; [unrolled: 1-line block ×3, first 2 shown]
	v_mul_f32_e32 v52, v51, v41
	v_mul_f32_e32 v42, v49, v52
	v_fma_f32 v44, v52, v49, -v42
	v_fmac_f32_e32 v44, v52, v50
	v_sub_f32_e32 v43, v43, v41
	v_add_f32_e32 v49, v40, v43
	v_add_f32_e32 v40, v42, v44
	v_sub_f32_e32 v43, v41, v40
	v_pk_add_f32 v[46:47], v[40:41], v[42:43] neg_lo:[0,1] neg_hi:[0,1]
	v_mov_b32_e32 v45, v40
	v_pk_add_f32 v[40:41], v[46:47], v[44:45] neg_lo:[0,1] neg_hi:[0,1]
	v_add_f32_e32 v41, v49, v41
	v_add_f32_e32 v40, v40, v41
	;; [unrolled: 1-line block ×4, first 2 shown]
	v_sub_f32_e32 v41, v43, v53
	v_mul_f32_e32 v40, v51, v40
	v_sub_f32_e32 v41, v52, v41
	v_add_f32_e32 v40, v41, v40
	v_add_f32_e32 v44, v43, v40
	v_mul_f32_e32 v46, v44, v44
	v_mov_b32_e32 v42, 0x3ecc95a3
	v_fmac_f32_e32 v42, 0x3e9b6dac, v46
	v_mov_b32_e32 v41, 0x3f2aaada
	v_fmac_f32_e32 v41, v46, v42
	v_cvt_f32_i32_e32 v42, v48
	v_sub_f32_e32 v43, v44, v43
	v_sub_f32_e32 v40, v40, v43
	v_ldexp_f32 v47, v40, 1
	v_mul_f32_e32 v43, v44, v46
	v_mov_b32_e32 v40, 0x3f317218
	s_mov_b32 s34, 0x3f317218
	v_pk_mul_f32 v[40:41], v[42:43], v[40:41]
	v_ldexp_f32 v45, v44, 1
	v_fma_f32 v44, v42, s34, -v40
	v_fmac_f32_e32 v44, 0xb102e308, v42
	v_pk_add_f32 v[42:43], v[40:41], v[44:45]
	v_sub_f32_e32 v45, v43, v45
	v_sub_f32_e32 v45, v41, v45
	v_add_f32_e32 v47, v47, v45
	v_mov_b32_e32 v46, v40
	v_pk_add_f32 v[40:41], v[42:43], v[40:41] neg_lo:[0,1] neg_hi:[0,1]
	v_pk_add_f32 v[48:49], v[42:43], v[46:47]
	v_mov_b32_e32 v41, v49
	v_mov_b32_e32 v45, v42
	v_pk_add_f32 v[50:51], v[44:45], v[40:41] neg_lo:[0,1] neg_hi:[0,1]
	v_pk_add_f32 v[40:41], v[44:45], v[40:41]
	v_mov_b32_e32 v44, v41
	v_pk_add_f32 v[52:53], v[44:45], v[42:43] neg_lo:[0,1] neg_hi:[0,1]
	v_mov_b32_e32 v45, v52
	v_pk_add_f32 v[54:55], v[48:49], v[44:45] neg_lo:[0,1] neg_hi:[0,1]
	v_mov_b32_e32 v40, v49
	v_mov_b32_e32 v48, v43
	;; [unrolled: 1-line block ×4, first 2 shown]
	v_pk_add_f32 v[40:41], v[40:41], v[48:49] neg_lo:[0,1] neg_hi:[0,1]
	v_mov_b32_e32 v46, v47
	v_mov_b32_e32 v47, v42
	v_pk_add_f32 v[40:41], v[46:47], v[40:41] neg_lo:[0,1] neg_hi:[0,1]
	v_mov_b32_e32 v54, v50
	v_pk_add_f32 v[42:43], v[54:55], v[40:41]
	v_mov_b32_e32 v46, v43
	v_pk_add_f32 v[46:47], v[42:43], v[46:47]
	v_pk_add_f32 v[44:45], v[44:45], v[46:47]
	v_mov_b32_e32 v43, v44
	v_pk_add_f32 v[48:49], v[42:43], v[50:51] neg_lo:[0,1] neg_hi:[0,1]
	v_mov_b32_e32 v41, v46
	v_sub_f32_e32 v42, v42, v48
	v_pk_add_f32 v[40:41], v[40:41], v[48:49] neg_lo:[0,1] neg_hi:[0,1]
	v_sub_f32_e32 v42, v50, v42
	v_add_f32_e32 v40, v40, v42
	v_cmp_eq_f32_e64 s[34:35], s44, v56
	s_mov_b32 s44, 0x33800000
	v_add_f32_e32 v40, v40, v41
	v_cmp_lt_f32_e64 s[44:45], |v56|, s44
	v_add_f32_e32 v40, v44, v40
	s_or_b64 s[34:35], s[34:35], s[44:45]
	v_cndmask_b32_e64 v40, v40, v56, s[34:35]
	v_add_f32_e32 v41, v39, v40
.LBB155_250:
	s_or_b64 exec, exec, s[36:37]
	v_mov_b32_e32 v40, v41
.LBB155_251:
	s_or_b64 exec, exec, s[40:41]
	v_and_b32_e32 v39, 16, v7
	v_mov_b32_dpp v41, v40 row_bcast:15 row_mask:0xf bank_mask:0xf
	v_cmp_ne_u32_e64 s[34:35], 0, v39
	s_and_saveexec_b64 s[40:41], s[34:35]
	s_cbranch_execz .LBB155_255
; %bb.252:
	v_max_f32_e32 v39, v40, v40
	v_max_f32_e32 v43, v41, v41
	v_min_f32_e32 v42, v43, v39
	v_cmp_u_f32_e64 s[34:35], v41, v41
	v_max_f32_e32 v39, v43, v39
	v_cndmask_b32_e64 v42, v42, v41, s[34:35]
	v_cmp_u_f32_e64 s[36:37], v40, v40
	v_cndmask_b32_e64 v39, v39, v41, s[34:35]
	v_cndmask_b32_e64 v42, v42, v40, s[36:37]
	;; [unrolled: 1-line block ×3, first 2 shown]
	s_movk_i32 s36, 0x1f8
	v_cmp_neq_f32_e64 s[34:35], v42, v39
	v_cmp_class_f32_e64 s[36:37], v42, s36
	s_or_b64 s[34:35], s[34:35], s[36:37]
	s_and_saveexec_b64 s[36:37], s[34:35]
	s_cbranch_execz .LBB155_254
; %bb.253:
	v_sub_f32_e32 v40, v42, v39
	s_mov_b32 s34, 0x3fb8aa3b
	v_mul_f32_e32 v41, 0x3fb8aa3b, v40
	v_fma_f32 v42, v40, s34, -v41
	v_rndne_f32_e32 v43, v41
	v_fmac_f32_e32 v42, 0x32a5705f, v40
	v_sub_f32_e32 v41, v41, v43
	v_add_f32_e32 v41, v41, v42
	v_exp_f32_e32 v41, v41
	v_cvt_i32_f32_e32 v42, v43
	s_mov_b32 s34, 0xc2ce8ed0
	v_cmp_ngt_f32_e64 s[34:35], s34, v40
	s_mov_b32 s44, 0x7f800000
	v_ldexp_f32 v41, v41, v42
	v_cndmask_b32_e64 v41, 0, v41, s[34:35]
	s_mov_b32 s34, 0x42b17218
	v_mov_b32_e32 v42, 0x7f800000
	v_cmp_nlt_f32_e64 s[34:35], s34, v40
	v_cndmask_b32_e64 v56, v42, v41, s[34:35]
	v_add_f32_e32 v42, 1.0, v56
	v_add_f32_e32 v40, -1.0, v42
	v_sub_f32_e32 v41, v40, v42
	v_add_f32_e32 v41, 1.0, v41
	v_sub_f32_e32 v40, v56, v40
	v_add_f32_e32 v43, v40, v41
	v_frexp_mant_f32_e32 v44, v42
	s_mov_b32 s34, 0x3f2aaaab
	v_cvt_f64_f32_e32 v[40:41], v42
	v_frexp_exp_i32_f64_e32 v40, v[40:41]
	v_cmp_gt_f32_e64 s[34:35], s34, v44
	v_subbrev_co_u32_e64 v48, s[34:35], 0, v40, s[34:35]
	v_sub_u32_e32 v40, 0, v48
	v_ldexp_f32 v41, v42, v40
	v_add_f32_e32 v42, -1.0, v41
	v_add_f32_e32 v44, 1.0, v41
	v_ldexp_f32 v40, v43, v40
	v_add_f32_e32 v43, 1.0, v42
	v_add_f32_e32 v45, -1.0, v44
	v_sub_f32_e32 v43, v41, v43
	v_sub_f32_e32 v41, v41, v45
	v_add_f32_e32 v43, v40, v43
	v_add_f32_e32 v40, v40, v41
	;; [unrolled: 1-line block ×3, first 2 shown]
	v_rcp_f32_e32 v51, v49
	v_sub_f32_e32 v41, v44, v49
	v_add_f32_e32 v50, v40, v41
	v_add_f32_e32 v41, v42, v43
	v_mul_f32_e32 v53, v41, v51
	v_sub_f32_e32 v40, v42, v41
	v_mul_f32_e32 v42, v49, v53
	v_fma_f32 v44, v53, v49, -v42
	v_fmac_f32_e32 v44, v53, v50
	v_add_f32_e32 v52, v43, v40
	v_add_f32_e32 v40, v42, v44
	v_sub_f32_e32 v43, v41, v40
	v_pk_add_f32 v[46:47], v[40:41], v[42:43] neg_lo:[0,1] neg_hi:[0,1]
	v_mov_b32_e32 v45, v40
	v_pk_add_f32 v[40:41], v[46:47], v[44:45] neg_lo:[0,1] neg_hi:[0,1]
	v_add_f32_e32 v41, v52, v41
	v_add_f32_e32 v40, v40, v41
	;; [unrolled: 1-line block ×3, first 2 shown]
	v_mul_f32_e32 v52, v51, v41
	v_mul_f32_e32 v42, v49, v52
	v_fma_f32 v44, v52, v49, -v42
	v_fmac_f32_e32 v44, v52, v50
	v_sub_f32_e32 v43, v43, v41
	v_add_f32_e32 v49, v40, v43
	v_add_f32_e32 v40, v42, v44
	v_sub_f32_e32 v43, v41, v40
	v_pk_add_f32 v[46:47], v[40:41], v[42:43] neg_lo:[0,1] neg_hi:[0,1]
	v_mov_b32_e32 v45, v40
	v_pk_add_f32 v[40:41], v[46:47], v[44:45] neg_lo:[0,1] neg_hi:[0,1]
	v_add_f32_e32 v41, v49, v41
	v_add_f32_e32 v40, v40, v41
	v_add_f32_e32 v40, v43, v40
	v_add_f32_e32 v43, v53, v52
	v_sub_f32_e32 v41, v43, v53
	v_mul_f32_e32 v40, v51, v40
	v_sub_f32_e32 v41, v52, v41
	v_add_f32_e32 v40, v41, v40
	v_add_f32_e32 v44, v43, v40
	v_mul_f32_e32 v46, v44, v44
	v_mov_b32_e32 v42, 0x3ecc95a3
	v_fmac_f32_e32 v42, 0x3e9b6dac, v46
	v_mov_b32_e32 v41, 0x3f2aaada
	v_fmac_f32_e32 v41, v46, v42
	v_cvt_f32_i32_e32 v42, v48
	v_sub_f32_e32 v43, v44, v43
	v_sub_f32_e32 v40, v40, v43
	v_ldexp_f32 v47, v40, 1
	v_mul_f32_e32 v43, v44, v46
	v_mov_b32_e32 v40, 0x3f317218
	s_mov_b32 s34, 0x3f317218
	v_pk_mul_f32 v[40:41], v[42:43], v[40:41]
	v_ldexp_f32 v45, v44, 1
	v_fma_f32 v44, v42, s34, -v40
	v_fmac_f32_e32 v44, 0xb102e308, v42
	v_pk_add_f32 v[42:43], v[40:41], v[44:45]
	v_sub_f32_e32 v45, v43, v45
	v_sub_f32_e32 v45, v41, v45
	v_add_f32_e32 v47, v47, v45
	v_mov_b32_e32 v46, v40
	v_pk_add_f32 v[40:41], v[42:43], v[40:41] neg_lo:[0,1] neg_hi:[0,1]
	v_pk_add_f32 v[48:49], v[42:43], v[46:47]
	v_mov_b32_e32 v41, v49
	v_mov_b32_e32 v45, v42
	v_pk_add_f32 v[50:51], v[44:45], v[40:41] neg_lo:[0,1] neg_hi:[0,1]
	v_pk_add_f32 v[40:41], v[44:45], v[40:41]
	v_mov_b32_e32 v44, v41
	v_pk_add_f32 v[52:53], v[44:45], v[42:43] neg_lo:[0,1] neg_hi:[0,1]
	v_mov_b32_e32 v45, v52
	v_pk_add_f32 v[54:55], v[48:49], v[44:45] neg_lo:[0,1] neg_hi:[0,1]
	v_mov_b32_e32 v40, v49
	v_mov_b32_e32 v48, v43
	;; [unrolled: 1-line block ×4, first 2 shown]
	v_pk_add_f32 v[40:41], v[40:41], v[48:49] neg_lo:[0,1] neg_hi:[0,1]
	v_mov_b32_e32 v46, v47
	v_mov_b32_e32 v47, v42
	v_pk_add_f32 v[40:41], v[46:47], v[40:41] neg_lo:[0,1] neg_hi:[0,1]
	v_mov_b32_e32 v54, v50
	v_pk_add_f32 v[42:43], v[54:55], v[40:41]
	v_mov_b32_e32 v46, v43
	v_pk_add_f32 v[46:47], v[42:43], v[46:47]
	v_pk_add_f32 v[44:45], v[44:45], v[46:47]
	v_mov_b32_e32 v43, v44
	v_pk_add_f32 v[48:49], v[42:43], v[50:51] neg_lo:[0,1] neg_hi:[0,1]
	v_mov_b32_e32 v41, v46
	v_sub_f32_e32 v42, v42, v48
	v_pk_add_f32 v[40:41], v[40:41], v[48:49] neg_lo:[0,1] neg_hi:[0,1]
	v_sub_f32_e32 v42, v50, v42
	v_add_f32_e32 v40, v40, v42
	v_cmp_eq_f32_e64 s[34:35], s44, v56
	s_mov_b32 s44, 0x33800000
	v_add_f32_e32 v40, v40, v41
	v_cmp_lt_f32_e64 s[44:45], |v56|, s44
	v_add_f32_e32 v40, v44, v40
	s_or_b64 s[34:35], s[34:35], s[44:45]
	v_cndmask_b32_e64 v40, v40, v56, s[34:35]
	v_add_f32_e32 v41, v39, v40
.LBB155_254:
	s_or_b64 exec, exec, s[36:37]
	v_mov_b32_e32 v40, v41
.LBB155_255:
	s_or_b64 exec, exec, s[40:41]
	s_nop 0
	v_mov_b32_dpp v41, v40 row_bcast:31 row_mask:0xf bank_mask:0xf
	v_cmp_lt_u32_e64 s[34:35], 31, v7
	s_and_saveexec_b64 s[40:41], s[34:35]
	s_cbranch_execz .LBB155_259
; %bb.256:
	v_max_f32_e32 v39, v40, v40
	v_max_f32_e32 v43, v41, v41
	v_min_f32_e32 v42, v43, v39
	v_cmp_u_f32_e64 s[34:35], v41, v41
	v_max_f32_e32 v39, v43, v39
	v_cndmask_b32_e64 v42, v42, v41, s[34:35]
	v_cmp_u_f32_e64 s[36:37], v40, v40
	v_cndmask_b32_e64 v39, v39, v41, s[34:35]
	v_cndmask_b32_e64 v42, v42, v40, s[36:37]
	;; [unrolled: 1-line block ×3, first 2 shown]
	s_movk_i32 s36, 0x1f8
	v_cmp_neq_f32_e64 s[34:35], v42, v39
	v_cmp_class_f32_e64 s[36:37], v42, s36
	s_or_b64 s[34:35], s[34:35], s[36:37]
	s_and_saveexec_b64 s[36:37], s[34:35]
	s_cbranch_execz .LBB155_258
; %bb.257:
	v_sub_f32_e32 v40, v42, v39
	s_mov_b32 s34, 0x3fb8aa3b
	v_mul_f32_e32 v41, 0x3fb8aa3b, v40
	v_fma_f32 v42, v40, s34, -v41
	v_rndne_f32_e32 v43, v41
	v_fmac_f32_e32 v42, 0x32a5705f, v40
	v_sub_f32_e32 v41, v41, v43
	v_add_f32_e32 v41, v41, v42
	v_exp_f32_e32 v41, v41
	v_cvt_i32_f32_e32 v42, v43
	s_mov_b32 s34, 0xc2ce8ed0
	v_cmp_ngt_f32_e64 s[34:35], s34, v40
	s_mov_b32 s44, 0x7f800000
	v_ldexp_f32 v41, v41, v42
	v_cndmask_b32_e64 v41, 0, v41, s[34:35]
	s_mov_b32 s34, 0x42b17218
	v_mov_b32_e32 v42, 0x7f800000
	v_cmp_nlt_f32_e64 s[34:35], s34, v40
	v_cndmask_b32_e64 v56, v42, v41, s[34:35]
	v_add_f32_e32 v42, 1.0, v56
	v_add_f32_e32 v40, -1.0, v42
	v_sub_f32_e32 v41, v40, v42
	v_add_f32_e32 v41, 1.0, v41
	v_sub_f32_e32 v40, v56, v40
	v_add_f32_e32 v43, v40, v41
	v_frexp_mant_f32_e32 v44, v42
	s_mov_b32 s34, 0x3f2aaaab
	v_cvt_f64_f32_e32 v[40:41], v42
	v_frexp_exp_i32_f64_e32 v40, v[40:41]
	v_cmp_gt_f32_e64 s[34:35], s34, v44
	v_subbrev_co_u32_e64 v48, s[34:35], 0, v40, s[34:35]
	v_sub_u32_e32 v40, 0, v48
	v_ldexp_f32 v41, v42, v40
	v_add_f32_e32 v42, -1.0, v41
	v_add_f32_e32 v44, 1.0, v41
	v_ldexp_f32 v40, v43, v40
	v_add_f32_e32 v43, 1.0, v42
	v_add_f32_e32 v45, -1.0, v44
	v_sub_f32_e32 v43, v41, v43
	v_sub_f32_e32 v41, v41, v45
	v_add_f32_e32 v43, v40, v43
	v_add_f32_e32 v40, v40, v41
	;; [unrolled: 1-line block ×3, first 2 shown]
	v_rcp_f32_e32 v51, v49
	v_sub_f32_e32 v41, v44, v49
	v_add_f32_e32 v50, v40, v41
	v_add_f32_e32 v41, v42, v43
	v_mul_f32_e32 v53, v41, v51
	v_sub_f32_e32 v40, v42, v41
	v_mul_f32_e32 v42, v49, v53
	v_fma_f32 v44, v53, v49, -v42
	v_fmac_f32_e32 v44, v53, v50
	v_add_f32_e32 v52, v43, v40
	v_add_f32_e32 v40, v42, v44
	v_sub_f32_e32 v43, v41, v40
	v_pk_add_f32 v[46:47], v[40:41], v[42:43] neg_lo:[0,1] neg_hi:[0,1]
	v_mov_b32_e32 v45, v40
	v_pk_add_f32 v[40:41], v[46:47], v[44:45] neg_lo:[0,1] neg_hi:[0,1]
	v_add_f32_e32 v41, v52, v41
	v_add_f32_e32 v40, v40, v41
	;; [unrolled: 1-line block ×3, first 2 shown]
	v_mul_f32_e32 v52, v51, v41
	v_mul_f32_e32 v42, v49, v52
	v_fma_f32 v44, v52, v49, -v42
	v_fmac_f32_e32 v44, v52, v50
	v_sub_f32_e32 v43, v43, v41
	v_add_f32_e32 v49, v40, v43
	v_add_f32_e32 v40, v42, v44
	v_sub_f32_e32 v43, v41, v40
	v_pk_add_f32 v[46:47], v[40:41], v[42:43] neg_lo:[0,1] neg_hi:[0,1]
	v_mov_b32_e32 v45, v40
	v_pk_add_f32 v[40:41], v[46:47], v[44:45] neg_lo:[0,1] neg_hi:[0,1]
	v_add_f32_e32 v41, v49, v41
	v_add_f32_e32 v40, v40, v41
	;; [unrolled: 1-line block ×4, first 2 shown]
	v_sub_f32_e32 v41, v43, v53
	v_mul_f32_e32 v40, v51, v40
	v_sub_f32_e32 v41, v52, v41
	v_add_f32_e32 v40, v41, v40
	v_add_f32_e32 v44, v43, v40
	v_mul_f32_e32 v46, v44, v44
	v_mov_b32_e32 v42, 0x3ecc95a3
	v_fmac_f32_e32 v42, 0x3e9b6dac, v46
	v_mov_b32_e32 v41, 0x3f2aaada
	v_fmac_f32_e32 v41, v46, v42
	v_cvt_f32_i32_e32 v42, v48
	v_sub_f32_e32 v43, v44, v43
	v_sub_f32_e32 v40, v40, v43
	v_ldexp_f32 v47, v40, 1
	v_mul_f32_e32 v43, v44, v46
	v_mov_b32_e32 v40, 0x3f317218
	s_mov_b32 s34, 0x3f317218
	v_pk_mul_f32 v[40:41], v[42:43], v[40:41]
	v_ldexp_f32 v45, v44, 1
	v_fma_f32 v44, v42, s34, -v40
	v_fmac_f32_e32 v44, 0xb102e308, v42
	v_pk_add_f32 v[42:43], v[40:41], v[44:45]
	v_sub_f32_e32 v45, v43, v45
	v_sub_f32_e32 v45, v41, v45
	v_add_f32_e32 v47, v47, v45
	v_mov_b32_e32 v46, v40
	v_pk_add_f32 v[40:41], v[42:43], v[40:41] neg_lo:[0,1] neg_hi:[0,1]
	v_pk_add_f32 v[48:49], v[42:43], v[46:47]
	v_mov_b32_e32 v41, v49
	v_mov_b32_e32 v45, v42
	v_pk_add_f32 v[50:51], v[44:45], v[40:41] neg_lo:[0,1] neg_hi:[0,1]
	v_pk_add_f32 v[40:41], v[44:45], v[40:41]
	v_mov_b32_e32 v44, v41
	v_pk_add_f32 v[52:53], v[44:45], v[42:43] neg_lo:[0,1] neg_hi:[0,1]
	v_mov_b32_e32 v45, v52
	v_pk_add_f32 v[54:55], v[48:49], v[44:45] neg_lo:[0,1] neg_hi:[0,1]
	v_mov_b32_e32 v40, v49
	v_mov_b32_e32 v48, v43
	v_mov_b32_e32 v49, v52
	v_mov_b32_e32 v51, v41
	v_pk_add_f32 v[40:41], v[40:41], v[48:49] neg_lo:[0,1] neg_hi:[0,1]
	v_mov_b32_e32 v46, v47
	v_mov_b32_e32 v47, v42
	v_pk_add_f32 v[40:41], v[46:47], v[40:41] neg_lo:[0,1] neg_hi:[0,1]
	v_mov_b32_e32 v54, v50
	v_pk_add_f32 v[42:43], v[54:55], v[40:41]
	v_mov_b32_e32 v46, v43
	v_pk_add_f32 v[46:47], v[42:43], v[46:47]
	v_pk_add_f32 v[44:45], v[44:45], v[46:47]
	v_mov_b32_e32 v43, v44
	v_pk_add_f32 v[48:49], v[42:43], v[50:51] neg_lo:[0,1] neg_hi:[0,1]
	v_mov_b32_e32 v41, v46
	v_sub_f32_e32 v42, v42, v48
	v_pk_add_f32 v[40:41], v[40:41], v[48:49] neg_lo:[0,1] neg_hi:[0,1]
	v_sub_f32_e32 v42, v50, v42
	v_add_f32_e32 v40, v40, v42
	v_cmp_eq_f32_e64 s[34:35], s44, v56
	s_mov_b32 s44, 0x33800000
	v_add_f32_e32 v40, v40, v41
	v_cmp_lt_f32_e64 s[44:45], |v56|, s44
	v_add_f32_e32 v40, v44, v40
	s_or_b64 s[34:35], s[34:35], s[44:45]
	v_cndmask_b32_e64 v40, v40, v56, s[34:35]
	v_add_f32_e32 v41, v39, v40
.LBB155_258:
	s_or_b64 exec, exec, s[36:37]
	v_mov_b32_e32 v40, v41
.LBB155_259:
	s_or_b64 exec, exec, s[40:41]
	v_add_u32_e32 v39, -1, v7
	v_and_b32_e32 v41, 64, v7
	v_cmp_lt_i32_e64 s[34:35], v39, v41
	v_cndmask_b32_e64 v7, v39, v7, s[34:35]
	v_lshlrev_b32_e32 v7, 2, v7
	ds_bpermute_b32 v7, v7, v40
	s_movk_i32 s36, 0x1f8
	s_waitcnt lgkmcnt(0)
	v_max_f32_e32 v39, v7, v7
	v_min_f32_e32 v40, v39, v38
	v_max_f32_e32 v39, v39, v38
	v_cmp_u_f32_e64 s[34:35], v7, v7
	v_cndmask_b32_e64 v38, v40, v7, s[34:35]
	v_cndmask_b32_e64 v39, v39, v7, s[34:35]
	v_cndmask_b32_e64 v38, v38, v6, s[30:31]
	v_cndmask_b32_e64 v6, v39, v6, s[30:31]
	v_cmp_neq_f32_e64 s[30:31], v38, v6
	v_cmp_class_f32_e64 s[34:35], v38, s36
	s_or_b64 s[30:31], s[30:31], s[34:35]
	s_and_saveexec_b64 s[34:35], s[30:31]
	s_cbranch_execz .LBB155_261
; %bb.260:
	v_sub_f32_e32 v7, v38, v6
	s_mov_b32 s30, 0x3fb8aa3b
	v_mul_f32_e32 v38, 0x3fb8aa3b, v7
	v_fma_f32 v39, v7, s30, -v38
	v_rndne_f32_e32 v40, v38
	v_fmac_f32_e32 v39, 0x32a5705f, v7
	v_sub_f32_e32 v38, v38, v40
	v_add_f32_e32 v38, v38, v39
	v_exp_f32_e32 v38, v38
	v_cvt_i32_f32_e32 v39, v40
	s_mov_b32 s30, 0xc2ce8ed0
	v_cmp_ngt_f32_e64 s[30:31], s30, v7
	s_mov_b32 s37, 0x7f800000
	v_ldexp_f32 v38, v38, v39
	v_cndmask_b32_e64 v38, 0, v38, s[30:31]
	s_mov_b32 s30, 0x42b17218
	v_mov_b32_e32 v39, 0x7f800000
	v_cmp_nlt_f32_e64 s[30:31], s30, v7
	v_cndmask_b32_e64 v54, v39, v38, s[30:31]
	v_add_f32_e32 v7, 1.0, v54
	v_add_f32_e32 v38, -1.0, v7
	v_sub_f32_e32 v39, v38, v7
	v_add_f32_e32 v39, 1.0, v39
	v_sub_f32_e32 v38, v54, v38
	v_add_f32_e32 v40, v38, v39
	v_frexp_mant_f32_e32 v41, v7
	s_mov_b32 s30, 0x3f2aaaab
	v_cvt_f64_f32_e32 v[38:39], v7
	v_frexp_exp_i32_f64_e32 v38, v[38:39]
	v_cmp_gt_f32_e64 s[30:31], s30, v41
	v_subbrev_co_u32_e64 v46, s[30:31], 0, v38, s[30:31]
	v_sub_u32_e32 v38, 0, v46
	v_ldexp_f32 v7, v7, v38
	v_ldexp_f32 v38, v40, v38
	v_add_f32_e32 v40, -1.0, v7
	v_add_f32_e32 v39, 1.0, v40
	v_sub_f32_e32 v39, v7, v39
	v_add_f32_e32 v41, v38, v39
	v_add_f32_e32 v39, 1.0, v7
	v_add_f32_e32 v42, -1.0, v39
	v_sub_f32_e32 v7, v7, v42
	v_add_f32_e32 v7, v38, v7
	v_add_f32_e32 v47, v39, v7
	v_rcp_f32_e32 v48, v47
	v_sub_f32_e32 v38, v39, v47
	v_add_f32_e32 v39, v40, v41
	v_add_f32_e32 v7, v7, v38
	v_mul_f32_e32 v50, v39, v48
	v_sub_f32_e32 v38, v40, v39
	v_mul_f32_e32 v40, v47, v50
	v_fma_f32 v42, v50, v47, -v40
	v_fmac_f32_e32 v42, v50, v7
	v_add_f32_e32 v49, v41, v38
	v_add_f32_e32 v38, v40, v42
	v_sub_f32_e32 v41, v39, v38
	v_pk_add_f32 v[44:45], v[38:39], v[40:41] neg_lo:[0,1] neg_hi:[0,1]
	v_mov_b32_e32 v43, v38
	v_pk_add_f32 v[38:39], v[44:45], v[42:43] neg_lo:[0,1] neg_hi:[0,1]
	v_add_f32_e32 v39, v49, v39
	v_add_f32_e32 v38, v38, v39
	;; [unrolled: 1-line block ×3, first 2 shown]
	v_mul_f32_e32 v49, v48, v39
	v_mul_f32_e32 v40, v47, v49
	v_fma_f32 v42, v49, v47, -v40
	v_fmac_f32_e32 v42, v49, v7
	v_sub_f32_e32 v7, v41, v39
	v_add_f32_e32 v7, v38, v7
	v_add_f32_e32 v38, v40, v42
	v_sub_f32_e32 v41, v39, v38
	v_pk_add_f32 v[44:45], v[38:39], v[40:41] neg_lo:[0,1] neg_hi:[0,1]
	v_mov_b32_e32 v43, v38
	v_pk_add_f32 v[38:39], v[44:45], v[42:43] neg_lo:[0,1] neg_hi:[0,1]
	v_add_f32_e32 v7, v7, v39
	v_add_f32_e32 v7, v38, v7
	;; [unrolled: 1-line block ×4, first 2 shown]
	v_sub_f32_e32 v39, v38, v50
	v_mul_f32_e32 v7, v48, v7
	v_sub_f32_e32 v39, v49, v39
	v_add_f32_e32 v7, v39, v7
	v_add_f32_e32 v41, v38, v7
	v_mul_f32_e32 v42, v41, v41
	v_mov_b32_e32 v40, 0x3ecc95a3
	v_fmac_f32_e32 v40, 0x3e9b6dac, v42
	v_mov_b32_e32 v39, 0x3f2aaada
	v_fmac_f32_e32 v39, v42, v40
	v_cvt_f32_i32_e32 v40, v46
	v_sub_f32_e32 v38, v41, v38
	v_sub_f32_e32 v7, v7, v38
	v_ldexp_f32 v43, v41, 1
	v_mul_f32_e32 v41, v41, v42
	v_mov_b32_e32 v38, 0x3f317218
	s_mov_b32 s30, 0x3f317218
	v_pk_mul_f32 v[38:39], v[40:41], v[38:39]
	v_fma_f32 v42, v40, s30, -v38
	v_fmac_f32_e32 v42, 0xb102e308, v40
	v_pk_add_f32 v[40:41], v[38:39], v[42:43]
	v_sub_f32_e32 v43, v41, v43
	v_ldexp_f32 v7, v7, 1
	v_sub_f32_e32 v43, v39, v43
	v_add_f32_e32 v45, v7, v43
	v_mov_b32_e32 v44, v38
	v_pk_add_f32 v[38:39], v[40:41], v[38:39] neg_lo:[0,1] neg_hi:[0,1]
	v_pk_add_f32 v[46:47], v[40:41], v[44:45]
	v_mov_b32_e32 v39, v47
	v_mov_b32_e32 v43, v40
	v_pk_add_f32 v[48:49], v[42:43], v[38:39] neg_lo:[0,1] neg_hi:[0,1]
	v_pk_add_f32 v[38:39], v[42:43], v[38:39]
	v_mov_b32_e32 v42, v39
	v_pk_add_f32 v[50:51], v[42:43], v[40:41] neg_lo:[0,1] neg_hi:[0,1]
	v_mov_b32_e32 v7, v50
	v_pk_add_f32 v[52:53], v[46:47], v[6:7] neg_lo:[0,1] neg_hi:[0,1]
	v_mov_b32_e32 v38, v47
	v_mov_b32_e32 v46, v41
	;; [unrolled: 1-line block ×4, first 2 shown]
	v_pk_add_f32 v[38:39], v[38:39], v[46:47] neg_lo:[0,1] neg_hi:[0,1]
	v_mov_b32_e32 v44, v45
	v_mov_b32_e32 v45, v40
	v_pk_add_f32 v[38:39], v[44:45], v[38:39] neg_lo:[0,1] neg_hi:[0,1]
	v_mov_b32_e32 v52, v48
	v_pk_add_f32 v[40:41], v[52:53], v[38:39]
	v_mov_b32_e32 v44, v41
	v_pk_add_f32 v[44:45], v[40:41], v[44:45]
	v_pk_add_f32 v[42:43], v[42:43], v[44:45]
	v_mov_b32_e32 v41, v42
	v_pk_add_f32 v[46:47], v[40:41], v[48:49] neg_lo:[0,1] neg_hi:[0,1]
	v_mov_b32_e32 v39, v44
	v_sub_f32_e32 v7, v40, v46
	v_pk_add_f32 v[38:39], v[38:39], v[46:47] neg_lo:[0,1] neg_hi:[0,1]
	v_sub_f32_e32 v7, v48, v7
	v_add_f32_e32 v7, v38, v7
	v_cmp_eq_f32_e64 s[30:31], s37, v54
	s_mov_b32 s37, 0x33800000
	v_add_f32_e32 v7, v7, v39
	v_cmp_lt_f32_e64 s[40:41], |v54|, s37
	v_add_f32_e32 v7, v42, v7
	s_or_b64 s[30:31], s[30:31], s[40:41]
	v_cndmask_b32_e64 v7, v7, v54, s[30:31]
	v_add_f32_e32 v7, v6, v7
.LBB155_261:
	s_or_b64 exec, exec, s[34:35]
	v_cndmask_b32_e64 v7, v7, v36, s[2:3]
	; wave barrier
	ds_write_b32 v37, v7
	; wave barrier
	ds_read_b32 v6, v37 offset:4
	v_max_f32_e32 v39, v7, v7
	v_cmp_u_f32_e64 s[2:3], v7, v7
	s_waitcnt lgkmcnt(0)
	v_max_f32_e32 v40, v6, v6
	v_min_f32_e32 v38, v39, v40
	v_max_f32_e32 v39, v39, v40
	v_cndmask_b32_e64 v38, v38, v7, s[2:3]
	v_cmp_u_f32_e64 s[30:31], v6, v6
	v_cndmask_b32_e64 v39, v39, v7, s[2:3]
	v_cndmask_b32_e64 v38, v38, v6, s[30:31]
	;; [unrolled: 1-line block ×3, first 2 shown]
	v_cmp_neq_f32_e64 s[2:3], v38, v6
	v_cmp_class_f32_e64 s[30:31], v38, s36
	s_or_b64 s[2:3], s[2:3], s[30:31]
	s_and_saveexec_b64 s[30:31], s[2:3]
	s_cbranch_execz .LBB155_263
; %bb.262:
	v_sub_f32_e32 v7, v38, v6
	s_mov_b32 s2, 0x3fb8aa3b
	v_mul_f32_e32 v38, 0x3fb8aa3b, v7
	v_fma_f32 v39, v7, s2, -v38
	v_rndne_f32_e32 v40, v38
	v_fmac_f32_e32 v39, 0x32a5705f, v7
	v_sub_f32_e32 v38, v38, v40
	v_add_f32_e32 v38, v38, v39
	v_exp_f32_e32 v38, v38
	v_cvt_i32_f32_e32 v39, v40
	s_mov_b32 s2, 0xc2ce8ed0
	v_cmp_ngt_f32_e64 s[2:3], s2, v7
	s_mov_b32 s34, 0x7f800000
	v_ldexp_f32 v38, v38, v39
	v_cndmask_b32_e64 v38, 0, v38, s[2:3]
	s_mov_b32 s2, 0x42b17218
	v_mov_b32_e32 v39, 0x7f800000
	v_cmp_nlt_f32_e64 s[2:3], s2, v7
	v_cndmask_b32_e64 v54, v39, v38, s[2:3]
	v_add_f32_e32 v7, 1.0, v54
	v_add_f32_e32 v38, -1.0, v7
	v_sub_f32_e32 v39, v38, v7
	v_add_f32_e32 v39, 1.0, v39
	v_sub_f32_e32 v38, v54, v38
	v_add_f32_e32 v40, v38, v39
	v_frexp_mant_f32_e32 v41, v7
	s_mov_b32 s2, 0x3f2aaaab
	v_cvt_f64_f32_e32 v[38:39], v7
	v_frexp_exp_i32_f64_e32 v38, v[38:39]
	v_cmp_gt_f32_e64 s[2:3], s2, v41
	v_subbrev_co_u32_e64 v46, s[2:3], 0, v38, s[2:3]
	v_sub_u32_e32 v38, 0, v46
	v_ldexp_f32 v7, v7, v38
	v_ldexp_f32 v38, v40, v38
	v_add_f32_e32 v40, -1.0, v7
	v_add_f32_e32 v39, 1.0, v40
	v_sub_f32_e32 v39, v7, v39
	v_add_f32_e32 v41, v38, v39
	v_add_f32_e32 v39, 1.0, v7
	v_add_f32_e32 v42, -1.0, v39
	v_sub_f32_e32 v7, v7, v42
	v_add_f32_e32 v7, v38, v7
	v_add_f32_e32 v47, v39, v7
	v_rcp_f32_e32 v48, v47
	v_sub_f32_e32 v38, v39, v47
	v_add_f32_e32 v39, v40, v41
	v_add_f32_e32 v7, v7, v38
	v_mul_f32_e32 v50, v39, v48
	v_sub_f32_e32 v38, v40, v39
	v_mul_f32_e32 v40, v47, v50
	v_fma_f32 v42, v50, v47, -v40
	v_fmac_f32_e32 v42, v50, v7
	v_add_f32_e32 v49, v41, v38
	v_add_f32_e32 v38, v40, v42
	v_sub_f32_e32 v41, v39, v38
	v_pk_add_f32 v[44:45], v[38:39], v[40:41] neg_lo:[0,1] neg_hi:[0,1]
	v_mov_b32_e32 v43, v38
	v_pk_add_f32 v[38:39], v[44:45], v[42:43] neg_lo:[0,1] neg_hi:[0,1]
	v_add_f32_e32 v39, v49, v39
	v_add_f32_e32 v38, v38, v39
	;; [unrolled: 1-line block ×3, first 2 shown]
	v_mul_f32_e32 v49, v48, v39
	v_mul_f32_e32 v40, v47, v49
	v_fma_f32 v42, v49, v47, -v40
	v_fmac_f32_e32 v42, v49, v7
	v_sub_f32_e32 v7, v41, v39
	v_add_f32_e32 v7, v38, v7
	v_add_f32_e32 v38, v40, v42
	v_sub_f32_e32 v41, v39, v38
	v_pk_add_f32 v[44:45], v[38:39], v[40:41] neg_lo:[0,1] neg_hi:[0,1]
	v_mov_b32_e32 v43, v38
	v_pk_add_f32 v[38:39], v[44:45], v[42:43] neg_lo:[0,1] neg_hi:[0,1]
	v_add_f32_e32 v7, v7, v39
	v_add_f32_e32 v7, v38, v7
	;; [unrolled: 1-line block ×4, first 2 shown]
	v_sub_f32_e32 v39, v38, v50
	v_mul_f32_e32 v7, v48, v7
	v_sub_f32_e32 v39, v49, v39
	v_add_f32_e32 v7, v39, v7
	v_add_f32_e32 v41, v38, v7
	v_mul_f32_e32 v42, v41, v41
	v_mov_b32_e32 v40, 0x3ecc95a3
	v_fmac_f32_e32 v40, 0x3e9b6dac, v42
	v_mov_b32_e32 v39, 0x3f2aaada
	v_fmac_f32_e32 v39, v42, v40
	v_cvt_f32_i32_e32 v40, v46
	v_sub_f32_e32 v38, v41, v38
	v_sub_f32_e32 v7, v7, v38
	v_ldexp_f32 v43, v41, 1
	v_mul_f32_e32 v41, v41, v42
	v_mov_b32_e32 v38, 0x3f317218
	s_mov_b32 s2, 0x3f317218
	v_pk_mul_f32 v[38:39], v[40:41], v[38:39]
	v_fma_f32 v42, v40, s2, -v38
	v_fmac_f32_e32 v42, 0xb102e308, v40
	v_pk_add_f32 v[40:41], v[38:39], v[42:43]
	v_sub_f32_e32 v43, v41, v43
	v_ldexp_f32 v7, v7, 1
	v_sub_f32_e32 v43, v39, v43
	v_add_f32_e32 v45, v7, v43
	v_mov_b32_e32 v44, v38
	v_pk_add_f32 v[38:39], v[40:41], v[38:39] neg_lo:[0,1] neg_hi:[0,1]
	v_pk_add_f32 v[46:47], v[40:41], v[44:45]
	v_mov_b32_e32 v39, v47
	v_mov_b32_e32 v43, v40
	v_pk_add_f32 v[48:49], v[42:43], v[38:39] neg_lo:[0,1] neg_hi:[0,1]
	v_pk_add_f32 v[38:39], v[42:43], v[38:39]
	v_mov_b32_e32 v42, v39
	v_pk_add_f32 v[50:51], v[42:43], v[40:41] neg_lo:[0,1] neg_hi:[0,1]
	v_mov_b32_e32 v7, v50
	v_pk_add_f32 v[52:53], v[46:47], v[6:7] neg_lo:[0,1] neg_hi:[0,1]
	v_mov_b32_e32 v38, v47
	v_mov_b32_e32 v46, v41
	;; [unrolled: 1-line block ×4, first 2 shown]
	v_pk_add_f32 v[38:39], v[38:39], v[46:47] neg_lo:[0,1] neg_hi:[0,1]
	v_mov_b32_e32 v44, v45
	v_mov_b32_e32 v45, v40
	v_pk_add_f32 v[38:39], v[44:45], v[38:39] neg_lo:[0,1] neg_hi:[0,1]
	v_mov_b32_e32 v52, v48
	v_pk_add_f32 v[40:41], v[52:53], v[38:39]
	v_mov_b32_e32 v44, v41
	v_pk_add_f32 v[44:45], v[40:41], v[44:45]
	v_pk_add_f32 v[42:43], v[42:43], v[44:45]
	v_mov_b32_e32 v41, v42
	v_pk_add_f32 v[46:47], v[40:41], v[48:49] neg_lo:[0,1] neg_hi:[0,1]
	v_mov_b32_e32 v39, v44
	v_sub_f32_e32 v7, v40, v46
	v_pk_add_f32 v[38:39], v[38:39], v[46:47] neg_lo:[0,1] neg_hi:[0,1]
	v_sub_f32_e32 v7, v48, v7
	v_add_f32_e32 v7, v38, v7
	v_cmp_eq_f32_e64 s[2:3], s34, v54
	s_mov_b32 s34, 0x33800000
	v_add_f32_e32 v7, v7, v39
	v_cmp_lt_f32_e64 s[34:35], |v54|, s34
	v_add_f32_e32 v7, v42, v7
	s_or_b64 s[2:3], s[2:3], s[34:35]
	v_cndmask_b32_e64 v7, v7, v54, s[2:3]
	v_add_f32_e32 v7, v6, v7
.LBB155_263:
	s_or_b64 exec, exec, s[30:31]
	ds_write_b32 v37, v7 offset:4
.LBB155_264:
	s_or_b64 exec, exec, s[38:39]
	s_waitcnt lgkmcnt(0)
	s_barrier
	s_and_saveexec_b64 s[2:3], s[0:1]
	s_cbranch_execz .LBB155_266
; %bb.265:
	v_add_u32_e32 v6, -1, v0
	v_lshrrev_b32_e32 v7, 5, v6
	v_add_lshl_u32 v6, v7, v6, 2
	ds_read_b32 v36, v6
.LBB155_266:
	s_or_b64 exec, exec, s[2:3]
	s_and_saveexec_b64 s[2:3], s[0:1]
	s_cbranch_execz .LBB155_270
; %bb.267:
	s_waitcnt lgkmcnt(0)
	v_max_f32_e32 v7, v36, v36
	v_min_f32_e32 v6, v7, v35
	v_cmp_u_f32_e64 s[0:1], v36, v36
	v_max_f32_e32 v7, v7, v35
	v_cndmask_b32_e64 v6, v6, v36, s[0:1]
	v_cndmask_b32_e64 v7, v7, v36, s[0:1]
	;; [unrolled: 1-line block ×4, first 2 shown]
	s_movk_i32 s28, 0x1f8
	v_cmp_neq_f32_e64 s[0:1], v6, v2
	v_cmp_class_f32_e64 s[28:29], v6, s28
	s_or_b64 s[0:1], s[0:1], s[28:29]
	s_and_saveexec_b64 s[28:29], s[0:1]
	s_cbranch_execz .LBB155_269
; %bb.268:
	v_sub_f32_e32 v6, v6, v2
	s_mov_b32 s0, 0x3fb8aa3b
	v_mul_f32_e32 v7, 0x3fb8aa3b, v6
	v_fma_f32 v21, v6, s0, -v7
	v_rndne_f32_e32 v34, v7
	v_fmac_f32_e32 v21, 0x32a5705f, v6
	v_sub_f32_e32 v7, v7, v34
	v_add_f32_e32 v7, v7, v21
	v_exp_f32_e32 v7, v7
	v_cvt_i32_f32_e32 v21, v34
	s_mov_b32 s0, 0xc2ce8ed0
	v_cmp_ngt_f32_e64 s[0:1], s0, v6
	s_mov_b32 s30, 0x7f800000
	v_ldexp_f32 v7, v7, v21
	v_cndmask_b32_e64 v7, 0, v7, s[0:1]
	s_mov_b32 s0, 0x42b17218
	v_mov_b32_e32 v21, 0x7f800000
	v_cmp_nlt_f32_e64 s[0:1], s0, v6
	v_cndmask_b32_e64 v48, v21, v7, s[0:1]
	v_add_f32_e32 v21, 1.0, v48
	v_add_f32_e32 v6, -1.0, v21
	v_sub_f32_e32 v7, v6, v21
	v_add_f32_e32 v7, 1.0, v7
	v_sub_f32_e32 v6, v48, v6
	v_add_f32_e32 v34, v6, v7
	v_frexp_mant_f32_e32 v35, v21
	s_mov_b32 s0, 0x3f2aaaab
	v_cvt_f64_f32_e32 v[6:7], v21
	v_frexp_exp_i32_f64_e32 v6, v[6:7]
	v_cmp_gt_f32_e64 s[0:1], s0, v35
	v_subbrev_co_u32_e64 v40, s[0:1], 0, v6, s[0:1]
	v_sub_u32_e32 v6, 0, v40
	v_ldexp_f32 v7, v21, v6
	v_add_f32_e32 v21, -1.0, v7
	v_add_f32_e32 v35, 1.0, v7
	v_ldexp_f32 v6, v34, v6
	v_add_f32_e32 v34, 1.0, v21
	v_add_f32_e32 v36, -1.0, v35
	v_sub_f32_e32 v34, v7, v34
	v_sub_f32_e32 v7, v7, v36
	v_add_f32_e32 v34, v6, v34
	v_add_f32_e32 v6, v6, v7
	;; [unrolled: 1-line block ×3, first 2 shown]
	v_rcp_f32_e32 v43, v41
	v_sub_f32_e32 v7, v35, v41
	v_add_f32_e32 v42, v6, v7
	v_add_f32_e32 v7, v21, v34
	v_sub_f32_e32 v6, v21, v7
	v_mul_f32_e32 v44, v7, v43
	v_add_f32_e32 v21, v34, v6
	v_mul_f32_e32 v34, v41, v44
	v_fma_f32 v36, v44, v41, -v34
	v_fmac_f32_e32 v36, v44, v42
	v_add_f32_e32 v6, v34, v36
	v_sub_f32_e32 v35, v7, v6
	v_pk_add_f32 v[38:39], v[6:7], v[34:35] neg_lo:[0,1] neg_hi:[0,1]
	v_mov_b32_e32 v37, v6
	v_pk_add_f32 v[6:7], v[38:39], v[36:37] neg_lo:[0,1] neg_hi:[0,1]
	v_add_f32_e32 v7, v21, v7
	v_add_f32_e32 v6, v6, v7
	;; [unrolled: 1-line block ×3, first 2 shown]
	v_mul_f32_e32 v21, v43, v7
	v_mul_f32_e32 v34, v41, v21
	v_fma_f32 v36, v21, v41, -v34
	v_fmac_f32_e32 v36, v21, v42
	v_sub_f32_e32 v35, v35, v7
	v_add_f32_e32 v41, v6, v35
	v_add_f32_e32 v6, v34, v36
	v_sub_f32_e32 v35, v7, v6
	v_pk_add_f32 v[38:39], v[6:7], v[34:35] neg_lo:[0,1] neg_hi:[0,1]
	v_mov_b32_e32 v37, v6
	v_pk_add_f32 v[6:7], v[38:39], v[36:37] neg_lo:[0,1] neg_hi:[0,1]
	v_add_f32_e32 v7, v41, v7
	v_add_f32_e32 v6, v6, v7
	;; [unrolled: 1-line block ×4, first 2 shown]
	v_sub_f32_e32 v7, v35, v44
	v_mul_f32_e32 v6, v43, v6
	v_sub_f32_e32 v7, v21, v7
	v_add_f32_e32 v6, v7, v6
	v_add_f32_e32 v21, v35, v6
	v_mul_f32_e32 v36, v21, v21
	v_mov_b32_e32 v34, 0x3ecc95a3
	v_fmac_f32_e32 v34, 0x3e9b6dac, v36
	v_mov_b32_e32 v7, 0x3f2aaada
	v_fmac_f32_e32 v7, v36, v34
	v_cvt_f32_i32_e32 v34, v40
	v_sub_f32_e32 v35, v21, v35
	v_sub_f32_e32 v6, v6, v35
	v_ldexp_f32 v38, v6, 1
	v_mul_f32_e32 v35, v21, v36
	v_mov_b32_e32 v6, 0x3f317218
	s_mov_b32 s0, 0x3f317218
	v_pk_mul_f32 v[6:7], v[34:35], v[6:7]
	v_fma_f32 v36, v34, s0, -v6
	v_ldexp_f32 v37, v21, 1
	v_fmac_f32_e32 v36, 0xb102e308, v34
	v_pk_add_f32 v[34:35], v[6:7], v[36:37]
	v_sub_f32_e32 v21, v35, v37
	v_sub_f32_e32 v21, v7, v21
	v_add_f32_e32 v39, v38, v21
	v_mov_b32_e32 v38, v6
	v_pk_add_f32 v[6:7], v[34:35], v[6:7] neg_lo:[0,1] neg_hi:[0,1]
	v_pk_add_f32 v[40:41], v[34:35], v[38:39]
	v_mov_b32_e32 v7, v41
	v_mov_b32_e32 v37, v34
	v_pk_add_f32 v[42:43], v[36:37], v[6:7] neg_lo:[0,1] neg_hi:[0,1]
	v_pk_add_f32 v[6:7], v[36:37], v[6:7]
	v_mov_b32_e32 v36, v7
	v_pk_add_f32 v[44:45], v[36:37], v[34:35] neg_lo:[0,1] neg_hi:[0,1]
	v_mov_b32_e32 v21, v44
	v_pk_add_f32 v[46:47], v[40:41], v[20:21] neg_lo:[0,1] neg_hi:[0,1]
	v_mov_b32_e32 v6, v41
	v_mov_b32_e32 v40, v35
	;; [unrolled: 1-line block ×4, first 2 shown]
	v_pk_add_f32 v[6:7], v[6:7], v[40:41] neg_lo:[0,1] neg_hi:[0,1]
	v_mov_b32_e32 v38, v39
	v_mov_b32_e32 v39, v34
	v_pk_add_f32 v[6:7], v[38:39], v[6:7] neg_lo:[0,1] neg_hi:[0,1]
	v_mov_b32_e32 v46, v42
	v_pk_add_f32 v[34:35], v[46:47], v[6:7]
	v_mov_b32_e32 v38, v35
	v_pk_add_f32 v[38:39], v[34:35], v[38:39]
	v_pk_add_f32 v[36:37], v[36:37], v[38:39]
	v_mov_b32_e32 v35, v36
	v_pk_add_f32 v[40:41], v[34:35], v[42:43] neg_lo:[0,1] neg_hi:[0,1]
	v_mov_b32_e32 v7, v38
	v_sub_f32_e32 v21, v34, v40
	v_pk_add_f32 v[6:7], v[6:7], v[40:41] neg_lo:[0,1] neg_hi:[0,1]
	v_sub_f32_e32 v21, v42, v21
	v_add_f32_e32 v6, v6, v21
	v_cmp_eq_f32_e64 s[0:1], s30, v48
	s_mov_b32 s30, 0x33800000
	v_add_f32_e32 v6, v6, v7
	v_cmp_lt_f32_e64 s[30:31], |v48|, s30
	v_add_f32_e32 v6, v36, v6
	s_or_b64 s[0:1], s[0:1], s[30:31]
	v_cndmask_b32_e64 v6, v6, v48, s[0:1]
	v_add_f32_e32 v36, v2, v6
.LBB155_269:
	s_or_b64 exec, exec, s[28:29]
	v_max_f32_e32 v2, v36, v36
	v_min_f32_e32 v21, v2, v14
	v_max_f32_e32 v34, v2, v14
	v_mov_b32_e32 v2, v36
	;;#ASMSTART
	;;#ASMEND
.LBB155_270:
	s_or_b64 exec, exec, s[2:3]
	v_cmp_u_f32_e64 s[0:1], v2, v2
	v_cndmask_b32_e64 v6, v21, v2, s[0:1]
	v_cndmask_b32_e32 v7, v6, v3, vcc
	v_cndmask_b32_e64 v6, v34, v2, s[0:1]
	v_cndmask_b32_e32 v6, v6, v3, vcc
	s_movk_i32 s2, 0x1f8
	v_cmp_neq_f32_e32 vcc, v7, v6
	v_cmp_class_f32_e64 s[0:1], v7, s2
	s_or_b64 s[28:29], vcc, s[0:1]
	v_mov_b32_e32 v3, v2
	s_and_saveexec_b64 s[0:1], s[28:29]
	s_cbranch_execz .LBB155_272
; %bb.271:
	v_sub_f32_e32 v3, v7, v6
	s_mov_b32 s3, 0x3fb8aa3b
	v_mul_f32_e32 v7, 0x3fb8aa3b, v3
	v_fma_f32 v14, v3, s3, -v7
	v_rndne_f32_e32 v21, v7
	v_fmac_f32_e32 v14, 0x32a5705f, v3
	v_sub_f32_e32 v7, v7, v21
	v_add_f32_e32 v7, v7, v14
	v_exp_f32_e32 v7, v7
	v_cvt_i32_f32_e32 v14, v21
	s_mov_b32 s3, 0xc2ce8ed0
	v_cmp_ngt_f32_e32 vcc, s3, v3
	s_mov_b32 s3, 0x42b17218
	v_ldexp_f32 v7, v7, v14
	v_cndmask_b32_e32 v7, 0, v7, vcc
	v_mov_b32_e32 v14, 0x7f800000
	v_cmp_nlt_f32_e32 vcc, s3, v3
	v_cndmask_b32_e32 v7, v14, v7, vcc
	v_add_f32_e32 v3, 1.0, v7
	v_add_f32_e32 v14, -1.0, v3
	v_sub_f32_e32 v21, v14, v3
	v_add_f32_e32 v21, 1.0, v21
	v_sub_f32_e32 v14, v7, v14
	v_add_f32_e32 v14, v14, v21
	v_frexp_mant_f32_e32 v21, v3
	s_mov_b32 s3, 0x3f2aaaab
	v_cvt_f64_f32_e32 v[34:35], v3
	v_frexp_exp_i32_f64_e32 v34, v[34:35]
	v_cmp_gt_f32_e32 vcc, s3, v21
	v_subbrev_co_u32_e32 v21, vcc, 0, v34, vcc
	v_sub_u32_e32 v34, 0, v21
	v_ldexp_f32 v3, v3, v34
	v_ldexp_f32 v14, v14, v34
	v_add_f32_e32 v34, -1.0, v3
	v_add_f32_e32 v35, 1.0, v34
	v_sub_f32_e32 v35, v3, v35
	s_waitcnt lgkmcnt(0)
	v_add_f32_e32 v36, v14, v35
	v_add_f32_e32 v35, 1.0, v3
	v_add_f32_e32 v37, -1.0, v35
	v_sub_f32_e32 v3, v3, v37
	v_add_f32_e32 v3, v14, v3
	v_add_f32_e32 v14, v35, v3
	v_rcp_f32_e32 v42, v14
	v_sub_f32_e32 v35, v35, v14
	v_add_f32_e32 v3, v3, v35
	v_add_f32_e32 v35, v34, v36
	v_sub_f32_e32 v34, v34, v35
	v_mul_f32_e32 v44, v35, v42
	v_add_f32_e32 v43, v36, v34
	v_mul_f32_e32 v36, v14, v44
	v_fma_f32 v38, v44, v14, -v36
	v_fmac_f32_e32 v38, v44, v3
	v_add_f32_e32 v34, v36, v38
	v_sub_f32_e32 v37, v35, v34
	v_pk_add_f32 v[40:41], v[34:35], v[36:37] neg_lo:[0,1] neg_hi:[0,1]
	v_mov_b32_e32 v39, v34
	v_pk_add_f32 v[34:35], v[40:41], v[38:39] neg_lo:[0,1] neg_hi:[0,1]
	v_add_f32_e32 v35, v43, v35
	v_add_f32_e32 v34, v34, v35
	;; [unrolled: 1-line block ×3, first 2 shown]
	v_mul_f32_e32 v43, v42, v35
	v_mul_f32_e32 v36, v14, v43
	v_fma_f32 v38, v43, v14, -v36
	v_fmac_f32_e32 v38, v43, v3
	v_sub_f32_e32 v3, v37, v35
	v_add_f32_e32 v3, v34, v3
	v_add_f32_e32 v34, v36, v38
	v_sub_f32_e32 v37, v35, v34
	v_pk_add_f32 v[40:41], v[34:35], v[36:37] neg_lo:[0,1] neg_hi:[0,1]
	v_mov_b32_e32 v39, v34
	v_pk_add_f32 v[34:35], v[40:41], v[38:39] neg_lo:[0,1] neg_hi:[0,1]
	v_add_f32_e32 v3, v3, v35
	v_add_f32_e32 v3, v34, v3
	;; [unrolled: 1-line block ×4, first 2 shown]
	v_sub_f32_e32 v34, v14, v44
	v_mul_f32_e32 v3, v42, v3
	v_sub_f32_e32 v34, v43, v34
	v_add_f32_e32 v3, v34, v3
	v_add_f32_e32 v34, v14, v3
	v_mul_f32_e32 v37, v34, v34
	v_mov_b32_e32 v36, 0x3ecc95a3
	v_fmac_f32_e32 v36, 0x3e9b6dac, v37
	v_mov_b32_e32 v35, 0x3f2aaada
	v_fmac_f32_e32 v35, v37, v36
	v_cvt_f32_i32_e32 v36, v21
	v_sub_f32_e32 v14, v34, v14
	v_ldexp_f32 v39, v34, 1
	v_mul_f32_e32 v37, v34, v37
	v_mov_b32_e32 v34, 0x3f317218
	s_mov_b32 s3, 0x3f317218
	v_pk_mul_f32 v[34:35], v[36:37], v[34:35]
	v_fma_f32 v38, v36, s3, -v34
	v_fmac_f32_e32 v38, 0xb102e308, v36
	v_pk_add_f32 v[36:37], v[34:35], v[38:39]
	v_sub_f32_e32 v3, v3, v14
	v_sub_f32_e32 v14, v37, v39
	v_ldexp_f32 v3, v3, 1
	v_sub_f32_e32 v14, v35, v14
	v_add_f32_e32 v41, v3, v14
	v_mov_b32_e32 v40, v34
	v_pk_add_f32 v[34:35], v[36:37], v[34:35] neg_lo:[0,1] neg_hi:[0,1]
	v_pk_add_f32 v[42:43], v[36:37], v[40:41]
	v_mov_b32_e32 v35, v43
	v_mov_b32_e32 v39, v36
	v_pk_add_f32 v[44:45], v[38:39], v[34:35] neg_lo:[0,1] neg_hi:[0,1]
	v_pk_add_f32 v[34:35], v[38:39], v[34:35]
	v_mov_b32_e32 v14, v35
	v_pk_add_f32 v[38:39], v[14:15], v[36:37] neg_lo:[0,1] neg_hi:[0,1]
	v_mov_b32_e32 v3, v38
	v_pk_add_f32 v[46:47], v[42:43], v[2:3] neg_lo:[0,1] neg_hi:[0,1]
	v_mov_b32_e32 v34, v43
	v_mov_b32_e32 v42, v37
	;; [unrolled: 1-line block ×4, first 2 shown]
	v_pk_add_f32 v[34:35], v[34:35], v[42:43] neg_lo:[0,1] neg_hi:[0,1]
	v_mov_b32_e32 v38, v41
	v_mov_b32_e32 v39, v36
	v_pk_add_f32 v[34:35], v[38:39], v[34:35] neg_lo:[0,1] neg_hi:[0,1]
	v_mov_b32_e32 v46, v44
	v_pk_add_f32 v[36:37], v[46:47], v[34:35]
	v_mov_b32_e32 v38, v37
	v_pk_add_f32 v[38:39], v[36:37], v[38:39]
	v_pk_add_f32 v[40:41], v[14:15], v[38:39]
	v_mov_b32_e32 v37, v40
	v_pk_add_f32 v[42:43], v[36:37], v[44:45] neg_lo:[0,1] neg_hi:[0,1]
	v_mov_b32_e32 v35, v38
	v_sub_f32_e32 v3, v36, v42
	v_pk_add_f32 v[34:35], v[34:35], v[42:43] neg_lo:[0,1] neg_hi:[0,1]
	v_sub_f32_e32 v3, v44, v3
	s_mov_b32 s28, 0x7f800000
	v_add_f32_e32 v3, v34, v3
	s_mov_b32 s3, 0x33800000
	v_add_f32_e32 v3, v3, v35
	v_cmp_eq_f32_e32 vcc, s28, v7
	v_cmp_lt_f32_e64 s[28:29], |v7|, s3
	v_add_f32_e32 v3, v40, v3
	s_or_b64 vcc, vcc, s[28:29]
	v_cndmask_b32_e32 v3, v3, v7, vcc
	v_add_f32_e32 v3, v6, v3
.LBB155_272:
	s_or_b64 exec, exec, s[0:1]
	v_max_f32_e32 v6, v3, v3
	v_min_f32_e32 v7, v6, v8
	v_cmp_u_f32_e32 vcc, v3, v3
	v_max_f32_e32 v6, v6, v8
	v_cndmask_b32_e32 v7, v7, v3, vcc
	v_cndmask_b32_e32 v6, v6, v3, vcc
	v_cndmask_b32_e64 v7, v7, v4, s[4:5]
	v_cndmask_b32_e64 v6, v6, v4, s[4:5]
	v_cmp_neq_f32_e32 vcc, v7, v6
	v_cmp_class_f32_e64 s[0:1], v7, s2
	s_or_b64 s[2:3], vcc, s[0:1]
	v_mov_b32_e32 v4, v3
	s_and_saveexec_b64 s[0:1], s[2:3]
	s_cbranch_execz .LBB155_274
; %bb.273:
	v_sub_f32_e32 v4, v7, v6
	s_mov_b32 s2, 0x3fb8aa3b
	v_mul_f32_e32 v7, 0x3fb8aa3b, v4
	v_fma_f32 v8, v4, s2, -v7
	v_rndne_f32_e32 v14, v7
	v_fmac_f32_e32 v8, 0x32a5705f, v4
	v_sub_f32_e32 v7, v7, v14
	v_add_f32_e32 v7, v7, v8
	v_exp_f32_e32 v7, v7
	v_cvt_i32_f32_e32 v8, v14
	s_mov_b32 s2, 0xc2ce8ed0
	v_cmp_ngt_f32_e32 vcc, s2, v4
	s_mov_b32 s2, 0x42b17218
	v_ldexp_f32 v7, v7, v8
	v_cndmask_b32_e32 v7, 0, v7, vcc
	v_mov_b32_e32 v8, 0x7f800000
	v_cmp_nlt_f32_e32 vcc, s2, v4
	v_cndmask_b32_e32 v14, v8, v7, vcc
	v_add_f32_e32 v4, 1.0, v14
	v_add_f32_e32 v7, -1.0, v4
	v_sub_f32_e32 v8, v7, v4
	v_add_f32_e32 v8, 1.0, v8
	v_sub_f32_e32 v7, v14, v7
	v_add_f32_e32 v7, v7, v8
	v_frexp_mant_f32_e32 v8, v4
	s_mov_b32 s2, 0x3f2aaaab
	v_cvt_f64_f32_e32 v[34:35], v4
	v_frexp_exp_i32_f64_e32 v21, v[34:35]
	v_cmp_gt_f32_e32 vcc, s2, v8
	v_subbrev_co_u32_e32 v8, vcc, 0, v21, vcc
	v_sub_u32_e32 v21, 0, v8
	v_ldexp_f32 v4, v4, v21
	v_ldexp_f32 v7, v7, v21
	v_add_f32_e32 v21, -1.0, v4
	v_add_f32_e32 v35, 1.0, v4
	v_add_f32_e32 v34, 1.0, v21
	s_waitcnt lgkmcnt(0)
	v_add_f32_e32 v36, -1.0, v35
	v_sub_f32_e32 v34, v4, v34
	v_sub_f32_e32 v4, v4, v36
	v_add_f32_e32 v4, v7, v4
	v_add_f32_e32 v34, v7, v34
	;; [unrolled: 1-line block ×3, first 2 shown]
	v_rcp_f32_e32 v42, v7
	v_sub_f32_e32 v35, v35, v7
	v_add_f32_e32 v4, v4, v35
	v_add_f32_e32 v35, v21, v34
	v_mul_f32_e32 v43, v35, v42
	v_mul_f32_e32 v36, v7, v43
	v_fma_f32 v38, v43, v7, -v36
	v_sub_f32_e32 v21, v21, v35
	v_fmac_f32_e32 v38, v43, v4
	v_add_f32_e32 v21, v34, v21
	v_add_f32_e32 v34, v36, v38
	v_sub_f32_e32 v37, v35, v34
	v_pk_add_f32 v[40:41], v[34:35], v[36:37] neg_lo:[0,1] neg_hi:[0,1]
	v_mov_b32_e32 v39, v34
	v_pk_add_f32 v[34:35], v[40:41], v[38:39] neg_lo:[0,1] neg_hi:[0,1]
	v_add_f32_e32 v21, v21, v35
	v_add_f32_e32 v21, v34, v21
	;; [unrolled: 1-line block ×3, first 2 shown]
	v_mul_f32_e32 v44, v42, v35
	v_mul_f32_e32 v36, v7, v44
	v_fma_f32 v38, v44, v7, -v36
	v_fmac_f32_e32 v38, v44, v4
	v_add_f32_e32 v34, v36, v38
	v_sub_f32_e32 v4, v37, v35
	v_sub_f32_e32 v37, v35, v34
	v_pk_add_f32 v[40:41], v[34:35], v[36:37] neg_lo:[0,1] neg_hi:[0,1]
	v_mov_b32_e32 v39, v34
	v_add_f32_e32 v4, v21, v4
	v_pk_add_f32 v[34:35], v[40:41], v[38:39] neg_lo:[0,1] neg_hi:[0,1]
	v_add_f32_e32 v4, v4, v35
	v_add_f32_e32 v4, v34, v4
	;; [unrolled: 1-line block ×4, first 2 shown]
	v_sub_f32_e32 v21, v7, v43
	v_mul_f32_e32 v4, v42, v4
	v_sub_f32_e32 v21, v44, v21
	v_add_f32_e32 v4, v21, v4
	v_add_f32_e32 v21, v7, v4
	v_mul_f32_e32 v34, v21, v21
	v_mov_b32_e32 v36, 0x3ecc95a3
	v_fmac_f32_e32 v36, 0x3e9b6dac, v34
	v_mov_b32_e32 v35, 0x3f2aaada
	v_fmac_f32_e32 v35, v34, v36
	v_cvt_f32_i32_e32 v36, v8
	v_mul_f32_e32 v37, v21, v34
	v_mov_b32_e32 v34, 0x3f317218
	s_mov_b32 s2, 0x3f317218
	v_pk_mul_f32 v[34:35], v[36:37], v[34:35]
	v_fma_f32 v38, v36, s2, -v34
	v_ldexp_f32 v39, v21, 1
	v_fmac_f32_e32 v38, 0xb102e308, v36
	v_sub_f32_e32 v7, v21, v7
	v_pk_add_f32 v[36:37], v[34:35], v[38:39]
	v_sub_f32_e32 v4, v4, v7
	v_sub_f32_e32 v7, v37, v39
	v_ldexp_f32 v4, v4, 1
	v_sub_f32_e32 v7, v35, v7
	v_add_f32_e32 v41, v4, v7
	v_mov_b32_e32 v40, v34
	v_pk_add_f32 v[34:35], v[36:37], v[34:35] neg_lo:[0,1] neg_hi:[0,1]
	v_pk_add_f32 v[42:43], v[36:37], v[40:41]
	v_mov_b32_e32 v35, v43
	v_mov_b32_e32 v39, v36
	v_pk_add_f32 v[44:45], v[38:39], v[34:35] neg_lo:[0,1] neg_hi:[0,1]
	v_pk_add_f32 v[34:35], v[38:39], v[34:35]
	v_mov_b32_e32 v4, v35
	v_pk_add_f32 v[38:39], v[4:5], v[36:37] neg_lo:[0,1] neg_hi:[0,1]
	v_mov_b32_e32 v7, v38
	v_pk_add_f32 v[46:47], v[42:43], v[6:7] neg_lo:[0,1] neg_hi:[0,1]
	v_mov_b32_e32 v34, v43
	v_mov_b32_e32 v42, v37
	v_mov_b32_e32 v43, v38
	v_mov_b32_e32 v45, v35
	v_pk_add_f32 v[34:35], v[34:35], v[42:43] neg_lo:[0,1] neg_hi:[0,1]
	v_mov_b32_e32 v38, v41
	v_mov_b32_e32 v39, v36
	v_pk_add_f32 v[34:35], v[38:39], v[34:35] neg_lo:[0,1] neg_hi:[0,1]
	v_mov_b32_e32 v46, v44
	v_pk_add_f32 v[36:37], v[46:47], v[34:35]
	v_mov_b32_e32 v8, v37
	v_pk_add_f32 v[38:39], v[36:37], v[8:9]
	v_pk_add_f32 v[40:41], v[4:5], v[38:39]
	v_mov_b32_e32 v37, v40
	v_pk_add_f32 v[42:43], v[36:37], v[44:45] neg_lo:[0,1] neg_hi:[0,1]
	v_mov_b32_e32 v35, v38
	v_sub_f32_e32 v4, v36, v42
	v_pk_add_f32 v[34:35], v[34:35], v[42:43] neg_lo:[0,1] neg_hi:[0,1]
	v_sub_f32_e32 v4, v44, v4
	s_mov_b32 s3, 0x7f800000
	v_add_f32_e32 v4, v34, v4
	s_mov_b32 s2, 0x33800000
	v_add_f32_e32 v4, v4, v35
	v_cmp_eq_f32_e32 vcc, s3, v14
	v_cmp_lt_f32_e64 s[2:3], |v14|, s2
	v_add_f32_e32 v4, v40, v4
	s_or_b64 vcc, vcc, s[2:3]
	v_cndmask_b32_e32 v4, v4, v14, vcc
	v_add_f32_e32 v4, v6, v4
.LBB155_274:
	s_or_b64 exec, exec, s[0:1]
	v_max_f32_e32 v6, v4, v4
	v_min_f32_e32 v7, v6, v9
	v_cmp_u_f32_e32 vcc, v4, v4
	v_max_f32_e32 v6, v6, v9
	v_cndmask_b32_e32 v7, v7, v4, vcc
	v_cndmask_b32_e32 v6, v6, v4, vcc
	v_cndmask_b32_e64 v7, v7, v5, s[6:7]
	v_cndmask_b32_e64 v6, v6, v5, s[6:7]
	s_movk_i32 s2, 0x1f8
	v_cmp_neq_f32_e32 vcc, v7, v6
	v_cmp_class_f32_e64 s[0:1], v7, s2
	s_or_b64 s[4:5], vcc, s[0:1]
	v_mov_b32_e32 v5, v4
	s_and_saveexec_b64 s[0:1], s[4:5]
	s_cbranch_execz .LBB155_276
; %bb.275:
	v_sub_f32_e32 v5, v7, v6
	s_mov_b32 s3, 0x3fb8aa3b
	v_mul_f32_e32 v7, 0x3fb8aa3b, v5
	v_fma_f32 v8, v5, s3, -v7
	v_rndne_f32_e32 v9, v7
	v_fmac_f32_e32 v8, 0x32a5705f, v5
	v_sub_f32_e32 v7, v7, v9
	v_add_f32_e32 v7, v7, v8
	v_exp_f32_e32 v7, v7
	v_cvt_i32_f32_e32 v8, v9
	s_mov_b32 s3, 0xc2ce8ed0
	v_cmp_ngt_f32_e32 vcc, s3, v5
	s_mov_b32 s3, 0x42b17218
	v_ldexp_f32 v7, v7, v8
	v_cndmask_b32_e32 v7, 0, v7, vcc
	v_mov_b32_e32 v8, 0x7f800000
	v_cmp_nlt_f32_e32 vcc, s3, v5
	v_cndmask_b32_e32 v7, v8, v7, vcc
	v_add_f32_e32 v5, 1.0, v7
	v_add_f32_e32 v8, -1.0, v5
	v_sub_f32_e32 v9, v8, v5
	v_add_f32_e32 v9, 1.0, v9
	v_sub_f32_e32 v8, v7, v8
	v_add_f32_e32 v14, v8, v9
	v_frexp_mant_f32_e32 v21, v5
	s_mov_b32 s3, 0x3f2aaaab
	v_cvt_f64_f32_e32 v[8:9], v5
	v_frexp_exp_i32_f64_e32 v8, v[8:9]
	v_cmp_gt_f32_e32 vcc, s3, v21
	v_subbrev_co_u32_e32 v21, vcc, 0, v8, vcc
	v_sub_u32_e32 v8, 0, v21
	v_ldexp_f32 v5, v5, v8
	v_ldexp_f32 v8, v14, v8
	v_add_f32_e32 v14, -1.0, v5
	v_add_f32_e32 v9, 1.0, v14
	v_sub_f32_e32 v9, v5, v9
	v_add_f32_e32 v34, v8, v9
	v_add_f32_e32 v9, 1.0, v5
	v_add_f32_e32 v35, -1.0, v9
	v_sub_f32_e32 v5, v5, v35
	v_add_f32_e32 v5, v8, v5
	v_add_f32_e32 v40, v9, v5
	v_rcp_f32_e32 v41, v40
	v_sub_f32_e32 v8, v9, v40
	v_add_f32_e32 v9, v14, v34
	v_add_f32_e32 v5, v5, v8
	v_sub_f32_e32 v8, v14, v9
	v_mul_f32_e32 v42, v9, v41
	v_add_f32_e32 v14, v34, v8
	v_mul_f32_e32 v34, v40, v42
	s_waitcnt lgkmcnt(0)
	v_fma_f32 v36, v42, v40, -v34
	v_fmac_f32_e32 v36, v42, v5
	v_add_f32_e32 v8, v34, v36
	v_sub_f32_e32 v35, v9, v8
	v_pk_add_f32 v[38:39], v[8:9], v[34:35] neg_lo:[0,1] neg_hi:[0,1]
	v_mov_b32_e32 v37, v8
	v_pk_add_f32 v[8:9], v[38:39], v[36:37] neg_lo:[0,1] neg_hi:[0,1]
	v_add_f32_e32 v9, v14, v9
	v_add_f32_e32 v8, v8, v9
	;; [unrolled: 1-line block ×3, first 2 shown]
	v_mul_f32_e32 v14, v41, v9
	v_mul_f32_e32 v34, v40, v14
	v_fma_f32 v36, v14, v40, -v34
	v_fmac_f32_e32 v36, v14, v5
	v_sub_f32_e32 v5, v35, v9
	v_add_f32_e32 v5, v8, v5
	v_add_f32_e32 v8, v34, v36
	v_sub_f32_e32 v35, v9, v8
	v_pk_add_f32 v[38:39], v[8:9], v[34:35] neg_lo:[0,1] neg_hi:[0,1]
	v_mov_b32_e32 v37, v8
	v_pk_add_f32 v[8:9], v[38:39], v[36:37] neg_lo:[0,1] neg_hi:[0,1]
	v_add_f32_e32 v5, v5, v9
	v_add_f32_e32 v5, v8, v5
	;; [unrolled: 1-line block ×4, first 2 shown]
	v_sub_f32_e32 v9, v8, v42
	v_mul_f32_e32 v5, v41, v5
	v_sub_f32_e32 v9, v14, v9
	v_add_f32_e32 v5, v9, v5
	v_add_f32_e32 v14, v8, v5
	v_mul_f32_e32 v35, v14, v14
	v_mov_b32_e32 v34, 0x3ecc95a3
	v_fmac_f32_e32 v34, 0x3e9b6dac, v35
	v_mov_b32_e32 v9, 0x3f2aaada
	v_fmac_f32_e32 v9, v35, v34
	v_cvt_f32_i32_e32 v34, v21
	v_sub_f32_e32 v8, v14, v8
	v_sub_f32_e32 v5, v5, v8
	v_mul_f32_e32 v35, v14, v35
	v_mov_b32_e32 v8, 0x3f317218
	s_mov_b32 s3, 0x3f317218
	v_pk_mul_f32 v[8:9], v[34:35], v[8:9]
	v_fma_f32 v36, v34, s3, -v8
	v_ldexp_f32 v37, v14, 1
	v_fmac_f32_e32 v36, 0xb102e308, v34
	v_pk_add_f32 v[34:35], v[8:9], v[36:37]
	v_sub_f32_e32 v14, v35, v37
	v_ldexp_f32 v5, v5, 1
	v_sub_f32_e32 v14, v9, v14
	v_add_f32_e32 v39, v5, v14
	v_mov_b32_e32 v38, v8
	v_pk_add_f32 v[8:9], v[34:35], v[8:9] neg_lo:[0,1] neg_hi:[0,1]
	v_pk_add_f32 v[40:41], v[34:35], v[38:39]
	v_mov_b32_e32 v9, v41
	v_mov_b32_e32 v37, v34
	v_pk_add_f32 v[42:43], v[36:37], v[8:9] neg_lo:[0,1] neg_hi:[0,1]
	v_pk_add_f32 v[8:9], v[36:37], v[8:9]
	v_mov_b32_e32 v14, v9
	v_pk_add_f32 v[36:37], v[14:15], v[34:35] neg_lo:[0,1] neg_hi:[0,1]
	v_mov_b32_e32 v5, v36
	v_pk_add_f32 v[44:45], v[40:41], v[4:5] neg_lo:[0,1] neg_hi:[0,1]
	v_mov_b32_e32 v8, v41
	v_mov_b32_e32 v40, v35
	;; [unrolled: 1-line block ×4, first 2 shown]
	v_pk_add_f32 v[8:9], v[8:9], v[40:41] neg_lo:[0,1] neg_hi:[0,1]
	v_mov_b32_e32 v36, v39
	v_mov_b32_e32 v37, v34
	v_pk_add_f32 v[8:9], v[36:37], v[8:9] neg_lo:[0,1] neg_hi:[0,1]
	v_mov_b32_e32 v44, v42
	v_pk_add_f32 v[34:35], v[44:45], v[8:9]
	v_mov_b32_e32 v36, v35
	v_pk_add_f32 v[36:37], v[34:35], v[36:37]
	v_pk_add_f32 v[38:39], v[14:15], v[36:37]
	v_mov_b32_e32 v35, v38
	v_pk_add_f32 v[40:41], v[34:35], v[42:43] neg_lo:[0,1] neg_hi:[0,1]
	v_mov_b32_e32 v9, v36
	v_sub_f32_e32 v5, v34, v40
	v_pk_add_f32 v[8:9], v[8:9], v[40:41] neg_lo:[0,1] neg_hi:[0,1]
	v_sub_f32_e32 v5, v42, v5
	s_mov_b32 s4, 0x7f800000
	v_add_f32_e32 v5, v8, v5
	s_mov_b32 s3, 0x33800000
	v_add_f32_e32 v5, v5, v9
	v_cmp_eq_f32_e32 vcc, s4, v7
	v_cmp_lt_f32_e64 s[4:5], |v7|, s3
	v_add_f32_e32 v5, v38, v5
	s_or_b64 vcc, vcc, s[4:5]
	v_cndmask_b32_e32 v5, v5, v7, vcc
	v_add_f32_e32 v5, v6, v5
.LBB155_276:
	s_or_b64 exec, exec, s[0:1]
	v_max_f32_e32 v6, v5, v5
	v_min_f32_e32 v7, v6, v10
	v_cmp_u_f32_e32 vcc, v5, v5
	v_max_f32_e32 v6, v6, v10
	v_cndmask_b32_e32 v7, v7, v5, vcc
	v_cndmask_b32_e32 v6, v6, v5, vcc
	v_cndmask_b32_e64 v8, v7, v26, s[8:9]
	v_cndmask_b32_e64 v7, v6, v26, s[8:9]
	v_cmp_neq_f32_e32 vcc, v8, v7
	v_cmp_class_f32_e64 s[0:1], v8, s2
	s_or_b64 s[2:3], vcc, s[0:1]
	v_mov_b32_e32 v6, v5
	s_and_saveexec_b64 s[0:1], s[2:3]
	s_cbranch_execz .LBB155_278
; %bb.277:
	v_sub_f32_e32 v6, v8, v7
	s_mov_b32 s2, 0x3fb8aa3b
	v_mul_f32_e32 v8, 0x3fb8aa3b, v6
	v_fma_f32 v9, v6, s2, -v8
	v_rndne_f32_e32 v10, v8
	v_fmac_f32_e32 v9, 0x32a5705f, v6
	v_sub_f32_e32 v8, v8, v10
	v_add_f32_e32 v8, v8, v9
	v_exp_f32_e32 v8, v8
	v_cvt_i32_f32_e32 v9, v10
	s_mov_b32 s2, 0xc2ce8ed0
	v_cmp_ngt_f32_e32 vcc, s2, v6
	s_mov_b32 s2, 0x42b17218
	v_ldexp_f32 v8, v8, v9
	v_cndmask_b32_e32 v8, 0, v8, vcc
	v_mov_b32_e32 v9, 0x7f800000
	v_cmp_nlt_f32_e32 vcc, s2, v6
	v_cndmask_b32_e32 v14, v9, v8, vcc
	v_add_f32_e32 v6, 1.0, v14
	v_add_f32_e32 v8, -1.0, v6
	v_sub_f32_e32 v9, v8, v6
	v_add_f32_e32 v9, 1.0, v9
	v_sub_f32_e32 v8, v14, v8
	v_add_f32_e32 v10, v8, v9
	v_frexp_mant_f32_e32 v21, v6
	s_mov_b32 s2, 0x3f2aaaab
	v_cvt_f64_f32_e32 v[8:9], v6
	v_frexp_exp_i32_f64_e32 v8, v[8:9]
	v_cmp_gt_f32_e32 vcc, s2, v21
	v_subbrev_co_u32_e32 v21, vcc, 0, v8, vcc
	v_sub_u32_e32 v8, 0, v21
	v_ldexp_f32 v6, v6, v8
	v_ldexp_f32 v8, v10, v8
	v_add_f32_e32 v10, -1.0, v6
	v_add_f32_e32 v9, 1.0, v10
	v_sub_f32_e32 v9, v6, v9
	v_add_f32_e32 v26, v8, v9
	v_add_f32_e32 v9, 1.0, v6
	v_add_f32_e32 v34, -1.0, v9
	v_sub_f32_e32 v6, v6, v34
	v_add_f32_e32 v6, v8, v6
	v_add_f32_e32 v40, v9, v6
	v_rcp_f32_e32 v41, v40
	v_sub_f32_e32 v8, v9, v40
	v_add_f32_e32 v9, v10, v26
	v_add_f32_e32 v6, v6, v8
	v_sub_f32_e32 v8, v10, v9
	v_add_f32_e32 v10, v26, v8
	v_mul_f32_e32 v26, v9, v41
	v_mul_f32_e32 v34, v40, v26
	s_waitcnt lgkmcnt(0)
	v_fma_f32 v36, v26, v40, -v34
	v_fmac_f32_e32 v36, v26, v6
	v_add_f32_e32 v8, v34, v36
	v_sub_f32_e32 v35, v9, v8
	v_pk_add_f32 v[38:39], v[8:9], v[34:35] neg_lo:[0,1] neg_hi:[0,1]
	v_mov_b32_e32 v37, v8
	v_pk_add_f32 v[8:9], v[38:39], v[36:37] neg_lo:[0,1] neg_hi:[0,1]
	v_add_f32_e32 v9, v10, v9
	v_add_f32_e32 v8, v8, v9
	;; [unrolled: 1-line block ×3, first 2 shown]
	v_mul_f32_e32 v10, v41, v9
	v_mul_f32_e32 v34, v40, v10
	v_fma_f32 v36, v10, v40, -v34
	v_fmac_f32_e32 v36, v10, v6
	v_sub_f32_e32 v6, v35, v9
	v_add_f32_e32 v6, v8, v6
	v_add_f32_e32 v8, v34, v36
	v_sub_f32_e32 v35, v9, v8
	v_pk_add_f32 v[38:39], v[8:9], v[34:35] neg_lo:[0,1] neg_hi:[0,1]
	v_mov_b32_e32 v37, v8
	v_pk_add_f32 v[8:9], v[38:39], v[36:37] neg_lo:[0,1] neg_hi:[0,1]
	v_add_f32_e32 v6, v6, v9
	v_add_f32_e32 v6, v8, v6
	;; [unrolled: 1-line block ×4, first 2 shown]
	v_sub_f32_e32 v9, v8, v26
	v_mul_f32_e32 v6, v41, v6
	v_sub_f32_e32 v9, v10, v9
	v_add_f32_e32 v6, v9, v6
	v_add_f32_e32 v10, v8, v6
	v_mul_f32_e32 v26, v10, v10
	v_mov_b32_e32 v34, 0x3ecc95a3
	v_fmac_f32_e32 v34, 0x3e9b6dac, v26
	v_mov_b32_e32 v9, 0x3f2aaada
	v_fmac_f32_e32 v9, v26, v34
	v_cvt_f32_i32_e32 v34, v21
	v_sub_f32_e32 v8, v10, v8
	v_sub_f32_e32 v6, v6, v8
	v_mul_f32_e32 v35, v10, v26
	v_mov_b32_e32 v8, 0x3f317218
	s_mov_b32 s2, 0x3f317218
	v_pk_mul_f32 v[8:9], v[34:35], v[8:9]
	v_fma_f32 v36, v34, s2, -v8
	v_ldexp_f32 v37, v10, 1
	v_fmac_f32_e32 v36, 0xb102e308, v34
	v_pk_add_f32 v[34:35], v[8:9], v[36:37]
	v_sub_f32_e32 v10, v35, v37
	v_ldexp_f32 v6, v6, 1
	v_sub_f32_e32 v10, v9, v10
	v_add_f32_e32 v39, v6, v10
	v_mov_b32_e32 v38, v8
	v_pk_add_f32 v[8:9], v[34:35], v[8:9] neg_lo:[0,1] neg_hi:[0,1]
	v_pk_add_f32 v[40:41], v[34:35], v[38:39]
	v_mov_b32_e32 v9, v41
	v_mov_b32_e32 v37, v34
	v_pk_add_f32 v[42:43], v[36:37], v[8:9] neg_lo:[0,1] neg_hi:[0,1]
	v_pk_add_f32 v[8:9], v[36:37], v[8:9]
	v_mov_b32_e32 v6, v9
	v_pk_add_f32 v[36:37], v[6:7], v[34:35] neg_lo:[0,1] neg_hi:[0,1]
	v_mov_b32_e32 v21, v36
	v_pk_add_f32 v[44:45], v[40:41], v[20:21] neg_lo:[0,1] neg_hi:[0,1]
	v_mov_b32_e32 v8, v41
	v_mov_b32_e32 v40, v35
	;; [unrolled: 1-line block ×4, first 2 shown]
	v_pk_add_f32 v[8:9], v[8:9], v[40:41] neg_lo:[0,1] neg_hi:[0,1]
	v_mov_b32_e32 v36, v39
	v_mov_b32_e32 v37, v34
	v_pk_add_f32 v[8:9], v[36:37], v[8:9] neg_lo:[0,1] neg_hi:[0,1]
	v_mov_b32_e32 v44, v42
	v_pk_add_f32 v[34:35], v[44:45], v[8:9]
	v_mov_b32_e32 v10, v35
	v_pk_add_f32 v[36:37], v[34:35], v[10:11]
	v_pk_add_f32 v[38:39], v[6:7], v[36:37]
	v_mov_b32_e32 v35, v38
	v_pk_add_f32 v[40:41], v[34:35], v[42:43] neg_lo:[0,1] neg_hi:[0,1]
	v_mov_b32_e32 v9, v36
	v_sub_f32_e32 v6, v34, v40
	v_pk_add_f32 v[8:9], v[8:9], v[40:41] neg_lo:[0,1] neg_hi:[0,1]
	v_sub_f32_e32 v6, v42, v6
	s_mov_b32 s3, 0x7f800000
	v_add_f32_e32 v6, v8, v6
	s_mov_b32 s2, 0x33800000
	v_add_f32_e32 v6, v6, v9
	v_cmp_eq_f32_e32 vcc, s3, v14
	v_cmp_lt_f32_e64 s[2:3], |v14|, s2
	v_add_f32_e32 v6, v38, v6
	s_or_b64 vcc, vcc, s[2:3]
	v_cndmask_b32_e32 v6, v6, v14, vcc
	v_add_f32_e32 v6, v7, v6
.LBB155_278:
	s_or_b64 exec, exec, s[0:1]
	v_max_f32_e32 v7, v6, v6
	v_min_f32_e32 v8, v7, v11
	v_cmp_u_f32_e32 vcc, v6, v6
	v_max_f32_e32 v7, v7, v11
	v_cndmask_b32_e32 v8, v8, v6, vcc
	v_cndmask_b32_e32 v7, v7, v6, vcc
	v_cndmask_b32_e64 v9, v8, v27, s[10:11]
	v_cndmask_b32_e64 v8, v7, v27, s[10:11]
	s_movk_i32 s2, 0x1f8
	v_cmp_neq_f32_e32 vcc, v9, v8
	v_cmp_class_f32_e64 s[0:1], v9, s2
	s_or_b64 s[4:5], vcc, s[0:1]
	v_mov_b32_e32 v7, v6
	s_and_saveexec_b64 s[0:1], s[4:5]
	s_cbranch_execz .LBB155_280
; %bb.279:
	v_sub_f32_e32 v7, v9, v8
	s_mov_b32 s3, 0x3fb8aa3b
	v_mul_f32_e32 v9, 0x3fb8aa3b, v7
	v_fma_f32 v10, v7, s3, -v9
	v_rndne_f32_e32 v11, v9
	v_fmac_f32_e32 v10, 0x32a5705f, v7
	v_sub_f32_e32 v9, v9, v11
	v_add_f32_e32 v9, v9, v10
	v_exp_f32_e32 v9, v9
	v_cvt_i32_f32_e32 v10, v11
	s_mov_b32 s3, 0xc2ce8ed0
	v_cmp_ngt_f32_e32 vcc, s3, v7
	s_mov_b32 s3, 0x42b17218
	v_ldexp_f32 v9, v9, v10
	v_cndmask_b32_e32 v9, 0, v9, vcc
	v_mov_b32_e32 v10, 0x7f800000
	v_cmp_nlt_f32_e32 vcc, s3, v7
	v_cndmask_b32_e32 v9, v10, v9, vcc
	v_add_f32_e32 v7, 1.0, v9
	v_add_f32_e32 v10, -1.0, v7
	v_sub_f32_e32 v11, v10, v7
	v_add_f32_e32 v11, 1.0, v11
	v_sub_f32_e32 v10, v9, v10
	v_add_f32_e32 v14, v10, v11
	v_frexp_mant_f32_e32 v21, v7
	s_mov_b32 s3, 0x3f2aaaab
	v_cvt_f64_f32_e32 v[10:11], v7
	v_frexp_exp_i32_f64_e32 v10, v[10:11]
	v_cmp_gt_f32_e32 vcc, s3, v21
	v_subbrev_co_u32_e32 v21, vcc, 0, v10, vcc
	v_sub_u32_e32 v10, 0, v21
	v_ldexp_f32 v7, v7, v10
	v_ldexp_f32 v10, v14, v10
	v_add_f32_e32 v14, -1.0, v7
	v_add_f32_e32 v11, 1.0, v14
	v_sub_f32_e32 v11, v7, v11
	v_add_f32_e32 v26, v10, v11
	v_add_f32_e32 v11, 1.0, v7
	v_add_f32_e32 v27, -1.0, v11
	v_sub_f32_e32 v7, v7, v27
	v_add_f32_e32 v7, v10, v7
	v_add_f32_e32 v38, v11, v7
	v_rcp_f32_e32 v39, v38
	v_sub_f32_e32 v10, v11, v38
	v_add_f32_e32 v11, v14, v26
	v_add_f32_e32 v7, v7, v10
	v_sub_f32_e32 v10, v14, v11
	v_mul_f32_e32 v40, v11, v39
	v_add_f32_e32 v14, v26, v10
	v_mul_f32_e32 v26, v38, v40
	v_fma_f32 v34, v40, v38, -v26
	v_fmac_f32_e32 v34, v40, v7
	v_add_f32_e32 v10, v26, v34
	v_sub_f32_e32 v27, v11, v10
	s_waitcnt lgkmcnt(0)
	v_pk_add_f32 v[36:37], v[10:11], v[26:27] neg_lo:[0,1] neg_hi:[0,1]
	v_mov_b32_e32 v35, v10
	v_pk_add_f32 v[10:11], v[36:37], v[34:35] neg_lo:[0,1] neg_hi:[0,1]
	v_add_f32_e32 v11, v14, v11
	v_add_f32_e32 v10, v10, v11
	;; [unrolled: 1-line block ×3, first 2 shown]
	v_mul_f32_e32 v14, v39, v11
	v_mul_f32_e32 v26, v38, v14
	v_fma_f32 v34, v14, v38, -v26
	v_fmac_f32_e32 v34, v14, v7
	v_sub_f32_e32 v7, v27, v11
	v_add_f32_e32 v7, v10, v7
	v_add_f32_e32 v10, v26, v34
	v_sub_f32_e32 v27, v11, v10
	v_pk_add_f32 v[36:37], v[10:11], v[26:27] neg_lo:[0,1] neg_hi:[0,1]
	v_mov_b32_e32 v35, v10
	v_pk_add_f32 v[10:11], v[36:37], v[34:35] neg_lo:[0,1] neg_hi:[0,1]
	v_add_f32_e32 v7, v7, v11
	v_add_f32_e32 v7, v10, v7
	;; [unrolled: 1-line block ×4, first 2 shown]
	v_sub_f32_e32 v11, v10, v40
	v_mul_f32_e32 v7, v39, v7
	v_sub_f32_e32 v11, v14, v11
	v_add_f32_e32 v7, v11, v7
	v_add_f32_e32 v14, v10, v7
	v_mul_f32_e32 v27, v14, v14
	v_mov_b32_e32 v26, 0x3ecc95a3
	v_fmac_f32_e32 v26, 0x3e9b6dac, v27
	v_mov_b32_e32 v11, 0x3f2aaada
	v_fmac_f32_e32 v11, v27, v26
	v_cvt_f32_i32_e32 v26, v21
	v_sub_f32_e32 v10, v14, v10
	v_sub_f32_e32 v7, v7, v10
	v_mul_f32_e32 v27, v14, v27
	v_mov_b32_e32 v10, 0x3f317218
	s_mov_b32 s3, 0x3f317218
	v_pk_mul_f32 v[10:11], v[26:27], v[10:11]
	v_fma_f32 v34, v26, s3, -v10
	v_ldexp_f32 v35, v14, 1
	v_fmac_f32_e32 v34, 0xb102e308, v26
	v_pk_add_f32 v[26:27], v[10:11], v[34:35]
	v_sub_f32_e32 v14, v27, v35
	v_ldexp_f32 v7, v7, 1
	v_sub_f32_e32 v14, v11, v14
	v_add_f32_e32 v37, v7, v14
	v_mov_b32_e32 v36, v10
	v_pk_add_f32 v[10:11], v[26:27], v[10:11] neg_lo:[0,1] neg_hi:[0,1]
	v_pk_add_f32 v[38:39], v[26:27], v[36:37]
	v_mov_b32_e32 v11, v39
	v_mov_b32_e32 v35, v26
	v_pk_add_f32 v[40:41], v[34:35], v[10:11] neg_lo:[0,1] neg_hi:[0,1]
	v_pk_add_f32 v[10:11], v[34:35], v[10:11]
	v_mov_b32_e32 v14, v11
	v_pk_add_f32 v[34:35], v[14:15], v[26:27] neg_lo:[0,1] neg_hi:[0,1]
	v_mov_b32_e32 v7, v34
	v_pk_add_f32 v[42:43], v[38:39], v[6:7] neg_lo:[0,1] neg_hi:[0,1]
	v_mov_b32_e32 v10, v39
	v_mov_b32_e32 v38, v27
	;; [unrolled: 1-line block ×4, first 2 shown]
	v_pk_add_f32 v[10:11], v[10:11], v[38:39] neg_lo:[0,1] neg_hi:[0,1]
	v_mov_b32_e32 v34, v37
	v_mov_b32_e32 v35, v26
	v_pk_add_f32 v[10:11], v[34:35], v[10:11] neg_lo:[0,1] neg_hi:[0,1]
	v_mov_b32_e32 v42, v40
	v_pk_add_f32 v[26:27], v[42:43], v[10:11]
	v_mov_b32_e32 v34, v27
	v_pk_add_f32 v[34:35], v[26:27], v[34:35]
	v_pk_add_f32 v[36:37], v[14:15], v[34:35]
	v_mov_b32_e32 v27, v36
	v_pk_add_f32 v[38:39], v[26:27], v[40:41] neg_lo:[0,1] neg_hi:[0,1]
	v_mov_b32_e32 v11, v34
	v_sub_f32_e32 v7, v26, v38
	v_pk_add_f32 v[10:11], v[10:11], v[38:39] neg_lo:[0,1] neg_hi:[0,1]
	v_sub_f32_e32 v7, v40, v7
	s_mov_b32 s4, 0x7f800000
	v_add_f32_e32 v7, v10, v7
	s_mov_b32 s3, 0x33800000
	v_add_f32_e32 v7, v7, v11
	v_cmp_eq_f32_e32 vcc, s4, v9
	v_cmp_lt_f32_e64 s[4:5], |v9|, s3
	v_add_f32_e32 v7, v36, v7
	s_or_b64 vcc, vcc, s[4:5]
	v_cndmask_b32_e32 v7, v7, v9, vcc
	v_add_f32_e32 v7, v8, v7
.LBB155_280:
	s_or_b64 exec, exec, s[0:1]
	v_max_f32_e32 v8, v7, v7
	v_min_f32_e32 v9, v8, v12
	v_cmp_u_f32_e32 vcc, v7, v7
	v_max_f32_e32 v8, v8, v12
	v_cndmask_b32_e32 v9, v9, v7, vcc
	v_cndmask_b32_e32 v8, v8, v7, vcc
	v_cndmask_b32_e64 v10, v9, v28, s[12:13]
	v_cndmask_b32_e64 v9, v8, v28, s[12:13]
	v_cmp_neq_f32_e32 vcc, v10, v9
	v_cmp_class_f32_e64 s[0:1], v10, s2
	s_or_b64 s[2:3], vcc, s[0:1]
	v_mov_b32_e32 v8, v7
	s_and_saveexec_b64 s[0:1], s[2:3]
	s_cbranch_execz .LBB155_282
; %bb.281:
	v_sub_f32_e32 v8, v10, v9
	s_mov_b32 s2, 0x3fb8aa3b
	v_mul_f32_e32 v10, 0x3fb8aa3b, v8
	v_fma_f32 v11, v8, s2, -v10
	v_rndne_f32_e32 v12, v10
	v_fmac_f32_e32 v11, 0x32a5705f, v8
	v_sub_f32_e32 v10, v10, v12
	v_add_f32_e32 v10, v10, v11
	v_exp_f32_e32 v10, v10
	v_cvt_i32_f32_e32 v11, v12
	s_mov_b32 s2, 0xc2ce8ed0
	v_cmp_ngt_f32_e32 vcc, s2, v8
	s_mov_b32 s2, 0x42b17218
	v_ldexp_f32 v10, v10, v11
	v_cndmask_b32_e32 v10, 0, v10, vcc
	v_mov_b32_e32 v11, 0x7f800000
	v_cmp_nlt_f32_e32 vcc, s2, v8
	v_cndmask_b32_e32 v14, v11, v10, vcc
	v_add_f32_e32 v8, 1.0, v14
	v_add_f32_e32 v10, -1.0, v8
	v_sub_f32_e32 v11, v10, v8
	v_add_f32_e32 v11, 1.0, v11
	v_sub_f32_e32 v10, v14, v10
	v_add_f32_e32 v12, v10, v11
	v_frexp_mant_f32_e32 v21, v8
	s_mov_b32 s2, 0x3f2aaaab
	v_cvt_f64_f32_e32 v[10:11], v8
	v_frexp_exp_i32_f64_e32 v10, v[10:11]
	v_cmp_gt_f32_e32 vcc, s2, v21
	v_subbrev_co_u32_e32 v21, vcc, 0, v10, vcc
	v_sub_u32_e32 v10, 0, v21
	v_ldexp_f32 v8, v8, v10
	v_ldexp_f32 v10, v12, v10
	v_add_f32_e32 v12, -1.0, v8
	v_add_f32_e32 v11, 1.0, v12
	v_sub_f32_e32 v11, v8, v11
	v_add_f32_e32 v26, v10, v11
	v_add_f32_e32 v11, 1.0, v8
	v_add_f32_e32 v27, -1.0, v11
	v_sub_f32_e32 v8, v8, v27
	v_add_f32_e32 v8, v10, v8
	v_add_f32_e32 v28, v11, v8
	v_rcp_f32_e32 v38, v28
	v_sub_f32_e32 v10, v11, v28
	v_add_f32_e32 v11, v12, v26
	v_add_f32_e32 v8, v8, v10
	v_sub_f32_e32 v10, v12, v11
	v_mul_f32_e32 v39, v11, v38
	v_add_f32_e32 v12, v26, v10
	v_mul_f32_e32 v26, v28, v39
	v_fma_f32 v34, v39, v28, -v26
	v_fmac_f32_e32 v34, v39, v8
	v_add_f32_e32 v10, v26, v34
	v_sub_f32_e32 v27, v11, v10
	s_waitcnt lgkmcnt(0)
	v_pk_add_f32 v[36:37], v[10:11], v[26:27] neg_lo:[0,1] neg_hi:[0,1]
	v_mov_b32_e32 v35, v10
	v_pk_add_f32 v[10:11], v[36:37], v[34:35] neg_lo:[0,1] neg_hi:[0,1]
	v_add_f32_e32 v11, v12, v11
	v_add_f32_e32 v10, v10, v11
	;; [unrolled: 1-line block ×3, first 2 shown]
	v_mul_f32_e32 v12, v38, v11
	v_mul_f32_e32 v26, v28, v12
	v_fma_f32 v34, v12, v28, -v26
	v_fmac_f32_e32 v34, v12, v8
	v_sub_f32_e32 v8, v27, v11
	v_add_f32_e32 v8, v10, v8
	v_add_f32_e32 v10, v26, v34
	v_sub_f32_e32 v27, v11, v10
	v_pk_add_f32 v[36:37], v[10:11], v[26:27] neg_lo:[0,1] neg_hi:[0,1]
	v_mov_b32_e32 v35, v10
	v_pk_add_f32 v[10:11], v[36:37], v[34:35] neg_lo:[0,1] neg_hi:[0,1]
	v_add_f32_e32 v8, v8, v11
	v_add_f32_e32 v8, v10, v8
	;; [unrolled: 1-line block ×4, first 2 shown]
	v_sub_f32_e32 v11, v10, v39
	v_mul_f32_e32 v8, v38, v8
	v_sub_f32_e32 v11, v12, v11
	v_add_f32_e32 v8, v11, v8
	v_add_f32_e32 v12, v10, v8
	v_mul_f32_e32 v27, v12, v12
	v_mov_b32_e32 v26, 0x3ecc95a3
	v_fmac_f32_e32 v26, 0x3e9b6dac, v27
	v_mov_b32_e32 v11, 0x3f2aaada
	v_fmac_f32_e32 v11, v27, v26
	v_cvt_f32_i32_e32 v26, v21
	v_sub_f32_e32 v10, v12, v10
	v_sub_f32_e32 v8, v8, v10
	v_mul_f32_e32 v27, v12, v27
	v_mov_b32_e32 v10, 0x3f317218
	s_mov_b32 s2, 0x3f317218
	v_pk_mul_f32 v[10:11], v[26:27], v[10:11]
	v_fma_f32 v34, v26, s2, -v10
	v_ldexp_f32 v35, v12, 1
	v_fmac_f32_e32 v34, 0xb102e308, v26
	v_pk_add_f32 v[26:27], v[10:11], v[34:35]
	v_sub_f32_e32 v12, v27, v35
	v_ldexp_f32 v8, v8, 1
	v_sub_f32_e32 v12, v11, v12
	v_add_f32_e32 v37, v8, v12
	v_mov_b32_e32 v36, v10
	v_pk_add_f32 v[10:11], v[26:27], v[10:11] neg_lo:[0,1] neg_hi:[0,1]
	v_pk_add_f32 v[38:39], v[26:27], v[36:37]
	v_mov_b32_e32 v11, v39
	v_mov_b32_e32 v35, v26
	v_pk_add_f32 v[40:41], v[34:35], v[10:11] neg_lo:[0,1] neg_hi:[0,1]
	v_pk_add_f32 v[10:11], v[34:35], v[10:11]
	v_mov_b32_e32 v8, v11
	v_pk_add_f32 v[34:35], v[8:9], v[26:27] neg_lo:[0,1] neg_hi:[0,1]
	v_mov_b32_e32 v21, v34
	v_pk_add_f32 v[42:43], v[38:39], v[20:21] neg_lo:[0,1] neg_hi:[0,1]
	v_mov_b32_e32 v10, v39
	v_mov_b32_e32 v38, v27
	;; [unrolled: 1-line block ×4, first 2 shown]
	v_pk_add_f32 v[10:11], v[10:11], v[38:39] neg_lo:[0,1] neg_hi:[0,1]
	v_mov_b32_e32 v34, v37
	v_mov_b32_e32 v35, v26
	v_pk_add_f32 v[10:11], v[34:35], v[10:11] neg_lo:[0,1] neg_hi:[0,1]
	v_mov_b32_e32 v42, v40
	v_pk_add_f32 v[26:27], v[42:43], v[10:11]
	v_mov_b32_e32 v12, v27
	v_pk_add_f32 v[34:35], v[26:27], v[12:13]
	v_pk_add_f32 v[36:37], v[8:9], v[34:35]
	v_mov_b32_e32 v27, v36
	v_pk_add_f32 v[38:39], v[26:27], v[40:41] neg_lo:[0,1] neg_hi:[0,1]
	v_mov_b32_e32 v11, v34
	v_sub_f32_e32 v8, v26, v38
	v_pk_add_f32 v[10:11], v[10:11], v[38:39] neg_lo:[0,1] neg_hi:[0,1]
	v_sub_f32_e32 v8, v40, v8
	s_mov_b32 s3, 0x7f800000
	v_add_f32_e32 v8, v10, v8
	s_mov_b32 s2, 0x33800000
	v_add_f32_e32 v8, v8, v11
	v_cmp_eq_f32_e32 vcc, s3, v14
	v_cmp_lt_f32_e64 s[2:3], |v14|, s2
	v_add_f32_e32 v8, v36, v8
	s_or_b64 vcc, vcc, s[2:3]
	v_cndmask_b32_e32 v8, v8, v14, vcc
	v_add_f32_e32 v8, v9, v8
.LBB155_282:
	s_or_b64 exec, exec, s[0:1]
	v_max_f32_e32 v9, v8, v8
	v_min_f32_e32 v10, v9, v13
	v_cmp_u_f32_e32 vcc, v8, v8
	v_max_f32_e32 v9, v9, v13
	v_cndmask_b32_e32 v10, v10, v8, vcc
	v_cndmask_b32_e32 v9, v9, v8, vcc
	v_cndmask_b32_e64 v11, v10, v29, s[14:15]
	v_cndmask_b32_e64 v10, v9, v29, s[14:15]
	s_movk_i32 s2, 0x1f8
	v_cmp_neq_f32_e32 vcc, v11, v10
	v_cmp_class_f32_e64 s[0:1], v11, s2
	s_or_b64 s[4:5], vcc, s[0:1]
	v_mov_b32_e32 v9, v8
	s_and_saveexec_b64 s[0:1], s[4:5]
	s_cbranch_execz .LBB155_284
; %bb.283:
	v_sub_f32_e32 v9, v11, v10
	s_mov_b32 s3, 0x3fb8aa3b
	v_mul_f32_e32 v11, 0x3fb8aa3b, v9
	v_fma_f32 v12, v9, s3, -v11
	v_rndne_f32_e32 v13, v11
	v_fmac_f32_e32 v12, 0x32a5705f, v9
	v_sub_f32_e32 v11, v11, v13
	v_add_f32_e32 v11, v11, v12
	v_exp_f32_e32 v11, v11
	v_cvt_i32_f32_e32 v12, v13
	s_mov_b32 s3, 0xc2ce8ed0
	v_cmp_ngt_f32_e32 vcc, s3, v9
	s_mov_b32 s3, 0x42b17218
	v_ldexp_f32 v11, v11, v12
	v_cndmask_b32_e32 v11, 0, v11, vcc
	v_mov_b32_e32 v12, 0x7f800000
	v_cmp_nlt_f32_e32 vcc, s3, v9
	v_cndmask_b32_e32 v11, v12, v11, vcc
	v_add_f32_e32 v9, 1.0, v11
	v_add_f32_e32 v12, -1.0, v9
	v_sub_f32_e32 v13, v12, v9
	v_add_f32_e32 v13, 1.0, v13
	v_sub_f32_e32 v12, v11, v12
	v_add_f32_e32 v14, v12, v13
	v_frexp_mant_f32_e32 v21, v9
	s_mov_b32 s3, 0x3f2aaaab
	v_cvt_f64_f32_e32 v[12:13], v9
	v_frexp_exp_i32_f64_e32 v12, v[12:13]
	v_cmp_gt_f32_e32 vcc, s3, v21
	v_subbrev_co_u32_e32 v21, vcc, 0, v12, vcc
	v_sub_u32_e32 v12, 0, v21
	v_ldexp_f32 v9, v9, v12
	v_ldexp_f32 v12, v14, v12
	v_add_f32_e32 v14, -1.0, v9
	v_add_f32_e32 v13, 1.0, v14
	v_sub_f32_e32 v13, v9, v13
	v_add_f32_e32 v26, v12, v13
	v_add_f32_e32 v13, 1.0, v9
	v_add_f32_e32 v27, -1.0, v13
	v_sub_f32_e32 v9, v9, v27
	v_add_f32_e32 v9, v12, v9
	s_waitcnt lgkmcnt(0)
	v_add_f32_e32 v36, v13, v9
	v_rcp_f32_e32 v37, v36
	v_sub_f32_e32 v12, v13, v36
	v_add_f32_e32 v13, v14, v26
	v_add_f32_e32 v9, v9, v12
	v_sub_f32_e32 v12, v14, v13
	v_mul_f32_e32 v38, v13, v37
	v_add_f32_e32 v14, v26, v12
	v_mul_f32_e32 v26, v36, v38
	v_fma_f32 v28, v38, v36, -v26
	v_fmac_f32_e32 v28, v38, v9
	v_add_f32_e32 v12, v26, v28
	v_sub_f32_e32 v27, v13, v12
	v_pk_add_f32 v[34:35], v[12:13], v[26:27] neg_lo:[0,1] neg_hi:[0,1]
	v_mov_b32_e32 v29, v12
	v_pk_add_f32 v[12:13], v[34:35], v[28:29] neg_lo:[0,1] neg_hi:[0,1]
	v_add_f32_e32 v13, v14, v13
	v_add_f32_e32 v12, v12, v13
	;; [unrolled: 1-line block ×3, first 2 shown]
	v_mul_f32_e32 v14, v37, v13
	v_mul_f32_e32 v26, v36, v14
	v_fma_f32 v28, v14, v36, -v26
	v_fmac_f32_e32 v28, v14, v9
	v_sub_f32_e32 v9, v27, v13
	v_add_f32_e32 v9, v12, v9
	v_add_f32_e32 v12, v26, v28
	v_sub_f32_e32 v27, v13, v12
	v_pk_add_f32 v[34:35], v[12:13], v[26:27] neg_lo:[0,1] neg_hi:[0,1]
	v_mov_b32_e32 v29, v12
	v_pk_add_f32 v[12:13], v[34:35], v[28:29] neg_lo:[0,1] neg_hi:[0,1]
	v_add_f32_e32 v9, v9, v13
	v_add_f32_e32 v9, v12, v9
	;; [unrolled: 1-line block ×4, first 2 shown]
	v_sub_f32_e32 v13, v12, v38
	v_mul_f32_e32 v9, v37, v9
	v_sub_f32_e32 v13, v14, v13
	v_add_f32_e32 v9, v13, v9
	v_add_f32_e32 v14, v12, v9
	v_mul_f32_e32 v27, v14, v14
	v_mov_b32_e32 v26, 0x3ecc95a3
	v_fmac_f32_e32 v26, 0x3e9b6dac, v27
	v_mov_b32_e32 v13, 0x3f2aaada
	v_fmac_f32_e32 v13, v27, v26
	v_cvt_f32_i32_e32 v26, v21
	v_sub_f32_e32 v12, v14, v12
	v_sub_f32_e32 v9, v9, v12
	v_mul_f32_e32 v27, v14, v27
	v_mov_b32_e32 v12, 0x3f317218
	s_mov_b32 s3, 0x3f317218
	v_pk_mul_f32 v[12:13], v[26:27], v[12:13]
	v_fma_f32 v28, v26, s3, -v12
	v_ldexp_f32 v29, v14, 1
	v_fmac_f32_e32 v28, 0xb102e308, v26
	v_pk_add_f32 v[26:27], v[12:13], v[28:29]
	v_sub_f32_e32 v14, v27, v29
	v_ldexp_f32 v9, v9, 1
	v_sub_f32_e32 v14, v13, v14
	v_add_f32_e32 v35, v9, v14
	v_mov_b32_e32 v34, v12
	v_pk_add_f32 v[12:13], v[26:27], v[12:13] neg_lo:[0,1] neg_hi:[0,1]
	v_pk_add_f32 v[36:37], v[26:27], v[34:35]
	v_mov_b32_e32 v13, v37
	v_mov_b32_e32 v29, v26
	v_pk_add_f32 v[38:39], v[28:29], v[12:13] neg_lo:[0,1] neg_hi:[0,1]
	v_pk_add_f32 v[12:13], v[28:29], v[12:13]
	v_mov_b32_e32 v14, v13
	v_pk_add_f32 v[28:29], v[14:15], v[26:27] neg_lo:[0,1] neg_hi:[0,1]
	v_mov_b32_e32 v9, v28
	v_pk_add_f32 v[40:41], v[36:37], v[8:9] neg_lo:[0,1] neg_hi:[0,1]
	v_mov_b32_e32 v12, v37
	v_mov_b32_e32 v36, v27
	;; [unrolled: 1-line block ×4, first 2 shown]
	v_pk_add_f32 v[12:13], v[12:13], v[36:37] neg_lo:[0,1] neg_hi:[0,1]
	v_mov_b32_e32 v28, v35
	v_mov_b32_e32 v29, v26
	v_pk_add_f32 v[12:13], v[28:29], v[12:13] neg_lo:[0,1] neg_hi:[0,1]
	v_mov_b32_e32 v40, v38
	v_pk_add_f32 v[26:27], v[40:41], v[12:13]
	v_mov_b32_e32 v28, v27
	v_pk_add_f32 v[28:29], v[26:27], v[28:29]
	v_pk_add_f32 v[34:35], v[14:15], v[28:29]
	v_mov_b32_e32 v27, v34
	v_pk_add_f32 v[36:37], v[26:27], v[38:39] neg_lo:[0,1] neg_hi:[0,1]
	v_mov_b32_e32 v13, v28
	v_sub_f32_e32 v9, v26, v36
	v_pk_add_f32 v[12:13], v[12:13], v[36:37] neg_lo:[0,1] neg_hi:[0,1]
	v_sub_f32_e32 v9, v38, v9
	s_mov_b32 s4, 0x7f800000
	v_add_f32_e32 v9, v12, v9
	s_mov_b32 s3, 0x33800000
	v_add_f32_e32 v9, v9, v13
	v_cmp_eq_f32_e32 vcc, s4, v11
	v_cmp_lt_f32_e64 s[4:5], |v11|, s3
	v_add_f32_e32 v9, v34, v9
	s_or_b64 vcc, vcc, s[4:5]
	v_cndmask_b32_e32 v9, v9, v11, vcc
	v_add_f32_e32 v9, v10, v9
.LBB155_284:
	s_or_b64 exec, exec, s[0:1]
	v_max_f32_e32 v10, v9, v9
	v_min_f32_e32 v11, v10, v15
	v_cmp_u_f32_e32 vcc, v9, v9
	v_max_f32_e32 v10, v10, v15
	v_cndmask_b32_e32 v11, v11, v9, vcc
	v_cndmask_b32_e32 v10, v10, v9, vcc
	v_cndmask_b32_e64 v12, v11, v22, s[16:17]
	v_cndmask_b32_e64 v11, v10, v22, s[16:17]
	v_cmp_neq_f32_e32 vcc, v12, v11
	v_cmp_class_f32_e64 s[0:1], v12, s2
	s_or_b64 s[2:3], vcc, s[0:1]
	v_mov_b32_e32 v10, v9
	s_and_saveexec_b64 s[0:1], s[2:3]
	s_cbranch_execz .LBB155_286
; %bb.285:
	v_sub_f32_e32 v10, v12, v11
	s_mov_b32 s2, 0x3fb8aa3b
	v_mul_f32_e32 v12, 0x3fb8aa3b, v10
	v_fma_f32 v13, v10, s2, -v12
	v_rndne_f32_e32 v14, v12
	v_fmac_f32_e32 v13, 0x32a5705f, v10
	v_sub_f32_e32 v12, v12, v14
	v_add_f32_e32 v12, v12, v13
	v_exp_f32_e32 v12, v12
	v_cvt_i32_f32_e32 v13, v14
	s_mov_b32 s2, 0xc2ce8ed0
	v_cmp_ngt_f32_e32 vcc, s2, v10
	s_mov_b32 s2, 0x42b17218
	v_ldexp_f32 v12, v12, v13
	v_cndmask_b32_e32 v12, 0, v12, vcc
	v_mov_b32_e32 v13, 0x7f800000
	v_cmp_nlt_f32_e32 vcc, s2, v10
	v_cndmask_b32_e32 v40, v13, v12, vcc
	v_add_f32_e32 v10, 1.0, v40
	v_add_f32_e32 v12, -1.0, v10
	v_sub_f32_e32 v13, v12, v10
	v_add_f32_e32 v13, 1.0, v13
	v_sub_f32_e32 v12, v40, v12
	v_add_f32_e32 v14, v12, v13
	v_frexp_mant_f32_e32 v15, v10
	s_mov_b32 s2, 0x3f2aaaab
	v_cvt_f64_f32_e32 v[12:13], v10
	v_frexp_exp_i32_f64_e32 v12, v[12:13]
	v_cmp_gt_f32_e32 vcc, s2, v15
	v_subbrev_co_u32_e32 v21, vcc, 0, v12, vcc
	v_sub_u32_e32 v12, 0, v21
	v_ldexp_f32 v10, v10, v12
	v_ldexp_f32 v12, v14, v12
	v_add_f32_e32 v14, -1.0, v10
	v_add_f32_e32 v13, 1.0, v14
	v_sub_f32_e32 v13, v10, v13
	v_add_f32_e32 v15, v12, v13
	v_add_f32_e32 v13, 1.0, v10
	v_add_f32_e32 v22, -1.0, v13
	v_sub_f32_e32 v10, v10, v22
	v_add_f32_e32 v10, v12, v10
	v_add_f32_e32 v22, v13, v10
	v_rcp_f32_e32 v34, v22
	v_sub_f32_e32 v12, v13, v22
	v_add_f32_e32 v13, v14, v15
	v_add_f32_e32 v10, v10, v12
	s_waitcnt lgkmcnt(0)
	v_mul_f32_e32 v36, v13, v34
	v_sub_f32_e32 v12, v14, v13
	v_mul_f32_e32 v14, v22, v36
	v_fma_f32 v26, v36, v22, -v14
	v_fmac_f32_e32 v26, v36, v10
	v_add_f32_e32 v35, v15, v12
	v_add_f32_e32 v12, v14, v26
	v_sub_f32_e32 v15, v13, v12
	v_pk_add_f32 v[28:29], v[12:13], v[14:15] neg_lo:[0,1] neg_hi:[0,1]
	v_mov_b32_e32 v27, v12
	v_pk_add_f32 v[12:13], v[28:29], v[26:27] neg_lo:[0,1] neg_hi:[0,1]
	v_add_f32_e32 v13, v35, v13
	v_add_f32_e32 v12, v12, v13
	;; [unrolled: 1-line block ×3, first 2 shown]
	v_mul_f32_e32 v35, v34, v13
	v_mul_f32_e32 v14, v22, v35
	v_fma_f32 v26, v35, v22, -v14
	v_fmac_f32_e32 v26, v35, v10
	v_sub_f32_e32 v10, v15, v13
	v_add_f32_e32 v10, v12, v10
	v_add_f32_e32 v12, v14, v26
	v_sub_f32_e32 v15, v13, v12
	v_pk_add_f32 v[28:29], v[12:13], v[14:15] neg_lo:[0,1] neg_hi:[0,1]
	v_mov_b32_e32 v27, v12
	v_pk_add_f32 v[12:13], v[28:29], v[26:27] neg_lo:[0,1] neg_hi:[0,1]
	v_add_f32_e32 v10, v10, v13
	v_add_f32_e32 v10, v12, v10
	;; [unrolled: 1-line block ×4, first 2 shown]
	v_sub_f32_e32 v13, v12, v36
	v_mul_f32_e32 v10, v34, v10
	v_sub_f32_e32 v13, v35, v13
	v_add_f32_e32 v10, v13, v10
	v_add_f32_e32 v15, v12, v10
	v_mul_f32_e32 v22, v15, v15
	v_mov_b32_e32 v14, 0x3ecc95a3
	v_fmac_f32_e32 v14, 0x3e9b6dac, v22
	v_mov_b32_e32 v13, 0x3f2aaada
	v_fmac_f32_e32 v13, v22, v14
	v_cvt_f32_i32_e32 v14, v21
	v_sub_f32_e32 v12, v15, v12
	v_sub_f32_e32 v10, v10, v12
	v_ldexp_f32 v27, v15, 1
	v_mul_f32_e32 v15, v15, v22
	v_mov_b32_e32 v12, 0x3f317218
	s_mov_b32 s2, 0x3f317218
	v_pk_mul_f32 v[12:13], v[14:15], v[12:13]
	v_fma_f32 v26, v14, s2, -v12
	v_fmac_f32_e32 v26, 0xb102e308, v14
	v_pk_add_f32 v[14:15], v[12:13], v[26:27]
	v_sub_f32_e32 v21, v15, v27
	v_ldexp_f32 v10, v10, 1
	v_sub_f32_e32 v21, v13, v21
	v_add_f32_e32 v29, v10, v21
	v_mov_b32_e32 v28, v12
	v_pk_add_f32 v[12:13], v[14:15], v[12:13] neg_lo:[0,1] neg_hi:[0,1]
	v_pk_add_f32 v[34:35], v[14:15], v[28:29]
	v_mov_b32_e32 v13, v35
	v_mov_b32_e32 v27, v14
	v_pk_add_f32 v[36:37], v[26:27], v[12:13] neg_lo:[0,1] neg_hi:[0,1]
	v_pk_add_f32 v[12:13], v[26:27], v[12:13]
	v_mov_b32_e32 v10, v13
	v_pk_add_f32 v[26:27], v[10:11], v[14:15] neg_lo:[0,1] neg_hi:[0,1]
	v_mov_b32_e32 v21, v26
	v_pk_add_f32 v[38:39], v[34:35], v[20:21] neg_lo:[0,1] neg_hi:[0,1]
	v_mov_b32_e32 v12, v35
	v_mov_b32_e32 v34, v15
	;; [unrolled: 1-line block ×4, first 2 shown]
	v_pk_add_f32 v[12:13], v[12:13], v[34:35] neg_lo:[0,1] neg_hi:[0,1]
	v_mov_b32_e32 v26, v29
	v_mov_b32_e32 v27, v14
	v_pk_add_f32 v[12:13], v[26:27], v[12:13] neg_lo:[0,1] neg_hi:[0,1]
	v_mov_b32_e32 v38, v36
	v_pk_add_f32 v[14:15], v[38:39], v[12:13]
	v_mov_b32_e32 v22, v15
	v_pk_add_f32 v[26:27], v[14:15], v[22:23]
	v_pk_add_f32 v[28:29], v[10:11], v[26:27]
	v_mov_b32_e32 v15, v28
	v_pk_add_f32 v[34:35], v[14:15], v[36:37] neg_lo:[0,1] neg_hi:[0,1]
	v_mov_b32_e32 v13, v26
	v_sub_f32_e32 v10, v14, v34
	v_pk_add_f32 v[12:13], v[12:13], v[34:35] neg_lo:[0,1] neg_hi:[0,1]
	v_sub_f32_e32 v10, v36, v10
	s_mov_b32 s3, 0x7f800000
	v_add_f32_e32 v10, v12, v10
	s_mov_b32 s2, 0x33800000
	v_add_f32_e32 v10, v10, v13
	v_cmp_eq_f32_e32 vcc, s3, v40
	v_cmp_lt_f32_e64 s[2:3], |v40|, s2
	v_add_f32_e32 v10, v28, v10
	s_or_b64 vcc, vcc, s[2:3]
	v_cndmask_b32_e32 v10, v10, v40, vcc
	v_add_f32_e32 v10, v11, v10
.LBB155_286:
	s_or_b64 exec, exec, s[0:1]
	v_max_f32_e32 v11, v10, v10
	v_min_f32_e32 v12, v11, v16
	v_cmp_u_f32_e32 vcc, v10, v10
	v_max_f32_e32 v11, v11, v16
	v_cndmask_b32_e32 v12, v12, v10, vcc
	v_cndmask_b32_e32 v11, v11, v10, vcc
	v_cndmask_b32_e64 v13, v12, v23, s[18:19]
	v_cndmask_b32_e64 v12, v11, v23, s[18:19]
	s_movk_i32 s2, 0x1f8
	v_cmp_neq_f32_e32 vcc, v13, v12
	v_cmp_class_f32_e64 s[0:1], v13, s2
	s_or_b64 s[4:5], vcc, s[0:1]
	v_mov_b32_e32 v11, v10
	s_and_saveexec_b64 s[0:1], s[4:5]
	s_cbranch_execz .LBB155_288
; %bb.287:
	v_sub_f32_e32 v11, v13, v12
	s_mov_b32 s3, 0x3fb8aa3b
	v_mul_f32_e32 v13, 0x3fb8aa3b, v11
	v_fma_f32 v14, v11, s3, -v13
	v_rndne_f32_e32 v15, v13
	v_fmac_f32_e32 v14, 0x32a5705f, v11
	v_sub_f32_e32 v13, v13, v15
	v_add_f32_e32 v13, v13, v14
	v_exp_f32_e32 v13, v13
	v_cvt_i32_f32_e32 v14, v15
	s_mov_b32 s3, 0xc2ce8ed0
	v_cmp_ngt_f32_e32 vcc, s3, v11
	s_mov_b32 s3, 0x42b17218
	v_ldexp_f32 v13, v13, v14
	v_cndmask_b32_e32 v13, 0, v13, vcc
	v_mov_b32_e32 v14, 0x7f800000
	v_cmp_nlt_f32_e32 vcc, s3, v11
	v_cndmask_b32_e32 v13, v14, v13, vcc
	v_add_f32_e32 v11, 1.0, v13
	v_add_f32_e32 v14, -1.0, v11
	v_sub_f32_e32 v15, v14, v11
	v_add_f32_e32 v15, 1.0, v15
	v_sub_f32_e32 v14, v13, v14
	v_add_f32_e32 v16, v14, v15
	v_frexp_mant_f32_e32 v21, v11
	s_mov_b32 s3, 0x3f2aaaab
	v_cvt_f64_f32_e32 v[14:15], v11
	v_frexp_exp_i32_f64_e32 v14, v[14:15]
	v_cmp_gt_f32_e32 vcc, s3, v21
	v_subbrev_co_u32_e32 v21, vcc, 0, v14, vcc
	v_sub_u32_e32 v14, 0, v21
	v_ldexp_f32 v11, v11, v14
	v_ldexp_f32 v14, v16, v14
	v_add_f32_e32 v16, -1.0, v11
	v_add_f32_e32 v15, 1.0, v16
	v_sub_f32_e32 v15, v11, v15
	v_add_f32_e32 v22, v14, v15
	v_add_f32_e32 v15, 1.0, v11
	v_add_f32_e32 v23, -1.0, v15
	v_sub_f32_e32 v11, v11, v23
	v_add_f32_e32 v11, v14, v11
	v_add_f32_e32 v34, v15, v11
	v_rcp_f32_e32 v35, v34
	v_sub_f32_e32 v14, v15, v34
	v_add_f32_e32 v15, v16, v22
	v_add_f32_e32 v11, v11, v14
	v_sub_f32_e32 v14, v16, v15
	s_waitcnt lgkmcnt(0)
	v_mul_f32_e32 v36, v15, v35
	v_add_f32_e32 v16, v22, v14
	v_mul_f32_e32 v22, v34, v36
	v_fma_f32 v26, v36, v34, -v22
	v_fmac_f32_e32 v26, v36, v11
	v_add_f32_e32 v14, v22, v26
	v_sub_f32_e32 v23, v15, v14
	v_pk_add_f32 v[28:29], v[14:15], v[22:23] neg_lo:[0,1] neg_hi:[0,1]
	v_mov_b32_e32 v27, v14
	v_pk_add_f32 v[14:15], v[28:29], v[26:27] neg_lo:[0,1] neg_hi:[0,1]
	v_add_f32_e32 v15, v16, v15
	v_add_f32_e32 v14, v14, v15
	;; [unrolled: 1-line block ×3, first 2 shown]
	v_mul_f32_e32 v16, v35, v15
	v_mul_f32_e32 v22, v34, v16
	v_fma_f32 v26, v16, v34, -v22
	v_fmac_f32_e32 v26, v16, v11
	v_sub_f32_e32 v11, v23, v15
	v_add_f32_e32 v11, v14, v11
	v_add_f32_e32 v14, v22, v26
	v_sub_f32_e32 v23, v15, v14
	v_pk_add_f32 v[28:29], v[14:15], v[22:23] neg_lo:[0,1] neg_hi:[0,1]
	v_mov_b32_e32 v27, v14
	v_pk_add_f32 v[14:15], v[28:29], v[26:27] neg_lo:[0,1] neg_hi:[0,1]
	v_add_f32_e32 v11, v11, v15
	v_add_f32_e32 v11, v14, v11
	;; [unrolled: 1-line block ×4, first 2 shown]
	v_sub_f32_e32 v15, v14, v36
	v_mul_f32_e32 v11, v35, v11
	v_sub_f32_e32 v15, v16, v15
	v_add_f32_e32 v11, v15, v11
	v_add_f32_e32 v16, v14, v11
	v_mul_f32_e32 v23, v16, v16
	v_mov_b32_e32 v22, 0x3ecc95a3
	v_fmac_f32_e32 v22, 0x3e9b6dac, v23
	v_mov_b32_e32 v15, 0x3f2aaada
	v_fmac_f32_e32 v15, v23, v22
	v_cvt_f32_i32_e32 v22, v21
	v_sub_f32_e32 v14, v16, v14
	v_sub_f32_e32 v11, v11, v14
	v_mul_f32_e32 v23, v16, v23
	v_mov_b32_e32 v14, 0x3f317218
	s_mov_b32 s3, 0x3f317218
	v_pk_mul_f32 v[14:15], v[22:23], v[14:15]
	v_fma_f32 v26, v22, s3, -v14
	v_ldexp_f32 v27, v16, 1
	v_fmac_f32_e32 v26, 0xb102e308, v22
	v_pk_add_f32 v[22:23], v[14:15], v[26:27]
	v_sub_f32_e32 v16, v23, v27
	v_ldexp_f32 v11, v11, 1
	v_sub_f32_e32 v16, v15, v16
	v_add_f32_e32 v29, v11, v16
	v_mov_b32_e32 v28, v14
	v_pk_add_f32 v[14:15], v[22:23], v[14:15] neg_lo:[0,1] neg_hi:[0,1]
	v_pk_add_f32 v[34:35], v[22:23], v[28:29]
	v_mov_b32_e32 v15, v35
	v_mov_b32_e32 v27, v22
	v_pk_add_f32 v[36:37], v[26:27], v[14:15] neg_lo:[0,1] neg_hi:[0,1]
	v_pk_add_f32 v[14:15], v[26:27], v[14:15]
	v_mov_b32_e32 v16, v15
	v_pk_add_f32 v[26:27], v[16:17], v[22:23] neg_lo:[0,1] neg_hi:[0,1]
	v_mov_b32_e32 v11, v26
	v_pk_add_f32 v[38:39], v[34:35], v[10:11] neg_lo:[0,1] neg_hi:[0,1]
	v_mov_b32_e32 v14, v35
	v_mov_b32_e32 v34, v23
	;; [unrolled: 1-line block ×4, first 2 shown]
	v_pk_add_f32 v[14:15], v[14:15], v[34:35] neg_lo:[0,1] neg_hi:[0,1]
	v_mov_b32_e32 v26, v29
	v_mov_b32_e32 v27, v22
	v_pk_add_f32 v[14:15], v[26:27], v[14:15] neg_lo:[0,1] neg_hi:[0,1]
	v_mov_b32_e32 v38, v36
	v_pk_add_f32 v[22:23], v[38:39], v[14:15]
	v_mov_b32_e32 v26, v23
	v_pk_add_f32 v[26:27], v[22:23], v[26:27]
	v_pk_add_f32 v[28:29], v[16:17], v[26:27]
	v_mov_b32_e32 v23, v28
	v_pk_add_f32 v[34:35], v[22:23], v[36:37] neg_lo:[0,1] neg_hi:[0,1]
	v_mov_b32_e32 v15, v26
	v_sub_f32_e32 v11, v22, v34
	v_pk_add_f32 v[14:15], v[14:15], v[34:35] neg_lo:[0,1] neg_hi:[0,1]
	v_sub_f32_e32 v11, v36, v11
	s_mov_b32 s4, 0x7f800000
	v_add_f32_e32 v11, v14, v11
	s_mov_b32 s3, 0x33800000
	v_add_f32_e32 v11, v11, v15
	v_cmp_eq_f32_e32 vcc, s4, v13
	v_cmp_lt_f32_e64 s[4:5], |v13|, s3
	v_add_f32_e32 v11, v28, v11
	s_or_b64 vcc, vcc, s[4:5]
	v_cndmask_b32_e32 v11, v11, v13, vcc
	v_add_f32_e32 v11, v12, v11
.LBB155_288:
	s_or_b64 exec, exec, s[0:1]
	v_max_f32_e32 v12, v11, v11
	v_min_f32_e32 v13, v12, v17
	v_cmp_u_f32_e32 vcc, v11, v11
	v_max_f32_e32 v12, v12, v17
	v_cndmask_b32_e32 v13, v13, v11, vcc
	v_cndmask_b32_e32 v12, v12, v11, vcc
	v_cndmask_b32_e64 v14, v13, v24, s[20:21]
	v_cndmask_b32_e64 v13, v12, v24, s[20:21]
	v_cmp_neq_f32_e32 vcc, v14, v13
	v_cmp_class_f32_e64 s[0:1], v14, s2
	s_or_b64 s[2:3], vcc, s[0:1]
	v_mov_b32_e32 v12, v11
	s_and_saveexec_b64 s[0:1], s[2:3]
	s_cbranch_execz .LBB155_290
; %bb.289:
	v_sub_f32_e32 v12, v14, v13
	s_mov_b32 s2, 0x3fb8aa3b
	v_mul_f32_e32 v14, 0x3fb8aa3b, v12
	v_fma_f32 v15, v12, s2, -v14
	v_rndne_f32_e32 v16, v14
	v_fmac_f32_e32 v15, 0x32a5705f, v12
	v_sub_f32_e32 v14, v14, v16
	v_add_f32_e32 v14, v14, v15
	v_exp_f32_e32 v14, v14
	v_cvt_i32_f32_e32 v15, v16
	s_mov_b32 s2, 0xc2ce8ed0
	v_cmp_ngt_f32_e32 vcc, s2, v12
	s_mov_b32 s2, 0x42b17218
	v_ldexp_f32 v14, v14, v15
	v_cndmask_b32_e32 v14, 0, v14, vcc
	v_mov_b32_e32 v15, 0x7f800000
	v_cmp_nlt_f32_e32 vcc, s2, v12
	v_cndmask_b32_e32 v24, v15, v14, vcc
	v_add_f32_e32 v12, 1.0, v24
	v_add_f32_e32 v14, -1.0, v12
	v_sub_f32_e32 v15, v14, v12
	v_add_f32_e32 v15, 1.0, v15
	v_sub_f32_e32 v14, v24, v14
	v_add_f32_e32 v16, v14, v15
	v_frexp_mant_f32_e32 v17, v12
	s_mov_b32 s2, 0x3f2aaaab
	v_cvt_f64_f32_e32 v[14:15], v12
	v_frexp_exp_i32_f64_e32 v14, v[14:15]
	v_cmp_gt_f32_e32 vcc, s2, v17
	v_subbrev_co_u32_e32 v21, vcc, 0, v14, vcc
	v_sub_u32_e32 v14, 0, v21
	v_ldexp_f32 v12, v12, v14
	v_ldexp_f32 v14, v16, v14
	v_add_f32_e32 v16, -1.0, v12
	v_add_f32_e32 v15, 1.0, v16
	v_sub_f32_e32 v15, v12, v15
	v_add_f32_e32 v17, v14, v15
	v_add_f32_e32 v15, 1.0, v12
	v_add_f32_e32 v22, -1.0, v15
	v_sub_f32_e32 v12, v12, v22
	v_add_f32_e32 v12, v14, v12
	v_add_f32_e32 v28, v15, v12
	v_rcp_f32_e32 v29, v28
	v_sub_f32_e32 v14, v15, v28
	v_add_f32_e32 v15, v16, v17
	v_add_f32_e32 v12, v12, v14
	v_mul_f32_e32 v35, v15, v29
	v_sub_f32_e32 v14, v16, v15
	v_mul_f32_e32 v16, v28, v35
	v_fma_f32 v22, v35, v28, -v16
	v_fmac_f32_e32 v22, v35, v12
	v_add_f32_e32 v34, v17, v14
	v_add_f32_e32 v14, v16, v22
	v_sub_f32_e32 v17, v15, v14
	v_pk_add_f32 v[26:27], v[14:15], v[16:17] neg_lo:[0,1] neg_hi:[0,1]
	v_mov_b32_e32 v23, v14
	v_pk_add_f32 v[14:15], v[26:27], v[22:23] neg_lo:[0,1] neg_hi:[0,1]
	v_add_f32_e32 v15, v34, v15
	v_add_f32_e32 v14, v14, v15
	;; [unrolled: 1-line block ×3, first 2 shown]
	v_mul_f32_e32 v34, v29, v15
	v_mul_f32_e32 v16, v28, v34
	v_fma_f32 v22, v34, v28, -v16
	v_fmac_f32_e32 v22, v34, v12
	v_sub_f32_e32 v12, v17, v15
	v_add_f32_e32 v12, v14, v12
	v_add_f32_e32 v14, v16, v22
	v_sub_f32_e32 v17, v15, v14
	v_pk_add_f32 v[26:27], v[14:15], v[16:17] neg_lo:[0,1] neg_hi:[0,1]
	v_mov_b32_e32 v23, v14
	v_pk_add_f32 v[14:15], v[26:27], v[22:23] neg_lo:[0,1] neg_hi:[0,1]
	v_add_f32_e32 v12, v12, v15
	v_add_f32_e32 v12, v14, v12
	;; [unrolled: 1-line block ×4, first 2 shown]
	v_sub_f32_e32 v15, v14, v35
	v_mul_f32_e32 v12, v29, v12
	v_sub_f32_e32 v15, v34, v15
	v_add_f32_e32 v12, v15, v12
	v_add_f32_e32 v17, v14, v12
	v_mul_f32_e32 v22, v17, v17
	v_mov_b32_e32 v16, 0x3ecc95a3
	v_fmac_f32_e32 v16, 0x3e9b6dac, v22
	v_mov_b32_e32 v15, 0x3f2aaada
	v_fmac_f32_e32 v15, v22, v16
	v_cvt_f32_i32_e32 v16, v21
	v_sub_f32_e32 v14, v17, v14
	v_sub_f32_e32 v12, v12, v14
	v_ldexp_f32 v23, v17, 1
	v_mul_f32_e32 v17, v17, v22
	v_mov_b32_e32 v14, 0x3f317218
	s_mov_b32 s2, 0x3f317218
	v_pk_mul_f32 v[14:15], v[16:17], v[14:15]
	v_fma_f32 v22, v16, s2, -v14
	v_fmac_f32_e32 v22, 0xb102e308, v16
	v_pk_add_f32 v[16:17], v[14:15], v[22:23]
	v_sub_f32_e32 v21, v17, v23
	v_ldexp_f32 v12, v12, 1
	v_sub_f32_e32 v21, v15, v21
	v_add_f32_e32 v27, v12, v21
	v_mov_b32_e32 v26, v14
	v_pk_add_f32 v[14:15], v[16:17], v[14:15] neg_lo:[0,1] neg_hi:[0,1]
	v_pk_add_f32 v[28:29], v[16:17], v[26:27]
	v_mov_b32_e32 v15, v29
	v_mov_b32_e32 v23, v16
	v_pk_add_f32 v[34:35], v[22:23], v[14:15] neg_lo:[0,1] neg_hi:[0,1]
	v_pk_add_f32 v[14:15], v[22:23], v[14:15]
	v_mov_b32_e32 v12, v15
	v_pk_add_f32 v[22:23], v[12:13], v[16:17] neg_lo:[0,1] neg_hi:[0,1]
	v_mov_b32_e32 v21, v22
	s_waitcnt lgkmcnt(0)
	v_pk_add_f32 v[36:37], v[28:29], v[20:21] neg_lo:[0,1] neg_hi:[0,1]
	v_mov_b32_e32 v14, v29
	v_mov_b32_e32 v28, v17
	;; [unrolled: 1-line block ×4, first 2 shown]
	v_pk_add_f32 v[14:15], v[14:15], v[28:29] neg_lo:[0,1] neg_hi:[0,1]
	v_mov_b32_e32 v22, v27
	v_mov_b32_e32 v23, v16
	v_pk_add_f32 v[14:15], v[22:23], v[14:15] neg_lo:[0,1] neg_hi:[0,1]
	v_mov_b32_e32 v36, v34
	v_pk_add_f32 v[16:17], v[36:37], v[14:15]
	v_mov_b32_e32 v22, v17
	v_pk_add_f32 v[22:23], v[16:17], v[22:23]
	v_pk_add_f32 v[26:27], v[12:13], v[22:23]
	v_mov_b32_e32 v17, v26
	v_pk_add_f32 v[28:29], v[16:17], v[34:35] neg_lo:[0,1] neg_hi:[0,1]
	v_mov_b32_e32 v15, v22
	v_sub_f32_e32 v12, v16, v28
	v_pk_add_f32 v[14:15], v[14:15], v[28:29] neg_lo:[0,1] neg_hi:[0,1]
	v_sub_f32_e32 v12, v34, v12
	s_mov_b32 s3, 0x7f800000
	v_add_f32_e32 v12, v14, v12
	s_mov_b32 s2, 0x33800000
	v_add_f32_e32 v12, v12, v15
	v_cmp_eq_f32_e32 vcc, s3, v24
	v_cmp_lt_f32_e64 s[2:3], |v24|, s2
	v_add_f32_e32 v12, v26, v12
	s_or_b64 vcc, vcc, s[2:3]
	v_cndmask_b32_e32 v12, v12, v24, vcc
	v_add_f32_e32 v12, v13, v12
.LBB155_290:
	s_or_b64 exec, exec, s[0:1]
	v_max_f32_e32 v13, v12, v12
	v_min_f32_e32 v14, v13, v18
	v_cmp_u_f32_e32 vcc, v12, v12
	v_max_f32_e32 v13, v13, v18
	v_cndmask_b32_e32 v14, v14, v12, vcc
	v_cndmask_b32_e32 v13, v13, v12, vcc
	v_cndmask_b32_e64 v15, v14, v25, s[22:23]
	v_cndmask_b32_e64 v14, v13, v25, s[22:23]
	s_movk_i32 s2, 0x1f8
	v_cmp_neq_f32_e32 vcc, v15, v14
	v_cmp_class_f32_e64 s[0:1], v15, s2
	s_or_b64 s[4:5], vcc, s[0:1]
	v_mov_b32_e32 v13, v12
	s_and_saveexec_b64 s[0:1], s[4:5]
	s_cbranch_execz .LBB155_292
; %bb.291:
	v_sub_f32_e32 v13, v15, v14
	s_mov_b32 s3, 0x3fb8aa3b
	v_mul_f32_e32 v15, 0x3fb8aa3b, v13
	v_fma_f32 v16, v13, s3, -v15
	v_rndne_f32_e32 v17, v15
	v_fmac_f32_e32 v16, 0x32a5705f, v13
	v_sub_f32_e32 v15, v15, v17
	v_add_f32_e32 v15, v15, v16
	v_exp_f32_e32 v15, v15
	v_cvt_i32_f32_e32 v16, v17
	s_mov_b32 s3, 0xc2ce8ed0
	v_cmp_ngt_f32_e32 vcc, s3, v13
	s_mov_b32 s3, 0x42b17218
	v_ldexp_f32 v15, v15, v16
	v_cndmask_b32_e32 v15, 0, v15, vcc
	v_mov_b32_e32 v16, 0x7f800000
	v_cmp_nlt_f32_e32 vcc, s3, v13
	v_cndmask_b32_e32 v15, v16, v15, vcc
	v_add_f32_e32 v13, 1.0, v15
	v_add_f32_e32 v16, -1.0, v13
	v_sub_f32_e32 v17, v16, v13
	v_add_f32_e32 v17, 1.0, v17
	v_sub_f32_e32 v16, v15, v16
	v_add_f32_e32 v18, v16, v17
	v_frexp_mant_f32_e32 v21, v13
	s_mov_b32 s3, 0x3f2aaaab
	v_cvt_f64_f32_e32 v[16:17], v13
	v_frexp_exp_i32_f64_e32 v16, v[16:17]
	v_cmp_gt_f32_e32 vcc, s3, v21
	v_subbrev_co_u32_e32 v21, vcc, 0, v16, vcc
	v_sub_u32_e32 v16, 0, v21
	v_ldexp_f32 v13, v13, v16
	v_ldexp_f32 v16, v18, v16
	v_add_f32_e32 v18, -1.0, v13
	v_add_f32_e32 v17, 1.0, v18
	v_sub_f32_e32 v17, v13, v17
	v_add_f32_e32 v22, v16, v17
	v_add_f32_e32 v17, 1.0, v13
	v_add_f32_e32 v23, -1.0, v17
	v_sub_f32_e32 v13, v13, v23
	v_add_f32_e32 v13, v16, v13
	v_add_f32_e32 v28, v17, v13
	v_rcp_f32_e32 v29, v28
	v_sub_f32_e32 v16, v17, v28
	v_add_f32_e32 v17, v18, v22
	v_add_f32_e32 v13, v13, v16
	v_sub_f32_e32 v16, v18, v17
	v_mul_f32_e32 v34, v17, v29
	v_add_f32_e32 v18, v22, v16
	v_mul_f32_e32 v22, v28, v34
	v_fma_f32 v24, v34, v28, -v22
	v_fmac_f32_e32 v24, v34, v13
	v_add_f32_e32 v16, v22, v24
	v_sub_f32_e32 v23, v17, v16
	v_pk_add_f32 v[26:27], v[16:17], v[22:23] neg_lo:[0,1] neg_hi:[0,1]
	v_mov_b32_e32 v25, v16
	v_pk_add_f32 v[16:17], v[26:27], v[24:25] neg_lo:[0,1] neg_hi:[0,1]
	v_add_f32_e32 v17, v18, v17
	v_add_f32_e32 v16, v16, v17
	;; [unrolled: 1-line block ×3, first 2 shown]
	v_mul_f32_e32 v18, v29, v17
	v_mul_f32_e32 v22, v28, v18
	v_fma_f32 v24, v18, v28, -v22
	v_fmac_f32_e32 v24, v18, v13
	v_sub_f32_e32 v13, v23, v17
	v_add_f32_e32 v13, v16, v13
	v_add_f32_e32 v16, v22, v24
	v_sub_f32_e32 v23, v17, v16
	v_pk_add_f32 v[26:27], v[16:17], v[22:23] neg_lo:[0,1] neg_hi:[0,1]
	v_mov_b32_e32 v25, v16
	v_pk_add_f32 v[16:17], v[26:27], v[24:25] neg_lo:[0,1] neg_hi:[0,1]
	v_add_f32_e32 v13, v13, v17
	v_add_f32_e32 v13, v16, v13
	;; [unrolled: 1-line block ×4, first 2 shown]
	v_sub_f32_e32 v17, v16, v34
	v_mul_f32_e32 v13, v29, v13
	v_sub_f32_e32 v17, v18, v17
	v_add_f32_e32 v13, v17, v13
	v_add_f32_e32 v18, v16, v13
	v_mul_f32_e32 v23, v18, v18
	v_mov_b32_e32 v22, 0x3ecc95a3
	v_fmac_f32_e32 v22, 0x3e9b6dac, v23
	v_mov_b32_e32 v17, 0x3f2aaada
	v_fmac_f32_e32 v17, v23, v22
	v_cvt_f32_i32_e32 v22, v21
	v_sub_f32_e32 v16, v18, v16
	v_sub_f32_e32 v13, v13, v16
	v_mul_f32_e32 v23, v18, v23
	v_mov_b32_e32 v16, 0x3f317218
	s_mov_b32 s3, 0x3f317218
	v_pk_mul_f32 v[16:17], v[22:23], v[16:17]
	v_fma_f32 v24, v22, s3, -v16
	v_ldexp_f32 v25, v18, 1
	v_fmac_f32_e32 v24, 0xb102e308, v22
	v_pk_add_f32 v[22:23], v[16:17], v[24:25]
	v_sub_f32_e32 v18, v23, v25
	v_ldexp_f32 v13, v13, 1
	v_sub_f32_e32 v18, v17, v18
	v_add_f32_e32 v27, v13, v18
	v_mov_b32_e32 v26, v16
	v_pk_add_f32 v[16:17], v[22:23], v[16:17] neg_lo:[0,1] neg_hi:[0,1]
	v_pk_add_f32 v[28:29], v[22:23], v[26:27]
	v_mov_b32_e32 v17, v29
	v_mov_b32_e32 v25, v22
	v_pk_add_f32 v[34:35], v[24:25], v[16:17] neg_lo:[0,1] neg_hi:[0,1]
	v_pk_add_f32 v[16:17], v[24:25], v[16:17]
	v_mov_b32_e32 v18, v17
	v_pk_add_f32 v[24:25], v[18:19], v[22:23] neg_lo:[0,1] neg_hi:[0,1]
	v_mov_b32_e32 v13, v24
	s_waitcnt lgkmcnt(0)
	v_pk_add_f32 v[36:37], v[28:29], v[12:13] neg_lo:[0,1] neg_hi:[0,1]
	v_mov_b32_e32 v16, v29
	v_mov_b32_e32 v28, v23
	;; [unrolled: 1-line block ×4, first 2 shown]
	v_pk_add_f32 v[16:17], v[16:17], v[28:29] neg_lo:[0,1] neg_hi:[0,1]
	v_mov_b32_e32 v24, v27
	v_mov_b32_e32 v25, v22
	v_pk_add_f32 v[16:17], v[24:25], v[16:17] neg_lo:[0,1] neg_hi:[0,1]
	v_mov_b32_e32 v36, v34
	v_pk_add_f32 v[22:23], v[36:37], v[16:17]
	v_mov_b32_e32 v24, v23
	v_pk_add_f32 v[24:25], v[22:23], v[24:25]
	v_pk_add_f32 v[26:27], v[18:19], v[24:25]
	v_mov_b32_e32 v23, v26
	v_pk_add_f32 v[28:29], v[22:23], v[34:35] neg_lo:[0,1] neg_hi:[0,1]
	v_mov_b32_e32 v17, v24
	v_sub_f32_e32 v13, v22, v28
	v_pk_add_f32 v[16:17], v[16:17], v[28:29] neg_lo:[0,1] neg_hi:[0,1]
	v_sub_f32_e32 v13, v34, v13
	s_mov_b32 s4, 0x7f800000
	v_add_f32_e32 v13, v16, v13
	s_mov_b32 s3, 0x33800000
	v_add_f32_e32 v13, v13, v17
	v_cmp_eq_f32_e32 vcc, s4, v15
	v_cmp_lt_f32_e64 s[4:5], |v15|, s3
	v_add_f32_e32 v13, v26, v13
	s_or_b64 vcc, vcc, s[4:5]
	v_cndmask_b32_e32 v13, v13, v15, vcc
	v_add_f32_e32 v13, v14, v13
.LBB155_292:
	s_or_b64 exec, exec, s[0:1]
	v_max_f32_e32 v14, v13, v13
	v_min_f32_e32 v15, v14, v19
	v_cmp_u_f32_e32 vcc, v13, v13
	v_max_f32_e32 v14, v14, v19
	v_cndmask_b32_e32 v15, v15, v13, vcc
	v_cndmask_b32_e32 v14, v14, v13, vcc
	v_cndmask_b32_e64 v16, v15, v30, s[24:25]
	v_cndmask_b32_e64 v15, v14, v30, s[24:25]
	v_cmp_neq_f32_e32 vcc, v16, v15
	v_cmp_class_f32_e64 s[0:1], v16, s2
	s_or_b64 s[2:3], vcc, s[0:1]
	v_mov_b32_e32 v14, v13
	s_and_saveexec_b64 s[0:1], s[2:3]
	s_cbranch_execz .LBB155_294
; %bb.293:
	v_sub_f32_e32 v14, v16, v15
	s_mov_b32 s2, 0x3fb8aa3b
	v_mul_f32_e32 v16, 0x3fb8aa3b, v14
	v_fma_f32 v17, v14, s2, -v16
	v_rndne_f32_e32 v18, v16
	v_fmac_f32_e32 v17, 0x32a5705f, v14
	v_sub_f32_e32 v16, v16, v18
	v_add_f32_e32 v16, v16, v17
	v_exp_f32_e32 v16, v16
	v_cvt_i32_f32_e32 v17, v18
	s_mov_b32 s2, 0xc2ce8ed0
	v_cmp_ngt_f32_e32 vcc, s2, v14
	s_mov_b32 s2, 0x42b17218
	v_ldexp_f32 v16, v16, v17
	v_cndmask_b32_e32 v16, 0, v16, vcc
	v_mov_b32_e32 v17, 0x7f800000
	v_cmp_nlt_f32_e32 vcc, s2, v14
	v_cndmask_b32_e32 v30, v17, v16, vcc
	v_add_f32_e32 v14, 1.0, v30
	v_add_f32_e32 v16, -1.0, v14
	v_sub_f32_e32 v17, v16, v14
	v_add_f32_e32 v17, 1.0, v17
	v_sub_f32_e32 v16, v30, v16
	v_add_f32_e32 v18, v16, v17
	v_frexp_mant_f32_e32 v19, v14
	s_mov_b32 s2, 0x3f2aaaab
	v_cvt_f64_f32_e32 v[16:17], v14
	v_frexp_exp_i32_f64_e32 v16, v[16:17]
	v_cmp_gt_f32_e32 vcc, s2, v19
	v_subbrev_co_u32_e32 v21, vcc, 0, v16, vcc
	v_sub_u32_e32 v16, 0, v21
	v_ldexp_f32 v14, v14, v16
	v_ldexp_f32 v16, v18, v16
	v_add_f32_e32 v18, -1.0, v14
	v_add_f32_e32 v17, 1.0, v18
	v_sub_f32_e32 v17, v14, v17
	v_add_f32_e32 v19, v16, v17
	v_add_f32_e32 v17, 1.0, v14
	v_add_f32_e32 v22, -1.0, v17
	v_sub_f32_e32 v14, v14, v22
	v_add_f32_e32 v14, v16, v14
	v_add_f32_e32 v26, v17, v14
	v_rcp_f32_e32 v27, v26
	v_sub_f32_e32 v16, v17, v26
	v_add_f32_e32 v17, v18, v19
	v_add_f32_e32 v14, v14, v16
	v_mul_f32_e32 v29, v17, v27
	v_sub_f32_e32 v16, v18, v17
	v_mul_f32_e32 v18, v26, v29
	v_fma_f32 v22, v29, v26, -v18
	v_fmac_f32_e32 v22, v29, v14
	v_add_f32_e32 v28, v19, v16
	v_add_f32_e32 v16, v18, v22
	v_sub_f32_e32 v19, v17, v16
	v_pk_add_f32 v[24:25], v[16:17], v[18:19] neg_lo:[0,1] neg_hi:[0,1]
	v_mov_b32_e32 v23, v16
	v_pk_add_f32 v[16:17], v[24:25], v[22:23] neg_lo:[0,1] neg_hi:[0,1]
	v_add_f32_e32 v17, v28, v17
	v_add_f32_e32 v16, v16, v17
	;; [unrolled: 1-line block ×3, first 2 shown]
	v_mul_f32_e32 v28, v27, v17
	v_mul_f32_e32 v18, v26, v28
	v_fma_f32 v22, v28, v26, -v18
	v_fmac_f32_e32 v22, v28, v14
	v_sub_f32_e32 v14, v19, v17
	v_add_f32_e32 v14, v16, v14
	v_add_f32_e32 v16, v18, v22
	v_sub_f32_e32 v19, v17, v16
	v_pk_add_f32 v[24:25], v[16:17], v[18:19] neg_lo:[0,1] neg_hi:[0,1]
	v_mov_b32_e32 v23, v16
	v_pk_add_f32 v[16:17], v[24:25], v[22:23] neg_lo:[0,1] neg_hi:[0,1]
	v_add_f32_e32 v14, v14, v17
	v_add_f32_e32 v14, v16, v14
	;; [unrolled: 1-line block ×4, first 2 shown]
	v_sub_f32_e32 v17, v16, v29
	v_mul_f32_e32 v14, v27, v14
	v_sub_f32_e32 v17, v28, v17
	v_add_f32_e32 v14, v17, v14
	v_add_f32_e32 v19, v16, v14
	v_mul_f32_e32 v22, v19, v19
	v_mov_b32_e32 v18, 0x3ecc95a3
	v_fmac_f32_e32 v18, 0x3e9b6dac, v22
	v_mov_b32_e32 v17, 0x3f2aaada
	v_fmac_f32_e32 v17, v22, v18
	v_cvt_f32_i32_e32 v18, v21
	v_sub_f32_e32 v16, v19, v16
	v_sub_f32_e32 v14, v14, v16
	v_ldexp_f32 v23, v19, 1
	v_mul_f32_e32 v19, v19, v22
	v_mov_b32_e32 v16, 0x3f317218
	s_mov_b32 s2, 0x3f317218
	v_pk_mul_f32 v[16:17], v[18:19], v[16:17]
	v_fma_f32 v22, v18, s2, -v16
	v_fmac_f32_e32 v22, 0xb102e308, v18
	v_pk_add_f32 v[18:19], v[16:17], v[22:23]
	v_sub_f32_e32 v21, v19, v23
	v_ldexp_f32 v14, v14, 1
	v_sub_f32_e32 v21, v17, v21
	v_add_f32_e32 v25, v14, v21
	v_mov_b32_e32 v24, v16
	v_pk_add_f32 v[16:17], v[18:19], v[16:17] neg_lo:[0,1] neg_hi:[0,1]
	v_pk_add_f32 v[26:27], v[18:19], v[24:25]
	v_mov_b32_e32 v17, v27
	v_mov_b32_e32 v23, v18
	v_pk_add_f32 v[28:29], v[22:23], v[16:17] neg_lo:[0,1] neg_hi:[0,1]
	v_pk_add_f32 v[16:17], v[22:23], v[16:17]
	v_mov_b32_e32 v14, v17
	v_pk_add_f32 v[22:23], v[14:15], v[18:19] neg_lo:[0,1] neg_hi:[0,1]
	v_mov_b32_e32 v21, v22
	v_pk_add_f32 v[34:35], v[26:27], v[20:21] neg_lo:[0,1] neg_hi:[0,1]
	v_mov_b32_e32 v16, v27
	v_mov_b32_e32 v26, v19
	v_mov_b32_e32 v27, v22
	v_mov_b32_e32 v29, v17
	v_pk_add_f32 v[16:17], v[16:17], v[26:27] neg_lo:[0,1] neg_hi:[0,1]
	v_mov_b32_e32 v22, v25
	v_mov_b32_e32 v23, v18
	v_pk_add_f32 v[16:17], v[22:23], v[16:17] neg_lo:[0,1] neg_hi:[0,1]
	v_mov_b32_e32 v34, v28
	v_pk_add_f32 v[18:19], v[34:35], v[16:17]
	v_mov_b32_e32 v22, v19
	v_pk_add_f32 v[22:23], v[18:19], v[22:23]
	v_pk_add_f32 v[24:25], v[14:15], v[22:23]
	v_mov_b32_e32 v19, v24
	v_pk_add_f32 v[26:27], v[18:19], v[28:29] neg_lo:[0,1] neg_hi:[0,1]
	v_mov_b32_e32 v17, v22
	v_sub_f32_e32 v14, v18, v26
	v_pk_add_f32 v[16:17], v[16:17], v[26:27] neg_lo:[0,1] neg_hi:[0,1]
	v_sub_f32_e32 v14, v28, v14
	s_mov_b32 s3, 0x7f800000
	v_add_f32_e32 v14, v16, v14
	s_mov_b32 s2, 0x33800000
	v_add_f32_e32 v14, v14, v17
	v_cmp_eq_f32_e32 vcc, s3, v30
	v_cmp_lt_f32_e64 s[2:3], |v30|, s2
	v_add_f32_e32 v14, v24, v14
	s_or_b64 vcc, vcc, s[2:3]
	v_cndmask_b32_e32 v14, v14, v30, vcc
	v_add_f32_e32 v14, v15, v14
.LBB155_294:
	s_or_b64 exec, exec, s[0:1]
	v_max_f32_e32 v15, v14, v14
	v_min_f32_e32 v16, v15, v20
	v_cmp_u_f32_e32 vcc, v14, v14
	v_max_f32_e32 v15, v15, v20
	v_cndmask_b32_e32 v16, v16, v14, vcc
	v_cndmask_b32_e32 v15, v15, v14, vcc
	v_cndmask_b32_e64 v17, v16, v31, s[26:27]
	v_cndmask_b32_e64 v16, v15, v31, s[26:27]
	s_movk_i32 s0, 0x1f8
	v_cmp_neq_f32_e32 vcc, v17, v16
	v_cmp_class_f32_e64 s[0:1], v17, s0
	s_or_b64 s[2:3], vcc, s[0:1]
	v_mov_b32_e32 v15, v14
	s_and_saveexec_b64 s[0:1], s[2:3]
	s_cbranch_execz .LBB155_296
; %bb.295:
	v_sub_f32_e32 v15, v17, v16
	s_mov_b32 s2, 0x3fb8aa3b
	v_mul_f32_e32 v17, 0x3fb8aa3b, v15
	v_fma_f32 v18, v15, s2, -v17
	v_rndne_f32_e32 v19, v17
	v_fmac_f32_e32 v18, 0x32a5705f, v15
	v_sub_f32_e32 v17, v17, v19
	v_add_f32_e32 v17, v17, v18
	v_exp_f32_e32 v17, v17
	v_cvt_i32_f32_e32 v18, v19
	s_mov_b32 s2, 0xc2ce8ed0
	v_cmp_ngt_f32_e32 vcc, s2, v15
	s_mov_b32 s2, 0x42b17218
	v_ldexp_f32 v17, v17, v18
	v_cndmask_b32_e32 v17, 0, v17, vcc
	v_mov_b32_e32 v18, 0x7f800000
	v_cmp_nlt_f32_e32 vcc, s2, v15
	v_cndmask_b32_e32 v17, v18, v17, vcc
	v_add_f32_e32 v15, 1.0, v17
	v_add_f32_e32 v18, -1.0, v15
	v_sub_f32_e32 v19, v18, v15
	v_add_f32_e32 v19, 1.0, v19
	v_sub_f32_e32 v18, v17, v18
	v_add_f32_e32 v20, v18, v19
	v_frexp_mant_f32_e32 v21, v15
	s_mov_b32 s2, 0x3f2aaaab
	v_cvt_f64_f32_e32 v[18:19], v15
	v_frexp_exp_i32_f64_e32 v18, v[18:19]
	v_cmp_gt_f32_e32 vcc, s2, v21
	v_subbrev_co_u32_e32 v26, vcc, 0, v18, vcc
	v_sub_u32_e32 v18, 0, v26
	v_ldexp_f32 v15, v15, v18
	v_ldexp_f32 v18, v20, v18
	v_add_f32_e32 v20, -1.0, v15
	v_add_f32_e32 v19, 1.0, v20
	v_sub_f32_e32 v19, v15, v19
	v_add_f32_e32 v21, v18, v19
	v_add_f32_e32 v19, 1.0, v15
	v_add_f32_e32 v22, -1.0, v19
	v_sub_f32_e32 v15, v15, v22
	v_add_f32_e32 v15, v18, v15
	v_add_f32_e32 v27, v19, v15
	v_rcp_f32_e32 v28, v27
	v_sub_f32_e32 v18, v19, v27
	v_add_f32_e32 v19, v20, v21
	v_add_f32_e32 v15, v15, v18
	v_mul_f32_e32 v30, v19, v28
	v_sub_f32_e32 v18, v20, v19
	v_mul_f32_e32 v20, v27, v30
	v_fma_f32 v22, v30, v27, -v20
	v_fmac_f32_e32 v22, v30, v15
	v_add_f32_e32 v29, v21, v18
	v_add_f32_e32 v18, v20, v22
	v_sub_f32_e32 v21, v19, v18
	v_pk_add_f32 v[24:25], v[18:19], v[20:21] neg_lo:[0,1] neg_hi:[0,1]
	v_mov_b32_e32 v23, v18
	v_pk_add_f32 v[18:19], v[24:25], v[22:23] neg_lo:[0,1] neg_hi:[0,1]
	v_add_f32_e32 v19, v29, v19
	v_add_f32_e32 v18, v18, v19
	;; [unrolled: 1-line block ×3, first 2 shown]
	v_mul_f32_e32 v29, v28, v19
	v_mul_f32_e32 v20, v27, v29
	v_fma_f32 v22, v29, v27, -v20
	v_fmac_f32_e32 v22, v29, v15
	v_sub_f32_e32 v15, v21, v19
	v_add_f32_e32 v15, v18, v15
	v_add_f32_e32 v18, v20, v22
	v_sub_f32_e32 v21, v19, v18
	v_pk_add_f32 v[24:25], v[18:19], v[20:21] neg_lo:[0,1] neg_hi:[0,1]
	v_mov_b32_e32 v23, v18
	v_pk_add_f32 v[18:19], v[24:25], v[22:23] neg_lo:[0,1] neg_hi:[0,1]
	v_add_f32_e32 v15, v15, v19
	v_add_f32_e32 v15, v18, v15
	;; [unrolled: 1-line block ×4, first 2 shown]
	v_sub_f32_e32 v19, v18, v30
	v_mul_f32_e32 v15, v28, v15
	v_sub_f32_e32 v19, v29, v19
	v_add_f32_e32 v15, v19, v15
	v_add_f32_e32 v21, v18, v15
	v_mul_f32_e32 v22, v21, v21
	v_mov_b32_e32 v20, 0x3ecc95a3
	v_fmac_f32_e32 v20, 0x3e9b6dac, v22
	v_mov_b32_e32 v19, 0x3f2aaada
	v_fmac_f32_e32 v19, v22, v20
	v_cvt_f32_i32_e32 v20, v26
	v_sub_f32_e32 v18, v21, v18
	v_sub_f32_e32 v15, v15, v18
	v_ldexp_f32 v23, v21, 1
	v_mul_f32_e32 v21, v21, v22
	v_mov_b32_e32 v18, 0x3f317218
	s_mov_b32 s2, 0x3f317218
	v_pk_mul_f32 v[18:19], v[20:21], v[18:19]
	v_fma_f32 v22, v20, s2, -v18
	v_fmac_f32_e32 v22, 0xb102e308, v20
	v_pk_add_f32 v[20:21], v[18:19], v[22:23]
	v_sub_f32_e32 v23, v21, v23
	v_ldexp_f32 v15, v15, 1
	v_sub_f32_e32 v23, v19, v23
	v_add_f32_e32 v25, v15, v23
	v_mov_b32_e32 v24, v18
	v_pk_add_f32 v[18:19], v[20:21], v[18:19] neg_lo:[0,1] neg_hi:[0,1]
	v_pk_add_f32 v[26:27], v[20:21], v[24:25]
	v_mov_b32_e32 v19, v27
	v_mov_b32_e32 v23, v20
	v_pk_add_f32 v[28:29], v[22:23], v[18:19] neg_lo:[0,1] neg_hi:[0,1]
	v_pk_add_f32 v[18:19], v[22:23], v[18:19]
	v_mov_b32_e32 v22, v19
	v_pk_add_f32 v[30:31], v[22:23], v[20:21] neg_lo:[0,1] neg_hi:[0,1]
	v_mov_b32_e32 v15, v30
	v_pk_add_f32 v[34:35], v[26:27], v[14:15] neg_lo:[0,1] neg_hi:[0,1]
	v_mov_b32_e32 v18, v27
	v_mov_b32_e32 v26, v21
	;; [unrolled: 1-line block ×4, first 2 shown]
	v_pk_add_f32 v[18:19], v[18:19], v[26:27] neg_lo:[0,1] neg_hi:[0,1]
	v_mov_b32_e32 v24, v25
	v_mov_b32_e32 v25, v20
	v_pk_add_f32 v[18:19], v[24:25], v[18:19] neg_lo:[0,1] neg_hi:[0,1]
	v_mov_b32_e32 v34, v28
	v_pk_add_f32 v[20:21], v[34:35], v[18:19]
	v_mov_b32_e32 v24, v21
	v_pk_add_f32 v[24:25], v[20:21], v[24:25]
	v_pk_add_f32 v[22:23], v[22:23], v[24:25]
	v_mov_b32_e32 v21, v22
	v_pk_add_f32 v[26:27], v[20:21], v[28:29] neg_lo:[0,1] neg_hi:[0,1]
	v_mov_b32_e32 v19, v24
	v_sub_f32_e32 v15, v20, v26
	v_pk_add_f32 v[18:19], v[18:19], v[26:27] neg_lo:[0,1] neg_hi:[0,1]
	v_sub_f32_e32 v15, v28, v15
	s_mov_b32 s3, 0x7f800000
	v_add_f32_e32 v15, v18, v15
	s_mov_b32 s2, 0x33800000
	v_add_f32_e32 v15, v15, v19
	v_cmp_eq_f32_e32 vcc, s3, v17
	v_cmp_lt_f32_e64 s[2:3], |v17|, s2
	v_add_f32_e32 v15, v22, v15
	s_or_b64 vcc, vcc, s[2:3]
	v_cndmask_b32_e32 v15, v15, v17, vcc
	v_add_f32_e32 v15, v16, v15
.LBB155_296:
	s_or_b64 exec, exec, s[0:1]
	s_movk_i32 s0, 0x7f
	v_cmp_eq_u32_e32 vcc, s0, v0
	s_and_saveexec_b64 s[0:1], vcc
	s_cbranch_execz .LBB155_298
; %bb.297:
	v_mov_b32_e32 v18, 0
	v_mov_b32_e32 v17, 2
	;; [unrolled: 1-line block ×3, first 2 shown]
	global_store_dwordx2 v18, v[16:17], s[56:57] offset:512
.LBB155_298:
	s_or_b64 exec, exec, s[0:1]
	v_pk_mov_b32 v[20:21], v[16:17], v[16:17] op_sel:[0,1]
	v_pk_mov_b32 v[18:19], v[14:15], v[14:15] op_sel:[0,1]
	;; [unrolled: 1-line block ×8, first 2 shown]
.LBB155_299:
	s_add_u32 s0, s52, s50
	s_addc_u32 s1, s53, s51
	s_add_u32 s0, s0, s54
	s_addc_u32 s1, s1, s55
	s_mov_b64 s[2:3], -1
	s_and_b64 vcc, exec, s[48:49]
	s_waitcnt lgkmcnt(0)
	s_barrier
	s_cbranch_vccz .LBB155_301
; %bb.300:
	ds_write2_b64 v1, v[6:7], v[8:9] offset1:1
	ds_write2_b64 v1, v[10:11], v[12:13] offset0:2 offset1:3
	ds_write2_b64 v1, v[14:15], v[16:17] offset0:4 offset1:5
	ds_write_b64 v1, v[18:19] offset:48
	s_waitcnt lgkmcnt(0)
	s_barrier
	ds_read2st64_b32 v[2:3], v32 offset1:2
	ds_read2st64_b32 v[4:5], v32 offset0:4 offset1:6
	ds_read2st64_b32 v[20:21], v32 offset0:8 offset1:10
	;; [unrolled: 1-line block ×6, first 2 shown]
	v_mov_b32_e32 v30, s1
	v_add_co_u32_e32 v31, vcc, s0, v32
	v_addc_co_u32_e32 v30, vcc, 0, v30, vcc
	s_waitcnt lgkmcnt(6)
	global_store_dword v32, v2, s[0:1]
	global_store_dword v32, v3, s[0:1] offset:512
	s_waitcnt lgkmcnt(5)
	global_store_dword v32, v4, s[0:1] offset:1024
	global_store_dword v32, v5, s[0:1] offset:1536
	s_waitcnt lgkmcnt(4)
	global_store_dword v32, v20, s[0:1] offset:2048
	;; [unrolled: 3-line block ×3, first 2 shown]
	global_store_dword v32, v23, s[0:1] offset:3584
	v_add_co_u32_e32 v2, vcc, 0x1000, v31
	v_addc_co_u32_e32 v3, vcc, 0, v30, vcc
	s_waitcnt lgkmcnt(2)
	global_store_dword v[2:3], v24, off
	global_store_dword v[2:3], v25, off offset:512
	s_waitcnt lgkmcnt(1)
	global_store_dword v[2:3], v26, off offset:1024
	global_store_dword v[2:3], v27, off offset:1536
	s_waitcnt lgkmcnt(0)
	global_store_dword v[2:3], v28, off offset:2048
	global_store_dword v[2:3], v29, off offset:2560
	s_mov_b64 s[2:3], 0
.LBB155_301:
	s_andn2_b64 vcc, exec, s[2:3]
	s_cbranch_vccnz .LBB155_381
; %bb.302:
	ds_write2_b64 v1, v[6:7], v[8:9] offset1:1
	ds_write2_b64 v1, v[10:11], v[12:13] offset0:2 offset1:3
	ds_write2_b64 v1, v[14:15], v[16:17] offset0:4 offset1:5
	ds_write_b64 v1, v[18:19] offset:48
	s_waitcnt lgkmcnt(0)
	s_barrier
	ds_read2st64_b32 v[4:5], v32 offset1:2
	ds_read2st64_b32 v[6:7], v32 offset0:4 offset1:6
	ds_read2st64_b32 v[8:9], v32 offset0:8 offset1:10
	;; [unrolled: 1-line block ×6, first 2 shown]
	v_mov_b32_e32 v17, s1
	v_add_co_u32_e32 v16, vcc, s0, v32
	v_addc_co_u32_e32 v17, vcc, 0, v17, vcc
	v_mov_b32_e32 v1, 0
	v_cmp_gt_u32_e32 vcc, s33, v0
	s_and_saveexec_b64 s[0:1], vcc
	s_cbranch_execz .LBB155_304
; %bb.303:
	s_waitcnt lgkmcnt(6)
	global_store_dword v[16:17], v4, off
.LBB155_304:
	s_or_b64 exec, exec, s[0:1]
	v_or_b32_e32 v18, 0x80, v0
	v_cmp_gt_u32_e32 vcc, s33, v18
	s_and_saveexec_b64 s[0:1], vcc
	s_cbranch_execz .LBB155_306
; %bb.305:
	s_waitcnt lgkmcnt(6)
	global_store_dword v[16:17], v5, off offset:512
.LBB155_306:
	s_or_b64 exec, exec, s[0:1]
	v_or_b32_e32 v18, 0x100, v0
	v_cmp_gt_u32_e32 vcc, s33, v18
	s_and_saveexec_b64 s[0:1], vcc
	s_cbranch_execz .LBB155_308
; %bb.307:
	s_waitcnt lgkmcnt(5)
	global_store_dword v[16:17], v6, off offset:1024
.LBB155_308:
	;; [unrolled: 9-line block ×7, first 2 shown]
	s_or_b64 exec, exec, s[0:1]
	v_or_b32_e32 v18, 0x400, v0
	v_cmp_gt_u32_e32 vcc, s33, v18
	s_and_saveexec_b64 s[0:1], vcc
	s_cbranch_execz .LBB155_320
; %bb.319:
	v_add_co_u32_e32 v18, vcc, 0x1000, v16
	v_addc_co_u32_e32 v19, vcc, 0, v17, vcc
	s_waitcnt lgkmcnt(2)
	global_store_dword v[18:19], v12, off
.LBB155_320:
	s_or_b64 exec, exec, s[0:1]
	v_or_b32_e32 v18, 0x480, v0
	v_cmp_gt_u32_e32 vcc, s33, v18
	s_and_saveexec_b64 s[0:1], vcc
	s_cbranch_execz .LBB155_322
; %bb.321:
	v_add_co_u32_e32 v18, vcc, 0x1000, v16
	v_addc_co_u32_e32 v19, vcc, 0, v17, vcc
	s_waitcnt lgkmcnt(2)
	global_store_dword v[18:19], v13, off offset:512
.LBB155_322:
	s_or_b64 exec, exec, s[0:1]
	v_or_b32_e32 v18, 0x500, v0
	v_cmp_gt_u32_e32 vcc, s33, v18
	s_and_saveexec_b64 s[0:1], vcc
	s_cbranch_execz .LBB155_324
; %bb.323:
	v_add_co_u32_e32 v18, vcc, 0x1000, v16
	v_addc_co_u32_e32 v19, vcc, 0, v17, vcc
	s_waitcnt lgkmcnt(1)
	global_store_dword v[18:19], v10, off offset:1024
.LBB155_324:
	;; [unrolled: 11-line block ×5, first 2 shown]
	s_or_b64 exec, exec, s[0:1]
	v_cmp_lt_u64_e64 s[0:1], s[46:47], 2
	s_and_b64 vcc, exec, s[0:1]
	s_cbranch_vccnz .LBB155_381
; %bb.331:
	s_add_u32 s0, s33, -1
	s_addc_u32 s1, s62, -1
	s_add_u32 s2, 0, 0x49240800
	s_addc_u32 s3, 0, 50
	s_add_i32 s3, s3, 0x12492460
	s_mul_hi_u32 s7, s2, -14
	s_sub_i32 s7, s7, s2
	s_mul_i32 s8, s3, -14
	s_mul_i32 s4, s2, -14
	s_add_i32 s7, s7, s8
	s_mul_hi_u32 s5, s3, s4
	s_mul_i32 s6, s3, s4
	s_mul_i32 s9, s2, s7
	s_mul_hi_u32 s4, s2, s4
	s_mul_hi_u32 s8, s2, s7
	s_add_u32 s4, s4, s9
	s_addc_u32 s8, 0, s8
	s_add_u32 s4, s4, s6
	s_mul_hi_u32 s9, s3, s7
	s_addc_u32 s4, s8, s5
	s_addc_u32 s5, s9, 0
	s_mul_i32 s6, s3, s7
	s_add_u32 s4, s4, s6
	v_mov_b32_e32 v16, s4
	s_addc_u32 s5, 0, s5
	v_add_co_u32_e32 v16, vcc, s2, v16
	s_cmp_lg_u64 vcc, 0
	s_addc_u32 s2, s3, s5
	v_readfirstlane_b32 s5, v16
	s_mul_i32 s4, s0, s2
	s_mul_hi_u32 s6, s0, s5
	s_mul_hi_u32 s3, s0, s2
	s_add_u32 s4, s6, s4
	s_addc_u32 s3, 0, s3
	s_mul_hi_u32 s7, s1, s5
	s_mul_i32 s5, s1, s5
	s_add_u32 s4, s4, s5
	s_mul_hi_u32 s6, s1, s2
	s_addc_u32 s3, s3, s7
	s_addc_u32 s4, s6, 0
	s_mul_i32 s2, s1, s2
	s_add_u32 s2, s3, s2
	s_addc_u32 s3, 0, s4
	s_add_u32 s4, s2, 1
	s_addc_u32 s5, s3, 0
	s_add_u32 s6, s2, 2
	s_mul_i32 s8, s3, 14
	s_mul_hi_u32 s9, s2, 14
	s_addc_u32 s7, s3, 0
	s_add_i32 s9, s9, s8
	s_mul_i32 s8, s2, 14
	v_mov_b32_e32 v16, s8
	v_sub_co_u32_e32 v16, vcc, s0, v16
	s_cmp_lg_u64 vcc, 0
	s_subb_u32 s8, s1, s9
	v_subrev_co_u32_e32 v17, vcc, 14, v16
	s_cmp_lg_u64 vcc, 0
	s_subb_u32 s9, s8, 0
	v_readfirstlane_b32 s10, v17
	s_cmp_gt_u32 s10, 13
	s_cselect_b32 s10, -1, 0
	s_cmp_eq_u32 s9, 0
	s_cselect_b32 s9, s10, -1
	s_cmp_lg_u32 s9, 0
	s_cselect_b32 s4, s6, s4
	v_readfirstlane_b32 s6, v16
	s_cselect_b32 s5, s7, s5
	s_cmp_gt_u32 s6, 13
	s_cselect_b32 s6, -1, 0
	s_cmp_eq_u32 s8, 0
	s_cselect_b32 s6, s6, -1
	s_cmp_lg_u32 s6, 0
	s_cselect_b32 s3, s5, s3
	s_cselect_b32 s2, s4, s2
	v_cmp_eq_u64_e32 vcc, s[2:3], v[0:1]
	s_and_saveexec_b64 s[2:3], vcc
	s_cbranch_execz .LBB155_381
; %bb.332:
	v_mul_hi_u32_u24_e32 v1, 14, v0
	v_mov_b32_e32 v16, s1
	v_sub_co_u32_e32 v0, vcc, s0, v33
	v_subb_co_u32_e32 v1, vcc, v16, v1, vcc
	v_cmp_lt_i64_e32 vcc, 6, v[0:1]
	s_and_saveexec_b64 s[0:1], vcc
	s_xor_b64 s[0:1], exec, s[0:1]
	s_cbranch_execz .LBB155_358
; %bb.333:
	v_cmp_lt_i64_e32 vcc, 9, v[0:1]
	s_and_saveexec_b64 s[2:3], vcc
	s_xor_b64 s[2:3], exec, s[2:3]
	s_cbranch_execz .LBB155_347
; %bb.334:
	;; [unrolled: 5-line block ×4, first 2 shown]
	v_mov_b32_e32 v0, 0
	s_waitcnt lgkmcnt(0)
	global_store_dword v0, v15, s[42:43]
                                        ; implicit-def: $vgpr14_vgpr15
.LBB155_337:
	s_andn2_saveexec_b64 s[6:7], s[6:7]
	s_cbranch_execz .LBB155_339
; %bb.338:
	v_mov_b32_e32 v0, 0
	s_waitcnt lgkmcnt(0)
	global_store_dword v0, v14, s[42:43]
.LBB155_339:
	s_or_b64 exec, exec, s[6:7]
                                        ; implicit-def: $vgpr10_vgpr11
                                        ; implicit-def: $vgpr0_vgpr1
.LBB155_340:
	s_andn2_saveexec_b64 s[4:5], s[4:5]
	s_cbranch_execz .LBB155_346
; %bb.341:
	v_cmp_lt_i64_e32 vcc, 10, v[0:1]
	s_and_saveexec_b64 s[6:7], vcc
	s_xor_b64 s[6:7], exec, s[6:7]
	s_cbranch_execz .LBB155_343
; %bb.342:
	v_mov_b32_e32 v0, 0
	s_waitcnt lgkmcnt(1)
	global_store_dword v0, v11, s[42:43]
                                        ; implicit-def: $vgpr10_vgpr11
.LBB155_343:
	s_andn2_saveexec_b64 s[6:7], s[6:7]
	s_cbranch_execz .LBB155_345
; %bb.344:
	v_mov_b32_e32 v0, 0
	s_waitcnt lgkmcnt(1)
	global_store_dword v0, v10, s[42:43]
.LBB155_345:
	s_or_b64 exec, exec, s[6:7]
.LBB155_346:
	s_or_b64 exec, exec, s[4:5]
                                        ; implicit-def: $vgpr2_vgpr3
                                        ; implicit-def: $vgpr0_vgpr1
                                        ; implicit-def: $vgpr12_vgpr13
.LBB155_347:
	s_andn2_saveexec_b64 s[2:3], s[2:3]
	s_cbranch_execz .LBB155_357
; %bb.348:
	v_cmp_lt_i64_e32 vcc, 7, v[0:1]
	s_and_saveexec_b64 s[4:5], vcc
	s_xor_b64 s[4:5], exec, s[4:5]
	s_cbranch_execz .LBB155_354
; %bb.349:
	v_cmp_lt_i64_e32 vcc, 8, v[0:1]
	s_and_saveexec_b64 s[6:7], vcc
	s_xor_b64 s[6:7], exec, s[6:7]
	s_cbranch_execz .LBB155_351
; %bb.350:
	v_mov_b32_e32 v0, 0
	s_waitcnt lgkmcnt(2)
	global_store_dword v0, v13, s[42:43]
                                        ; implicit-def: $vgpr12_vgpr13
.LBB155_351:
	s_andn2_saveexec_b64 s[6:7], s[6:7]
	s_cbranch_execz .LBB155_353
; %bb.352:
	v_mov_b32_e32 v0, 0
	s_waitcnt lgkmcnt(2)
	global_store_dword v0, v12, s[42:43]
.LBB155_353:
	s_or_b64 exec, exec, s[6:7]
                                        ; implicit-def: $vgpr2_vgpr3
.LBB155_354:
	s_andn2_saveexec_b64 s[4:5], s[4:5]
	s_cbranch_execz .LBB155_356
; %bb.355:
	v_mov_b32_e32 v0, 0
	s_waitcnt lgkmcnt(3)
	global_store_dword v0, v3, s[42:43]
.LBB155_356:
	s_or_b64 exec, exec, s[4:5]
.LBB155_357:
	s_or_b64 exec, exec, s[2:3]
                                        ; implicit-def: $vgpr0_vgpr1
                                        ; implicit-def: $vgpr8_vgpr9
                                        ; implicit-def: $vgpr4_vgpr5
                                        ; implicit-def: $vgpr6_vgpr7
                                        ; implicit-def: $vgpr2_vgpr3
.LBB155_358:
	s_andn2_saveexec_b64 s[0:1], s[0:1]
	s_cbranch_execz .LBB155_381
; %bb.359:
	v_cmp_lt_i64_e32 vcc, 3, v[0:1]
	s_and_saveexec_b64 s[0:1], vcc
	s_xor_b64 s[0:1], exec, s[0:1]
	s_cbranch_execz .LBB155_369
; %bb.360:
	v_cmp_lt_i64_e32 vcc, 4, v[0:1]
	s_and_saveexec_b64 s[2:3], vcc
	s_xor_b64 s[2:3], exec, s[2:3]
	;; [unrolled: 5-line block ×3, first 2 shown]
	s_cbranch_execz .LBB155_363
; %bb.362:
	v_mov_b32_e32 v0, 0
	s_waitcnt lgkmcnt(3)
	global_store_dword v0, v2, s[42:43]
                                        ; implicit-def: $vgpr8_vgpr9
.LBB155_363:
	s_andn2_saveexec_b64 s[4:5], s[4:5]
	s_cbranch_execz .LBB155_365
; %bb.364:
	v_mov_b32_e32 v0, 0
	s_waitcnt lgkmcnt(4)
	global_store_dword v0, v9, s[42:43]
.LBB155_365:
	s_or_b64 exec, exec, s[4:5]
                                        ; implicit-def: $vgpr8_vgpr9
.LBB155_366:
	s_andn2_saveexec_b64 s[2:3], s[2:3]
	s_cbranch_execz .LBB155_368
; %bb.367:
	v_mov_b32_e32 v0, 0
	s_waitcnt lgkmcnt(4)
	global_store_dword v0, v8, s[42:43]
.LBB155_368:
	s_or_b64 exec, exec, s[2:3]
                                        ; implicit-def: $vgpr0_vgpr1
                                        ; implicit-def: $vgpr4_vgpr5
                                        ; implicit-def: $vgpr6_vgpr7
.LBB155_369:
	s_andn2_saveexec_b64 s[0:1], s[0:1]
	s_cbranch_execz .LBB155_381
; %bb.370:
	v_cmp_lt_i64_e32 vcc, 1, v[0:1]
	s_and_saveexec_b64 s[0:1], vcc
	s_xor_b64 s[0:1], exec, s[0:1]
	s_cbranch_execz .LBB155_376
; %bb.371:
	v_cmp_lt_i64_e32 vcc, 2, v[0:1]
	s_and_saveexec_b64 s[2:3], vcc
	s_xor_b64 s[2:3], exec, s[2:3]
	s_cbranch_execz .LBB155_373
; %bb.372:
	v_mov_b32_e32 v0, 0
	s_waitcnt lgkmcnt(5)
	global_store_dword v0, v7, s[42:43]
                                        ; implicit-def: $vgpr6_vgpr7
.LBB155_373:
	s_andn2_saveexec_b64 s[2:3], s[2:3]
	s_cbranch_execz .LBB155_375
; %bb.374:
	v_mov_b32_e32 v0, 0
	s_waitcnt lgkmcnt(5)
	global_store_dword v0, v6, s[42:43]
.LBB155_375:
	s_or_b64 exec, exec, s[2:3]
                                        ; implicit-def: $vgpr4_vgpr5
                                        ; implicit-def: $vgpr0_vgpr1
.LBB155_376:
	s_andn2_saveexec_b64 s[0:1], s[0:1]
	s_cbranch_execz .LBB155_381
; %bb.377:
	v_cmp_ne_u64_e32 vcc, 1, v[0:1]
	s_and_saveexec_b64 s[0:1], vcc
	s_xor_b64 s[0:1], exec, s[0:1]
	s_cbranch_execz .LBB155_379
; %bb.378:
	v_mov_b32_e32 v0, 0
	s_waitcnt lgkmcnt(6)
	global_store_dword v0, v4, s[42:43]
                                        ; implicit-def: $vgpr4_vgpr5
.LBB155_379:
	s_andn2_saveexec_b64 s[0:1], s[0:1]
	s_cbranch_execz .LBB155_381
; %bb.380:
	v_mov_b32_e32 v0, 0
	s_waitcnt lgkmcnt(6)
	global_store_dword v0, v5, s[42:43]
.LBB155_381:
	s_endpgm
	.section	.rodata,"a",@progbits
	.p2align	6, 0x0
	.amdhsa_kernel _ZN7rocprim17ROCPRIM_400000_NS6detail17trampoline_kernelINS0_14default_configENS1_20scan_config_selectorIfEEZZNS1_9scan_implILNS1_25lookback_scan_determinismE0ELb0ELb0ES3_PKfPffZZZN2at6native31launch_logcumsumexp_cuda_kernelERKNSB_10TensorBaseESF_lENKUlvE_clEvENKUlvE0_clEvEUlffE_fEEDaPvRmT3_T4_T5_mT6_P12ihipStream_tbENKUlT_T0_E_clISt17integral_constantIbLb0EESV_IbLb1EEEEDaSR_SS_EUlSR_E_NS1_11comp_targetILNS1_3genE4ELNS1_11target_archE910ELNS1_3gpuE8ELNS1_3repE0EEENS1_30default_config_static_selectorELNS0_4arch9wavefront6targetE1EEEvT1_
		.amdhsa_group_segment_fixed_size 7168
		.amdhsa_private_segment_fixed_size 0
		.amdhsa_kernarg_size 96
		.amdhsa_user_sgpr_count 6
		.amdhsa_user_sgpr_private_segment_buffer 1
		.amdhsa_user_sgpr_dispatch_ptr 0
		.amdhsa_user_sgpr_queue_ptr 0
		.amdhsa_user_sgpr_kernarg_segment_ptr 1
		.amdhsa_user_sgpr_dispatch_id 0
		.amdhsa_user_sgpr_flat_scratch_init 0
		.amdhsa_user_sgpr_kernarg_preload_length 0
		.amdhsa_user_sgpr_kernarg_preload_offset 0
		.amdhsa_user_sgpr_private_segment_size 0
		.amdhsa_uses_dynamic_stack 0
		.amdhsa_system_sgpr_private_segment_wavefront_offset 0
		.amdhsa_system_sgpr_workgroup_id_x 1
		.amdhsa_system_sgpr_workgroup_id_y 0
		.amdhsa_system_sgpr_workgroup_id_z 0
		.amdhsa_system_sgpr_workgroup_info 0
		.amdhsa_system_vgpr_workitem_id 0
		.amdhsa_next_free_vgpr 76
		.amdhsa_next_free_sgpr 72
		.amdhsa_accum_offset 76
		.amdhsa_reserve_vcc 1
		.amdhsa_reserve_flat_scratch 0
		.amdhsa_float_round_mode_32 0
		.amdhsa_float_round_mode_16_64 0
		.amdhsa_float_denorm_mode_32 3
		.amdhsa_float_denorm_mode_16_64 3
		.amdhsa_dx10_clamp 1
		.amdhsa_ieee_mode 1
		.amdhsa_fp16_overflow 0
		.amdhsa_tg_split 0
		.amdhsa_exception_fp_ieee_invalid_op 0
		.amdhsa_exception_fp_denorm_src 0
		.amdhsa_exception_fp_ieee_div_zero 0
		.amdhsa_exception_fp_ieee_overflow 0
		.amdhsa_exception_fp_ieee_underflow 0
		.amdhsa_exception_fp_ieee_inexact 0
		.amdhsa_exception_int_div_zero 0
	.end_amdhsa_kernel
	.section	.text._ZN7rocprim17ROCPRIM_400000_NS6detail17trampoline_kernelINS0_14default_configENS1_20scan_config_selectorIfEEZZNS1_9scan_implILNS1_25lookback_scan_determinismE0ELb0ELb0ES3_PKfPffZZZN2at6native31launch_logcumsumexp_cuda_kernelERKNSB_10TensorBaseESF_lENKUlvE_clEvENKUlvE0_clEvEUlffE_fEEDaPvRmT3_T4_T5_mT6_P12ihipStream_tbENKUlT_T0_E_clISt17integral_constantIbLb0EESV_IbLb1EEEEDaSR_SS_EUlSR_E_NS1_11comp_targetILNS1_3genE4ELNS1_11target_archE910ELNS1_3gpuE8ELNS1_3repE0EEENS1_30default_config_static_selectorELNS0_4arch9wavefront6targetE1EEEvT1_,"axG",@progbits,_ZN7rocprim17ROCPRIM_400000_NS6detail17trampoline_kernelINS0_14default_configENS1_20scan_config_selectorIfEEZZNS1_9scan_implILNS1_25lookback_scan_determinismE0ELb0ELb0ES3_PKfPffZZZN2at6native31launch_logcumsumexp_cuda_kernelERKNSB_10TensorBaseESF_lENKUlvE_clEvENKUlvE0_clEvEUlffE_fEEDaPvRmT3_T4_T5_mT6_P12ihipStream_tbENKUlT_T0_E_clISt17integral_constantIbLb0EESV_IbLb1EEEEDaSR_SS_EUlSR_E_NS1_11comp_targetILNS1_3genE4ELNS1_11target_archE910ELNS1_3gpuE8ELNS1_3repE0EEENS1_30default_config_static_selectorELNS0_4arch9wavefront6targetE1EEEvT1_,comdat
.Lfunc_end155:
	.size	_ZN7rocprim17ROCPRIM_400000_NS6detail17trampoline_kernelINS0_14default_configENS1_20scan_config_selectorIfEEZZNS1_9scan_implILNS1_25lookback_scan_determinismE0ELb0ELb0ES3_PKfPffZZZN2at6native31launch_logcumsumexp_cuda_kernelERKNSB_10TensorBaseESF_lENKUlvE_clEvENKUlvE0_clEvEUlffE_fEEDaPvRmT3_T4_T5_mT6_P12ihipStream_tbENKUlT_T0_E_clISt17integral_constantIbLb0EESV_IbLb1EEEEDaSR_SS_EUlSR_E_NS1_11comp_targetILNS1_3genE4ELNS1_11target_archE910ELNS1_3gpuE8ELNS1_3repE0EEENS1_30default_config_static_selectorELNS0_4arch9wavefront6targetE1EEEvT1_, .Lfunc_end155-_ZN7rocprim17ROCPRIM_400000_NS6detail17trampoline_kernelINS0_14default_configENS1_20scan_config_selectorIfEEZZNS1_9scan_implILNS1_25lookback_scan_determinismE0ELb0ELb0ES3_PKfPffZZZN2at6native31launch_logcumsumexp_cuda_kernelERKNSB_10TensorBaseESF_lENKUlvE_clEvENKUlvE0_clEvEUlffE_fEEDaPvRmT3_T4_T5_mT6_P12ihipStream_tbENKUlT_T0_E_clISt17integral_constantIbLb0EESV_IbLb1EEEEDaSR_SS_EUlSR_E_NS1_11comp_targetILNS1_3genE4ELNS1_11target_archE910ELNS1_3gpuE8ELNS1_3repE0EEENS1_30default_config_static_selectorELNS0_4arch9wavefront6targetE1EEEvT1_
                                        ; -- End function
	.section	.AMDGPU.csdata,"",@progbits
; Kernel info:
; codeLenInByte = 78384
; NumSgprs: 76
; NumVgprs: 76
; NumAgprs: 0
; TotalNumVgprs: 76
; ScratchSize: 0
; MemoryBound: 0
; FloatMode: 240
; IeeeMode: 1
; LDSByteSize: 7168 bytes/workgroup (compile time only)
; SGPRBlocks: 9
; VGPRBlocks: 9
; NumSGPRsForWavesPerEU: 76
; NumVGPRsForWavesPerEU: 76
; AccumOffset: 76
; Occupancy: 5
; WaveLimiterHint : 1
; COMPUTE_PGM_RSRC2:SCRATCH_EN: 0
; COMPUTE_PGM_RSRC2:USER_SGPR: 6
; COMPUTE_PGM_RSRC2:TRAP_HANDLER: 0
; COMPUTE_PGM_RSRC2:TGID_X_EN: 1
; COMPUTE_PGM_RSRC2:TGID_Y_EN: 0
; COMPUTE_PGM_RSRC2:TGID_Z_EN: 0
; COMPUTE_PGM_RSRC2:TIDIG_COMP_CNT: 0
; COMPUTE_PGM_RSRC3_GFX90A:ACCUM_OFFSET: 18
; COMPUTE_PGM_RSRC3_GFX90A:TG_SPLIT: 0
	.section	.text._ZN7rocprim17ROCPRIM_400000_NS6detail17trampoline_kernelINS0_14default_configENS1_20scan_config_selectorIfEEZZNS1_9scan_implILNS1_25lookback_scan_determinismE0ELb0ELb0ES3_PKfPffZZZN2at6native31launch_logcumsumexp_cuda_kernelERKNSB_10TensorBaseESF_lENKUlvE_clEvENKUlvE0_clEvEUlffE_fEEDaPvRmT3_T4_T5_mT6_P12ihipStream_tbENKUlT_T0_E_clISt17integral_constantIbLb0EESV_IbLb1EEEEDaSR_SS_EUlSR_E_NS1_11comp_targetILNS1_3genE3ELNS1_11target_archE908ELNS1_3gpuE7ELNS1_3repE0EEENS1_30default_config_static_selectorELNS0_4arch9wavefront6targetE1EEEvT1_,"axG",@progbits,_ZN7rocprim17ROCPRIM_400000_NS6detail17trampoline_kernelINS0_14default_configENS1_20scan_config_selectorIfEEZZNS1_9scan_implILNS1_25lookback_scan_determinismE0ELb0ELb0ES3_PKfPffZZZN2at6native31launch_logcumsumexp_cuda_kernelERKNSB_10TensorBaseESF_lENKUlvE_clEvENKUlvE0_clEvEUlffE_fEEDaPvRmT3_T4_T5_mT6_P12ihipStream_tbENKUlT_T0_E_clISt17integral_constantIbLb0EESV_IbLb1EEEEDaSR_SS_EUlSR_E_NS1_11comp_targetILNS1_3genE3ELNS1_11target_archE908ELNS1_3gpuE7ELNS1_3repE0EEENS1_30default_config_static_selectorELNS0_4arch9wavefront6targetE1EEEvT1_,comdat
	.globl	_ZN7rocprim17ROCPRIM_400000_NS6detail17trampoline_kernelINS0_14default_configENS1_20scan_config_selectorIfEEZZNS1_9scan_implILNS1_25lookback_scan_determinismE0ELb0ELb0ES3_PKfPffZZZN2at6native31launch_logcumsumexp_cuda_kernelERKNSB_10TensorBaseESF_lENKUlvE_clEvENKUlvE0_clEvEUlffE_fEEDaPvRmT3_T4_T5_mT6_P12ihipStream_tbENKUlT_T0_E_clISt17integral_constantIbLb0EESV_IbLb1EEEEDaSR_SS_EUlSR_E_NS1_11comp_targetILNS1_3genE3ELNS1_11target_archE908ELNS1_3gpuE7ELNS1_3repE0EEENS1_30default_config_static_selectorELNS0_4arch9wavefront6targetE1EEEvT1_ ; -- Begin function _ZN7rocprim17ROCPRIM_400000_NS6detail17trampoline_kernelINS0_14default_configENS1_20scan_config_selectorIfEEZZNS1_9scan_implILNS1_25lookback_scan_determinismE0ELb0ELb0ES3_PKfPffZZZN2at6native31launch_logcumsumexp_cuda_kernelERKNSB_10TensorBaseESF_lENKUlvE_clEvENKUlvE0_clEvEUlffE_fEEDaPvRmT3_T4_T5_mT6_P12ihipStream_tbENKUlT_T0_E_clISt17integral_constantIbLb0EESV_IbLb1EEEEDaSR_SS_EUlSR_E_NS1_11comp_targetILNS1_3genE3ELNS1_11target_archE908ELNS1_3gpuE7ELNS1_3repE0EEENS1_30default_config_static_selectorELNS0_4arch9wavefront6targetE1EEEvT1_
	.p2align	8
	.type	_ZN7rocprim17ROCPRIM_400000_NS6detail17trampoline_kernelINS0_14default_configENS1_20scan_config_selectorIfEEZZNS1_9scan_implILNS1_25lookback_scan_determinismE0ELb0ELb0ES3_PKfPffZZZN2at6native31launch_logcumsumexp_cuda_kernelERKNSB_10TensorBaseESF_lENKUlvE_clEvENKUlvE0_clEvEUlffE_fEEDaPvRmT3_T4_T5_mT6_P12ihipStream_tbENKUlT_T0_E_clISt17integral_constantIbLb0EESV_IbLb1EEEEDaSR_SS_EUlSR_E_NS1_11comp_targetILNS1_3genE3ELNS1_11target_archE908ELNS1_3gpuE7ELNS1_3repE0EEENS1_30default_config_static_selectorELNS0_4arch9wavefront6targetE1EEEvT1_,@function
_ZN7rocprim17ROCPRIM_400000_NS6detail17trampoline_kernelINS0_14default_configENS1_20scan_config_selectorIfEEZZNS1_9scan_implILNS1_25lookback_scan_determinismE0ELb0ELb0ES3_PKfPffZZZN2at6native31launch_logcumsumexp_cuda_kernelERKNSB_10TensorBaseESF_lENKUlvE_clEvENKUlvE0_clEvEUlffE_fEEDaPvRmT3_T4_T5_mT6_P12ihipStream_tbENKUlT_T0_E_clISt17integral_constantIbLb0EESV_IbLb1EEEEDaSR_SS_EUlSR_E_NS1_11comp_targetILNS1_3genE3ELNS1_11target_archE908ELNS1_3gpuE7ELNS1_3repE0EEENS1_30default_config_static_selectorELNS0_4arch9wavefront6targetE1EEEvT1_: ; @_ZN7rocprim17ROCPRIM_400000_NS6detail17trampoline_kernelINS0_14default_configENS1_20scan_config_selectorIfEEZZNS1_9scan_implILNS1_25lookback_scan_determinismE0ELb0ELb0ES3_PKfPffZZZN2at6native31launch_logcumsumexp_cuda_kernelERKNSB_10TensorBaseESF_lENKUlvE_clEvENKUlvE0_clEvEUlffE_fEEDaPvRmT3_T4_T5_mT6_P12ihipStream_tbENKUlT_T0_E_clISt17integral_constantIbLb0EESV_IbLb1EEEEDaSR_SS_EUlSR_E_NS1_11comp_targetILNS1_3genE3ELNS1_11target_archE908ELNS1_3gpuE7ELNS1_3repE0EEENS1_30default_config_static_selectorELNS0_4arch9wavefront6targetE1EEEvT1_
; %bb.0:
	.section	.rodata,"a",@progbits
	.p2align	6, 0x0
	.amdhsa_kernel _ZN7rocprim17ROCPRIM_400000_NS6detail17trampoline_kernelINS0_14default_configENS1_20scan_config_selectorIfEEZZNS1_9scan_implILNS1_25lookback_scan_determinismE0ELb0ELb0ES3_PKfPffZZZN2at6native31launch_logcumsumexp_cuda_kernelERKNSB_10TensorBaseESF_lENKUlvE_clEvENKUlvE0_clEvEUlffE_fEEDaPvRmT3_T4_T5_mT6_P12ihipStream_tbENKUlT_T0_E_clISt17integral_constantIbLb0EESV_IbLb1EEEEDaSR_SS_EUlSR_E_NS1_11comp_targetILNS1_3genE3ELNS1_11target_archE908ELNS1_3gpuE7ELNS1_3repE0EEENS1_30default_config_static_selectorELNS0_4arch9wavefront6targetE1EEEvT1_
		.amdhsa_group_segment_fixed_size 0
		.amdhsa_private_segment_fixed_size 0
		.amdhsa_kernarg_size 96
		.amdhsa_user_sgpr_count 6
		.amdhsa_user_sgpr_private_segment_buffer 1
		.amdhsa_user_sgpr_dispatch_ptr 0
		.amdhsa_user_sgpr_queue_ptr 0
		.amdhsa_user_sgpr_kernarg_segment_ptr 1
		.amdhsa_user_sgpr_dispatch_id 0
		.amdhsa_user_sgpr_flat_scratch_init 0
		.amdhsa_user_sgpr_kernarg_preload_length 0
		.amdhsa_user_sgpr_kernarg_preload_offset 0
		.amdhsa_user_sgpr_private_segment_size 0
		.amdhsa_uses_dynamic_stack 0
		.amdhsa_system_sgpr_private_segment_wavefront_offset 0
		.amdhsa_system_sgpr_workgroup_id_x 1
		.amdhsa_system_sgpr_workgroup_id_y 0
		.amdhsa_system_sgpr_workgroup_id_z 0
		.amdhsa_system_sgpr_workgroup_info 0
		.amdhsa_system_vgpr_workitem_id 0
		.amdhsa_next_free_vgpr 1
		.amdhsa_next_free_sgpr 0
		.amdhsa_accum_offset 4
		.amdhsa_reserve_vcc 0
		.amdhsa_reserve_flat_scratch 0
		.amdhsa_float_round_mode_32 0
		.amdhsa_float_round_mode_16_64 0
		.amdhsa_float_denorm_mode_32 3
		.amdhsa_float_denorm_mode_16_64 3
		.amdhsa_dx10_clamp 1
		.amdhsa_ieee_mode 1
		.amdhsa_fp16_overflow 0
		.amdhsa_tg_split 0
		.amdhsa_exception_fp_ieee_invalid_op 0
		.amdhsa_exception_fp_denorm_src 0
		.amdhsa_exception_fp_ieee_div_zero 0
		.amdhsa_exception_fp_ieee_overflow 0
		.amdhsa_exception_fp_ieee_underflow 0
		.amdhsa_exception_fp_ieee_inexact 0
		.amdhsa_exception_int_div_zero 0
	.end_amdhsa_kernel
	.section	.text._ZN7rocprim17ROCPRIM_400000_NS6detail17trampoline_kernelINS0_14default_configENS1_20scan_config_selectorIfEEZZNS1_9scan_implILNS1_25lookback_scan_determinismE0ELb0ELb0ES3_PKfPffZZZN2at6native31launch_logcumsumexp_cuda_kernelERKNSB_10TensorBaseESF_lENKUlvE_clEvENKUlvE0_clEvEUlffE_fEEDaPvRmT3_T4_T5_mT6_P12ihipStream_tbENKUlT_T0_E_clISt17integral_constantIbLb0EESV_IbLb1EEEEDaSR_SS_EUlSR_E_NS1_11comp_targetILNS1_3genE3ELNS1_11target_archE908ELNS1_3gpuE7ELNS1_3repE0EEENS1_30default_config_static_selectorELNS0_4arch9wavefront6targetE1EEEvT1_,"axG",@progbits,_ZN7rocprim17ROCPRIM_400000_NS6detail17trampoline_kernelINS0_14default_configENS1_20scan_config_selectorIfEEZZNS1_9scan_implILNS1_25lookback_scan_determinismE0ELb0ELb0ES3_PKfPffZZZN2at6native31launch_logcumsumexp_cuda_kernelERKNSB_10TensorBaseESF_lENKUlvE_clEvENKUlvE0_clEvEUlffE_fEEDaPvRmT3_T4_T5_mT6_P12ihipStream_tbENKUlT_T0_E_clISt17integral_constantIbLb0EESV_IbLb1EEEEDaSR_SS_EUlSR_E_NS1_11comp_targetILNS1_3genE3ELNS1_11target_archE908ELNS1_3gpuE7ELNS1_3repE0EEENS1_30default_config_static_selectorELNS0_4arch9wavefront6targetE1EEEvT1_,comdat
.Lfunc_end156:
	.size	_ZN7rocprim17ROCPRIM_400000_NS6detail17trampoline_kernelINS0_14default_configENS1_20scan_config_selectorIfEEZZNS1_9scan_implILNS1_25lookback_scan_determinismE0ELb0ELb0ES3_PKfPffZZZN2at6native31launch_logcumsumexp_cuda_kernelERKNSB_10TensorBaseESF_lENKUlvE_clEvENKUlvE0_clEvEUlffE_fEEDaPvRmT3_T4_T5_mT6_P12ihipStream_tbENKUlT_T0_E_clISt17integral_constantIbLb0EESV_IbLb1EEEEDaSR_SS_EUlSR_E_NS1_11comp_targetILNS1_3genE3ELNS1_11target_archE908ELNS1_3gpuE7ELNS1_3repE0EEENS1_30default_config_static_selectorELNS0_4arch9wavefront6targetE1EEEvT1_, .Lfunc_end156-_ZN7rocprim17ROCPRIM_400000_NS6detail17trampoline_kernelINS0_14default_configENS1_20scan_config_selectorIfEEZZNS1_9scan_implILNS1_25lookback_scan_determinismE0ELb0ELb0ES3_PKfPffZZZN2at6native31launch_logcumsumexp_cuda_kernelERKNSB_10TensorBaseESF_lENKUlvE_clEvENKUlvE0_clEvEUlffE_fEEDaPvRmT3_T4_T5_mT6_P12ihipStream_tbENKUlT_T0_E_clISt17integral_constantIbLb0EESV_IbLb1EEEEDaSR_SS_EUlSR_E_NS1_11comp_targetILNS1_3genE3ELNS1_11target_archE908ELNS1_3gpuE7ELNS1_3repE0EEENS1_30default_config_static_selectorELNS0_4arch9wavefront6targetE1EEEvT1_
                                        ; -- End function
	.section	.AMDGPU.csdata,"",@progbits
; Kernel info:
; codeLenInByte = 0
; NumSgprs: 4
; NumVgprs: 0
; NumAgprs: 0
; TotalNumVgprs: 0
; ScratchSize: 0
; MemoryBound: 0
; FloatMode: 240
; IeeeMode: 1
; LDSByteSize: 0 bytes/workgroup (compile time only)
; SGPRBlocks: 0
; VGPRBlocks: 0
; NumSGPRsForWavesPerEU: 4
; NumVGPRsForWavesPerEU: 1
; AccumOffset: 4
; Occupancy: 8
; WaveLimiterHint : 0
; COMPUTE_PGM_RSRC2:SCRATCH_EN: 0
; COMPUTE_PGM_RSRC2:USER_SGPR: 6
; COMPUTE_PGM_RSRC2:TRAP_HANDLER: 0
; COMPUTE_PGM_RSRC2:TGID_X_EN: 1
; COMPUTE_PGM_RSRC2:TGID_Y_EN: 0
; COMPUTE_PGM_RSRC2:TGID_Z_EN: 0
; COMPUTE_PGM_RSRC2:TIDIG_COMP_CNT: 0
; COMPUTE_PGM_RSRC3_GFX90A:ACCUM_OFFSET: 0
; COMPUTE_PGM_RSRC3_GFX90A:TG_SPLIT: 0
	.section	.text._ZN7rocprim17ROCPRIM_400000_NS6detail17trampoline_kernelINS0_14default_configENS1_20scan_config_selectorIfEEZZNS1_9scan_implILNS1_25lookback_scan_determinismE0ELb0ELb0ES3_PKfPffZZZN2at6native31launch_logcumsumexp_cuda_kernelERKNSB_10TensorBaseESF_lENKUlvE_clEvENKUlvE0_clEvEUlffE_fEEDaPvRmT3_T4_T5_mT6_P12ihipStream_tbENKUlT_T0_E_clISt17integral_constantIbLb0EESV_IbLb1EEEEDaSR_SS_EUlSR_E_NS1_11comp_targetILNS1_3genE2ELNS1_11target_archE906ELNS1_3gpuE6ELNS1_3repE0EEENS1_30default_config_static_selectorELNS0_4arch9wavefront6targetE1EEEvT1_,"axG",@progbits,_ZN7rocprim17ROCPRIM_400000_NS6detail17trampoline_kernelINS0_14default_configENS1_20scan_config_selectorIfEEZZNS1_9scan_implILNS1_25lookback_scan_determinismE0ELb0ELb0ES3_PKfPffZZZN2at6native31launch_logcumsumexp_cuda_kernelERKNSB_10TensorBaseESF_lENKUlvE_clEvENKUlvE0_clEvEUlffE_fEEDaPvRmT3_T4_T5_mT6_P12ihipStream_tbENKUlT_T0_E_clISt17integral_constantIbLb0EESV_IbLb1EEEEDaSR_SS_EUlSR_E_NS1_11comp_targetILNS1_3genE2ELNS1_11target_archE906ELNS1_3gpuE6ELNS1_3repE0EEENS1_30default_config_static_selectorELNS0_4arch9wavefront6targetE1EEEvT1_,comdat
	.globl	_ZN7rocprim17ROCPRIM_400000_NS6detail17trampoline_kernelINS0_14default_configENS1_20scan_config_selectorIfEEZZNS1_9scan_implILNS1_25lookback_scan_determinismE0ELb0ELb0ES3_PKfPffZZZN2at6native31launch_logcumsumexp_cuda_kernelERKNSB_10TensorBaseESF_lENKUlvE_clEvENKUlvE0_clEvEUlffE_fEEDaPvRmT3_T4_T5_mT6_P12ihipStream_tbENKUlT_T0_E_clISt17integral_constantIbLb0EESV_IbLb1EEEEDaSR_SS_EUlSR_E_NS1_11comp_targetILNS1_3genE2ELNS1_11target_archE906ELNS1_3gpuE6ELNS1_3repE0EEENS1_30default_config_static_selectorELNS0_4arch9wavefront6targetE1EEEvT1_ ; -- Begin function _ZN7rocprim17ROCPRIM_400000_NS6detail17trampoline_kernelINS0_14default_configENS1_20scan_config_selectorIfEEZZNS1_9scan_implILNS1_25lookback_scan_determinismE0ELb0ELb0ES3_PKfPffZZZN2at6native31launch_logcumsumexp_cuda_kernelERKNSB_10TensorBaseESF_lENKUlvE_clEvENKUlvE0_clEvEUlffE_fEEDaPvRmT3_T4_T5_mT6_P12ihipStream_tbENKUlT_T0_E_clISt17integral_constantIbLb0EESV_IbLb1EEEEDaSR_SS_EUlSR_E_NS1_11comp_targetILNS1_3genE2ELNS1_11target_archE906ELNS1_3gpuE6ELNS1_3repE0EEENS1_30default_config_static_selectorELNS0_4arch9wavefront6targetE1EEEvT1_
	.p2align	8
	.type	_ZN7rocprim17ROCPRIM_400000_NS6detail17trampoline_kernelINS0_14default_configENS1_20scan_config_selectorIfEEZZNS1_9scan_implILNS1_25lookback_scan_determinismE0ELb0ELb0ES3_PKfPffZZZN2at6native31launch_logcumsumexp_cuda_kernelERKNSB_10TensorBaseESF_lENKUlvE_clEvENKUlvE0_clEvEUlffE_fEEDaPvRmT3_T4_T5_mT6_P12ihipStream_tbENKUlT_T0_E_clISt17integral_constantIbLb0EESV_IbLb1EEEEDaSR_SS_EUlSR_E_NS1_11comp_targetILNS1_3genE2ELNS1_11target_archE906ELNS1_3gpuE6ELNS1_3repE0EEENS1_30default_config_static_selectorELNS0_4arch9wavefront6targetE1EEEvT1_,@function
_ZN7rocprim17ROCPRIM_400000_NS6detail17trampoline_kernelINS0_14default_configENS1_20scan_config_selectorIfEEZZNS1_9scan_implILNS1_25lookback_scan_determinismE0ELb0ELb0ES3_PKfPffZZZN2at6native31launch_logcumsumexp_cuda_kernelERKNSB_10TensorBaseESF_lENKUlvE_clEvENKUlvE0_clEvEUlffE_fEEDaPvRmT3_T4_T5_mT6_P12ihipStream_tbENKUlT_T0_E_clISt17integral_constantIbLb0EESV_IbLb1EEEEDaSR_SS_EUlSR_E_NS1_11comp_targetILNS1_3genE2ELNS1_11target_archE906ELNS1_3gpuE6ELNS1_3repE0EEENS1_30default_config_static_selectorELNS0_4arch9wavefront6targetE1EEEvT1_: ; @_ZN7rocprim17ROCPRIM_400000_NS6detail17trampoline_kernelINS0_14default_configENS1_20scan_config_selectorIfEEZZNS1_9scan_implILNS1_25lookback_scan_determinismE0ELb0ELb0ES3_PKfPffZZZN2at6native31launch_logcumsumexp_cuda_kernelERKNSB_10TensorBaseESF_lENKUlvE_clEvENKUlvE0_clEvEUlffE_fEEDaPvRmT3_T4_T5_mT6_P12ihipStream_tbENKUlT_T0_E_clISt17integral_constantIbLb0EESV_IbLb1EEEEDaSR_SS_EUlSR_E_NS1_11comp_targetILNS1_3genE2ELNS1_11target_archE906ELNS1_3gpuE6ELNS1_3repE0EEENS1_30default_config_static_selectorELNS0_4arch9wavefront6targetE1EEEvT1_
; %bb.0:
	.section	.rodata,"a",@progbits
	.p2align	6, 0x0
	.amdhsa_kernel _ZN7rocprim17ROCPRIM_400000_NS6detail17trampoline_kernelINS0_14default_configENS1_20scan_config_selectorIfEEZZNS1_9scan_implILNS1_25lookback_scan_determinismE0ELb0ELb0ES3_PKfPffZZZN2at6native31launch_logcumsumexp_cuda_kernelERKNSB_10TensorBaseESF_lENKUlvE_clEvENKUlvE0_clEvEUlffE_fEEDaPvRmT3_T4_T5_mT6_P12ihipStream_tbENKUlT_T0_E_clISt17integral_constantIbLb0EESV_IbLb1EEEEDaSR_SS_EUlSR_E_NS1_11comp_targetILNS1_3genE2ELNS1_11target_archE906ELNS1_3gpuE6ELNS1_3repE0EEENS1_30default_config_static_selectorELNS0_4arch9wavefront6targetE1EEEvT1_
		.amdhsa_group_segment_fixed_size 0
		.amdhsa_private_segment_fixed_size 0
		.amdhsa_kernarg_size 96
		.amdhsa_user_sgpr_count 6
		.amdhsa_user_sgpr_private_segment_buffer 1
		.amdhsa_user_sgpr_dispatch_ptr 0
		.amdhsa_user_sgpr_queue_ptr 0
		.amdhsa_user_sgpr_kernarg_segment_ptr 1
		.amdhsa_user_sgpr_dispatch_id 0
		.amdhsa_user_sgpr_flat_scratch_init 0
		.amdhsa_user_sgpr_kernarg_preload_length 0
		.amdhsa_user_sgpr_kernarg_preload_offset 0
		.amdhsa_user_sgpr_private_segment_size 0
		.amdhsa_uses_dynamic_stack 0
		.amdhsa_system_sgpr_private_segment_wavefront_offset 0
		.amdhsa_system_sgpr_workgroup_id_x 1
		.amdhsa_system_sgpr_workgroup_id_y 0
		.amdhsa_system_sgpr_workgroup_id_z 0
		.amdhsa_system_sgpr_workgroup_info 0
		.amdhsa_system_vgpr_workitem_id 0
		.amdhsa_next_free_vgpr 1
		.amdhsa_next_free_sgpr 0
		.amdhsa_accum_offset 4
		.amdhsa_reserve_vcc 0
		.amdhsa_reserve_flat_scratch 0
		.amdhsa_float_round_mode_32 0
		.amdhsa_float_round_mode_16_64 0
		.amdhsa_float_denorm_mode_32 3
		.amdhsa_float_denorm_mode_16_64 3
		.amdhsa_dx10_clamp 1
		.amdhsa_ieee_mode 1
		.amdhsa_fp16_overflow 0
		.amdhsa_tg_split 0
		.amdhsa_exception_fp_ieee_invalid_op 0
		.amdhsa_exception_fp_denorm_src 0
		.amdhsa_exception_fp_ieee_div_zero 0
		.amdhsa_exception_fp_ieee_overflow 0
		.amdhsa_exception_fp_ieee_underflow 0
		.amdhsa_exception_fp_ieee_inexact 0
		.amdhsa_exception_int_div_zero 0
	.end_amdhsa_kernel
	.section	.text._ZN7rocprim17ROCPRIM_400000_NS6detail17trampoline_kernelINS0_14default_configENS1_20scan_config_selectorIfEEZZNS1_9scan_implILNS1_25lookback_scan_determinismE0ELb0ELb0ES3_PKfPffZZZN2at6native31launch_logcumsumexp_cuda_kernelERKNSB_10TensorBaseESF_lENKUlvE_clEvENKUlvE0_clEvEUlffE_fEEDaPvRmT3_T4_T5_mT6_P12ihipStream_tbENKUlT_T0_E_clISt17integral_constantIbLb0EESV_IbLb1EEEEDaSR_SS_EUlSR_E_NS1_11comp_targetILNS1_3genE2ELNS1_11target_archE906ELNS1_3gpuE6ELNS1_3repE0EEENS1_30default_config_static_selectorELNS0_4arch9wavefront6targetE1EEEvT1_,"axG",@progbits,_ZN7rocprim17ROCPRIM_400000_NS6detail17trampoline_kernelINS0_14default_configENS1_20scan_config_selectorIfEEZZNS1_9scan_implILNS1_25lookback_scan_determinismE0ELb0ELb0ES3_PKfPffZZZN2at6native31launch_logcumsumexp_cuda_kernelERKNSB_10TensorBaseESF_lENKUlvE_clEvENKUlvE0_clEvEUlffE_fEEDaPvRmT3_T4_T5_mT6_P12ihipStream_tbENKUlT_T0_E_clISt17integral_constantIbLb0EESV_IbLb1EEEEDaSR_SS_EUlSR_E_NS1_11comp_targetILNS1_3genE2ELNS1_11target_archE906ELNS1_3gpuE6ELNS1_3repE0EEENS1_30default_config_static_selectorELNS0_4arch9wavefront6targetE1EEEvT1_,comdat
.Lfunc_end157:
	.size	_ZN7rocprim17ROCPRIM_400000_NS6detail17trampoline_kernelINS0_14default_configENS1_20scan_config_selectorIfEEZZNS1_9scan_implILNS1_25lookback_scan_determinismE0ELb0ELb0ES3_PKfPffZZZN2at6native31launch_logcumsumexp_cuda_kernelERKNSB_10TensorBaseESF_lENKUlvE_clEvENKUlvE0_clEvEUlffE_fEEDaPvRmT3_T4_T5_mT6_P12ihipStream_tbENKUlT_T0_E_clISt17integral_constantIbLb0EESV_IbLb1EEEEDaSR_SS_EUlSR_E_NS1_11comp_targetILNS1_3genE2ELNS1_11target_archE906ELNS1_3gpuE6ELNS1_3repE0EEENS1_30default_config_static_selectorELNS0_4arch9wavefront6targetE1EEEvT1_, .Lfunc_end157-_ZN7rocprim17ROCPRIM_400000_NS6detail17trampoline_kernelINS0_14default_configENS1_20scan_config_selectorIfEEZZNS1_9scan_implILNS1_25lookback_scan_determinismE0ELb0ELb0ES3_PKfPffZZZN2at6native31launch_logcumsumexp_cuda_kernelERKNSB_10TensorBaseESF_lENKUlvE_clEvENKUlvE0_clEvEUlffE_fEEDaPvRmT3_T4_T5_mT6_P12ihipStream_tbENKUlT_T0_E_clISt17integral_constantIbLb0EESV_IbLb1EEEEDaSR_SS_EUlSR_E_NS1_11comp_targetILNS1_3genE2ELNS1_11target_archE906ELNS1_3gpuE6ELNS1_3repE0EEENS1_30default_config_static_selectorELNS0_4arch9wavefront6targetE1EEEvT1_
                                        ; -- End function
	.section	.AMDGPU.csdata,"",@progbits
; Kernel info:
; codeLenInByte = 0
; NumSgprs: 4
; NumVgprs: 0
; NumAgprs: 0
; TotalNumVgprs: 0
; ScratchSize: 0
; MemoryBound: 0
; FloatMode: 240
; IeeeMode: 1
; LDSByteSize: 0 bytes/workgroup (compile time only)
; SGPRBlocks: 0
; VGPRBlocks: 0
; NumSGPRsForWavesPerEU: 4
; NumVGPRsForWavesPerEU: 1
; AccumOffset: 4
; Occupancy: 8
; WaveLimiterHint : 0
; COMPUTE_PGM_RSRC2:SCRATCH_EN: 0
; COMPUTE_PGM_RSRC2:USER_SGPR: 6
; COMPUTE_PGM_RSRC2:TRAP_HANDLER: 0
; COMPUTE_PGM_RSRC2:TGID_X_EN: 1
; COMPUTE_PGM_RSRC2:TGID_Y_EN: 0
; COMPUTE_PGM_RSRC2:TGID_Z_EN: 0
; COMPUTE_PGM_RSRC2:TIDIG_COMP_CNT: 0
; COMPUTE_PGM_RSRC3_GFX90A:ACCUM_OFFSET: 0
; COMPUTE_PGM_RSRC3_GFX90A:TG_SPLIT: 0
	.section	.text._ZN7rocprim17ROCPRIM_400000_NS6detail17trampoline_kernelINS0_14default_configENS1_20scan_config_selectorIfEEZZNS1_9scan_implILNS1_25lookback_scan_determinismE0ELb0ELb0ES3_PKfPffZZZN2at6native31launch_logcumsumexp_cuda_kernelERKNSB_10TensorBaseESF_lENKUlvE_clEvENKUlvE0_clEvEUlffE_fEEDaPvRmT3_T4_T5_mT6_P12ihipStream_tbENKUlT_T0_E_clISt17integral_constantIbLb0EESV_IbLb1EEEEDaSR_SS_EUlSR_E_NS1_11comp_targetILNS1_3genE10ELNS1_11target_archE1201ELNS1_3gpuE5ELNS1_3repE0EEENS1_30default_config_static_selectorELNS0_4arch9wavefront6targetE1EEEvT1_,"axG",@progbits,_ZN7rocprim17ROCPRIM_400000_NS6detail17trampoline_kernelINS0_14default_configENS1_20scan_config_selectorIfEEZZNS1_9scan_implILNS1_25lookback_scan_determinismE0ELb0ELb0ES3_PKfPffZZZN2at6native31launch_logcumsumexp_cuda_kernelERKNSB_10TensorBaseESF_lENKUlvE_clEvENKUlvE0_clEvEUlffE_fEEDaPvRmT3_T4_T5_mT6_P12ihipStream_tbENKUlT_T0_E_clISt17integral_constantIbLb0EESV_IbLb1EEEEDaSR_SS_EUlSR_E_NS1_11comp_targetILNS1_3genE10ELNS1_11target_archE1201ELNS1_3gpuE5ELNS1_3repE0EEENS1_30default_config_static_selectorELNS0_4arch9wavefront6targetE1EEEvT1_,comdat
	.globl	_ZN7rocprim17ROCPRIM_400000_NS6detail17trampoline_kernelINS0_14default_configENS1_20scan_config_selectorIfEEZZNS1_9scan_implILNS1_25lookback_scan_determinismE0ELb0ELb0ES3_PKfPffZZZN2at6native31launch_logcumsumexp_cuda_kernelERKNSB_10TensorBaseESF_lENKUlvE_clEvENKUlvE0_clEvEUlffE_fEEDaPvRmT3_T4_T5_mT6_P12ihipStream_tbENKUlT_T0_E_clISt17integral_constantIbLb0EESV_IbLb1EEEEDaSR_SS_EUlSR_E_NS1_11comp_targetILNS1_3genE10ELNS1_11target_archE1201ELNS1_3gpuE5ELNS1_3repE0EEENS1_30default_config_static_selectorELNS0_4arch9wavefront6targetE1EEEvT1_ ; -- Begin function _ZN7rocprim17ROCPRIM_400000_NS6detail17trampoline_kernelINS0_14default_configENS1_20scan_config_selectorIfEEZZNS1_9scan_implILNS1_25lookback_scan_determinismE0ELb0ELb0ES3_PKfPffZZZN2at6native31launch_logcumsumexp_cuda_kernelERKNSB_10TensorBaseESF_lENKUlvE_clEvENKUlvE0_clEvEUlffE_fEEDaPvRmT3_T4_T5_mT6_P12ihipStream_tbENKUlT_T0_E_clISt17integral_constantIbLb0EESV_IbLb1EEEEDaSR_SS_EUlSR_E_NS1_11comp_targetILNS1_3genE10ELNS1_11target_archE1201ELNS1_3gpuE5ELNS1_3repE0EEENS1_30default_config_static_selectorELNS0_4arch9wavefront6targetE1EEEvT1_
	.p2align	8
	.type	_ZN7rocprim17ROCPRIM_400000_NS6detail17trampoline_kernelINS0_14default_configENS1_20scan_config_selectorIfEEZZNS1_9scan_implILNS1_25lookback_scan_determinismE0ELb0ELb0ES3_PKfPffZZZN2at6native31launch_logcumsumexp_cuda_kernelERKNSB_10TensorBaseESF_lENKUlvE_clEvENKUlvE0_clEvEUlffE_fEEDaPvRmT3_T4_T5_mT6_P12ihipStream_tbENKUlT_T0_E_clISt17integral_constantIbLb0EESV_IbLb1EEEEDaSR_SS_EUlSR_E_NS1_11comp_targetILNS1_3genE10ELNS1_11target_archE1201ELNS1_3gpuE5ELNS1_3repE0EEENS1_30default_config_static_selectorELNS0_4arch9wavefront6targetE1EEEvT1_,@function
_ZN7rocprim17ROCPRIM_400000_NS6detail17trampoline_kernelINS0_14default_configENS1_20scan_config_selectorIfEEZZNS1_9scan_implILNS1_25lookback_scan_determinismE0ELb0ELb0ES3_PKfPffZZZN2at6native31launch_logcumsumexp_cuda_kernelERKNSB_10TensorBaseESF_lENKUlvE_clEvENKUlvE0_clEvEUlffE_fEEDaPvRmT3_T4_T5_mT6_P12ihipStream_tbENKUlT_T0_E_clISt17integral_constantIbLb0EESV_IbLb1EEEEDaSR_SS_EUlSR_E_NS1_11comp_targetILNS1_3genE10ELNS1_11target_archE1201ELNS1_3gpuE5ELNS1_3repE0EEENS1_30default_config_static_selectorELNS0_4arch9wavefront6targetE1EEEvT1_: ; @_ZN7rocprim17ROCPRIM_400000_NS6detail17trampoline_kernelINS0_14default_configENS1_20scan_config_selectorIfEEZZNS1_9scan_implILNS1_25lookback_scan_determinismE0ELb0ELb0ES3_PKfPffZZZN2at6native31launch_logcumsumexp_cuda_kernelERKNSB_10TensorBaseESF_lENKUlvE_clEvENKUlvE0_clEvEUlffE_fEEDaPvRmT3_T4_T5_mT6_P12ihipStream_tbENKUlT_T0_E_clISt17integral_constantIbLb0EESV_IbLb1EEEEDaSR_SS_EUlSR_E_NS1_11comp_targetILNS1_3genE10ELNS1_11target_archE1201ELNS1_3gpuE5ELNS1_3repE0EEENS1_30default_config_static_selectorELNS0_4arch9wavefront6targetE1EEEvT1_
; %bb.0:
	.section	.rodata,"a",@progbits
	.p2align	6, 0x0
	.amdhsa_kernel _ZN7rocprim17ROCPRIM_400000_NS6detail17trampoline_kernelINS0_14default_configENS1_20scan_config_selectorIfEEZZNS1_9scan_implILNS1_25lookback_scan_determinismE0ELb0ELb0ES3_PKfPffZZZN2at6native31launch_logcumsumexp_cuda_kernelERKNSB_10TensorBaseESF_lENKUlvE_clEvENKUlvE0_clEvEUlffE_fEEDaPvRmT3_T4_T5_mT6_P12ihipStream_tbENKUlT_T0_E_clISt17integral_constantIbLb0EESV_IbLb1EEEEDaSR_SS_EUlSR_E_NS1_11comp_targetILNS1_3genE10ELNS1_11target_archE1201ELNS1_3gpuE5ELNS1_3repE0EEENS1_30default_config_static_selectorELNS0_4arch9wavefront6targetE1EEEvT1_
		.amdhsa_group_segment_fixed_size 0
		.amdhsa_private_segment_fixed_size 0
		.amdhsa_kernarg_size 96
		.amdhsa_user_sgpr_count 6
		.amdhsa_user_sgpr_private_segment_buffer 1
		.amdhsa_user_sgpr_dispatch_ptr 0
		.amdhsa_user_sgpr_queue_ptr 0
		.amdhsa_user_sgpr_kernarg_segment_ptr 1
		.amdhsa_user_sgpr_dispatch_id 0
		.amdhsa_user_sgpr_flat_scratch_init 0
		.amdhsa_user_sgpr_kernarg_preload_length 0
		.amdhsa_user_sgpr_kernarg_preload_offset 0
		.amdhsa_user_sgpr_private_segment_size 0
		.amdhsa_uses_dynamic_stack 0
		.amdhsa_system_sgpr_private_segment_wavefront_offset 0
		.amdhsa_system_sgpr_workgroup_id_x 1
		.amdhsa_system_sgpr_workgroup_id_y 0
		.amdhsa_system_sgpr_workgroup_id_z 0
		.amdhsa_system_sgpr_workgroup_info 0
		.amdhsa_system_vgpr_workitem_id 0
		.amdhsa_next_free_vgpr 1
		.amdhsa_next_free_sgpr 0
		.amdhsa_accum_offset 4
		.amdhsa_reserve_vcc 0
		.amdhsa_reserve_flat_scratch 0
		.amdhsa_float_round_mode_32 0
		.amdhsa_float_round_mode_16_64 0
		.amdhsa_float_denorm_mode_32 3
		.amdhsa_float_denorm_mode_16_64 3
		.amdhsa_dx10_clamp 1
		.amdhsa_ieee_mode 1
		.amdhsa_fp16_overflow 0
		.amdhsa_tg_split 0
		.amdhsa_exception_fp_ieee_invalid_op 0
		.amdhsa_exception_fp_denorm_src 0
		.amdhsa_exception_fp_ieee_div_zero 0
		.amdhsa_exception_fp_ieee_overflow 0
		.amdhsa_exception_fp_ieee_underflow 0
		.amdhsa_exception_fp_ieee_inexact 0
		.amdhsa_exception_int_div_zero 0
	.end_amdhsa_kernel
	.section	.text._ZN7rocprim17ROCPRIM_400000_NS6detail17trampoline_kernelINS0_14default_configENS1_20scan_config_selectorIfEEZZNS1_9scan_implILNS1_25lookback_scan_determinismE0ELb0ELb0ES3_PKfPffZZZN2at6native31launch_logcumsumexp_cuda_kernelERKNSB_10TensorBaseESF_lENKUlvE_clEvENKUlvE0_clEvEUlffE_fEEDaPvRmT3_T4_T5_mT6_P12ihipStream_tbENKUlT_T0_E_clISt17integral_constantIbLb0EESV_IbLb1EEEEDaSR_SS_EUlSR_E_NS1_11comp_targetILNS1_3genE10ELNS1_11target_archE1201ELNS1_3gpuE5ELNS1_3repE0EEENS1_30default_config_static_selectorELNS0_4arch9wavefront6targetE1EEEvT1_,"axG",@progbits,_ZN7rocprim17ROCPRIM_400000_NS6detail17trampoline_kernelINS0_14default_configENS1_20scan_config_selectorIfEEZZNS1_9scan_implILNS1_25lookback_scan_determinismE0ELb0ELb0ES3_PKfPffZZZN2at6native31launch_logcumsumexp_cuda_kernelERKNSB_10TensorBaseESF_lENKUlvE_clEvENKUlvE0_clEvEUlffE_fEEDaPvRmT3_T4_T5_mT6_P12ihipStream_tbENKUlT_T0_E_clISt17integral_constantIbLb0EESV_IbLb1EEEEDaSR_SS_EUlSR_E_NS1_11comp_targetILNS1_3genE10ELNS1_11target_archE1201ELNS1_3gpuE5ELNS1_3repE0EEENS1_30default_config_static_selectorELNS0_4arch9wavefront6targetE1EEEvT1_,comdat
.Lfunc_end158:
	.size	_ZN7rocprim17ROCPRIM_400000_NS6detail17trampoline_kernelINS0_14default_configENS1_20scan_config_selectorIfEEZZNS1_9scan_implILNS1_25lookback_scan_determinismE0ELb0ELb0ES3_PKfPffZZZN2at6native31launch_logcumsumexp_cuda_kernelERKNSB_10TensorBaseESF_lENKUlvE_clEvENKUlvE0_clEvEUlffE_fEEDaPvRmT3_T4_T5_mT6_P12ihipStream_tbENKUlT_T0_E_clISt17integral_constantIbLb0EESV_IbLb1EEEEDaSR_SS_EUlSR_E_NS1_11comp_targetILNS1_3genE10ELNS1_11target_archE1201ELNS1_3gpuE5ELNS1_3repE0EEENS1_30default_config_static_selectorELNS0_4arch9wavefront6targetE1EEEvT1_, .Lfunc_end158-_ZN7rocprim17ROCPRIM_400000_NS6detail17trampoline_kernelINS0_14default_configENS1_20scan_config_selectorIfEEZZNS1_9scan_implILNS1_25lookback_scan_determinismE0ELb0ELb0ES3_PKfPffZZZN2at6native31launch_logcumsumexp_cuda_kernelERKNSB_10TensorBaseESF_lENKUlvE_clEvENKUlvE0_clEvEUlffE_fEEDaPvRmT3_T4_T5_mT6_P12ihipStream_tbENKUlT_T0_E_clISt17integral_constantIbLb0EESV_IbLb1EEEEDaSR_SS_EUlSR_E_NS1_11comp_targetILNS1_3genE10ELNS1_11target_archE1201ELNS1_3gpuE5ELNS1_3repE0EEENS1_30default_config_static_selectorELNS0_4arch9wavefront6targetE1EEEvT1_
                                        ; -- End function
	.section	.AMDGPU.csdata,"",@progbits
; Kernel info:
; codeLenInByte = 0
; NumSgprs: 4
; NumVgprs: 0
; NumAgprs: 0
; TotalNumVgprs: 0
; ScratchSize: 0
; MemoryBound: 0
; FloatMode: 240
; IeeeMode: 1
; LDSByteSize: 0 bytes/workgroup (compile time only)
; SGPRBlocks: 0
; VGPRBlocks: 0
; NumSGPRsForWavesPerEU: 4
; NumVGPRsForWavesPerEU: 1
; AccumOffset: 4
; Occupancy: 8
; WaveLimiterHint : 0
; COMPUTE_PGM_RSRC2:SCRATCH_EN: 0
; COMPUTE_PGM_RSRC2:USER_SGPR: 6
; COMPUTE_PGM_RSRC2:TRAP_HANDLER: 0
; COMPUTE_PGM_RSRC2:TGID_X_EN: 1
; COMPUTE_PGM_RSRC2:TGID_Y_EN: 0
; COMPUTE_PGM_RSRC2:TGID_Z_EN: 0
; COMPUTE_PGM_RSRC2:TIDIG_COMP_CNT: 0
; COMPUTE_PGM_RSRC3_GFX90A:ACCUM_OFFSET: 0
; COMPUTE_PGM_RSRC3_GFX90A:TG_SPLIT: 0
	.section	.text._ZN7rocprim17ROCPRIM_400000_NS6detail17trampoline_kernelINS0_14default_configENS1_20scan_config_selectorIfEEZZNS1_9scan_implILNS1_25lookback_scan_determinismE0ELb0ELb0ES3_PKfPffZZZN2at6native31launch_logcumsumexp_cuda_kernelERKNSB_10TensorBaseESF_lENKUlvE_clEvENKUlvE0_clEvEUlffE_fEEDaPvRmT3_T4_T5_mT6_P12ihipStream_tbENKUlT_T0_E_clISt17integral_constantIbLb0EESV_IbLb1EEEEDaSR_SS_EUlSR_E_NS1_11comp_targetILNS1_3genE10ELNS1_11target_archE1200ELNS1_3gpuE4ELNS1_3repE0EEENS1_30default_config_static_selectorELNS0_4arch9wavefront6targetE1EEEvT1_,"axG",@progbits,_ZN7rocprim17ROCPRIM_400000_NS6detail17trampoline_kernelINS0_14default_configENS1_20scan_config_selectorIfEEZZNS1_9scan_implILNS1_25lookback_scan_determinismE0ELb0ELb0ES3_PKfPffZZZN2at6native31launch_logcumsumexp_cuda_kernelERKNSB_10TensorBaseESF_lENKUlvE_clEvENKUlvE0_clEvEUlffE_fEEDaPvRmT3_T4_T5_mT6_P12ihipStream_tbENKUlT_T0_E_clISt17integral_constantIbLb0EESV_IbLb1EEEEDaSR_SS_EUlSR_E_NS1_11comp_targetILNS1_3genE10ELNS1_11target_archE1200ELNS1_3gpuE4ELNS1_3repE0EEENS1_30default_config_static_selectorELNS0_4arch9wavefront6targetE1EEEvT1_,comdat
	.globl	_ZN7rocprim17ROCPRIM_400000_NS6detail17trampoline_kernelINS0_14default_configENS1_20scan_config_selectorIfEEZZNS1_9scan_implILNS1_25lookback_scan_determinismE0ELb0ELb0ES3_PKfPffZZZN2at6native31launch_logcumsumexp_cuda_kernelERKNSB_10TensorBaseESF_lENKUlvE_clEvENKUlvE0_clEvEUlffE_fEEDaPvRmT3_T4_T5_mT6_P12ihipStream_tbENKUlT_T0_E_clISt17integral_constantIbLb0EESV_IbLb1EEEEDaSR_SS_EUlSR_E_NS1_11comp_targetILNS1_3genE10ELNS1_11target_archE1200ELNS1_3gpuE4ELNS1_3repE0EEENS1_30default_config_static_selectorELNS0_4arch9wavefront6targetE1EEEvT1_ ; -- Begin function _ZN7rocprim17ROCPRIM_400000_NS6detail17trampoline_kernelINS0_14default_configENS1_20scan_config_selectorIfEEZZNS1_9scan_implILNS1_25lookback_scan_determinismE0ELb0ELb0ES3_PKfPffZZZN2at6native31launch_logcumsumexp_cuda_kernelERKNSB_10TensorBaseESF_lENKUlvE_clEvENKUlvE0_clEvEUlffE_fEEDaPvRmT3_T4_T5_mT6_P12ihipStream_tbENKUlT_T0_E_clISt17integral_constantIbLb0EESV_IbLb1EEEEDaSR_SS_EUlSR_E_NS1_11comp_targetILNS1_3genE10ELNS1_11target_archE1200ELNS1_3gpuE4ELNS1_3repE0EEENS1_30default_config_static_selectorELNS0_4arch9wavefront6targetE1EEEvT1_
	.p2align	8
	.type	_ZN7rocprim17ROCPRIM_400000_NS6detail17trampoline_kernelINS0_14default_configENS1_20scan_config_selectorIfEEZZNS1_9scan_implILNS1_25lookback_scan_determinismE0ELb0ELb0ES3_PKfPffZZZN2at6native31launch_logcumsumexp_cuda_kernelERKNSB_10TensorBaseESF_lENKUlvE_clEvENKUlvE0_clEvEUlffE_fEEDaPvRmT3_T4_T5_mT6_P12ihipStream_tbENKUlT_T0_E_clISt17integral_constantIbLb0EESV_IbLb1EEEEDaSR_SS_EUlSR_E_NS1_11comp_targetILNS1_3genE10ELNS1_11target_archE1200ELNS1_3gpuE4ELNS1_3repE0EEENS1_30default_config_static_selectorELNS0_4arch9wavefront6targetE1EEEvT1_,@function
_ZN7rocprim17ROCPRIM_400000_NS6detail17trampoline_kernelINS0_14default_configENS1_20scan_config_selectorIfEEZZNS1_9scan_implILNS1_25lookback_scan_determinismE0ELb0ELb0ES3_PKfPffZZZN2at6native31launch_logcumsumexp_cuda_kernelERKNSB_10TensorBaseESF_lENKUlvE_clEvENKUlvE0_clEvEUlffE_fEEDaPvRmT3_T4_T5_mT6_P12ihipStream_tbENKUlT_T0_E_clISt17integral_constantIbLb0EESV_IbLb1EEEEDaSR_SS_EUlSR_E_NS1_11comp_targetILNS1_3genE10ELNS1_11target_archE1200ELNS1_3gpuE4ELNS1_3repE0EEENS1_30default_config_static_selectorELNS0_4arch9wavefront6targetE1EEEvT1_: ; @_ZN7rocprim17ROCPRIM_400000_NS6detail17trampoline_kernelINS0_14default_configENS1_20scan_config_selectorIfEEZZNS1_9scan_implILNS1_25lookback_scan_determinismE0ELb0ELb0ES3_PKfPffZZZN2at6native31launch_logcumsumexp_cuda_kernelERKNSB_10TensorBaseESF_lENKUlvE_clEvENKUlvE0_clEvEUlffE_fEEDaPvRmT3_T4_T5_mT6_P12ihipStream_tbENKUlT_T0_E_clISt17integral_constantIbLb0EESV_IbLb1EEEEDaSR_SS_EUlSR_E_NS1_11comp_targetILNS1_3genE10ELNS1_11target_archE1200ELNS1_3gpuE4ELNS1_3repE0EEENS1_30default_config_static_selectorELNS0_4arch9wavefront6targetE1EEEvT1_
; %bb.0:
	.section	.rodata,"a",@progbits
	.p2align	6, 0x0
	.amdhsa_kernel _ZN7rocprim17ROCPRIM_400000_NS6detail17trampoline_kernelINS0_14default_configENS1_20scan_config_selectorIfEEZZNS1_9scan_implILNS1_25lookback_scan_determinismE0ELb0ELb0ES3_PKfPffZZZN2at6native31launch_logcumsumexp_cuda_kernelERKNSB_10TensorBaseESF_lENKUlvE_clEvENKUlvE0_clEvEUlffE_fEEDaPvRmT3_T4_T5_mT6_P12ihipStream_tbENKUlT_T0_E_clISt17integral_constantIbLb0EESV_IbLb1EEEEDaSR_SS_EUlSR_E_NS1_11comp_targetILNS1_3genE10ELNS1_11target_archE1200ELNS1_3gpuE4ELNS1_3repE0EEENS1_30default_config_static_selectorELNS0_4arch9wavefront6targetE1EEEvT1_
		.amdhsa_group_segment_fixed_size 0
		.amdhsa_private_segment_fixed_size 0
		.amdhsa_kernarg_size 96
		.amdhsa_user_sgpr_count 6
		.amdhsa_user_sgpr_private_segment_buffer 1
		.amdhsa_user_sgpr_dispatch_ptr 0
		.amdhsa_user_sgpr_queue_ptr 0
		.amdhsa_user_sgpr_kernarg_segment_ptr 1
		.amdhsa_user_sgpr_dispatch_id 0
		.amdhsa_user_sgpr_flat_scratch_init 0
		.amdhsa_user_sgpr_kernarg_preload_length 0
		.amdhsa_user_sgpr_kernarg_preload_offset 0
		.amdhsa_user_sgpr_private_segment_size 0
		.amdhsa_uses_dynamic_stack 0
		.amdhsa_system_sgpr_private_segment_wavefront_offset 0
		.amdhsa_system_sgpr_workgroup_id_x 1
		.amdhsa_system_sgpr_workgroup_id_y 0
		.amdhsa_system_sgpr_workgroup_id_z 0
		.amdhsa_system_sgpr_workgroup_info 0
		.amdhsa_system_vgpr_workitem_id 0
		.amdhsa_next_free_vgpr 1
		.amdhsa_next_free_sgpr 0
		.amdhsa_accum_offset 4
		.amdhsa_reserve_vcc 0
		.amdhsa_reserve_flat_scratch 0
		.amdhsa_float_round_mode_32 0
		.amdhsa_float_round_mode_16_64 0
		.amdhsa_float_denorm_mode_32 3
		.amdhsa_float_denorm_mode_16_64 3
		.amdhsa_dx10_clamp 1
		.amdhsa_ieee_mode 1
		.amdhsa_fp16_overflow 0
		.amdhsa_tg_split 0
		.amdhsa_exception_fp_ieee_invalid_op 0
		.amdhsa_exception_fp_denorm_src 0
		.amdhsa_exception_fp_ieee_div_zero 0
		.amdhsa_exception_fp_ieee_overflow 0
		.amdhsa_exception_fp_ieee_underflow 0
		.amdhsa_exception_fp_ieee_inexact 0
		.amdhsa_exception_int_div_zero 0
	.end_amdhsa_kernel
	.section	.text._ZN7rocprim17ROCPRIM_400000_NS6detail17trampoline_kernelINS0_14default_configENS1_20scan_config_selectorIfEEZZNS1_9scan_implILNS1_25lookback_scan_determinismE0ELb0ELb0ES3_PKfPffZZZN2at6native31launch_logcumsumexp_cuda_kernelERKNSB_10TensorBaseESF_lENKUlvE_clEvENKUlvE0_clEvEUlffE_fEEDaPvRmT3_T4_T5_mT6_P12ihipStream_tbENKUlT_T0_E_clISt17integral_constantIbLb0EESV_IbLb1EEEEDaSR_SS_EUlSR_E_NS1_11comp_targetILNS1_3genE10ELNS1_11target_archE1200ELNS1_3gpuE4ELNS1_3repE0EEENS1_30default_config_static_selectorELNS0_4arch9wavefront6targetE1EEEvT1_,"axG",@progbits,_ZN7rocprim17ROCPRIM_400000_NS6detail17trampoline_kernelINS0_14default_configENS1_20scan_config_selectorIfEEZZNS1_9scan_implILNS1_25lookback_scan_determinismE0ELb0ELb0ES3_PKfPffZZZN2at6native31launch_logcumsumexp_cuda_kernelERKNSB_10TensorBaseESF_lENKUlvE_clEvENKUlvE0_clEvEUlffE_fEEDaPvRmT3_T4_T5_mT6_P12ihipStream_tbENKUlT_T0_E_clISt17integral_constantIbLb0EESV_IbLb1EEEEDaSR_SS_EUlSR_E_NS1_11comp_targetILNS1_3genE10ELNS1_11target_archE1200ELNS1_3gpuE4ELNS1_3repE0EEENS1_30default_config_static_selectorELNS0_4arch9wavefront6targetE1EEEvT1_,comdat
.Lfunc_end159:
	.size	_ZN7rocprim17ROCPRIM_400000_NS6detail17trampoline_kernelINS0_14default_configENS1_20scan_config_selectorIfEEZZNS1_9scan_implILNS1_25lookback_scan_determinismE0ELb0ELb0ES3_PKfPffZZZN2at6native31launch_logcumsumexp_cuda_kernelERKNSB_10TensorBaseESF_lENKUlvE_clEvENKUlvE0_clEvEUlffE_fEEDaPvRmT3_T4_T5_mT6_P12ihipStream_tbENKUlT_T0_E_clISt17integral_constantIbLb0EESV_IbLb1EEEEDaSR_SS_EUlSR_E_NS1_11comp_targetILNS1_3genE10ELNS1_11target_archE1200ELNS1_3gpuE4ELNS1_3repE0EEENS1_30default_config_static_selectorELNS0_4arch9wavefront6targetE1EEEvT1_, .Lfunc_end159-_ZN7rocprim17ROCPRIM_400000_NS6detail17trampoline_kernelINS0_14default_configENS1_20scan_config_selectorIfEEZZNS1_9scan_implILNS1_25lookback_scan_determinismE0ELb0ELb0ES3_PKfPffZZZN2at6native31launch_logcumsumexp_cuda_kernelERKNSB_10TensorBaseESF_lENKUlvE_clEvENKUlvE0_clEvEUlffE_fEEDaPvRmT3_T4_T5_mT6_P12ihipStream_tbENKUlT_T0_E_clISt17integral_constantIbLb0EESV_IbLb1EEEEDaSR_SS_EUlSR_E_NS1_11comp_targetILNS1_3genE10ELNS1_11target_archE1200ELNS1_3gpuE4ELNS1_3repE0EEENS1_30default_config_static_selectorELNS0_4arch9wavefront6targetE1EEEvT1_
                                        ; -- End function
	.section	.AMDGPU.csdata,"",@progbits
; Kernel info:
; codeLenInByte = 0
; NumSgprs: 4
; NumVgprs: 0
; NumAgprs: 0
; TotalNumVgprs: 0
; ScratchSize: 0
; MemoryBound: 0
; FloatMode: 240
; IeeeMode: 1
; LDSByteSize: 0 bytes/workgroup (compile time only)
; SGPRBlocks: 0
; VGPRBlocks: 0
; NumSGPRsForWavesPerEU: 4
; NumVGPRsForWavesPerEU: 1
; AccumOffset: 4
; Occupancy: 8
; WaveLimiterHint : 0
; COMPUTE_PGM_RSRC2:SCRATCH_EN: 0
; COMPUTE_PGM_RSRC2:USER_SGPR: 6
; COMPUTE_PGM_RSRC2:TRAP_HANDLER: 0
; COMPUTE_PGM_RSRC2:TGID_X_EN: 1
; COMPUTE_PGM_RSRC2:TGID_Y_EN: 0
; COMPUTE_PGM_RSRC2:TGID_Z_EN: 0
; COMPUTE_PGM_RSRC2:TIDIG_COMP_CNT: 0
; COMPUTE_PGM_RSRC3_GFX90A:ACCUM_OFFSET: 0
; COMPUTE_PGM_RSRC3_GFX90A:TG_SPLIT: 0
	.section	.text._ZN7rocprim17ROCPRIM_400000_NS6detail17trampoline_kernelINS0_14default_configENS1_20scan_config_selectorIfEEZZNS1_9scan_implILNS1_25lookback_scan_determinismE0ELb0ELb0ES3_PKfPffZZZN2at6native31launch_logcumsumexp_cuda_kernelERKNSB_10TensorBaseESF_lENKUlvE_clEvENKUlvE0_clEvEUlffE_fEEDaPvRmT3_T4_T5_mT6_P12ihipStream_tbENKUlT_T0_E_clISt17integral_constantIbLb0EESV_IbLb1EEEEDaSR_SS_EUlSR_E_NS1_11comp_targetILNS1_3genE9ELNS1_11target_archE1100ELNS1_3gpuE3ELNS1_3repE0EEENS1_30default_config_static_selectorELNS0_4arch9wavefront6targetE1EEEvT1_,"axG",@progbits,_ZN7rocprim17ROCPRIM_400000_NS6detail17trampoline_kernelINS0_14default_configENS1_20scan_config_selectorIfEEZZNS1_9scan_implILNS1_25lookback_scan_determinismE0ELb0ELb0ES3_PKfPffZZZN2at6native31launch_logcumsumexp_cuda_kernelERKNSB_10TensorBaseESF_lENKUlvE_clEvENKUlvE0_clEvEUlffE_fEEDaPvRmT3_T4_T5_mT6_P12ihipStream_tbENKUlT_T0_E_clISt17integral_constantIbLb0EESV_IbLb1EEEEDaSR_SS_EUlSR_E_NS1_11comp_targetILNS1_3genE9ELNS1_11target_archE1100ELNS1_3gpuE3ELNS1_3repE0EEENS1_30default_config_static_selectorELNS0_4arch9wavefront6targetE1EEEvT1_,comdat
	.globl	_ZN7rocprim17ROCPRIM_400000_NS6detail17trampoline_kernelINS0_14default_configENS1_20scan_config_selectorIfEEZZNS1_9scan_implILNS1_25lookback_scan_determinismE0ELb0ELb0ES3_PKfPffZZZN2at6native31launch_logcumsumexp_cuda_kernelERKNSB_10TensorBaseESF_lENKUlvE_clEvENKUlvE0_clEvEUlffE_fEEDaPvRmT3_T4_T5_mT6_P12ihipStream_tbENKUlT_T0_E_clISt17integral_constantIbLb0EESV_IbLb1EEEEDaSR_SS_EUlSR_E_NS1_11comp_targetILNS1_3genE9ELNS1_11target_archE1100ELNS1_3gpuE3ELNS1_3repE0EEENS1_30default_config_static_selectorELNS0_4arch9wavefront6targetE1EEEvT1_ ; -- Begin function _ZN7rocprim17ROCPRIM_400000_NS6detail17trampoline_kernelINS0_14default_configENS1_20scan_config_selectorIfEEZZNS1_9scan_implILNS1_25lookback_scan_determinismE0ELb0ELb0ES3_PKfPffZZZN2at6native31launch_logcumsumexp_cuda_kernelERKNSB_10TensorBaseESF_lENKUlvE_clEvENKUlvE0_clEvEUlffE_fEEDaPvRmT3_T4_T5_mT6_P12ihipStream_tbENKUlT_T0_E_clISt17integral_constantIbLb0EESV_IbLb1EEEEDaSR_SS_EUlSR_E_NS1_11comp_targetILNS1_3genE9ELNS1_11target_archE1100ELNS1_3gpuE3ELNS1_3repE0EEENS1_30default_config_static_selectorELNS0_4arch9wavefront6targetE1EEEvT1_
	.p2align	8
	.type	_ZN7rocprim17ROCPRIM_400000_NS6detail17trampoline_kernelINS0_14default_configENS1_20scan_config_selectorIfEEZZNS1_9scan_implILNS1_25lookback_scan_determinismE0ELb0ELb0ES3_PKfPffZZZN2at6native31launch_logcumsumexp_cuda_kernelERKNSB_10TensorBaseESF_lENKUlvE_clEvENKUlvE0_clEvEUlffE_fEEDaPvRmT3_T4_T5_mT6_P12ihipStream_tbENKUlT_T0_E_clISt17integral_constantIbLb0EESV_IbLb1EEEEDaSR_SS_EUlSR_E_NS1_11comp_targetILNS1_3genE9ELNS1_11target_archE1100ELNS1_3gpuE3ELNS1_3repE0EEENS1_30default_config_static_selectorELNS0_4arch9wavefront6targetE1EEEvT1_,@function
_ZN7rocprim17ROCPRIM_400000_NS6detail17trampoline_kernelINS0_14default_configENS1_20scan_config_selectorIfEEZZNS1_9scan_implILNS1_25lookback_scan_determinismE0ELb0ELb0ES3_PKfPffZZZN2at6native31launch_logcumsumexp_cuda_kernelERKNSB_10TensorBaseESF_lENKUlvE_clEvENKUlvE0_clEvEUlffE_fEEDaPvRmT3_T4_T5_mT6_P12ihipStream_tbENKUlT_T0_E_clISt17integral_constantIbLb0EESV_IbLb1EEEEDaSR_SS_EUlSR_E_NS1_11comp_targetILNS1_3genE9ELNS1_11target_archE1100ELNS1_3gpuE3ELNS1_3repE0EEENS1_30default_config_static_selectorELNS0_4arch9wavefront6targetE1EEEvT1_: ; @_ZN7rocprim17ROCPRIM_400000_NS6detail17trampoline_kernelINS0_14default_configENS1_20scan_config_selectorIfEEZZNS1_9scan_implILNS1_25lookback_scan_determinismE0ELb0ELb0ES3_PKfPffZZZN2at6native31launch_logcumsumexp_cuda_kernelERKNSB_10TensorBaseESF_lENKUlvE_clEvENKUlvE0_clEvEUlffE_fEEDaPvRmT3_T4_T5_mT6_P12ihipStream_tbENKUlT_T0_E_clISt17integral_constantIbLb0EESV_IbLb1EEEEDaSR_SS_EUlSR_E_NS1_11comp_targetILNS1_3genE9ELNS1_11target_archE1100ELNS1_3gpuE3ELNS1_3repE0EEENS1_30default_config_static_selectorELNS0_4arch9wavefront6targetE1EEEvT1_
; %bb.0:
	.section	.rodata,"a",@progbits
	.p2align	6, 0x0
	.amdhsa_kernel _ZN7rocprim17ROCPRIM_400000_NS6detail17trampoline_kernelINS0_14default_configENS1_20scan_config_selectorIfEEZZNS1_9scan_implILNS1_25lookback_scan_determinismE0ELb0ELb0ES3_PKfPffZZZN2at6native31launch_logcumsumexp_cuda_kernelERKNSB_10TensorBaseESF_lENKUlvE_clEvENKUlvE0_clEvEUlffE_fEEDaPvRmT3_T4_T5_mT6_P12ihipStream_tbENKUlT_T0_E_clISt17integral_constantIbLb0EESV_IbLb1EEEEDaSR_SS_EUlSR_E_NS1_11comp_targetILNS1_3genE9ELNS1_11target_archE1100ELNS1_3gpuE3ELNS1_3repE0EEENS1_30default_config_static_selectorELNS0_4arch9wavefront6targetE1EEEvT1_
		.amdhsa_group_segment_fixed_size 0
		.amdhsa_private_segment_fixed_size 0
		.amdhsa_kernarg_size 96
		.amdhsa_user_sgpr_count 6
		.amdhsa_user_sgpr_private_segment_buffer 1
		.amdhsa_user_sgpr_dispatch_ptr 0
		.amdhsa_user_sgpr_queue_ptr 0
		.amdhsa_user_sgpr_kernarg_segment_ptr 1
		.amdhsa_user_sgpr_dispatch_id 0
		.amdhsa_user_sgpr_flat_scratch_init 0
		.amdhsa_user_sgpr_kernarg_preload_length 0
		.amdhsa_user_sgpr_kernarg_preload_offset 0
		.amdhsa_user_sgpr_private_segment_size 0
		.amdhsa_uses_dynamic_stack 0
		.amdhsa_system_sgpr_private_segment_wavefront_offset 0
		.amdhsa_system_sgpr_workgroup_id_x 1
		.amdhsa_system_sgpr_workgroup_id_y 0
		.amdhsa_system_sgpr_workgroup_id_z 0
		.amdhsa_system_sgpr_workgroup_info 0
		.amdhsa_system_vgpr_workitem_id 0
		.amdhsa_next_free_vgpr 1
		.amdhsa_next_free_sgpr 0
		.amdhsa_accum_offset 4
		.amdhsa_reserve_vcc 0
		.amdhsa_reserve_flat_scratch 0
		.amdhsa_float_round_mode_32 0
		.amdhsa_float_round_mode_16_64 0
		.amdhsa_float_denorm_mode_32 3
		.amdhsa_float_denorm_mode_16_64 3
		.amdhsa_dx10_clamp 1
		.amdhsa_ieee_mode 1
		.amdhsa_fp16_overflow 0
		.amdhsa_tg_split 0
		.amdhsa_exception_fp_ieee_invalid_op 0
		.amdhsa_exception_fp_denorm_src 0
		.amdhsa_exception_fp_ieee_div_zero 0
		.amdhsa_exception_fp_ieee_overflow 0
		.amdhsa_exception_fp_ieee_underflow 0
		.amdhsa_exception_fp_ieee_inexact 0
		.amdhsa_exception_int_div_zero 0
	.end_amdhsa_kernel
	.section	.text._ZN7rocprim17ROCPRIM_400000_NS6detail17trampoline_kernelINS0_14default_configENS1_20scan_config_selectorIfEEZZNS1_9scan_implILNS1_25lookback_scan_determinismE0ELb0ELb0ES3_PKfPffZZZN2at6native31launch_logcumsumexp_cuda_kernelERKNSB_10TensorBaseESF_lENKUlvE_clEvENKUlvE0_clEvEUlffE_fEEDaPvRmT3_T4_T5_mT6_P12ihipStream_tbENKUlT_T0_E_clISt17integral_constantIbLb0EESV_IbLb1EEEEDaSR_SS_EUlSR_E_NS1_11comp_targetILNS1_3genE9ELNS1_11target_archE1100ELNS1_3gpuE3ELNS1_3repE0EEENS1_30default_config_static_selectorELNS0_4arch9wavefront6targetE1EEEvT1_,"axG",@progbits,_ZN7rocprim17ROCPRIM_400000_NS6detail17trampoline_kernelINS0_14default_configENS1_20scan_config_selectorIfEEZZNS1_9scan_implILNS1_25lookback_scan_determinismE0ELb0ELb0ES3_PKfPffZZZN2at6native31launch_logcumsumexp_cuda_kernelERKNSB_10TensorBaseESF_lENKUlvE_clEvENKUlvE0_clEvEUlffE_fEEDaPvRmT3_T4_T5_mT6_P12ihipStream_tbENKUlT_T0_E_clISt17integral_constantIbLb0EESV_IbLb1EEEEDaSR_SS_EUlSR_E_NS1_11comp_targetILNS1_3genE9ELNS1_11target_archE1100ELNS1_3gpuE3ELNS1_3repE0EEENS1_30default_config_static_selectorELNS0_4arch9wavefront6targetE1EEEvT1_,comdat
.Lfunc_end160:
	.size	_ZN7rocprim17ROCPRIM_400000_NS6detail17trampoline_kernelINS0_14default_configENS1_20scan_config_selectorIfEEZZNS1_9scan_implILNS1_25lookback_scan_determinismE0ELb0ELb0ES3_PKfPffZZZN2at6native31launch_logcumsumexp_cuda_kernelERKNSB_10TensorBaseESF_lENKUlvE_clEvENKUlvE0_clEvEUlffE_fEEDaPvRmT3_T4_T5_mT6_P12ihipStream_tbENKUlT_T0_E_clISt17integral_constantIbLb0EESV_IbLb1EEEEDaSR_SS_EUlSR_E_NS1_11comp_targetILNS1_3genE9ELNS1_11target_archE1100ELNS1_3gpuE3ELNS1_3repE0EEENS1_30default_config_static_selectorELNS0_4arch9wavefront6targetE1EEEvT1_, .Lfunc_end160-_ZN7rocprim17ROCPRIM_400000_NS6detail17trampoline_kernelINS0_14default_configENS1_20scan_config_selectorIfEEZZNS1_9scan_implILNS1_25lookback_scan_determinismE0ELb0ELb0ES3_PKfPffZZZN2at6native31launch_logcumsumexp_cuda_kernelERKNSB_10TensorBaseESF_lENKUlvE_clEvENKUlvE0_clEvEUlffE_fEEDaPvRmT3_T4_T5_mT6_P12ihipStream_tbENKUlT_T0_E_clISt17integral_constantIbLb0EESV_IbLb1EEEEDaSR_SS_EUlSR_E_NS1_11comp_targetILNS1_3genE9ELNS1_11target_archE1100ELNS1_3gpuE3ELNS1_3repE0EEENS1_30default_config_static_selectorELNS0_4arch9wavefront6targetE1EEEvT1_
                                        ; -- End function
	.section	.AMDGPU.csdata,"",@progbits
; Kernel info:
; codeLenInByte = 0
; NumSgprs: 4
; NumVgprs: 0
; NumAgprs: 0
; TotalNumVgprs: 0
; ScratchSize: 0
; MemoryBound: 0
; FloatMode: 240
; IeeeMode: 1
; LDSByteSize: 0 bytes/workgroup (compile time only)
; SGPRBlocks: 0
; VGPRBlocks: 0
; NumSGPRsForWavesPerEU: 4
; NumVGPRsForWavesPerEU: 1
; AccumOffset: 4
; Occupancy: 8
; WaveLimiterHint : 0
; COMPUTE_PGM_RSRC2:SCRATCH_EN: 0
; COMPUTE_PGM_RSRC2:USER_SGPR: 6
; COMPUTE_PGM_RSRC2:TRAP_HANDLER: 0
; COMPUTE_PGM_RSRC2:TGID_X_EN: 1
; COMPUTE_PGM_RSRC2:TGID_Y_EN: 0
; COMPUTE_PGM_RSRC2:TGID_Z_EN: 0
; COMPUTE_PGM_RSRC2:TIDIG_COMP_CNT: 0
; COMPUTE_PGM_RSRC3_GFX90A:ACCUM_OFFSET: 0
; COMPUTE_PGM_RSRC3_GFX90A:TG_SPLIT: 0
	.section	.text._ZN7rocprim17ROCPRIM_400000_NS6detail17trampoline_kernelINS0_14default_configENS1_20scan_config_selectorIfEEZZNS1_9scan_implILNS1_25lookback_scan_determinismE0ELb0ELb0ES3_PKfPffZZZN2at6native31launch_logcumsumexp_cuda_kernelERKNSB_10TensorBaseESF_lENKUlvE_clEvENKUlvE0_clEvEUlffE_fEEDaPvRmT3_T4_T5_mT6_P12ihipStream_tbENKUlT_T0_E_clISt17integral_constantIbLb0EESV_IbLb1EEEEDaSR_SS_EUlSR_E_NS1_11comp_targetILNS1_3genE8ELNS1_11target_archE1030ELNS1_3gpuE2ELNS1_3repE0EEENS1_30default_config_static_selectorELNS0_4arch9wavefront6targetE1EEEvT1_,"axG",@progbits,_ZN7rocprim17ROCPRIM_400000_NS6detail17trampoline_kernelINS0_14default_configENS1_20scan_config_selectorIfEEZZNS1_9scan_implILNS1_25lookback_scan_determinismE0ELb0ELb0ES3_PKfPffZZZN2at6native31launch_logcumsumexp_cuda_kernelERKNSB_10TensorBaseESF_lENKUlvE_clEvENKUlvE0_clEvEUlffE_fEEDaPvRmT3_T4_T5_mT6_P12ihipStream_tbENKUlT_T0_E_clISt17integral_constantIbLb0EESV_IbLb1EEEEDaSR_SS_EUlSR_E_NS1_11comp_targetILNS1_3genE8ELNS1_11target_archE1030ELNS1_3gpuE2ELNS1_3repE0EEENS1_30default_config_static_selectorELNS0_4arch9wavefront6targetE1EEEvT1_,comdat
	.globl	_ZN7rocprim17ROCPRIM_400000_NS6detail17trampoline_kernelINS0_14default_configENS1_20scan_config_selectorIfEEZZNS1_9scan_implILNS1_25lookback_scan_determinismE0ELb0ELb0ES3_PKfPffZZZN2at6native31launch_logcumsumexp_cuda_kernelERKNSB_10TensorBaseESF_lENKUlvE_clEvENKUlvE0_clEvEUlffE_fEEDaPvRmT3_T4_T5_mT6_P12ihipStream_tbENKUlT_T0_E_clISt17integral_constantIbLb0EESV_IbLb1EEEEDaSR_SS_EUlSR_E_NS1_11comp_targetILNS1_3genE8ELNS1_11target_archE1030ELNS1_3gpuE2ELNS1_3repE0EEENS1_30default_config_static_selectorELNS0_4arch9wavefront6targetE1EEEvT1_ ; -- Begin function _ZN7rocprim17ROCPRIM_400000_NS6detail17trampoline_kernelINS0_14default_configENS1_20scan_config_selectorIfEEZZNS1_9scan_implILNS1_25lookback_scan_determinismE0ELb0ELb0ES3_PKfPffZZZN2at6native31launch_logcumsumexp_cuda_kernelERKNSB_10TensorBaseESF_lENKUlvE_clEvENKUlvE0_clEvEUlffE_fEEDaPvRmT3_T4_T5_mT6_P12ihipStream_tbENKUlT_T0_E_clISt17integral_constantIbLb0EESV_IbLb1EEEEDaSR_SS_EUlSR_E_NS1_11comp_targetILNS1_3genE8ELNS1_11target_archE1030ELNS1_3gpuE2ELNS1_3repE0EEENS1_30default_config_static_selectorELNS0_4arch9wavefront6targetE1EEEvT1_
	.p2align	8
	.type	_ZN7rocprim17ROCPRIM_400000_NS6detail17trampoline_kernelINS0_14default_configENS1_20scan_config_selectorIfEEZZNS1_9scan_implILNS1_25lookback_scan_determinismE0ELb0ELb0ES3_PKfPffZZZN2at6native31launch_logcumsumexp_cuda_kernelERKNSB_10TensorBaseESF_lENKUlvE_clEvENKUlvE0_clEvEUlffE_fEEDaPvRmT3_T4_T5_mT6_P12ihipStream_tbENKUlT_T0_E_clISt17integral_constantIbLb0EESV_IbLb1EEEEDaSR_SS_EUlSR_E_NS1_11comp_targetILNS1_3genE8ELNS1_11target_archE1030ELNS1_3gpuE2ELNS1_3repE0EEENS1_30default_config_static_selectorELNS0_4arch9wavefront6targetE1EEEvT1_,@function
_ZN7rocprim17ROCPRIM_400000_NS6detail17trampoline_kernelINS0_14default_configENS1_20scan_config_selectorIfEEZZNS1_9scan_implILNS1_25lookback_scan_determinismE0ELb0ELb0ES3_PKfPffZZZN2at6native31launch_logcumsumexp_cuda_kernelERKNSB_10TensorBaseESF_lENKUlvE_clEvENKUlvE0_clEvEUlffE_fEEDaPvRmT3_T4_T5_mT6_P12ihipStream_tbENKUlT_T0_E_clISt17integral_constantIbLb0EESV_IbLb1EEEEDaSR_SS_EUlSR_E_NS1_11comp_targetILNS1_3genE8ELNS1_11target_archE1030ELNS1_3gpuE2ELNS1_3repE0EEENS1_30default_config_static_selectorELNS0_4arch9wavefront6targetE1EEEvT1_: ; @_ZN7rocprim17ROCPRIM_400000_NS6detail17trampoline_kernelINS0_14default_configENS1_20scan_config_selectorIfEEZZNS1_9scan_implILNS1_25lookback_scan_determinismE0ELb0ELb0ES3_PKfPffZZZN2at6native31launch_logcumsumexp_cuda_kernelERKNSB_10TensorBaseESF_lENKUlvE_clEvENKUlvE0_clEvEUlffE_fEEDaPvRmT3_T4_T5_mT6_P12ihipStream_tbENKUlT_T0_E_clISt17integral_constantIbLb0EESV_IbLb1EEEEDaSR_SS_EUlSR_E_NS1_11comp_targetILNS1_3genE8ELNS1_11target_archE1030ELNS1_3gpuE2ELNS1_3repE0EEENS1_30default_config_static_selectorELNS0_4arch9wavefront6targetE1EEEvT1_
; %bb.0:
	.section	.rodata,"a",@progbits
	.p2align	6, 0x0
	.amdhsa_kernel _ZN7rocprim17ROCPRIM_400000_NS6detail17trampoline_kernelINS0_14default_configENS1_20scan_config_selectorIfEEZZNS1_9scan_implILNS1_25lookback_scan_determinismE0ELb0ELb0ES3_PKfPffZZZN2at6native31launch_logcumsumexp_cuda_kernelERKNSB_10TensorBaseESF_lENKUlvE_clEvENKUlvE0_clEvEUlffE_fEEDaPvRmT3_T4_T5_mT6_P12ihipStream_tbENKUlT_T0_E_clISt17integral_constantIbLb0EESV_IbLb1EEEEDaSR_SS_EUlSR_E_NS1_11comp_targetILNS1_3genE8ELNS1_11target_archE1030ELNS1_3gpuE2ELNS1_3repE0EEENS1_30default_config_static_selectorELNS0_4arch9wavefront6targetE1EEEvT1_
		.amdhsa_group_segment_fixed_size 0
		.amdhsa_private_segment_fixed_size 0
		.amdhsa_kernarg_size 96
		.amdhsa_user_sgpr_count 6
		.amdhsa_user_sgpr_private_segment_buffer 1
		.amdhsa_user_sgpr_dispatch_ptr 0
		.amdhsa_user_sgpr_queue_ptr 0
		.amdhsa_user_sgpr_kernarg_segment_ptr 1
		.amdhsa_user_sgpr_dispatch_id 0
		.amdhsa_user_sgpr_flat_scratch_init 0
		.amdhsa_user_sgpr_kernarg_preload_length 0
		.amdhsa_user_sgpr_kernarg_preload_offset 0
		.amdhsa_user_sgpr_private_segment_size 0
		.amdhsa_uses_dynamic_stack 0
		.amdhsa_system_sgpr_private_segment_wavefront_offset 0
		.amdhsa_system_sgpr_workgroup_id_x 1
		.amdhsa_system_sgpr_workgroup_id_y 0
		.amdhsa_system_sgpr_workgroup_id_z 0
		.amdhsa_system_sgpr_workgroup_info 0
		.amdhsa_system_vgpr_workitem_id 0
		.amdhsa_next_free_vgpr 1
		.amdhsa_next_free_sgpr 0
		.amdhsa_accum_offset 4
		.amdhsa_reserve_vcc 0
		.amdhsa_reserve_flat_scratch 0
		.amdhsa_float_round_mode_32 0
		.amdhsa_float_round_mode_16_64 0
		.amdhsa_float_denorm_mode_32 3
		.amdhsa_float_denorm_mode_16_64 3
		.amdhsa_dx10_clamp 1
		.amdhsa_ieee_mode 1
		.amdhsa_fp16_overflow 0
		.amdhsa_tg_split 0
		.amdhsa_exception_fp_ieee_invalid_op 0
		.amdhsa_exception_fp_denorm_src 0
		.amdhsa_exception_fp_ieee_div_zero 0
		.amdhsa_exception_fp_ieee_overflow 0
		.amdhsa_exception_fp_ieee_underflow 0
		.amdhsa_exception_fp_ieee_inexact 0
		.amdhsa_exception_int_div_zero 0
	.end_amdhsa_kernel
	.section	.text._ZN7rocprim17ROCPRIM_400000_NS6detail17trampoline_kernelINS0_14default_configENS1_20scan_config_selectorIfEEZZNS1_9scan_implILNS1_25lookback_scan_determinismE0ELb0ELb0ES3_PKfPffZZZN2at6native31launch_logcumsumexp_cuda_kernelERKNSB_10TensorBaseESF_lENKUlvE_clEvENKUlvE0_clEvEUlffE_fEEDaPvRmT3_T4_T5_mT6_P12ihipStream_tbENKUlT_T0_E_clISt17integral_constantIbLb0EESV_IbLb1EEEEDaSR_SS_EUlSR_E_NS1_11comp_targetILNS1_3genE8ELNS1_11target_archE1030ELNS1_3gpuE2ELNS1_3repE0EEENS1_30default_config_static_selectorELNS0_4arch9wavefront6targetE1EEEvT1_,"axG",@progbits,_ZN7rocprim17ROCPRIM_400000_NS6detail17trampoline_kernelINS0_14default_configENS1_20scan_config_selectorIfEEZZNS1_9scan_implILNS1_25lookback_scan_determinismE0ELb0ELb0ES3_PKfPffZZZN2at6native31launch_logcumsumexp_cuda_kernelERKNSB_10TensorBaseESF_lENKUlvE_clEvENKUlvE0_clEvEUlffE_fEEDaPvRmT3_T4_T5_mT6_P12ihipStream_tbENKUlT_T0_E_clISt17integral_constantIbLb0EESV_IbLb1EEEEDaSR_SS_EUlSR_E_NS1_11comp_targetILNS1_3genE8ELNS1_11target_archE1030ELNS1_3gpuE2ELNS1_3repE0EEENS1_30default_config_static_selectorELNS0_4arch9wavefront6targetE1EEEvT1_,comdat
.Lfunc_end161:
	.size	_ZN7rocprim17ROCPRIM_400000_NS6detail17trampoline_kernelINS0_14default_configENS1_20scan_config_selectorIfEEZZNS1_9scan_implILNS1_25lookback_scan_determinismE0ELb0ELb0ES3_PKfPffZZZN2at6native31launch_logcumsumexp_cuda_kernelERKNSB_10TensorBaseESF_lENKUlvE_clEvENKUlvE0_clEvEUlffE_fEEDaPvRmT3_T4_T5_mT6_P12ihipStream_tbENKUlT_T0_E_clISt17integral_constantIbLb0EESV_IbLb1EEEEDaSR_SS_EUlSR_E_NS1_11comp_targetILNS1_3genE8ELNS1_11target_archE1030ELNS1_3gpuE2ELNS1_3repE0EEENS1_30default_config_static_selectorELNS0_4arch9wavefront6targetE1EEEvT1_, .Lfunc_end161-_ZN7rocprim17ROCPRIM_400000_NS6detail17trampoline_kernelINS0_14default_configENS1_20scan_config_selectorIfEEZZNS1_9scan_implILNS1_25lookback_scan_determinismE0ELb0ELb0ES3_PKfPffZZZN2at6native31launch_logcumsumexp_cuda_kernelERKNSB_10TensorBaseESF_lENKUlvE_clEvENKUlvE0_clEvEUlffE_fEEDaPvRmT3_T4_T5_mT6_P12ihipStream_tbENKUlT_T0_E_clISt17integral_constantIbLb0EESV_IbLb1EEEEDaSR_SS_EUlSR_E_NS1_11comp_targetILNS1_3genE8ELNS1_11target_archE1030ELNS1_3gpuE2ELNS1_3repE0EEENS1_30default_config_static_selectorELNS0_4arch9wavefront6targetE1EEEvT1_
                                        ; -- End function
	.section	.AMDGPU.csdata,"",@progbits
; Kernel info:
; codeLenInByte = 0
; NumSgprs: 4
; NumVgprs: 0
; NumAgprs: 0
; TotalNumVgprs: 0
; ScratchSize: 0
; MemoryBound: 0
; FloatMode: 240
; IeeeMode: 1
; LDSByteSize: 0 bytes/workgroup (compile time only)
; SGPRBlocks: 0
; VGPRBlocks: 0
; NumSGPRsForWavesPerEU: 4
; NumVGPRsForWavesPerEU: 1
; AccumOffset: 4
; Occupancy: 8
; WaveLimiterHint : 0
; COMPUTE_PGM_RSRC2:SCRATCH_EN: 0
; COMPUTE_PGM_RSRC2:USER_SGPR: 6
; COMPUTE_PGM_RSRC2:TRAP_HANDLER: 0
; COMPUTE_PGM_RSRC2:TGID_X_EN: 1
; COMPUTE_PGM_RSRC2:TGID_Y_EN: 0
; COMPUTE_PGM_RSRC2:TGID_Z_EN: 0
; COMPUTE_PGM_RSRC2:TIDIG_COMP_CNT: 0
; COMPUTE_PGM_RSRC3_GFX90A:ACCUM_OFFSET: 0
; COMPUTE_PGM_RSRC3_GFX90A:TG_SPLIT: 0
	.section	.text._ZN7rocprim17ROCPRIM_400000_NS6detail17trampoline_kernelINS0_14default_configENS1_20scan_config_selectorIfEEZZNS1_9scan_implILNS1_25lookback_scan_determinismE0ELb0ELb0ES3_PKfPffZZZN2at6native31launch_logcumsumexp_cuda_kernelERKNSB_10TensorBaseESF_lENKUlvE_clEvENKUlvE0_clEvEUlffE_fEEDaPvRmT3_T4_T5_mT6_P12ihipStream_tbENKUlT_T0_E_clISt17integral_constantIbLb0EESV_IbLb1EEEEDaSR_SS_EUlSR_E0_NS1_11comp_targetILNS1_3genE0ELNS1_11target_archE4294967295ELNS1_3gpuE0ELNS1_3repE0EEENS1_30default_config_static_selectorELNS0_4arch9wavefront6targetE1EEEvT1_,"axG",@progbits,_ZN7rocprim17ROCPRIM_400000_NS6detail17trampoline_kernelINS0_14default_configENS1_20scan_config_selectorIfEEZZNS1_9scan_implILNS1_25lookback_scan_determinismE0ELb0ELb0ES3_PKfPffZZZN2at6native31launch_logcumsumexp_cuda_kernelERKNSB_10TensorBaseESF_lENKUlvE_clEvENKUlvE0_clEvEUlffE_fEEDaPvRmT3_T4_T5_mT6_P12ihipStream_tbENKUlT_T0_E_clISt17integral_constantIbLb0EESV_IbLb1EEEEDaSR_SS_EUlSR_E0_NS1_11comp_targetILNS1_3genE0ELNS1_11target_archE4294967295ELNS1_3gpuE0ELNS1_3repE0EEENS1_30default_config_static_selectorELNS0_4arch9wavefront6targetE1EEEvT1_,comdat
	.globl	_ZN7rocprim17ROCPRIM_400000_NS6detail17trampoline_kernelINS0_14default_configENS1_20scan_config_selectorIfEEZZNS1_9scan_implILNS1_25lookback_scan_determinismE0ELb0ELb0ES3_PKfPffZZZN2at6native31launch_logcumsumexp_cuda_kernelERKNSB_10TensorBaseESF_lENKUlvE_clEvENKUlvE0_clEvEUlffE_fEEDaPvRmT3_T4_T5_mT6_P12ihipStream_tbENKUlT_T0_E_clISt17integral_constantIbLb0EESV_IbLb1EEEEDaSR_SS_EUlSR_E0_NS1_11comp_targetILNS1_3genE0ELNS1_11target_archE4294967295ELNS1_3gpuE0ELNS1_3repE0EEENS1_30default_config_static_selectorELNS0_4arch9wavefront6targetE1EEEvT1_ ; -- Begin function _ZN7rocprim17ROCPRIM_400000_NS6detail17trampoline_kernelINS0_14default_configENS1_20scan_config_selectorIfEEZZNS1_9scan_implILNS1_25lookback_scan_determinismE0ELb0ELb0ES3_PKfPffZZZN2at6native31launch_logcumsumexp_cuda_kernelERKNSB_10TensorBaseESF_lENKUlvE_clEvENKUlvE0_clEvEUlffE_fEEDaPvRmT3_T4_T5_mT6_P12ihipStream_tbENKUlT_T0_E_clISt17integral_constantIbLb0EESV_IbLb1EEEEDaSR_SS_EUlSR_E0_NS1_11comp_targetILNS1_3genE0ELNS1_11target_archE4294967295ELNS1_3gpuE0ELNS1_3repE0EEENS1_30default_config_static_selectorELNS0_4arch9wavefront6targetE1EEEvT1_
	.p2align	8
	.type	_ZN7rocprim17ROCPRIM_400000_NS6detail17trampoline_kernelINS0_14default_configENS1_20scan_config_selectorIfEEZZNS1_9scan_implILNS1_25lookback_scan_determinismE0ELb0ELb0ES3_PKfPffZZZN2at6native31launch_logcumsumexp_cuda_kernelERKNSB_10TensorBaseESF_lENKUlvE_clEvENKUlvE0_clEvEUlffE_fEEDaPvRmT3_T4_T5_mT6_P12ihipStream_tbENKUlT_T0_E_clISt17integral_constantIbLb0EESV_IbLb1EEEEDaSR_SS_EUlSR_E0_NS1_11comp_targetILNS1_3genE0ELNS1_11target_archE4294967295ELNS1_3gpuE0ELNS1_3repE0EEENS1_30default_config_static_selectorELNS0_4arch9wavefront6targetE1EEEvT1_,@function
_ZN7rocprim17ROCPRIM_400000_NS6detail17trampoline_kernelINS0_14default_configENS1_20scan_config_selectorIfEEZZNS1_9scan_implILNS1_25lookback_scan_determinismE0ELb0ELb0ES3_PKfPffZZZN2at6native31launch_logcumsumexp_cuda_kernelERKNSB_10TensorBaseESF_lENKUlvE_clEvENKUlvE0_clEvEUlffE_fEEDaPvRmT3_T4_T5_mT6_P12ihipStream_tbENKUlT_T0_E_clISt17integral_constantIbLb0EESV_IbLb1EEEEDaSR_SS_EUlSR_E0_NS1_11comp_targetILNS1_3genE0ELNS1_11target_archE4294967295ELNS1_3gpuE0ELNS1_3repE0EEENS1_30default_config_static_selectorELNS0_4arch9wavefront6targetE1EEEvT1_: ; @_ZN7rocprim17ROCPRIM_400000_NS6detail17trampoline_kernelINS0_14default_configENS1_20scan_config_selectorIfEEZZNS1_9scan_implILNS1_25lookback_scan_determinismE0ELb0ELb0ES3_PKfPffZZZN2at6native31launch_logcumsumexp_cuda_kernelERKNSB_10TensorBaseESF_lENKUlvE_clEvENKUlvE0_clEvEUlffE_fEEDaPvRmT3_T4_T5_mT6_P12ihipStream_tbENKUlT_T0_E_clISt17integral_constantIbLb0EESV_IbLb1EEEEDaSR_SS_EUlSR_E0_NS1_11comp_targetILNS1_3genE0ELNS1_11target_archE4294967295ELNS1_3gpuE0ELNS1_3repE0EEENS1_30default_config_static_selectorELNS0_4arch9wavefront6targetE1EEEvT1_
; %bb.0:
	.section	.rodata,"a",@progbits
	.p2align	6, 0x0
	.amdhsa_kernel _ZN7rocprim17ROCPRIM_400000_NS6detail17trampoline_kernelINS0_14default_configENS1_20scan_config_selectorIfEEZZNS1_9scan_implILNS1_25lookback_scan_determinismE0ELb0ELb0ES3_PKfPffZZZN2at6native31launch_logcumsumexp_cuda_kernelERKNSB_10TensorBaseESF_lENKUlvE_clEvENKUlvE0_clEvEUlffE_fEEDaPvRmT3_T4_T5_mT6_P12ihipStream_tbENKUlT_T0_E_clISt17integral_constantIbLb0EESV_IbLb1EEEEDaSR_SS_EUlSR_E0_NS1_11comp_targetILNS1_3genE0ELNS1_11target_archE4294967295ELNS1_3gpuE0ELNS1_3repE0EEENS1_30default_config_static_selectorELNS0_4arch9wavefront6targetE1EEEvT1_
		.amdhsa_group_segment_fixed_size 0
		.amdhsa_private_segment_fixed_size 0
		.amdhsa_kernarg_size 32
		.amdhsa_user_sgpr_count 6
		.amdhsa_user_sgpr_private_segment_buffer 1
		.amdhsa_user_sgpr_dispatch_ptr 0
		.amdhsa_user_sgpr_queue_ptr 0
		.amdhsa_user_sgpr_kernarg_segment_ptr 1
		.amdhsa_user_sgpr_dispatch_id 0
		.amdhsa_user_sgpr_flat_scratch_init 0
		.amdhsa_user_sgpr_kernarg_preload_length 0
		.amdhsa_user_sgpr_kernarg_preload_offset 0
		.amdhsa_user_sgpr_private_segment_size 0
		.amdhsa_uses_dynamic_stack 0
		.amdhsa_system_sgpr_private_segment_wavefront_offset 0
		.amdhsa_system_sgpr_workgroup_id_x 1
		.amdhsa_system_sgpr_workgroup_id_y 0
		.amdhsa_system_sgpr_workgroup_id_z 0
		.amdhsa_system_sgpr_workgroup_info 0
		.amdhsa_system_vgpr_workitem_id 0
		.amdhsa_next_free_vgpr 1
		.amdhsa_next_free_sgpr 0
		.amdhsa_accum_offset 4
		.amdhsa_reserve_vcc 0
		.amdhsa_reserve_flat_scratch 0
		.amdhsa_float_round_mode_32 0
		.amdhsa_float_round_mode_16_64 0
		.amdhsa_float_denorm_mode_32 3
		.amdhsa_float_denorm_mode_16_64 3
		.amdhsa_dx10_clamp 1
		.amdhsa_ieee_mode 1
		.amdhsa_fp16_overflow 0
		.amdhsa_tg_split 0
		.amdhsa_exception_fp_ieee_invalid_op 0
		.amdhsa_exception_fp_denorm_src 0
		.amdhsa_exception_fp_ieee_div_zero 0
		.amdhsa_exception_fp_ieee_overflow 0
		.amdhsa_exception_fp_ieee_underflow 0
		.amdhsa_exception_fp_ieee_inexact 0
		.amdhsa_exception_int_div_zero 0
	.end_amdhsa_kernel
	.section	.text._ZN7rocprim17ROCPRIM_400000_NS6detail17trampoline_kernelINS0_14default_configENS1_20scan_config_selectorIfEEZZNS1_9scan_implILNS1_25lookback_scan_determinismE0ELb0ELb0ES3_PKfPffZZZN2at6native31launch_logcumsumexp_cuda_kernelERKNSB_10TensorBaseESF_lENKUlvE_clEvENKUlvE0_clEvEUlffE_fEEDaPvRmT3_T4_T5_mT6_P12ihipStream_tbENKUlT_T0_E_clISt17integral_constantIbLb0EESV_IbLb1EEEEDaSR_SS_EUlSR_E0_NS1_11comp_targetILNS1_3genE0ELNS1_11target_archE4294967295ELNS1_3gpuE0ELNS1_3repE0EEENS1_30default_config_static_selectorELNS0_4arch9wavefront6targetE1EEEvT1_,"axG",@progbits,_ZN7rocprim17ROCPRIM_400000_NS6detail17trampoline_kernelINS0_14default_configENS1_20scan_config_selectorIfEEZZNS1_9scan_implILNS1_25lookback_scan_determinismE0ELb0ELb0ES3_PKfPffZZZN2at6native31launch_logcumsumexp_cuda_kernelERKNSB_10TensorBaseESF_lENKUlvE_clEvENKUlvE0_clEvEUlffE_fEEDaPvRmT3_T4_T5_mT6_P12ihipStream_tbENKUlT_T0_E_clISt17integral_constantIbLb0EESV_IbLb1EEEEDaSR_SS_EUlSR_E0_NS1_11comp_targetILNS1_3genE0ELNS1_11target_archE4294967295ELNS1_3gpuE0ELNS1_3repE0EEENS1_30default_config_static_selectorELNS0_4arch9wavefront6targetE1EEEvT1_,comdat
.Lfunc_end162:
	.size	_ZN7rocprim17ROCPRIM_400000_NS6detail17trampoline_kernelINS0_14default_configENS1_20scan_config_selectorIfEEZZNS1_9scan_implILNS1_25lookback_scan_determinismE0ELb0ELb0ES3_PKfPffZZZN2at6native31launch_logcumsumexp_cuda_kernelERKNSB_10TensorBaseESF_lENKUlvE_clEvENKUlvE0_clEvEUlffE_fEEDaPvRmT3_T4_T5_mT6_P12ihipStream_tbENKUlT_T0_E_clISt17integral_constantIbLb0EESV_IbLb1EEEEDaSR_SS_EUlSR_E0_NS1_11comp_targetILNS1_3genE0ELNS1_11target_archE4294967295ELNS1_3gpuE0ELNS1_3repE0EEENS1_30default_config_static_selectorELNS0_4arch9wavefront6targetE1EEEvT1_, .Lfunc_end162-_ZN7rocprim17ROCPRIM_400000_NS6detail17trampoline_kernelINS0_14default_configENS1_20scan_config_selectorIfEEZZNS1_9scan_implILNS1_25lookback_scan_determinismE0ELb0ELb0ES3_PKfPffZZZN2at6native31launch_logcumsumexp_cuda_kernelERKNSB_10TensorBaseESF_lENKUlvE_clEvENKUlvE0_clEvEUlffE_fEEDaPvRmT3_T4_T5_mT6_P12ihipStream_tbENKUlT_T0_E_clISt17integral_constantIbLb0EESV_IbLb1EEEEDaSR_SS_EUlSR_E0_NS1_11comp_targetILNS1_3genE0ELNS1_11target_archE4294967295ELNS1_3gpuE0ELNS1_3repE0EEENS1_30default_config_static_selectorELNS0_4arch9wavefront6targetE1EEEvT1_
                                        ; -- End function
	.section	.AMDGPU.csdata,"",@progbits
; Kernel info:
; codeLenInByte = 0
; NumSgprs: 4
; NumVgprs: 0
; NumAgprs: 0
; TotalNumVgprs: 0
; ScratchSize: 0
; MemoryBound: 0
; FloatMode: 240
; IeeeMode: 1
; LDSByteSize: 0 bytes/workgroup (compile time only)
; SGPRBlocks: 0
; VGPRBlocks: 0
; NumSGPRsForWavesPerEU: 4
; NumVGPRsForWavesPerEU: 1
; AccumOffset: 4
; Occupancy: 8
; WaveLimiterHint : 0
; COMPUTE_PGM_RSRC2:SCRATCH_EN: 0
; COMPUTE_PGM_RSRC2:USER_SGPR: 6
; COMPUTE_PGM_RSRC2:TRAP_HANDLER: 0
; COMPUTE_PGM_RSRC2:TGID_X_EN: 1
; COMPUTE_PGM_RSRC2:TGID_Y_EN: 0
; COMPUTE_PGM_RSRC2:TGID_Z_EN: 0
; COMPUTE_PGM_RSRC2:TIDIG_COMP_CNT: 0
; COMPUTE_PGM_RSRC3_GFX90A:ACCUM_OFFSET: 0
; COMPUTE_PGM_RSRC3_GFX90A:TG_SPLIT: 0
	.section	.text._ZN7rocprim17ROCPRIM_400000_NS6detail17trampoline_kernelINS0_14default_configENS1_20scan_config_selectorIfEEZZNS1_9scan_implILNS1_25lookback_scan_determinismE0ELb0ELb0ES3_PKfPffZZZN2at6native31launch_logcumsumexp_cuda_kernelERKNSB_10TensorBaseESF_lENKUlvE_clEvENKUlvE0_clEvEUlffE_fEEDaPvRmT3_T4_T5_mT6_P12ihipStream_tbENKUlT_T0_E_clISt17integral_constantIbLb0EESV_IbLb1EEEEDaSR_SS_EUlSR_E0_NS1_11comp_targetILNS1_3genE5ELNS1_11target_archE942ELNS1_3gpuE9ELNS1_3repE0EEENS1_30default_config_static_selectorELNS0_4arch9wavefront6targetE1EEEvT1_,"axG",@progbits,_ZN7rocprim17ROCPRIM_400000_NS6detail17trampoline_kernelINS0_14default_configENS1_20scan_config_selectorIfEEZZNS1_9scan_implILNS1_25lookback_scan_determinismE0ELb0ELb0ES3_PKfPffZZZN2at6native31launch_logcumsumexp_cuda_kernelERKNSB_10TensorBaseESF_lENKUlvE_clEvENKUlvE0_clEvEUlffE_fEEDaPvRmT3_T4_T5_mT6_P12ihipStream_tbENKUlT_T0_E_clISt17integral_constantIbLb0EESV_IbLb1EEEEDaSR_SS_EUlSR_E0_NS1_11comp_targetILNS1_3genE5ELNS1_11target_archE942ELNS1_3gpuE9ELNS1_3repE0EEENS1_30default_config_static_selectorELNS0_4arch9wavefront6targetE1EEEvT1_,comdat
	.globl	_ZN7rocprim17ROCPRIM_400000_NS6detail17trampoline_kernelINS0_14default_configENS1_20scan_config_selectorIfEEZZNS1_9scan_implILNS1_25lookback_scan_determinismE0ELb0ELb0ES3_PKfPffZZZN2at6native31launch_logcumsumexp_cuda_kernelERKNSB_10TensorBaseESF_lENKUlvE_clEvENKUlvE0_clEvEUlffE_fEEDaPvRmT3_T4_T5_mT6_P12ihipStream_tbENKUlT_T0_E_clISt17integral_constantIbLb0EESV_IbLb1EEEEDaSR_SS_EUlSR_E0_NS1_11comp_targetILNS1_3genE5ELNS1_11target_archE942ELNS1_3gpuE9ELNS1_3repE0EEENS1_30default_config_static_selectorELNS0_4arch9wavefront6targetE1EEEvT1_ ; -- Begin function _ZN7rocprim17ROCPRIM_400000_NS6detail17trampoline_kernelINS0_14default_configENS1_20scan_config_selectorIfEEZZNS1_9scan_implILNS1_25lookback_scan_determinismE0ELb0ELb0ES3_PKfPffZZZN2at6native31launch_logcumsumexp_cuda_kernelERKNSB_10TensorBaseESF_lENKUlvE_clEvENKUlvE0_clEvEUlffE_fEEDaPvRmT3_T4_T5_mT6_P12ihipStream_tbENKUlT_T0_E_clISt17integral_constantIbLb0EESV_IbLb1EEEEDaSR_SS_EUlSR_E0_NS1_11comp_targetILNS1_3genE5ELNS1_11target_archE942ELNS1_3gpuE9ELNS1_3repE0EEENS1_30default_config_static_selectorELNS0_4arch9wavefront6targetE1EEEvT1_
	.p2align	8
	.type	_ZN7rocprim17ROCPRIM_400000_NS6detail17trampoline_kernelINS0_14default_configENS1_20scan_config_selectorIfEEZZNS1_9scan_implILNS1_25lookback_scan_determinismE0ELb0ELb0ES3_PKfPffZZZN2at6native31launch_logcumsumexp_cuda_kernelERKNSB_10TensorBaseESF_lENKUlvE_clEvENKUlvE0_clEvEUlffE_fEEDaPvRmT3_T4_T5_mT6_P12ihipStream_tbENKUlT_T0_E_clISt17integral_constantIbLb0EESV_IbLb1EEEEDaSR_SS_EUlSR_E0_NS1_11comp_targetILNS1_3genE5ELNS1_11target_archE942ELNS1_3gpuE9ELNS1_3repE0EEENS1_30default_config_static_selectorELNS0_4arch9wavefront6targetE1EEEvT1_,@function
_ZN7rocprim17ROCPRIM_400000_NS6detail17trampoline_kernelINS0_14default_configENS1_20scan_config_selectorIfEEZZNS1_9scan_implILNS1_25lookback_scan_determinismE0ELb0ELb0ES3_PKfPffZZZN2at6native31launch_logcumsumexp_cuda_kernelERKNSB_10TensorBaseESF_lENKUlvE_clEvENKUlvE0_clEvEUlffE_fEEDaPvRmT3_T4_T5_mT6_P12ihipStream_tbENKUlT_T0_E_clISt17integral_constantIbLb0EESV_IbLb1EEEEDaSR_SS_EUlSR_E0_NS1_11comp_targetILNS1_3genE5ELNS1_11target_archE942ELNS1_3gpuE9ELNS1_3repE0EEENS1_30default_config_static_selectorELNS0_4arch9wavefront6targetE1EEEvT1_: ; @_ZN7rocprim17ROCPRIM_400000_NS6detail17trampoline_kernelINS0_14default_configENS1_20scan_config_selectorIfEEZZNS1_9scan_implILNS1_25lookback_scan_determinismE0ELb0ELb0ES3_PKfPffZZZN2at6native31launch_logcumsumexp_cuda_kernelERKNSB_10TensorBaseESF_lENKUlvE_clEvENKUlvE0_clEvEUlffE_fEEDaPvRmT3_T4_T5_mT6_P12ihipStream_tbENKUlT_T0_E_clISt17integral_constantIbLb0EESV_IbLb1EEEEDaSR_SS_EUlSR_E0_NS1_11comp_targetILNS1_3genE5ELNS1_11target_archE942ELNS1_3gpuE9ELNS1_3repE0EEENS1_30default_config_static_selectorELNS0_4arch9wavefront6targetE1EEEvT1_
; %bb.0:
	.section	.rodata,"a",@progbits
	.p2align	6, 0x0
	.amdhsa_kernel _ZN7rocprim17ROCPRIM_400000_NS6detail17trampoline_kernelINS0_14default_configENS1_20scan_config_selectorIfEEZZNS1_9scan_implILNS1_25lookback_scan_determinismE0ELb0ELb0ES3_PKfPffZZZN2at6native31launch_logcumsumexp_cuda_kernelERKNSB_10TensorBaseESF_lENKUlvE_clEvENKUlvE0_clEvEUlffE_fEEDaPvRmT3_T4_T5_mT6_P12ihipStream_tbENKUlT_T0_E_clISt17integral_constantIbLb0EESV_IbLb1EEEEDaSR_SS_EUlSR_E0_NS1_11comp_targetILNS1_3genE5ELNS1_11target_archE942ELNS1_3gpuE9ELNS1_3repE0EEENS1_30default_config_static_selectorELNS0_4arch9wavefront6targetE1EEEvT1_
		.amdhsa_group_segment_fixed_size 0
		.amdhsa_private_segment_fixed_size 0
		.amdhsa_kernarg_size 32
		.amdhsa_user_sgpr_count 6
		.amdhsa_user_sgpr_private_segment_buffer 1
		.amdhsa_user_sgpr_dispatch_ptr 0
		.amdhsa_user_sgpr_queue_ptr 0
		.amdhsa_user_sgpr_kernarg_segment_ptr 1
		.amdhsa_user_sgpr_dispatch_id 0
		.amdhsa_user_sgpr_flat_scratch_init 0
		.amdhsa_user_sgpr_kernarg_preload_length 0
		.amdhsa_user_sgpr_kernarg_preload_offset 0
		.amdhsa_user_sgpr_private_segment_size 0
		.amdhsa_uses_dynamic_stack 0
		.amdhsa_system_sgpr_private_segment_wavefront_offset 0
		.amdhsa_system_sgpr_workgroup_id_x 1
		.amdhsa_system_sgpr_workgroup_id_y 0
		.amdhsa_system_sgpr_workgroup_id_z 0
		.amdhsa_system_sgpr_workgroup_info 0
		.amdhsa_system_vgpr_workitem_id 0
		.amdhsa_next_free_vgpr 1
		.amdhsa_next_free_sgpr 0
		.amdhsa_accum_offset 4
		.amdhsa_reserve_vcc 0
		.amdhsa_reserve_flat_scratch 0
		.amdhsa_float_round_mode_32 0
		.amdhsa_float_round_mode_16_64 0
		.amdhsa_float_denorm_mode_32 3
		.amdhsa_float_denorm_mode_16_64 3
		.amdhsa_dx10_clamp 1
		.amdhsa_ieee_mode 1
		.amdhsa_fp16_overflow 0
		.amdhsa_tg_split 0
		.amdhsa_exception_fp_ieee_invalid_op 0
		.amdhsa_exception_fp_denorm_src 0
		.amdhsa_exception_fp_ieee_div_zero 0
		.amdhsa_exception_fp_ieee_overflow 0
		.amdhsa_exception_fp_ieee_underflow 0
		.amdhsa_exception_fp_ieee_inexact 0
		.amdhsa_exception_int_div_zero 0
	.end_amdhsa_kernel
	.section	.text._ZN7rocprim17ROCPRIM_400000_NS6detail17trampoline_kernelINS0_14default_configENS1_20scan_config_selectorIfEEZZNS1_9scan_implILNS1_25lookback_scan_determinismE0ELb0ELb0ES3_PKfPffZZZN2at6native31launch_logcumsumexp_cuda_kernelERKNSB_10TensorBaseESF_lENKUlvE_clEvENKUlvE0_clEvEUlffE_fEEDaPvRmT3_T4_T5_mT6_P12ihipStream_tbENKUlT_T0_E_clISt17integral_constantIbLb0EESV_IbLb1EEEEDaSR_SS_EUlSR_E0_NS1_11comp_targetILNS1_3genE5ELNS1_11target_archE942ELNS1_3gpuE9ELNS1_3repE0EEENS1_30default_config_static_selectorELNS0_4arch9wavefront6targetE1EEEvT1_,"axG",@progbits,_ZN7rocprim17ROCPRIM_400000_NS6detail17trampoline_kernelINS0_14default_configENS1_20scan_config_selectorIfEEZZNS1_9scan_implILNS1_25lookback_scan_determinismE0ELb0ELb0ES3_PKfPffZZZN2at6native31launch_logcumsumexp_cuda_kernelERKNSB_10TensorBaseESF_lENKUlvE_clEvENKUlvE0_clEvEUlffE_fEEDaPvRmT3_T4_T5_mT6_P12ihipStream_tbENKUlT_T0_E_clISt17integral_constantIbLb0EESV_IbLb1EEEEDaSR_SS_EUlSR_E0_NS1_11comp_targetILNS1_3genE5ELNS1_11target_archE942ELNS1_3gpuE9ELNS1_3repE0EEENS1_30default_config_static_selectorELNS0_4arch9wavefront6targetE1EEEvT1_,comdat
.Lfunc_end163:
	.size	_ZN7rocprim17ROCPRIM_400000_NS6detail17trampoline_kernelINS0_14default_configENS1_20scan_config_selectorIfEEZZNS1_9scan_implILNS1_25lookback_scan_determinismE0ELb0ELb0ES3_PKfPffZZZN2at6native31launch_logcumsumexp_cuda_kernelERKNSB_10TensorBaseESF_lENKUlvE_clEvENKUlvE0_clEvEUlffE_fEEDaPvRmT3_T4_T5_mT6_P12ihipStream_tbENKUlT_T0_E_clISt17integral_constantIbLb0EESV_IbLb1EEEEDaSR_SS_EUlSR_E0_NS1_11comp_targetILNS1_3genE5ELNS1_11target_archE942ELNS1_3gpuE9ELNS1_3repE0EEENS1_30default_config_static_selectorELNS0_4arch9wavefront6targetE1EEEvT1_, .Lfunc_end163-_ZN7rocprim17ROCPRIM_400000_NS6detail17trampoline_kernelINS0_14default_configENS1_20scan_config_selectorIfEEZZNS1_9scan_implILNS1_25lookback_scan_determinismE0ELb0ELb0ES3_PKfPffZZZN2at6native31launch_logcumsumexp_cuda_kernelERKNSB_10TensorBaseESF_lENKUlvE_clEvENKUlvE0_clEvEUlffE_fEEDaPvRmT3_T4_T5_mT6_P12ihipStream_tbENKUlT_T0_E_clISt17integral_constantIbLb0EESV_IbLb1EEEEDaSR_SS_EUlSR_E0_NS1_11comp_targetILNS1_3genE5ELNS1_11target_archE942ELNS1_3gpuE9ELNS1_3repE0EEENS1_30default_config_static_selectorELNS0_4arch9wavefront6targetE1EEEvT1_
                                        ; -- End function
	.section	.AMDGPU.csdata,"",@progbits
; Kernel info:
; codeLenInByte = 0
; NumSgprs: 4
; NumVgprs: 0
; NumAgprs: 0
; TotalNumVgprs: 0
; ScratchSize: 0
; MemoryBound: 0
; FloatMode: 240
; IeeeMode: 1
; LDSByteSize: 0 bytes/workgroup (compile time only)
; SGPRBlocks: 0
; VGPRBlocks: 0
; NumSGPRsForWavesPerEU: 4
; NumVGPRsForWavesPerEU: 1
; AccumOffset: 4
; Occupancy: 8
; WaveLimiterHint : 0
; COMPUTE_PGM_RSRC2:SCRATCH_EN: 0
; COMPUTE_PGM_RSRC2:USER_SGPR: 6
; COMPUTE_PGM_RSRC2:TRAP_HANDLER: 0
; COMPUTE_PGM_RSRC2:TGID_X_EN: 1
; COMPUTE_PGM_RSRC2:TGID_Y_EN: 0
; COMPUTE_PGM_RSRC2:TGID_Z_EN: 0
; COMPUTE_PGM_RSRC2:TIDIG_COMP_CNT: 0
; COMPUTE_PGM_RSRC3_GFX90A:ACCUM_OFFSET: 0
; COMPUTE_PGM_RSRC3_GFX90A:TG_SPLIT: 0
	.section	.text._ZN7rocprim17ROCPRIM_400000_NS6detail17trampoline_kernelINS0_14default_configENS1_20scan_config_selectorIfEEZZNS1_9scan_implILNS1_25lookback_scan_determinismE0ELb0ELb0ES3_PKfPffZZZN2at6native31launch_logcumsumexp_cuda_kernelERKNSB_10TensorBaseESF_lENKUlvE_clEvENKUlvE0_clEvEUlffE_fEEDaPvRmT3_T4_T5_mT6_P12ihipStream_tbENKUlT_T0_E_clISt17integral_constantIbLb0EESV_IbLb1EEEEDaSR_SS_EUlSR_E0_NS1_11comp_targetILNS1_3genE4ELNS1_11target_archE910ELNS1_3gpuE8ELNS1_3repE0EEENS1_30default_config_static_selectorELNS0_4arch9wavefront6targetE1EEEvT1_,"axG",@progbits,_ZN7rocprim17ROCPRIM_400000_NS6detail17trampoline_kernelINS0_14default_configENS1_20scan_config_selectorIfEEZZNS1_9scan_implILNS1_25lookback_scan_determinismE0ELb0ELb0ES3_PKfPffZZZN2at6native31launch_logcumsumexp_cuda_kernelERKNSB_10TensorBaseESF_lENKUlvE_clEvENKUlvE0_clEvEUlffE_fEEDaPvRmT3_T4_T5_mT6_P12ihipStream_tbENKUlT_T0_E_clISt17integral_constantIbLb0EESV_IbLb1EEEEDaSR_SS_EUlSR_E0_NS1_11comp_targetILNS1_3genE4ELNS1_11target_archE910ELNS1_3gpuE8ELNS1_3repE0EEENS1_30default_config_static_selectorELNS0_4arch9wavefront6targetE1EEEvT1_,comdat
	.globl	_ZN7rocprim17ROCPRIM_400000_NS6detail17trampoline_kernelINS0_14default_configENS1_20scan_config_selectorIfEEZZNS1_9scan_implILNS1_25lookback_scan_determinismE0ELb0ELb0ES3_PKfPffZZZN2at6native31launch_logcumsumexp_cuda_kernelERKNSB_10TensorBaseESF_lENKUlvE_clEvENKUlvE0_clEvEUlffE_fEEDaPvRmT3_T4_T5_mT6_P12ihipStream_tbENKUlT_T0_E_clISt17integral_constantIbLb0EESV_IbLb1EEEEDaSR_SS_EUlSR_E0_NS1_11comp_targetILNS1_3genE4ELNS1_11target_archE910ELNS1_3gpuE8ELNS1_3repE0EEENS1_30default_config_static_selectorELNS0_4arch9wavefront6targetE1EEEvT1_ ; -- Begin function _ZN7rocprim17ROCPRIM_400000_NS6detail17trampoline_kernelINS0_14default_configENS1_20scan_config_selectorIfEEZZNS1_9scan_implILNS1_25lookback_scan_determinismE0ELb0ELb0ES3_PKfPffZZZN2at6native31launch_logcumsumexp_cuda_kernelERKNSB_10TensorBaseESF_lENKUlvE_clEvENKUlvE0_clEvEUlffE_fEEDaPvRmT3_T4_T5_mT6_P12ihipStream_tbENKUlT_T0_E_clISt17integral_constantIbLb0EESV_IbLb1EEEEDaSR_SS_EUlSR_E0_NS1_11comp_targetILNS1_3genE4ELNS1_11target_archE910ELNS1_3gpuE8ELNS1_3repE0EEENS1_30default_config_static_selectorELNS0_4arch9wavefront6targetE1EEEvT1_
	.p2align	8
	.type	_ZN7rocprim17ROCPRIM_400000_NS6detail17trampoline_kernelINS0_14default_configENS1_20scan_config_selectorIfEEZZNS1_9scan_implILNS1_25lookback_scan_determinismE0ELb0ELb0ES3_PKfPffZZZN2at6native31launch_logcumsumexp_cuda_kernelERKNSB_10TensorBaseESF_lENKUlvE_clEvENKUlvE0_clEvEUlffE_fEEDaPvRmT3_T4_T5_mT6_P12ihipStream_tbENKUlT_T0_E_clISt17integral_constantIbLb0EESV_IbLb1EEEEDaSR_SS_EUlSR_E0_NS1_11comp_targetILNS1_3genE4ELNS1_11target_archE910ELNS1_3gpuE8ELNS1_3repE0EEENS1_30default_config_static_selectorELNS0_4arch9wavefront6targetE1EEEvT1_,@function
_ZN7rocprim17ROCPRIM_400000_NS6detail17trampoline_kernelINS0_14default_configENS1_20scan_config_selectorIfEEZZNS1_9scan_implILNS1_25lookback_scan_determinismE0ELb0ELb0ES3_PKfPffZZZN2at6native31launch_logcumsumexp_cuda_kernelERKNSB_10TensorBaseESF_lENKUlvE_clEvENKUlvE0_clEvEUlffE_fEEDaPvRmT3_T4_T5_mT6_P12ihipStream_tbENKUlT_T0_E_clISt17integral_constantIbLb0EESV_IbLb1EEEEDaSR_SS_EUlSR_E0_NS1_11comp_targetILNS1_3genE4ELNS1_11target_archE910ELNS1_3gpuE8ELNS1_3repE0EEENS1_30default_config_static_selectorELNS0_4arch9wavefront6targetE1EEEvT1_: ; @_ZN7rocprim17ROCPRIM_400000_NS6detail17trampoline_kernelINS0_14default_configENS1_20scan_config_selectorIfEEZZNS1_9scan_implILNS1_25lookback_scan_determinismE0ELb0ELb0ES3_PKfPffZZZN2at6native31launch_logcumsumexp_cuda_kernelERKNSB_10TensorBaseESF_lENKUlvE_clEvENKUlvE0_clEvEUlffE_fEEDaPvRmT3_T4_T5_mT6_P12ihipStream_tbENKUlT_T0_E_clISt17integral_constantIbLb0EESV_IbLb1EEEEDaSR_SS_EUlSR_E0_NS1_11comp_targetILNS1_3genE4ELNS1_11target_archE910ELNS1_3gpuE8ELNS1_3repE0EEENS1_30default_config_static_selectorELNS0_4arch9wavefront6targetE1EEEvT1_
; %bb.0:
	s_load_dwordx4 s[28:31], s[4:5], 0x0
	v_lshlrev_b32_e32 v18, 2, v0
	s_waitcnt lgkmcnt(0)
	s_load_dword s26, s[28:29], 0x0
	v_cmp_gt_u32_e32 vcc, s30, v0
	s_waitcnt lgkmcnt(0)
	v_mov_b32_e32 v1, s26
	s_and_saveexec_b64 s[0:1], vcc
	s_cbranch_execz .LBB164_2
; %bb.1:
	global_load_dword v1, v18, s[28:29]
.LBB164_2:
	s_or_b64 exec, exec, s[0:1]
	v_or_b32_e32 v2, 0x80, v0
	v_cmp_gt_u32_e64 s[0:1], s30, v2
	v_mov_b32_e32 v2, s26
	s_and_saveexec_b64 s[2:3], s[0:1]
	s_cbranch_execz .LBB164_4
; %bb.3:
	global_load_dword v2, v18, s[28:29] offset:512
.LBB164_4:
	s_or_b64 exec, exec, s[2:3]
	v_or_b32_e32 v3, 0x100, v0
	v_cmp_gt_u32_e64 s[2:3], s30, v3
	v_mov_b32_e32 v3, s26
	s_and_saveexec_b64 s[6:7], s[2:3]
	s_cbranch_execz .LBB164_6
; %bb.5:
	global_load_dword v3, v18, s[28:29] offset:1024
.LBB164_6:
	;; [unrolled: 9-line block ×7, first 2 shown]
	s_or_b64 exec, exec, s[14:15]
	v_or_b32_e32 v10, 0x400, v0
	v_cmp_gt_u32_e64 s[14:15], s30, v10
	v_mov_b32_e32 v9, s26
	s_and_saveexec_b64 s[16:17], s[14:15]
	s_cbranch_execz .LBB164_18
; %bb.17:
	v_lshlrev_b32_e32 v9, 2, v10
	global_load_dword v9, v9, s[28:29]
.LBB164_18:
	s_or_b64 exec, exec, s[16:17]
	v_or_b32_e32 v11, 0x480, v0
	v_cmp_gt_u32_e64 s[16:17], s30, v11
	v_mov_b32_e32 v10, s26
	s_and_saveexec_b64 s[18:19], s[16:17]
	s_cbranch_execz .LBB164_20
; %bb.19:
	v_lshlrev_b32_e32 v10, 2, v11
	global_load_dword v10, v10, s[28:29]
.LBB164_20:
	;; [unrolled: 10-line block ×6, first 2 shown]
	s_or_b64 exec, exec, s[26:27]
	s_waitcnt vmcnt(0)
	ds_write2st64_b32 v18, v1, v2 offset1:2
	ds_write2st64_b32 v18, v3, v4 offset0:4 offset1:6
	ds_write2st64_b32 v18, v5, v6 offset0:8 offset1:10
	;; [unrolled: 1-line block ×6, first 2 shown]
	v_mad_u32_u24 v1, v0, 52, v18
	s_waitcnt lgkmcnt(0)
	s_barrier
	ds_read2_b64 v[2:5], v1 offset1:1
	ds_read2_b64 v[10:13], v1 offset0:2 offset1:3
	ds_read2_b64 v[6:9], v1 offset0:4 offset1:5
	ds_read_b64 v[14:15], v1 offset:48
	s_movk_i32 s33, 0x1f8
	s_waitcnt lgkmcnt(3)
	v_max_f32_e32 v24, v3, v3
	v_max_f32_e32 v33, v2, v2
	v_min_f32_e32 v31, v33, v24
	v_cmp_u_f32_e64 s[54:55], v2, v2
	v_cndmask_b32_e64 v1, v31, v2, s[54:55]
	v_cmp_u_f32_e64 s[26:27], v3, v3
	v_max_f32_e32 v32, v33, v24
	v_cndmask_b32_e64 v16, v1, v3, s[26:27]
	v_cndmask_b32_e64 v1, v32, v2, s[54:55]
	;; [unrolled: 1-line block ×3, first 2 shown]
	v_cmp_neq_f32_e64 s[28:29], v16, v1
	v_cmp_class_f32_e64 s[30:31], v16, s33
	s_or_b64 s[28:29], s[28:29], s[30:31]
	v_mov_b32_e32 v34, v2
	s_waitcnt lgkmcnt(0)
	s_barrier
	s_and_saveexec_b64 s[30:31], s[28:29]
	s_cbranch_execz .LBB164_30
; %bb.29:
	v_sub_f32_e32 v16, v16, v1
	s_mov_b32 s28, 0x3fb8aa3b
	v_mul_f32_e32 v17, 0x3fb8aa3b, v16
	v_fma_f32 v19, v16, s28, -v17
	v_rndne_f32_e32 v20, v17
	v_fmac_f32_e32 v19, 0x32a5705f, v16
	v_sub_f32_e32 v17, v17, v20
	v_add_f32_e32 v17, v17, v19
	v_exp_f32_e32 v17, v17
	v_cvt_i32_f32_e32 v19, v20
	s_mov_b32 s28, 0xc2ce8ed0
	v_cmp_ngt_f32_e64 s[28:29], s28, v16
	s_mov_b32 s34, 0x7f800000
	v_ldexp_f32 v17, v17, v19
	v_cndmask_b32_e64 v17, 0, v17, s[28:29]
	s_mov_b32 s28, 0x42b17218
	v_mov_b32_e32 v19, 0x7f800000
	v_cmp_nlt_f32_e64 s[28:29], s28, v16
	v_cndmask_b32_e64 v25, v19, v17, s[28:29]
	v_add_f32_e32 v19, 1.0, v25
	v_add_f32_e32 v16, -1.0, v19
	v_sub_f32_e32 v17, v16, v19
	v_add_f32_e32 v17, 1.0, v17
	v_sub_f32_e32 v16, v25, v16
	v_add_f32_e32 v20, v16, v17
	v_frexp_mant_f32_e32 v21, v19
	s_mov_b32 s28, 0x3f2aaaab
	v_cvt_f64_f32_e32 v[16:17], v19
	v_frexp_exp_i32_f64_e32 v16, v[16:17]
	v_cmp_gt_f32_e64 s[28:29], s28, v21
	v_subbrev_co_u32_e64 v28, s[28:29], 0, v16, s[28:29]
	v_sub_u32_e32 v16, 0, v28
	v_ldexp_f32 v17, v19, v16
	v_add_f32_e32 v19, -1.0, v17
	v_add_f32_e32 v21, 1.0, v17
	v_ldexp_f32 v16, v20, v16
	v_add_f32_e32 v20, 1.0, v19
	v_add_f32_e32 v22, -1.0, v21
	v_sub_f32_e32 v20, v17, v20
	v_sub_f32_e32 v17, v17, v22
	v_add_f32_e32 v20, v16, v20
	v_add_f32_e32 v16, v16, v17
	;; [unrolled: 1-line block ×3, first 2 shown]
	v_rcp_f32_e32 v34, v29
	v_sub_f32_e32 v17, v21, v29
	v_add_f32_e32 v30, v16, v17
	v_add_f32_e32 v17, v19, v20
	v_sub_f32_e32 v16, v19, v17
	v_mul_f32_e32 v35, v17, v34
	v_add_f32_e32 v19, v20, v16
	v_mul_f32_e32 v20, v29, v35
	v_fma_f32 v22, v35, v29, -v20
	v_fmac_f32_e32 v22, v35, v30
	v_add_f32_e32 v16, v20, v22
	v_sub_f32_e32 v21, v17, v16
	v_pk_add_f32 v[26:27], v[16:17], v[20:21] neg_lo:[0,1] neg_hi:[0,1]
	v_mov_b32_e32 v23, v16
	v_pk_add_f32 v[16:17], v[26:27], v[22:23] neg_lo:[0,1] neg_hi:[0,1]
	v_add_f32_e32 v17, v19, v17
	v_add_f32_e32 v16, v16, v17
	;; [unrolled: 1-line block ×3, first 2 shown]
	v_mul_f32_e32 v19, v34, v17
	v_mul_f32_e32 v20, v29, v19
	v_fma_f32 v22, v19, v29, -v20
	v_fmac_f32_e32 v22, v19, v30
	v_sub_f32_e32 v21, v21, v17
	v_add_f32_e32 v29, v16, v21
	v_add_f32_e32 v16, v20, v22
	v_sub_f32_e32 v21, v17, v16
	v_pk_add_f32 v[26:27], v[16:17], v[20:21] neg_lo:[0,1] neg_hi:[0,1]
	v_mov_b32_e32 v23, v16
	v_pk_add_f32 v[16:17], v[26:27], v[22:23] neg_lo:[0,1] neg_hi:[0,1]
	v_add_f32_e32 v17, v29, v17
	v_add_f32_e32 v16, v16, v17
	;; [unrolled: 1-line block ×4, first 2 shown]
	v_sub_f32_e32 v17, v21, v35
	v_mul_f32_e32 v16, v34, v16
	v_sub_f32_e32 v17, v19, v17
	v_add_f32_e32 v16, v17, v16
	v_add_f32_e32 v19, v21, v16
	v_mul_f32_e32 v22, v19, v19
	v_mov_b32_e32 v20, 0x3ecc95a3
	v_fmac_f32_e32 v20, 0x3e9b6dac, v22
	v_mov_b32_e32 v17, 0x3f2aaada
	v_fmac_f32_e32 v17, v22, v20
	v_cvt_f32_i32_e32 v20, v28
	v_sub_f32_e32 v21, v19, v21
	v_sub_f32_e32 v16, v16, v21
	v_ldexp_f32 v26, v16, 1
	v_mul_f32_e32 v21, v19, v22
	v_mov_b32_e32 v16, 0x3f317218
	s_mov_b32 s28, 0x3f317218
	v_pk_mul_f32 v[16:17], v[20:21], v[16:17]
	v_fma_f32 v22, v20, s28, -v16
	v_ldexp_f32 v23, v19, 1
	v_fmac_f32_e32 v22, 0xb102e308, v20
	v_pk_add_f32 v[20:21], v[16:17], v[22:23]
	v_sub_f32_e32 v19, v21, v23
	v_sub_f32_e32 v19, v17, v19
	v_add_f32_e32 v27, v26, v19
	v_mov_b32_e32 v26, v16
	v_pk_add_f32 v[16:17], v[20:21], v[16:17] neg_lo:[0,1] neg_hi:[0,1]
	v_pk_add_f32 v[28:29], v[20:21], v[26:27]
	v_mov_b32_e32 v17, v29
	v_mov_b32_e32 v23, v20
	v_pk_add_f32 v[34:35], v[22:23], v[16:17] neg_lo:[0,1] neg_hi:[0,1]
	v_pk_add_f32 v[16:17], v[22:23], v[16:17]
	v_mov_b32_e32 v22, v17
	v_pk_add_f32 v[36:37], v[22:23], v[20:21] neg_lo:[0,1] neg_hi:[0,1]
	v_mov_b32_e32 v19, v36
	v_pk_add_f32 v[38:39], v[28:29], v[18:19] neg_lo:[0,1] neg_hi:[0,1]
	v_mov_b32_e32 v16, v29
	v_mov_b32_e32 v28, v21
	;; [unrolled: 1-line block ×4, first 2 shown]
	v_pk_add_f32 v[16:17], v[16:17], v[28:29] neg_lo:[0,1] neg_hi:[0,1]
	v_mov_b32_e32 v26, v27
	v_mov_b32_e32 v27, v20
	v_pk_add_f32 v[16:17], v[26:27], v[16:17] neg_lo:[0,1] neg_hi:[0,1]
	v_mov_b32_e32 v38, v34
	v_pk_add_f32 v[20:21], v[38:39], v[16:17]
	v_mov_b32_e32 v26, v21
	v_pk_add_f32 v[26:27], v[20:21], v[26:27]
	v_pk_add_f32 v[22:23], v[22:23], v[26:27]
	v_mov_b32_e32 v21, v22
	v_pk_add_f32 v[28:29], v[20:21], v[34:35] neg_lo:[0,1] neg_hi:[0,1]
	v_mov_b32_e32 v17, v26
	v_sub_f32_e32 v19, v20, v28
	v_pk_add_f32 v[16:17], v[16:17], v[28:29] neg_lo:[0,1] neg_hi:[0,1]
	v_sub_f32_e32 v19, v34, v19
	v_add_f32_e32 v16, v16, v19
	v_cmp_eq_f32_e64 s[28:29], s34, v25
	s_mov_b32 s34, 0x33800000
	v_add_f32_e32 v16, v16, v17
	v_cmp_lt_f32_e64 s[34:35], |v25|, s34
	v_add_f32_e32 v16, v22, v16
	s_or_b64 s[28:29], s[28:29], s[34:35]
	v_cndmask_b32_e64 v16, v16, v25, s[28:29]
	v_add_f32_e32 v34, v1, v16
.LBB164_30:
	s_or_b64 exec, exec, s[30:31]
	v_max_f32_e32 v16, v34, v34
	v_max_f32_e32 v1, v4, v4
	v_min_f32_e32 v17, v16, v1
	v_cmp_u_f32_e64 s[30:31], v34, v34
	v_max_f32_e32 v16, v16, v1
	v_cndmask_b32_e64 v17, v17, v34, s[30:31]
	v_cmp_u_f32_e64 s[28:29], v4, v4
	v_cndmask_b32_e64 v16, v16, v34, s[30:31]
	v_cndmask_b32_e64 v17, v17, v4, s[28:29]
	;; [unrolled: 1-line block ×3, first 2 shown]
	v_cmp_neq_f32_e64 s[30:31], v17, v16
	v_cmp_class_f32_e64 s[34:35], v17, s33
	s_or_b64 s[30:31], s[30:31], s[34:35]
	s_and_saveexec_b64 s[34:35], s[30:31]
	s_cbranch_execz .LBB164_32
; %bb.31:
	v_sub_f32_e32 v17, v17, v16
	s_mov_b32 s30, 0x3fb8aa3b
	v_mul_f32_e32 v19, 0x3fb8aa3b, v17
	v_fma_f32 v20, v17, s30, -v19
	v_rndne_f32_e32 v21, v19
	v_fmac_f32_e32 v20, 0x32a5705f, v17
	v_sub_f32_e32 v19, v19, v21
	v_add_f32_e32 v19, v19, v20
	v_exp_f32_e32 v19, v19
	v_cvt_i32_f32_e32 v20, v21
	s_mov_b32 s30, 0xc2ce8ed0
	v_cmp_ngt_f32_e64 s[30:31], s30, v17
	s_mov_b32 s33, 0x7f800000
	v_ldexp_f32 v19, v19, v20
	v_cndmask_b32_e64 v19, 0, v19, s[30:31]
	s_mov_b32 s30, 0x42b17218
	v_mov_b32_e32 v20, 0x7f800000
	v_cmp_nlt_f32_e64 s[30:31], s30, v17
	v_cndmask_b32_e64 v19, v20, v19, s[30:31]
	v_add_f32_e32 v17, 1.0, v19
	v_add_f32_e32 v20, -1.0, v17
	v_sub_f32_e32 v21, v20, v17
	v_add_f32_e32 v21, 1.0, v21
	v_sub_f32_e32 v20, v19, v20
	v_add_f32_e32 v22, v20, v21
	v_frexp_mant_f32_e32 v23, v17
	s_mov_b32 s30, 0x3f2aaaab
	v_cvt_f64_f32_e32 v[20:21], v17
	v_frexp_exp_i32_f64_e32 v20, v[20:21]
	v_cmp_gt_f32_e64 s[30:31], s30, v23
	v_subbrev_co_u32_e64 v25, s[30:31], 0, v20, s[30:31]
	v_sub_u32_e32 v20, 0, v25
	v_ldexp_f32 v17, v17, v20
	v_ldexp_f32 v20, v22, v20
	v_add_f32_e32 v22, -1.0, v17
	v_add_f32_e32 v21, 1.0, v22
	v_sub_f32_e32 v21, v17, v21
	v_add_f32_e32 v23, v20, v21
	v_add_f32_e32 v21, 1.0, v17
	v_add_f32_e32 v26, -1.0, v21
	v_sub_f32_e32 v17, v17, v26
	v_add_f32_e32 v17, v20, v17
	v_add_f32_e32 v30, v21, v17
	v_rcp_f32_e32 v34, v30
	v_sub_f32_e32 v20, v21, v30
	v_add_f32_e32 v21, v22, v23
	v_add_f32_e32 v17, v17, v20
	v_mul_f32_e32 v36, v21, v34
	v_sub_f32_e32 v20, v22, v21
	v_mul_f32_e32 v22, v30, v36
	v_fma_f32 v26, v36, v30, -v22
	v_fmac_f32_e32 v26, v36, v17
	v_add_f32_e32 v35, v23, v20
	v_add_f32_e32 v20, v22, v26
	v_sub_f32_e32 v23, v21, v20
	v_pk_add_f32 v[28:29], v[20:21], v[22:23] neg_lo:[0,1] neg_hi:[0,1]
	v_mov_b32_e32 v27, v20
	v_pk_add_f32 v[20:21], v[28:29], v[26:27] neg_lo:[0,1] neg_hi:[0,1]
	v_add_f32_e32 v21, v35, v21
	v_add_f32_e32 v20, v20, v21
	v_add_f32_e32 v21, v23, v20
	v_mul_f32_e32 v35, v34, v21
	v_mul_f32_e32 v22, v30, v35
	v_fma_f32 v26, v35, v30, -v22
	v_fmac_f32_e32 v26, v35, v17
	v_sub_f32_e32 v17, v23, v21
	v_add_f32_e32 v17, v20, v17
	v_add_f32_e32 v20, v22, v26
	v_sub_f32_e32 v23, v21, v20
	v_pk_add_f32 v[28:29], v[20:21], v[22:23] neg_lo:[0,1] neg_hi:[0,1]
	v_mov_b32_e32 v27, v20
	v_pk_add_f32 v[20:21], v[28:29], v[26:27] neg_lo:[0,1] neg_hi:[0,1]
	v_add_f32_e32 v17, v17, v21
	v_add_f32_e32 v17, v20, v17
	;; [unrolled: 1-line block ×4, first 2 shown]
	v_sub_f32_e32 v21, v20, v36
	v_mul_f32_e32 v17, v34, v17
	v_sub_f32_e32 v21, v35, v21
	v_add_f32_e32 v17, v21, v17
	v_add_f32_e32 v23, v20, v17
	v_mul_f32_e32 v26, v23, v23
	v_mov_b32_e32 v22, 0x3ecc95a3
	v_fmac_f32_e32 v22, 0x3e9b6dac, v26
	v_mov_b32_e32 v21, 0x3f2aaada
	v_fmac_f32_e32 v21, v26, v22
	v_cvt_f32_i32_e32 v22, v25
	v_sub_f32_e32 v20, v23, v20
	v_sub_f32_e32 v17, v17, v20
	v_ldexp_f32 v27, v23, 1
	v_mul_f32_e32 v23, v23, v26
	v_mov_b32_e32 v20, 0x3f317218
	s_mov_b32 s30, 0x3f317218
	v_pk_mul_f32 v[20:21], v[22:23], v[20:21]
	v_fma_f32 v26, v22, s30, -v20
	v_fmac_f32_e32 v26, 0xb102e308, v22
	v_pk_add_f32 v[22:23], v[20:21], v[26:27]
	v_sub_f32_e32 v25, v23, v27
	v_ldexp_f32 v17, v17, 1
	v_sub_f32_e32 v25, v21, v25
	v_add_f32_e32 v29, v17, v25
	v_mov_b32_e32 v28, v20
	v_pk_add_f32 v[20:21], v[22:23], v[20:21] neg_lo:[0,1] neg_hi:[0,1]
	v_pk_add_f32 v[34:35], v[22:23], v[28:29]
	v_mov_b32_e32 v21, v35
	v_mov_b32_e32 v27, v22
	v_pk_add_f32 v[36:37], v[26:27], v[20:21] neg_lo:[0,1] neg_hi:[0,1]
	v_pk_add_f32 v[20:21], v[26:27], v[20:21]
	v_mov_b32_e32 v26, v21
	v_pk_add_f32 v[38:39], v[26:27], v[22:23] neg_lo:[0,1] neg_hi:[0,1]
	v_mov_b32_e32 v17, v38
	v_pk_add_f32 v[40:41], v[34:35], v[16:17] neg_lo:[0,1] neg_hi:[0,1]
	v_mov_b32_e32 v20, v35
	v_mov_b32_e32 v34, v23
	;; [unrolled: 1-line block ×4, first 2 shown]
	v_pk_add_f32 v[20:21], v[20:21], v[34:35] neg_lo:[0,1] neg_hi:[0,1]
	v_mov_b32_e32 v28, v29
	v_mov_b32_e32 v29, v22
	v_pk_add_f32 v[20:21], v[28:29], v[20:21] neg_lo:[0,1] neg_hi:[0,1]
	v_mov_b32_e32 v40, v36
	v_pk_add_f32 v[22:23], v[40:41], v[20:21]
	v_mov_b32_e32 v28, v23
	v_pk_add_f32 v[28:29], v[22:23], v[28:29]
	v_pk_add_f32 v[26:27], v[26:27], v[28:29]
	v_mov_b32_e32 v23, v26
	v_pk_add_f32 v[34:35], v[22:23], v[36:37] neg_lo:[0,1] neg_hi:[0,1]
	v_mov_b32_e32 v21, v28
	v_sub_f32_e32 v17, v22, v34
	v_pk_add_f32 v[20:21], v[20:21], v[34:35] neg_lo:[0,1] neg_hi:[0,1]
	v_sub_f32_e32 v17, v36, v17
	v_add_f32_e32 v17, v20, v17
	v_cmp_eq_f32_e64 s[30:31], s33, v19
	s_mov_b32 s33, 0x33800000
	v_add_f32_e32 v17, v17, v21
	v_cmp_lt_f32_e64 s[36:37], |v19|, s33
	v_add_f32_e32 v17, v26, v17
	s_or_b64 s[30:31], s[30:31], s[36:37]
	v_cndmask_b32_e64 v17, v17, v19, s[30:31]
	v_add_f32_e32 v34, v16, v17
.LBB164_32:
	s_or_b64 exec, exec, s[34:35]
	v_max_f32_e32 v16, v34, v34
	v_max_f32_e32 v19, v5, v5
	v_min_f32_e32 v17, v16, v19
	v_cmp_u_f32_e64 s[34:35], v34, v34
	v_max_f32_e32 v16, v16, v19
	v_cndmask_b32_e64 v17, v17, v34, s[34:35]
	v_cmp_u_f32_e64 s[30:31], v5, v5
	v_cndmask_b32_e64 v16, v16, v34, s[34:35]
	v_cndmask_b32_e64 v17, v17, v5, s[30:31]
	;; [unrolled: 1-line block ×3, first 2 shown]
	s_movk_i32 s33, 0x1f8
	v_cmp_neq_f32_e64 s[34:35], v17, v16
	v_cmp_class_f32_e64 s[36:37], v17, s33
	s_or_b64 s[34:35], s[34:35], s[36:37]
	s_and_saveexec_b64 s[36:37], s[34:35]
	s_cbranch_execz .LBB164_34
; %bb.33:
	v_sub_f32_e32 v17, v17, v16
	s_mov_b32 s34, 0x3fb8aa3b
	v_mul_f32_e32 v20, 0x3fb8aa3b, v17
	v_fma_f32 v21, v17, s34, -v20
	v_rndne_f32_e32 v22, v20
	v_fmac_f32_e32 v21, 0x32a5705f, v17
	v_sub_f32_e32 v20, v20, v22
	v_add_f32_e32 v20, v20, v21
	v_exp_f32_e32 v20, v20
	v_cvt_i32_f32_e32 v21, v22
	s_mov_b32 s34, 0xc2ce8ed0
	v_cmp_ngt_f32_e64 s[34:35], s34, v17
	s_mov_b32 s38, 0x7f800000
	v_ldexp_f32 v20, v20, v21
	v_cndmask_b32_e64 v20, 0, v20, s[34:35]
	s_mov_b32 s34, 0x42b17218
	v_mov_b32_e32 v21, 0x7f800000
	v_cmp_nlt_f32_e64 s[34:35], s34, v17
	v_cndmask_b32_e64 v25, v21, v20, s[34:35]
	v_add_f32_e32 v17, 1.0, v25
	v_add_f32_e32 v20, -1.0, v17
	v_sub_f32_e32 v21, v20, v17
	v_add_f32_e32 v21, 1.0, v21
	v_sub_f32_e32 v20, v25, v20
	v_add_f32_e32 v22, v20, v21
	v_frexp_mant_f32_e32 v23, v17
	s_mov_b32 s34, 0x3f2aaaab
	v_cvt_f64_f32_e32 v[20:21], v17
	v_frexp_exp_i32_f64_e32 v20, v[20:21]
	v_cmp_gt_f32_e64 s[34:35], s34, v23
	v_subbrev_co_u32_e64 v30, s[34:35], 0, v20, s[34:35]
	v_sub_u32_e32 v20, 0, v30
	v_ldexp_f32 v17, v17, v20
	v_ldexp_f32 v20, v22, v20
	v_add_f32_e32 v22, -1.0, v17
	v_add_f32_e32 v21, 1.0, v22
	v_sub_f32_e32 v21, v17, v21
	v_add_f32_e32 v23, v20, v21
	v_add_f32_e32 v21, 1.0, v17
	v_add_f32_e32 v26, -1.0, v21
	v_sub_f32_e32 v17, v17, v26
	v_add_f32_e32 v17, v20, v17
	v_add_f32_e32 v34, v21, v17
	v_rcp_f32_e32 v35, v34
	v_sub_f32_e32 v20, v21, v34
	v_add_f32_e32 v21, v22, v23
	v_add_f32_e32 v17, v17, v20
	v_mul_f32_e32 v37, v21, v35
	v_sub_f32_e32 v20, v22, v21
	v_mul_f32_e32 v22, v34, v37
	v_fma_f32 v26, v37, v34, -v22
	v_fmac_f32_e32 v26, v37, v17
	v_add_f32_e32 v36, v23, v20
	v_add_f32_e32 v20, v22, v26
	v_sub_f32_e32 v23, v21, v20
	v_pk_add_f32 v[28:29], v[20:21], v[22:23] neg_lo:[0,1] neg_hi:[0,1]
	v_mov_b32_e32 v27, v20
	v_pk_add_f32 v[20:21], v[28:29], v[26:27] neg_lo:[0,1] neg_hi:[0,1]
	v_add_f32_e32 v21, v36, v21
	v_add_f32_e32 v20, v20, v21
	;; [unrolled: 1-line block ×3, first 2 shown]
	v_mul_f32_e32 v36, v35, v21
	v_mul_f32_e32 v22, v34, v36
	v_fma_f32 v26, v36, v34, -v22
	v_fmac_f32_e32 v26, v36, v17
	v_sub_f32_e32 v17, v23, v21
	v_add_f32_e32 v17, v20, v17
	v_add_f32_e32 v20, v22, v26
	v_sub_f32_e32 v23, v21, v20
	v_pk_add_f32 v[28:29], v[20:21], v[22:23] neg_lo:[0,1] neg_hi:[0,1]
	v_mov_b32_e32 v27, v20
	v_pk_add_f32 v[20:21], v[28:29], v[26:27] neg_lo:[0,1] neg_hi:[0,1]
	v_add_f32_e32 v17, v17, v21
	v_add_f32_e32 v17, v20, v17
	;; [unrolled: 1-line block ×4, first 2 shown]
	v_sub_f32_e32 v21, v20, v37
	v_mul_f32_e32 v17, v35, v17
	v_sub_f32_e32 v21, v36, v21
	v_add_f32_e32 v17, v21, v17
	v_add_f32_e32 v23, v20, v17
	v_mul_f32_e32 v26, v23, v23
	v_mov_b32_e32 v22, 0x3ecc95a3
	v_fmac_f32_e32 v22, 0x3e9b6dac, v26
	v_mov_b32_e32 v21, 0x3f2aaada
	v_fmac_f32_e32 v21, v26, v22
	v_cvt_f32_i32_e32 v22, v30
	v_sub_f32_e32 v20, v23, v20
	v_sub_f32_e32 v17, v17, v20
	v_ldexp_f32 v27, v23, 1
	v_mul_f32_e32 v23, v23, v26
	v_mov_b32_e32 v20, 0x3f317218
	s_mov_b32 s34, 0x3f317218
	v_pk_mul_f32 v[20:21], v[22:23], v[20:21]
	v_fma_f32 v26, v22, s34, -v20
	v_fmac_f32_e32 v26, 0xb102e308, v22
	v_pk_add_f32 v[22:23], v[20:21], v[26:27]
	v_sub_f32_e32 v27, v23, v27
	v_ldexp_f32 v17, v17, 1
	v_sub_f32_e32 v27, v21, v27
	v_add_f32_e32 v29, v17, v27
	v_mov_b32_e32 v28, v20
	v_pk_add_f32 v[20:21], v[22:23], v[20:21] neg_lo:[0,1] neg_hi:[0,1]
	v_pk_add_f32 v[34:35], v[22:23], v[28:29]
	v_mov_b32_e32 v21, v35
	v_mov_b32_e32 v27, v22
	v_pk_add_f32 v[36:37], v[26:27], v[20:21] neg_lo:[0,1] neg_hi:[0,1]
	v_pk_add_f32 v[20:21], v[26:27], v[20:21]
	v_mov_b32_e32 v26, v21
	v_pk_add_f32 v[38:39], v[26:27], v[22:23] neg_lo:[0,1] neg_hi:[0,1]
	v_mov_b32_e32 v17, v38
	v_pk_add_f32 v[40:41], v[34:35], v[16:17] neg_lo:[0,1] neg_hi:[0,1]
	v_mov_b32_e32 v20, v35
	v_mov_b32_e32 v34, v23
	;; [unrolled: 1-line block ×4, first 2 shown]
	v_pk_add_f32 v[20:21], v[20:21], v[34:35] neg_lo:[0,1] neg_hi:[0,1]
	v_mov_b32_e32 v28, v29
	v_mov_b32_e32 v29, v22
	v_pk_add_f32 v[20:21], v[28:29], v[20:21] neg_lo:[0,1] neg_hi:[0,1]
	v_mov_b32_e32 v40, v36
	v_pk_add_f32 v[22:23], v[40:41], v[20:21]
	v_mov_b32_e32 v28, v23
	v_pk_add_f32 v[28:29], v[22:23], v[28:29]
	v_pk_add_f32 v[26:27], v[26:27], v[28:29]
	v_mov_b32_e32 v23, v26
	v_pk_add_f32 v[34:35], v[22:23], v[36:37] neg_lo:[0,1] neg_hi:[0,1]
	v_mov_b32_e32 v21, v28
	v_sub_f32_e32 v17, v22, v34
	v_pk_add_f32 v[20:21], v[20:21], v[34:35] neg_lo:[0,1] neg_hi:[0,1]
	v_sub_f32_e32 v17, v36, v17
	v_add_f32_e32 v17, v20, v17
	v_cmp_eq_f32_e64 s[34:35], s38, v25
	s_mov_b32 s38, 0x33800000
	v_add_f32_e32 v17, v17, v21
	v_cmp_lt_f32_e64 s[38:39], |v25|, s38
	v_add_f32_e32 v17, v26, v17
	s_or_b64 s[34:35], s[34:35], s[38:39]
	v_cndmask_b32_e64 v17, v17, v25, s[34:35]
	v_add_f32_e32 v34, v16, v17
.LBB164_34:
	s_or_b64 exec, exec, s[36:37]
	v_max_f32_e32 v16, v34, v34
	v_max_f32_e32 v20, v10, v10
	v_min_f32_e32 v17, v16, v20
	v_cmp_u_f32_e64 s[36:37], v34, v34
	v_max_f32_e32 v16, v16, v20
	v_cndmask_b32_e64 v17, v17, v34, s[36:37]
	v_cmp_u_f32_e64 s[34:35], v10, v10
	v_cndmask_b32_e64 v16, v16, v34, s[36:37]
	v_cndmask_b32_e64 v17, v17, v10, s[34:35]
	v_cndmask_b32_e64 v16, v16, v10, s[34:35]
	v_cmp_neq_f32_e64 s[36:37], v17, v16
	v_cmp_class_f32_e64 s[38:39], v17, s33
	s_or_b64 s[36:37], s[36:37], s[38:39]
	s_and_saveexec_b64 s[38:39], s[36:37]
	s_cbranch_execz .LBB164_36
; %bb.35:
	v_sub_f32_e32 v17, v17, v16
	s_mov_b32 s33, 0x3fb8aa3b
	v_mul_f32_e32 v21, 0x3fb8aa3b, v17
	v_fma_f32 v22, v17, s33, -v21
	v_rndne_f32_e32 v23, v21
	v_fmac_f32_e32 v22, 0x32a5705f, v17
	v_sub_f32_e32 v21, v21, v23
	v_add_f32_e32 v21, v21, v22
	v_exp_f32_e32 v21, v21
	v_cvt_i32_f32_e32 v22, v23
	s_mov_b32 s33, 0xc2ce8ed0
	v_cmp_ngt_f32_e64 s[36:37], s33, v17
	s_mov_b32 s33, 0x42b17218
	v_ldexp_f32 v21, v21, v22
	v_cndmask_b32_e64 v21, 0, v21, s[36:37]
	v_mov_b32_e32 v22, 0x7f800000
	v_cmp_nlt_f32_e64 s[36:37], s33, v17
	v_cndmask_b32_e64 v21, v22, v21, s[36:37]
	v_add_f32_e32 v17, 1.0, v21
	v_add_f32_e32 v22, -1.0, v17
	v_sub_f32_e32 v23, v22, v17
	v_add_f32_e32 v23, 1.0, v23
	v_sub_f32_e32 v22, v21, v22
	v_add_f32_e32 v25, v22, v23
	v_frexp_mant_f32_e32 v26, v17
	s_mov_b32 s33, 0x3f2aaaab
	v_cvt_f64_f32_e32 v[22:23], v17
	v_frexp_exp_i32_f64_e32 v22, v[22:23]
	v_cmp_gt_f32_e64 s[36:37], s33, v26
	v_subbrev_co_u32_e64 v30, s[36:37], 0, v22, s[36:37]
	v_sub_u32_e32 v22, 0, v30
	v_ldexp_f32 v17, v17, v22
	v_ldexp_f32 v22, v25, v22
	v_add_f32_e32 v25, -1.0, v17
	v_add_f32_e32 v23, 1.0, v25
	v_sub_f32_e32 v23, v17, v23
	v_add_f32_e32 v26, v22, v23
	v_add_f32_e32 v23, 1.0, v17
	v_add_f32_e32 v27, -1.0, v23
	v_sub_f32_e32 v17, v17, v27
	v_add_f32_e32 v17, v22, v17
	v_add_f32_e32 v36, v23, v17
	v_rcp_f32_e32 v37, v36
	v_sub_f32_e32 v22, v23, v36
	v_add_f32_e32 v23, v25, v26
	v_add_f32_e32 v17, v17, v22
	v_sub_f32_e32 v22, v25, v23
	v_mul_f32_e32 v38, v23, v37
	v_add_f32_e32 v25, v26, v22
	v_mul_f32_e32 v26, v36, v38
	v_fma_f32 v28, v38, v36, -v26
	v_fmac_f32_e32 v28, v38, v17
	v_add_f32_e32 v22, v26, v28
	v_sub_f32_e32 v27, v23, v22
	v_pk_add_f32 v[34:35], v[22:23], v[26:27] neg_lo:[0,1] neg_hi:[0,1]
	v_mov_b32_e32 v29, v22
	v_pk_add_f32 v[22:23], v[34:35], v[28:29] neg_lo:[0,1] neg_hi:[0,1]
	v_add_f32_e32 v23, v25, v23
	v_add_f32_e32 v22, v22, v23
	;; [unrolled: 1-line block ×3, first 2 shown]
	v_mul_f32_e32 v25, v37, v23
	v_mul_f32_e32 v26, v36, v25
	v_fma_f32 v28, v25, v36, -v26
	v_fmac_f32_e32 v28, v25, v17
	v_sub_f32_e32 v17, v27, v23
	v_add_f32_e32 v17, v22, v17
	v_add_f32_e32 v22, v26, v28
	v_sub_f32_e32 v27, v23, v22
	v_pk_add_f32 v[34:35], v[22:23], v[26:27] neg_lo:[0,1] neg_hi:[0,1]
	v_mov_b32_e32 v29, v22
	v_pk_add_f32 v[22:23], v[34:35], v[28:29] neg_lo:[0,1] neg_hi:[0,1]
	v_add_f32_e32 v17, v17, v23
	v_add_f32_e32 v17, v22, v17
	;; [unrolled: 1-line block ×4, first 2 shown]
	v_sub_f32_e32 v23, v22, v38
	v_mul_f32_e32 v17, v37, v17
	v_sub_f32_e32 v23, v25, v23
	v_add_f32_e32 v17, v23, v17
	v_add_f32_e32 v25, v22, v17
	v_mul_f32_e32 v27, v25, v25
	v_mov_b32_e32 v26, 0x3ecc95a3
	v_fmac_f32_e32 v26, 0x3e9b6dac, v27
	v_mov_b32_e32 v23, 0x3f2aaada
	v_fmac_f32_e32 v23, v27, v26
	v_cvt_f32_i32_e32 v26, v30
	v_sub_f32_e32 v22, v25, v22
	v_sub_f32_e32 v17, v17, v22
	v_mul_f32_e32 v27, v25, v27
	v_mov_b32_e32 v22, 0x3f317218
	s_mov_b32 s33, 0x3f317218
	v_pk_mul_f32 v[22:23], v[26:27], v[22:23]
	v_fma_f32 v28, v26, s33, -v22
	v_ldexp_f32 v29, v25, 1
	v_fmac_f32_e32 v28, 0xb102e308, v26
	v_pk_add_f32 v[26:27], v[22:23], v[28:29]
	v_sub_f32_e32 v25, v27, v29
	v_ldexp_f32 v17, v17, 1
	v_sub_f32_e32 v25, v23, v25
	v_add_f32_e32 v35, v17, v25
	v_mov_b32_e32 v34, v22
	v_pk_add_f32 v[22:23], v[26:27], v[22:23] neg_lo:[0,1] neg_hi:[0,1]
	v_pk_add_f32 v[36:37], v[26:27], v[34:35]
	v_mov_b32_e32 v23, v37
	v_mov_b32_e32 v29, v26
	v_pk_add_f32 v[38:39], v[28:29], v[22:23] neg_lo:[0,1] neg_hi:[0,1]
	v_pk_add_f32 v[22:23], v[28:29], v[22:23]
	v_mov_b32_e32 v28, v23
	v_pk_add_f32 v[40:41], v[28:29], v[26:27] neg_lo:[0,1] neg_hi:[0,1]
	v_mov_b32_e32 v17, v40
	v_pk_add_f32 v[42:43], v[36:37], v[16:17] neg_lo:[0,1] neg_hi:[0,1]
	v_mov_b32_e32 v22, v37
	v_mov_b32_e32 v36, v27
	;; [unrolled: 1-line block ×4, first 2 shown]
	v_pk_add_f32 v[22:23], v[22:23], v[36:37] neg_lo:[0,1] neg_hi:[0,1]
	v_mov_b32_e32 v34, v35
	v_mov_b32_e32 v35, v26
	v_pk_add_f32 v[22:23], v[34:35], v[22:23] neg_lo:[0,1] neg_hi:[0,1]
	v_mov_b32_e32 v42, v38
	v_pk_add_f32 v[26:27], v[42:43], v[22:23]
	v_mov_b32_e32 v30, v27
	v_pk_add_f32 v[34:35], v[26:27], v[30:31]
	v_pk_add_f32 v[28:29], v[28:29], v[34:35]
	v_mov_b32_e32 v27, v28
	v_pk_add_f32 v[36:37], v[26:27], v[38:39] neg_lo:[0,1] neg_hi:[0,1]
	v_mov_b32_e32 v23, v34
	v_sub_f32_e32 v17, v26, v36
	v_pk_add_f32 v[22:23], v[22:23], v[36:37] neg_lo:[0,1] neg_hi:[0,1]
	v_sub_f32_e32 v17, v38, v17
	s_mov_b32 s40, 0x7f800000
	v_add_f32_e32 v17, v22, v17
	s_mov_b32 s33, 0x33800000
	v_add_f32_e32 v17, v17, v23
	v_cmp_eq_f32_e64 s[36:37], s40, v21
	v_cmp_lt_f32_e64 s[40:41], |v21|, s33
	v_add_f32_e32 v17, v28, v17
	s_or_b64 s[36:37], s[36:37], s[40:41]
	v_cndmask_b32_e64 v17, v17, v21, s[36:37]
	v_add_f32_e32 v34, v16, v17
.LBB164_36:
	s_or_b64 exec, exec, s[38:39]
	v_max_f32_e32 v16, v34, v34
	v_max_f32_e32 v21, v11, v11
	v_min_f32_e32 v17, v16, v21
	v_cmp_u_f32_e64 s[38:39], v34, v34
	v_max_f32_e32 v16, v16, v21
	v_cndmask_b32_e64 v17, v17, v34, s[38:39]
	v_cmp_u_f32_e64 s[36:37], v11, v11
	v_cndmask_b32_e64 v16, v16, v34, s[38:39]
	v_cndmask_b32_e64 v17, v17, v11, s[36:37]
	;; [unrolled: 1-line block ×3, first 2 shown]
	s_movk_i32 s33, 0x1f8
	v_cmp_neq_f32_e64 s[38:39], v17, v16
	v_cmp_class_f32_e64 s[40:41], v17, s33
	s_or_b64 s[38:39], s[38:39], s[40:41]
	s_and_saveexec_b64 s[40:41], s[38:39]
	s_cbranch_execz .LBB164_38
; %bb.37:
	v_sub_f32_e32 v17, v17, v16
	s_mov_b32 s38, 0x3fb8aa3b
	v_mul_f32_e32 v22, 0x3fb8aa3b, v17
	v_fma_f32 v23, v17, s38, -v22
	v_rndne_f32_e32 v25, v22
	v_fmac_f32_e32 v23, 0x32a5705f, v17
	v_sub_f32_e32 v22, v22, v25
	v_add_f32_e32 v22, v22, v23
	v_exp_f32_e32 v22, v22
	v_cvt_i32_f32_e32 v23, v25
	s_mov_b32 s38, 0xc2ce8ed0
	v_cmp_ngt_f32_e64 s[38:39], s38, v17
	s_mov_b32 s42, 0x7f800000
	v_ldexp_f32 v22, v22, v23
	v_cndmask_b32_e64 v22, 0, v22, s[38:39]
	s_mov_b32 s38, 0x42b17218
	v_mov_b32_e32 v23, 0x7f800000
	v_cmp_nlt_f32_e64 s[38:39], s38, v17
	v_cndmask_b32_e64 v25, v23, v22, s[38:39]
	v_add_f32_e32 v17, 1.0, v25
	v_add_f32_e32 v22, -1.0, v17
	v_sub_f32_e32 v23, v22, v17
	v_add_f32_e32 v23, 1.0, v23
	v_sub_f32_e32 v22, v25, v22
	v_add_f32_e32 v26, v22, v23
	v_frexp_mant_f32_e32 v27, v17
	s_mov_b32 s38, 0x3f2aaaab
	v_cvt_f64_f32_e32 v[22:23], v17
	v_frexp_exp_i32_f64_e32 v22, v[22:23]
	v_cmp_gt_f32_e64 s[38:39], s38, v27
	v_subbrev_co_u32_e64 v30, s[38:39], 0, v22, s[38:39]
	v_sub_u32_e32 v22, 0, v30
	v_ldexp_f32 v17, v17, v22
	v_ldexp_f32 v22, v26, v22
	v_add_f32_e32 v26, -1.0, v17
	v_add_f32_e32 v23, 1.0, v26
	v_sub_f32_e32 v23, v17, v23
	v_add_f32_e32 v27, v22, v23
	v_add_f32_e32 v23, 1.0, v17
	v_add_f32_e32 v28, -1.0, v23
	v_sub_f32_e32 v17, v17, v28
	v_add_f32_e32 v17, v22, v17
	v_add_f32_e32 v36, v23, v17
	v_rcp_f32_e32 v37, v36
	v_sub_f32_e32 v22, v23, v36
	v_add_f32_e32 v23, v26, v27
	v_add_f32_e32 v17, v17, v22
	v_mul_f32_e32 v39, v23, v37
	v_sub_f32_e32 v22, v26, v23
	v_mul_f32_e32 v26, v36, v39
	v_fma_f32 v28, v39, v36, -v26
	v_fmac_f32_e32 v28, v39, v17
	v_add_f32_e32 v38, v27, v22
	v_add_f32_e32 v22, v26, v28
	v_sub_f32_e32 v27, v23, v22
	v_pk_add_f32 v[34:35], v[22:23], v[26:27] neg_lo:[0,1] neg_hi:[0,1]
	v_mov_b32_e32 v29, v22
	v_pk_add_f32 v[22:23], v[34:35], v[28:29] neg_lo:[0,1] neg_hi:[0,1]
	v_add_f32_e32 v23, v38, v23
	v_add_f32_e32 v22, v22, v23
	;; [unrolled: 1-line block ×3, first 2 shown]
	v_mul_f32_e32 v38, v37, v23
	v_mul_f32_e32 v26, v36, v38
	v_fma_f32 v28, v38, v36, -v26
	v_fmac_f32_e32 v28, v38, v17
	v_sub_f32_e32 v17, v27, v23
	v_add_f32_e32 v17, v22, v17
	v_add_f32_e32 v22, v26, v28
	v_sub_f32_e32 v27, v23, v22
	v_pk_add_f32 v[34:35], v[22:23], v[26:27] neg_lo:[0,1] neg_hi:[0,1]
	v_mov_b32_e32 v29, v22
	v_pk_add_f32 v[22:23], v[34:35], v[28:29] neg_lo:[0,1] neg_hi:[0,1]
	v_add_f32_e32 v17, v17, v23
	v_add_f32_e32 v17, v22, v17
	;; [unrolled: 1-line block ×4, first 2 shown]
	v_sub_f32_e32 v23, v22, v39
	v_mul_f32_e32 v17, v37, v17
	v_sub_f32_e32 v23, v38, v23
	v_add_f32_e32 v17, v23, v17
	v_add_f32_e32 v27, v22, v17
	v_mul_f32_e32 v28, v27, v27
	v_mov_b32_e32 v26, 0x3ecc95a3
	v_fmac_f32_e32 v26, 0x3e9b6dac, v28
	v_mov_b32_e32 v23, 0x3f2aaada
	v_fmac_f32_e32 v23, v28, v26
	v_cvt_f32_i32_e32 v26, v30
	v_sub_f32_e32 v22, v27, v22
	v_sub_f32_e32 v17, v17, v22
	v_ldexp_f32 v29, v27, 1
	v_mul_f32_e32 v27, v27, v28
	v_mov_b32_e32 v22, 0x3f317218
	s_mov_b32 s38, 0x3f317218
	v_pk_mul_f32 v[22:23], v[26:27], v[22:23]
	v_fma_f32 v28, v26, s38, -v22
	v_fmac_f32_e32 v28, 0xb102e308, v26
	v_pk_add_f32 v[26:27], v[22:23], v[28:29]
	v_sub_f32_e32 v29, v27, v29
	v_ldexp_f32 v17, v17, 1
	v_sub_f32_e32 v29, v23, v29
	v_add_f32_e32 v35, v17, v29
	v_mov_b32_e32 v34, v22
	v_pk_add_f32 v[22:23], v[26:27], v[22:23] neg_lo:[0,1] neg_hi:[0,1]
	v_pk_add_f32 v[36:37], v[26:27], v[34:35]
	v_mov_b32_e32 v23, v37
	v_mov_b32_e32 v29, v26
	v_pk_add_f32 v[38:39], v[28:29], v[22:23] neg_lo:[0,1] neg_hi:[0,1]
	v_pk_add_f32 v[22:23], v[28:29], v[22:23]
	v_mov_b32_e32 v28, v23
	v_pk_add_f32 v[40:41], v[28:29], v[26:27] neg_lo:[0,1] neg_hi:[0,1]
	v_mov_b32_e32 v17, v40
	v_pk_add_f32 v[42:43], v[36:37], v[16:17] neg_lo:[0,1] neg_hi:[0,1]
	v_mov_b32_e32 v22, v37
	v_mov_b32_e32 v36, v27
	;; [unrolled: 1-line block ×4, first 2 shown]
	v_pk_add_f32 v[22:23], v[22:23], v[36:37] neg_lo:[0,1] neg_hi:[0,1]
	v_mov_b32_e32 v34, v35
	v_mov_b32_e32 v35, v26
	v_pk_add_f32 v[22:23], v[34:35], v[22:23] neg_lo:[0,1] neg_hi:[0,1]
	v_mov_b32_e32 v42, v38
	v_pk_add_f32 v[26:27], v[42:43], v[22:23]
	v_mov_b32_e32 v30, v27
	v_pk_add_f32 v[34:35], v[26:27], v[30:31]
	v_pk_add_f32 v[28:29], v[28:29], v[34:35]
	v_mov_b32_e32 v27, v28
	v_pk_add_f32 v[36:37], v[26:27], v[38:39] neg_lo:[0,1] neg_hi:[0,1]
	v_mov_b32_e32 v23, v34
	v_sub_f32_e32 v17, v26, v36
	v_pk_add_f32 v[22:23], v[22:23], v[36:37] neg_lo:[0,1] neg_hi:[0,1]
	v_sub_f32_e32 v17, v38, v17
	v_add_f32_e32 v17, v22, v17
	v_cmp_eq_f32_e64 s[38:39], s42, v25
	s_mov_b32 s42, 0x33800000
	v_add_f32_e32 v17, v17, v23
	v_cmp_lt_f32_e64 s[42:43], |v25|, s42
	v_add_f32_e32 v17, v28, v17
	s_or_b64 s[38:39], s[38:39], s[42:43]
	v_cndmask_b32_e64 v17, v17, v25, s[38:39]
	v_add_f32_e32 v34, v16, v17
.LBB164_38:
	s_or_b64 exec, exec, s[40:41]
	v_max_f32_e32 v16, v34, v34
	v_max_f32_e32 v22, v12, v12
	v_min_f32_e32 v17, v16, v22
	v_cmp_u_f32_e64 s[40:41], v34, v34
	v_max_f32_e32 v16, v16, v22
	v_cndmask_b32_e64 v17, v17, v34, s[40:41]
	v_cmp_u_f32_e64 s[38:39], v12, v12
	v_cndmask_b32_e64 v16, v16, v34, s[40:41]
	v_cndmask_b32_e64 v17, v17, v12, s[38:39]
	;; [unrolled: 1-line block ×3, first 2 shown]
	v_cmp_neq_f32_e64 s[40:41], v17, v16
	v_cmp_class_f32_e64 s[42:43], v17, s33
	s_or_b64 s[40:41], s[40:41], s[42:43]
	s_and_saveexec_b64 s[42:43], s[40:41]
	s_cbranch_execz .LBB164_40
; %bb.39:
	v_sub_f32_e32 v17, v17, v16
	s_mov_b32 s33, 0x3fb8aa3b
	v_mul_f32_e32 v23, 0x3fb8aa3b, v17
	v_fma_f32 v25, v17, s33, -v23
	v_rndne_f32_e32 v26, v23
	v_fmac_f32_e32 v25, 0x32a5705f, v17
	v_sub_f32_e32 v23, v23, v26
	v_add_f32_e32 v23, v23, v25
	v_exp_f32_e32 v23, v23
	v_cvt_i32_f32_e32 v25, v26
	s_mov_b32 s33, 0xc2ce8ed0
	v_cmp_ngt_f32_e64 s[40:41], s33, v17
	s_mov_b32 s33, 0x42b17218
	v_ldexp_f32 v23, v23, v25
	v_cndmask_b32_e64 v23, 0, v23, s[40:41]
	v_mov_b32_e32 v25, 0x7f800000
	v_cmp_nlt_f32_e64 s[40:41], s33, v17
	v_cndmask_b32_e64 v23, v25, v23, s[40:41]
	v_add_f32_e32 v17, 1.0, v23
	v_add_f32_e32 v25, -1.0, v17
	v_sub_f32_e32 v26, v25, v17
	v_add_f32_e32 v26, 1.0, v26
	v_sub_f32_e32 v25, v23, v25
	v_add_f32_e32 v25, v25, v26
	v_frexp_mant_f32_e32 v28, v17
	s_mov_b32 s33, 0x3f2aaaab
	v_cvt_f64_f32_e32 v[26:27], v17
	v_frexp_exp_i32_f64_e32 v26, v[26:27]
	v_cmp_gt_f32_e64 s[40:41], s33, v28
	v_subbrev_co_u32_e64 v30, s[40:41], 0, v26, s[40:41]
	v_sub_u32_e32 v26, 0, v30
	v_ldexp_f32 v17, v17, v26
	v_ldexp_f32 v25, v25, v26
	v_add_f32_e32 v26, -1.0, v17
	v_add_f32_e32 v27, 1.0, v26
	v_sub_f32_e32 v27, v17, v27
	v_add_f32_e32 v28, v25, v27
	v_add_f32_e32 v27, 1.0, v17
	v_add_f32_e32 v29, -1.0, v27
	v_sub_f32_e32 v17, v17, v29
	v_add_f32_e32 v17, v25, v17
	v_add_f32_e32 v25, v27, v17
	v_rcp_f32_e32 v38, v25
	v_sub_f32_e32 v27, v27, v25
	v_add_f32_e32 v17, v17, v27
	v_add_f32_e32 v27, v26, v28
	v_sub_f32_e32 v26, v26, v27
	v_mul_f32_e32 v40, v27, v38
	v_add_f32_e32 v39, v28, v26
	v_mul_f32_e32 v28, v25, v40
	v_fma_f32 v34, v40, v25, -v28
	v_fmac_f32_e32 v34, v40, v17
	v_add_f32_e32 v26, v28, v34
	v_sub_f32_e32 v29, v27, v26
	v_pk_add_f32 v[36:37], v[26:27], v[28:29] neg_lo:[0,1] neg_hi:[0,1]
	v_mov_b32_e32 v35, v26
	v_pk_add_f32 v[26:27], v[36:37], v[34:35] neg_lo:[0,1] neg_hi:[0,1]
	v_add_f32_e32 v27, v39, v27
	v_add_f32_e32 v26, v26, v27
	;; [unrolled: 1-line block ×3, first 2 shown]
	v_mul_f32_e32 v39, v38, v27
	v_mul_f32_e32 v28, v25, v39
	v_fma_f32 v34, v39, v25, -v28
	v_fmac_f32_e32 v34, v39, v17
	v_sub_f32_e32 v17, v29, v27
	v_add_f32_e32 v17, v26, v17
	v_add_f32_e32 v26, v28, v34
	v_sub_f32_e32 v29, v27, v26
	v_pk_add_f32 v[36:37], v[26:27], v[28:29] neg_lo:[0,1] neg_hi:[0,1]
	v_mov_b32_e32 v35, v26
	v_pk_add_f32 v[26:27], v[36:37], v[34:35] neg_lo:[0,1] neg_hi:[0,1]
	v_add_f32_e32 v17, v17, v27
	v_add_f32_e32 v17, v26, v17
	;; [unrolled: 1-line block ×4, first 2 shown]
	v_sub_f32_e32 v26, v25, v40
	v_mul_f32_e32 v17, v38, v17
	v_sub_f32_e32 v26, v39, v26
	v_add_f32_e32 v17, v26, v17
	v_add_f32_e32 v26, v25, v17
	v_mul_f32_e32 v29, v26, v26
	v_mov_b32_e32 v28, 0x3ecc95a3
	v_fmac_f32_e32 v28, 0x3e9b6dac, v29
	v_mov_b32_e32 v27, 0x3f2aaada
	v_fmac_f32_e32 v27, v29, v28
	v_cvt_f32_i32_e32 v28, v30
	v_sub_f32_e32 v25, v26, v25
	v_ldexp_f32 v35, v26, 1
	v_mul_f32_e32 v29, v26, v29
	v_mov_b32_e32 v26, 0x3f317218
	s_mov_b32 s33, 0x3f317218
	v_pk_mul_f32 v[26:27], v[28:29], v[26:27]
	v_fma_f32 v34, v28, s33, -v26
	v_fmac_f32_e32 v34, 0xb102e308, v28
	v_pk_add_f32 v[28:29], v[26:27], v[34:35]
	v_sub_f32_e32 v17, v17, v25
	v_sub_f32_e32 v25, v29, v35
	v_ldexp_f32 v17, v17, 1
	v_sub_f32_e32 v25, v27, v25
	v_add_f32_e32 v37, v17, v25
	v_mov_b32_e32 v36, v26
	v_pk_add_f32 v[26:27], v[28:29], v[26:27] neg_lo:[0,1] neg_hi:[0,1]
	v_pk_add_f32 v[38:39], v[28:29], v[36:37]
	v_mov_b32_e32 v27, v39
	v_mov_b32_e32 v35, v28
	v_pk_add_f32 v[40:41], v[34:35], v[26:27] neg_lo:[0,1] neg_hi:[0,1]
	v_pk_add_f32 v[26:27], v[34:35], v[26:27]
	v_mov_b32_e32 v30, v27
	v_pk_add_f32 v[34:35], v[30:31], v[28:29] neg_lo:[0,1] neg_hi:[0,1]
	v_mov_b32_e32 v17, v34
	v_pk_add_f32 v[42:43], v[38:39], v[16:17] neg_lo:[0,1] neg_hi:[0,1]
	v_mov_b32_e32 v26, v39
	v_mov_b32_e32 v38, v29
	;; [unrolled: 1-line block ×4, first 2 shown]
	v_pk_add_f32 v[26:27], v[26:27], v[38:39] neg_lo:[0,1] neg_hi:[0,1]
	v_mov_b32_e32 v34, v37
	v_mov_b32_e32 v35, v28
	v_pk_add_f32 v[26:27], v[34:35], v[26:27] neg_lo:[0,1] neg_hi:[0,1]
	v_mov_b32_e32 v42, v40
	v_pk_add_f32 v[28:29], v[42:43], v[26:27]
	v_mov_b32_e32 v34, v29
	v_pk_add_f32 v[34:35], v[28:29], v[34:35]
	v_pk_add_f32 v[36:37], v[30:31], v[34:35]
	v_mov_b32_e32 v29, v36
	v_pk_add_f32 v[38:39], v[28:29], v[40:41] neg_lo:[0,1] neg_hi:[0,1]
	v_mov_b32_e32 v27, v34
	v_sub_f32_e32 v17, v28, v38
	v_pk_add_f32 v[26:27], v[26:27], v[38:39] neg_lo:[0,1] neg_hi:[0,1]
	v_sub_f32_e32 v17, v40, v17
	s_mov_b32 s44, 0x7f800000
	v_add_f32_e32 v17, v26, v17
	s_mov_b32 s33, 0x33800000
	v_add_f32_e32 v17, v17, v27
	v_cmp_eq_f32_e64 s[40:41], s44, v23
	v_cmp_lt_f32_e64 s[44:45], |v23|, s33
	v_add_f32_e32 v17, v36, v17
	s_or_b64 s[40:41], s[40:41], s[44:45]
	v_cndmask_b32_e64 v17, v17, v23, s[40:41]
	v_add_f32_e32 v34, v16, v17
.LBB164_40:
	s_or_b64 exec, exec, s[42:43]
	v_max_f32_e32 v16, v34, v34
	v_max_f32_e32 v23, v13, v13
	v_min_f32_e32 v17, v16, v23
	v_cmp_u_f32_e64 s[42:43], v34, v34
	v_max_f32_e32 v16, v16, v23
	v_cndmask_b32_e64 v17, v17, v34, s[42:43]
	v_cmp_u_f32_e64 s[40:41], v13, v13
	v_cndmask_b32_e64 v16, v16, v34, s[42:43]
	v_cndmask_b32_e64 v17, v17, v13, s[40:41]
	;; [unrolled: 1-line block ×3, first 2 shown]
	s_movk_i32 s33, 0x1f8
	v_cmp_neq_f32_e64 s[42:43], v17, v16
	v_cmp_class_f32_e64 s[44:45], v17, s33
	s_or_b64 s[42:43], s[42:43], s[44:45]
	s_and_saveexec_b64 s[44:45], s[42:43]
	s_cbranch_execz .LBB164_42
; %bb.41:
	v_sub_f32_e32 v17, v17, v16
	s_mov_b32 s42, 0x3fb8aa3b
	v_mul_f32_e32 v25, 0x3fb8aa3b, v17
	v_fma_f32 v26, v17, s42, -v25
	v_rndne_f32_e32 v27, v25
	v_fmac_f32_e32 v26, 0x32a5705f, v17
	v_sub_f32_e32 v25, v25, v27
	v_add_f32_e32 v25, v25, v26
	v_exp_f32_e32 v25, v25
	v_cvt_i32_f32_e32 v26, v27
	s_mov_b32 s42, 0xc2ce8ed0
	v_cmp_ngt_f32_e64 s[42:43], s42, v17
	s_mov_b32 s46, 0x7f800000
	v_ldexp_f32 v25, v25, v26
	v_cndmask_b32_e64 v25, 0, v25, s[42:43]
	s_mov_b32 s42, 0x42b17218
	v_mov_b32_e32 v26, 0x7f800000
	v_cmp_nlt_f32_e64 s[42:43], s42, v17
	v_cndmask_b32_e64 v25, v26, v25, s[42:43]
	v_add_f32_e32 v17, 1.0, v25
	v_add_f32_e32 v26, -1.0, v17
	v_sub_f32_e32 v27, v26, v17
	v_add_f32_e32 v27, 1.0, v27
	v_sub_f32_e32 v26, v25, v26
	v_add_f32_e32 v28, v26, v27
	v_frexp_mant_f32_e32 v29, v17
	s_mov_b32 s42, 0x3f2aaaab
	v_cvt_f64_f32_e32 v[26:27], v17
	v_frexp_exp_i32_f64_e32 v26, v[26:27]
	v_cmp_gt_f32_e64 s[42:43], s42, v29
	v_subbrev_co_u32_e64 v30, s[42:43], 0, v26, s[42:43]
	v_sub_u32_e32 v26, 0, v30
	v_ldexp_f32 v17, v17, v26
	v_ldexp_f32 v26, v28, v26
	v_add_f32_e32 v28, -1.0, v17
	v_add_f32_e32 v27, 1.0, v28
	v_sub_f32_e32 v27, v17, v27
	v_add_f32_e32 v29, v26, v27
	v_add_f32_e32 v27, 1.0, v17
	v_add_f32_e32 v34, -1.0, v27
	v_sub_f32_e32 v17, v17, v34
	v_add_f32_e32 v17, v26, v17
	v_add_f32_e32 v38, v27, v17
	v_rcp_f32_e32 v39, v38
	v_sub_f32_e32 v26, v27, v38
	v_add_f32_e32 v27, v28, v29
	v_add_f32_e32 v17, v17, v26
	v_mul_f32_e32 v41, v27, v39
	v_sub_f32_e32 v26, v28, v27
	v_mul_f32_e32 v28, v38, v41
	v_fma_f32 v34, v41, v38, -v28
	v_fmac_f32_e32 v34, v41, v17
	v_add_f32_e32 v40, v29, v26
	v_add_f32_e32 v26, v28, v34
	v_sub_f32_e32 v29, v27, v26
	v_pk_add_f32 v[36:37], v[26:27], v[28:29] neg_lo:[0,1] neg_hi:[0,1]
	v_mov_b32_e32 v35, v26
	v_pk_add_f32 v[26:27], v[36:37], v[34:35] neg_lo:[0,1] neg_hi:[0,1]
	v_add_f32_e32 v27, v40, v27
	v_add_f32_e32 v26, v26, v27
	;; [unrolled: 1-line block ×3, first 2 shown]
	v_mul_f32_e32 v40, v39, v27
	v_mul_f32_e32 v28, v38, v40
	v_fma_f32 v34, v40, v38, -v28
	v_fmac_f32_e32 v34, v40, v17
	v_sub_f32_e32 v17, v29, v27
	v_add_f32_e32 v17, v26, v17
	v_add_f32_e32 v26, v28, v34
	v_sub_f32_e32 v29, v27, v26
	v_pk_add_f32 v[36:37], v[26:27], v[28:29] neg_lo:[0,1] neg_hi:[0,1]
	v_mov_b32_e32 v35, v26
	v_pk_add_f32 v[26:27], v[36:37], v[34:35] neg_lo:[0,1] neg_hi:[0,1]
	v_add_f32_e32 v17, v17, v27
	v_add_f32_e32 v17, v26, v17
	v_add_f32_e32 v26, v41, v40
	v_add_f32_e32 v17, v29, v17
	v_sub_f32_e32 v27, v26, v41
	v_mul_f32_e32 v17, v39, v17
	v_sub_f32_e32 v27, v40, v27
	v_add_f32_e32 v17, v27, v17
	v_add_f32_e32 v29, v26, v17
	v_mul_f32_e32 v34, v29, v29
	v_mov_b32_e32 v28, 0x3ecc95a3
	v_fmac_f32_e32 v28, 0x3e9b6dac, v34
	v_mov_b32_e32 v27, 0x3f2aaada
	v_fmac_f32_e32 v27, v34, v28
	v_cvt_f32_i32_e32 v28, v30
	v_sub_f32_e32 v26, v29, v26
	v_sub_f32_e32 v17, v17, v26
	v_ldexp_f32 v35, v29, 1
	v_mul_f32_e32 v29, v29, v34
	v_mov_b32_e32 v26, 0x3f317218
	s_mov_b32 s42, 0x3f317218
	v_pk_mul_f32 v[26:27], v[28:29], v[26:27]
	v_fma_f32 v34, v28, s42, -v26
	v_fmac_f32_e32 v34, 0xb102e308, v28
	v_pk_add_f32 v[28:29], v[26:27], v[34:35]
	v_sub_f32_e32 v30, v29, v35
	v_ldexp_f32 v17, v17, 1
	v_sub_f32_e32 v30, v27, v30
	v_add_f32_e32 v37, v17, v30
	v_mov_b32_e32 v36, v26
	v_pk_add_f32 v[26:27], v[28:29], v[26:27] neg_lo:[0,1] neg_hi:[0,1]
	v_pk_add_f32 v[38:39], v[28:29], v[36:37]
	v_mov_b32_e32 v27, v39
	v_mov_b32_e32 v35, v28
	v_pk_add_f32 v[40:41], v[34:35], v[26:27] neg_lo:[0,1] neg_hi:[0,1]
	v_pk_add_f32 v[26:27], v[34:35], v[26:27]
	v_mov_b32_e32 v30, v27
	v_pk_add_f32 v[34:35], v[30:31], v[28:29] neg_lo:[0,1] neg_hi:[0,1]
	v_mov_b32_e32 v17, v34
	v_pk_add_f32 v[42:43], v[38:39], v[16:17] neg_lo:[0,1] neg_hi:[0,1]
	v_mov_b32_e32 v26, v39
	v_mov_b32_e32 v38, v29
	;; [unrolled: 1-line block ×4, first 2 shown]
	v_pk_add_f32 v[26:27], v[26:27], v[38:39] neg_lo:[0,1] neg_hi:[0,1]
	v_mov_b32_e32 v34, v37
	v_mov_b32_e32 v35, v28
	v_pk_add_f32 v[26:27], v[34:35], v[26:27] neg_lo:[0,1] neg_hi:[0,1]
	v_mov_b32_e32 v42, v40
	v_pk_add_f32 v[28:29], v[42:43], v[26:27]
	v_mov_b32_e32 v34, v29
	v_pk_add_f32 v[34:35], v[28:29], v[34:35]
	v_pk_add_f32 v[36:37], v[30:31], v[34:35]
	v_mov_b32_e32 v29, v36
	v_pk_add_f32 v[38:39], v[28:29], v[40:41] neg_lo:[0,1] neg_hi:[0,1]
	v_mov_b32_e32 v27, v34
	v_sub_f32_e32 v17, v28, v38
	v_pk_add_f32 v[26:27], v[26:27], v[38:39] neg_lo:[0,1] neg_hi:[0,1]
	v_sub_f32_e32 v17, v40, v17
	v_add_f32_e32 v17, v26, v17
	v_cmp_eq_f32_e64 s[42:43], s46, v25
	s_mov_b32 s46, 0x33800000
	v_add_f32_e32 v17, v17, v27
	v_cmp_lt_f32_e64 s[46:47], |v25|, s46
	v_add_f32_e32 v17, v36, v17
	s_or_b64 s[42:43], s[42:43], s[46:47]
	v_cndmask_b32_e64 v17, v17, v25, s[42:43]
	v_add_f32_e32 v34, v16, v17
.LBB164_42:
	s_or_b64 exec, exec, s[44:45]
	v_max_f32_e32 v16, v34, v34
	v_max_f32_e32 v25, v6, v6
	v_min_f32_e32 v17, v16, v25
	v_cmp_u_f32_e64 s[44:45], v34, v34
	v_max_f32_e32 v16, v16, v25
	v_cndmask_b32_e64 v17, v17, v34, s[44:45]
	v_cmp_u_f32_e64 s[42:43], v6, v6
	v_cndmask_b32_e64 v16, v16, v34, s[44:45]
	v_cndmask_b32_e64 v17, v17, v6, s[42:43]
	;; [unrolled: 1-line block ×3, first 2 shown]
	v_cmp_neq_f32_e64 s[44:45], v17, v16
	v_cmp_class_f32_e64 s[46:47], v17, s33
	s_or_b64 s[44:45], s[44:45], s[46:47]
	s_and_saveexec_b64 s[46:47], s[44:45]
	s_cbranch_execz .LBB164_44
; %bb.43:
	v_sub_f32_e32 v17, v17, v16
	s_mov_b32 s33, 0x3fb8aa3b
	v_mul_f32_e32 v26, 0x3fb8aa3b, v17
	v_fma_f32 v27, v17, s33, -v26
	v_rndne_f32_e32 v28, v26
	v_fmac_f32_e32 v27, 0x32a5705f, v17
	v_sub_f32_e32 v26, v26, v28
	v_add_f32_e32 v26, v26, v27
	v_exp_f32_e32 v26, v26
	v_cvt_i32_f32_e32 v27, v28
	s_mov_b32 s33, 0xc2ce8ed0
	v_cmp_ngt_f32_e64 s[44:45], s33, v17
	s_mov_b32 s33, 0x42b17218
	v_ldexp_f32 v26, v26, v27
	v_cndmask_b32_e64 v26, 0, v26, s[44:45]
	v_mov_b32_e32 v27, 0x7f800000
	v_cmp_nlt_f32_e64 s[44:45], s33, v17
	v_cndmask_b32_e64 v44, v27, v26, s[44:45]
	v_add_f32_e32 v17, 1.0, v44
	v_add_f32_e32 v26, -1.0, v17
	v_sub_f32_e32 v27, v26, v17
	v_add_f32_e32 v27, 1.0, v27
	v_sub_f32_e32 v26, v44, v26
	v_add_f32_e32 v28, v26, v27
	v_frexp_mant_f32_e32 v29, v17
	s_mov_b32 s33, 0x3f2aaaab
	v_cvt_f64_f32_e32 v[26:27], v17
	v_frexp_exp_i32_f64_e32 v26, v[26:27]
	v_cmp_gt_f32_e64 s[44:45], s33, v29
	v_subbrev_co_u32_e64 v30, s[44:45], 0, v26, s[44:45]
	v_sub_u32_e32 v26, 0, v30
	v_ldexp_f32 v17, v17, v26
	v_ldexp_f32 v26, v28, v26
	v_add_f32_e32 v28, -1.0, v17
	v_add_f32_e32 v27, 1.0, v28
	v_sub_f32_e32 v27, v17, v27
	v_add_f32_e32 v29, v26, v27
	v_add_f32_e32 v27, 1.0, v17
	v_add_f32_e32 v34, -1.0, v27
	v_sub_f32_e32 v17, v17, v34
	v_add_f32_e32 v17, v26, v17
	v_add_f32_e32 v38, v27, v17
	v_rcp_f32_e32 v39, v38
	v_sub_f32_e32 v26, v27, v38
	v_add_f32_e32 v27, v28, v29
	v_add_f32_e32 v17, v17, v26
	v_mul_f32_e32 v41, v27, v39
	v_sub_f32_e32 v26, v28, v27
	v_mul_f32_e32 v28, v38, v41
	v_fma_f32 v34, v41, v38, -v28
	v_fmac_f32_e32 v34, v41, v17
	v_add_f32_e32 v40, v29, v26
	v_add_f32_e32 v26, v28, v34
	v_sub_f32_e32 v29, v27, v26
	v_pk_add_f32 v[36:37], v[26:27], v[28:29] neg_lo:[0,1] neg_hi:[0,1]
	v_mov_b32_e32 v35, v26
	v_pk_add_f32 v[26:27], v[36:37], v[34:35] neg_lo:[0,1] neg_hi:[0,1]
	v_add_f32_e32 v27, v40, v27
	v_add_f32_e32 v26, v26, v27
	;; [unrolled: 1-line block ×3, first 2 shown]
	v_mul_f32_e32 v40, v39, v27
	v_mul_f32_e32 v28, v38, v40
	v_fma_f32 v34, v40, v38, -v28
	v_fmac_f32_e32 v34, v40, v17
	v_sub_f32_e32 v17, v29, v27
	v_add_f32_e32 v17, v26, v17
	v_add_f32_e32 v26, v28, v34
	v_sub_f32_e32 v29, v27, v26
	v_pk_add_f32 v[36:37], v[26:27], v[28:29] neg_lo:[0,1] neg_hi:[0,1]
	v_mov_b32_e32 v35, v26
	v_pk_add_f32 v[26:27], v[36:37], v[34:35] neg_lo:[0,1] neg_hi:[0,1]
	v_add_f32_e32 v17, v17, v27
	v_add_f32_e32 v17, v26, v17
	;; [unrolled: 1-line block ×4, first 2 shown]
	v_sub_f32_e32 v27, v26, v41
	v_mul_f32_e32 v17, v39, v17
	v_sub_f32_e32 v27, v40, v27
	v_add_f32_e32 v17, v27, v17
	v_add_f32_e32 v29, v26, v17
	v_mul_f32_e32 v34, v29, v29
	v_mov_b32_e32 v28, 0x3ecc95a3
	v_fmac_f32_e32 v28, 0x3e9b6dac, v34
	v_mov_b32_e32 v27, 0x3f2aaada
	v_fmac_f32_e32 v27, v34, v28
	v_cvt_f32_i32_e32 v28, v30
	v_sub_f32_e32 v26, v29, v26
	v_sub_f32_e32 v17, v17, v26
	v_ldexp_f32 v35, v29, 1
	v_mul_f32_e32 v29, v29, v34
	v_mov_b32_e32 v26, 0x3f317218
	s_mov_b32 s33, 0x3f317218
	v_pk_mul_f32 v[26:27], v[28:29], v[26:27]
	v_fma_f32 v34, v28, s33, -v26
	v_fmac_f32_e32 v34, 0xb102e308, v28
	v_pk_add_f32 v[28:29], v[26:27], v[34:35]
	v_sub_f32_e32 v30, v29, v35
	v_ldexp_f32 v17, v17, 1
	v_sub_f32_e32 v30, v27, v30
	v_add_f32_e32 v37, v17, v30
	v_mov_b32_e32 v36, v26
	v_pk_add_f32 v[26:27], v[28:29], v[26:27] neg_lo:[0,1] neg_hi:[0,1]
	v_pk_add_f32 v[38:39], v[28:29], v[36:37]
	v_mov_b32_e32 v27, v39
	v_mov_b32_e32 v35, v28
	v_pk_add_f32 v[40:41], v[34:35], v[26:27] neg_lo:[0,1] neg_hi:[0,1]
	v_pk_add_f32 v[26:27], v[34:35], v[26:27]
	v_mov_b32_e32 v30, v27
	v_pk_add_f32 v[34:35], v[30:31], v[28:29] neg_lo:[0,1] neg_hi:[0,1]
	v_mov_b32_e32 v17, v34
	v_pk_add_f32 v[42:43], v[38:39], v[16:17] neg_lo:[0,1] neg_hi:[0,1]
	v_mov_b32_e32 v26, v39
	v_mov_b32_e32 v38, v29
	;; [unrolled: 1-line block ×4, first 2 shown]
	v_pk_add_f32 v[26:27], v[26:27], v[38:39] neg_lo:[0,1] neg_hi:[0,1]
	v_mov_b32_e32 v34, v37
	v_mov_b32_e32 v35, v28
	v_pk_add_f32 v[26:27], v[34:35], v[26:27] neg_lo:[0,1] neg_hi:[0,1]
	v_mov_b32_e32 v42, v40
	v_pk_add_f32 v[28:29], v[42:43], v[26:27]
	v_mov_b32_e32 v34, v29
	v_pk_add_f32 v[34:35], v[28:29], v[34:35]
	v_pk_add_f32 v[36:37], v[30:31], v[34:35]
	v_mov_b32_e32 v29, v36
	v_pk_add_f32 v[38:39], v[28:29], v[40:41] neg_lo:[0,1] neg_hi:[0,1]
	v_mov_b32_e32 v27, v34
	v_sub_f32_e32 v17, v28, v38
	v_pk_add_f32 v[26:27], v[26:27], v[38:39] neg_lo:[0,1] neg_hi:[0,1]
	v_sub_f32_e32 v17, v40, v17
	s_mov_b32 s48, 0x7f800000
	v_add_f32_e32 v17, v26, v17
	s_mov_b32 s33, 0x33800000
	v_add_f32_e32 v17, v17, v27
	v_cmp_eq_f32_e64 s[44:45], s48, v44
	v_cmp_lt_f32_e64 s[48:49], |v44|, s33
	v_add_f32_e32 v17, v36, v17
	s_or_b64 s[44:45], s[44:45], s[48:49]
	v_cndmask_b32_e64 v17, v17, v44, s[44:45]
	v_add_f32_e32 v34, v16, v17
.LBB164_44:
	s_or_b64 exec, exec, s[46:47]
	v_max_f32_e32 v16, v34, v34
	v_max_f32_e32 v26, v7, v7
	v_min_f32_e32 v17, v16, v26
	v_cmp_u_f32_e64 s[46:47], v34, v34
	v_max_f32_e32 v16, v16, v26
	v_cndmask_b32_e64 v17, v17, v34, s[46:47]
	v_cmp_u_f32_e64 s[44:45], v7, v7
	v_cndmask_b32_e64 v16, v16, v34, s[46:47]
	v_cndmask_b32_e64 v17, v17, v7, s[44:45]
	;; [unrolled: 1-line block ×3, first 2 shown]
	s_movk_i32 s33, 0x1f8
	v_cmp_neq_f32_e64 s[46:47], v17, v16
	v_cmp_class_f32_e64 s[48:49], v17, s33
	s_or_b64 s[46:47], s[46:47], s[48:49]
	s_and_saveexec_b64 s[48:49], s[46:47]
	s_cbranch_execz .LBB164_46
; %bb.45:
	v_sub_f32_e32 v17, v17, v16
	s_mov_b32 s46, 0x3fb8aa3b
	v_mul_f32_e32 v27, 0x3fb8aa3b, v17
	v_fma_f32 v28, v17, s46, -v27
	v_rndne_f32_e32 v29, v27
	v_fmac_f32_e32 v28, 0x32a5705f, v17
	v_sub_f32_e32 v27, v27, v29
	v_add_f32_e32 v27, v27, v28
	v_exp_f32_e32 v27, v27
	v_cvt_i32_f32_e32 v28, v29
	s_mov_b32 s46, 0xc2ce8ed0
	v_cmp_ngt_f32_e64 s[46:47], s46, v17
	s_mov_b32 s50, 0x7f800000
	v_ldexp_f32 v27, v27, v28
	v_cndmask_b32_e64 v27, 0, v27, s[46:47]
	s_mov_b32 s46, 0x42b17218
	v_mov_b32_e32 v28, 0x7f800000
	v_cmp_nlt_f32_e64 s[46:47], s46, v17
	v_cndmask_b32_e64 v27, v28, v27, s[46:47]
	v_add_f32_e32 v17, 1.0, v27
	v_add_f32_e32 v28, -1.0, v17
	v_sub_f32_e32 v29, v28, v17
	v_add_f32_e32 v29, 1.0, v29
	v_sub_f32_e32 v28, v27, v28
	v_add_f32_e32 v30, v28, v29
	v_frexp_mant_f32_e32 v34, v17
	s_mov_b32 s46, 0x3f2aaaab
	v_cvt_f64_f32_e32 v[28:29], v17
	v_frexp_exp_i32_f64_e32 v28, v[28:29]
	v_cmp_gt_f32_e64 s[46:47], s46, v34
	v_subbrev_co_u32_e64 v40, s[46:47], 0, v28, s[46:47]
	v_sub_u32_e32 v28, 0, v40
	v_ldexp_f32 v17, v17, v28
	v_ldexp_f32 v28, v30, v28
	v_add_f32_e32 v30, -1.0, v17
	v_add_f32_e32 v29, 1.0, v30
	v_sub_f32_e32 v29, v17, v29
	v_add_f32_e32 v34, v28, v29
	v_add_f32_e32 v29, 1.0, v17
	v_add_f32_e32 v35, -1.0, v29
	v_sub_f32_e32 v17, v17, v35
	v_add_f32_e32 v17, v28, v17
	v_add_f32_e32 v41, v29, v17
	v_rcp_f32_e32 v42, v41
	v_sub_f32_e32 v28, v29, v41
	v_add_f32_e32 v29, v30, v34
	v_add_f32_e32 v17, v17, v28
	v_sub_f32_e32 v28, v30, v29
	v_mul_f32_e32 v43, v29, v42
	v_add_f32_e32 v30, v34, v28
	v_mul_f32_e32 v34, v41, v43
	v_fma_f32 v36, v43, v41, -v34
	v_fmac_f32_e32 v36, v43, v17
	v_add_f32_e32 v28, v34, v36
	v_sub_f32_e32 v35, v29, v28
	v_pk_add_f32 v[38:39], v[28:29], v[34:35] neg_lo:[0,1] neg_hi:[0,1]
	v_mov_b32_e32 v37, v28
	v_pk_add_f32 v[28:29], v[38:39], v[36:37] neg_lo:[0,1] neg_hi:[0,1]
	v_add_f32_e32 v29, v30, v29
	v_add_f32_e32 v28, v28, v29
	;; [unrolled: 1-line block ×3, first 2 shown]
	v_mul_f32_e32 v30, v42, v29
	v_mul_f32_e32 v34, v41, v30
	v_fma_f32 v36, v30, v41, -v34
	v_fmac_f32_e32 v36, v30, v17
	v_sub_f32_e32 v17, v35, v29
	v_add_f32_e32 v17, v28, v17
	v_add_f32_e32 v28, v34, v36
	v_sub_f32_e32 v35, v29, v28
	v_pk_add_f32 v[38:39], v[28:29], v[34:35] neg_lo:[0,1] neg_hi:[0,1]
	v_mov_b32_e32 v37, v28
	v_pk_add_f32 v[28:29], v[38:39], v[36:37] neg_lo:[0,1] neg_hi:[0,1]
	v_add_f32_e32 v17, v17, v29
	v_add_f32_e32 v17, v28, v17
	;; [unrolled: 1-line block ×4, first 2 shown]
	v_sub_f32_e32 v29, v28, v43
	v_mul_f32_e32 v17, v42, v17
	v_sub_f32_e32 v29, v30, v29
	v_add_f32_e32 v17, v29, v17
	v_add_f32_e32 v30, v28, v17
	v_mul_f32_e32 v35, v30, v30
	v_mov_b32_e32 v34, 0x3ecc95a3
	v_fmac_f32_e32 v34, 0x3e9b6dac, v35
	v_mov_b32_e32 v29, 0x3f2aaada
	v_fmac_f32_e32 v29, v35, v34
	v_cvt_f32_i32_e32 v34, v40
	v_sub_f32_e32 v28, v30, v28
	v_sub_f32_e32 v17, v17, v28
	v_mul_f32_e32 v35, v30, v35
	v_mov_b32_e32 v28, 0x3f317218
	s_mov_b32 s46, 0x3f317218
	v_pk_mul_f32 v[28:29], v[34:35], v[28:29]
	v_fma_f32 v36, v34, s46, -v28
	v_ldexp_f32 v37, v30, 1
	v_fmac_f32_e32 v36, 0xb102e308, v34
	v_pk_add_f32 v[34:35], v[28:29], v[36:37]
	v_sub_f32_e32 v30, v35, v37
	v_ldexp_f32 v17, v17, 1
	v_sub_f32_e32 v30, v29, v30
	v_add_f32_e32 v39, v17, v30
	v_mov_b32_e32 v38, v28
	v_pk_add_f32 v[28:29], v[34:35], v[28:29] neg_lo:[0,1] neg_hi:[0,1]
	v_pk_add_f32 v[40:41], v[34:35], v[38:39]
	v_mov_b32_e32 v29, v41
	v_mov_b32_e32 v37, v34
	v_pk_add_f32 v[42:43], v[36:37], v[28:29] neg_lo:[0,1] neg_hi:[0,1]
	v_pk_add_f32 v[28:29], v[36:37], v[28:29]
	v_mov_b32_e32 v30, v29
	v_pk_add_f32 v[36:37], v[30:31], v[34:35] neg_lo:[0,1] neg_hi:[0,1]
	v_mov_b32_e32 v17, v36
	v_pk_add_f32 v[44:45], v[40:41], v[16:17] neg_lo:[0,1] neg_hi:[0,1]
	v_mov_b32_e32 v28, v41
	v_mov_b32_e32 v40, v35
	;; [unrolled: 1-line block ×4, first 2 shown]
	v_pk_add_f32 v[28:29], v[28:29], v[40:41] neg_lo:[0,1] neg_hi:[0,1]
	v_mov_b32_e32 v36, v39
	v_mov_b32_e32 v37, v34
	v_pk_add_f32 v[28:29], v[36:37], v[28:29] neg_lo:[0,1] neg_hi:[0,1]
	v_mov_b32_e32 v44, v42
	v_pk_add_f32 v[34:35], v[44:45], v[28:29]
	v_mov_b32_e32 v36, v35
	v_pk_add_f32 v[36:37], v[34:35], v[36:37]
	v_pk_add_f32 v[38:39], v[30:31], v[36:37]
	v_mov_b32_e32 v35, v38
	v_pk_add_f32 v[40:41], v[34:35], v[42:43] neg_lo:[0,1] neg_hi:[0,1]
	v_mov_b32_e32 v29, v36
	v_sub_f32_e32 v17, v34, v40
	v_pk_add_f32 v[28:29], v[28:29], v[40:41] neg_lo:[0,1] neg_hi:[0,1]
	v_sub_f32_e32 v17, v42, v17
	v_add_f32_e32 v17, v28, v17
	v_cmp_eq_f32_e64 s[46:47], s50, v27
	s_mov_b32 s50, 0x33800000
	v_add_f32_e32 v17, v17, v29
	v_cmp_lt_f32_e64 s[50:51], |v27|, s50
	v_add_f32_e32 v17, v38, v17
	s_or_b64 s[46:47], s[46:47], s[50:51]
	v_cndmask_b32_e64 v17, v17, v27, s[46:47]
	v_add_f32_e32 v34, v16, v17
.LBB164_46:
	s_or_b64 exec, exec, s[48:49]
	v_max_f32_e32 v16, v34, v34
	v_max_f32_e32 v27, v8, v8
	v_min_f32_e32 v17, v16, v27
	v_cmp_u_f32_e64 s[48:49], v34, v34
	v_max_f32_e32 v16, v16, v27
	v_cndmask_b32_e64 v17, v17, v34, s[48:49]
	v_cmp_u_f32_e64 s[46:47], v8, v8
	v_cndmask_b32_e64 v16, v16, v34, s[48:49]
	v_cndmask_b32_e64 v17, v17, v8, s[46:47]
	;; [unrolled: 1-line block ×3, first 2 shown]
	v_cmp_neq_f32_e64 s[48:49], v17, v16
	v_cmp_class_f32_e64 s[50:51], v17, s33
	s_or_b64 s[48:49], s[48:49], s[50:51]
	s_and_saveexec_b64 s[50:51], s[48:49]
	s_cbranch_execz .LBB164_48
; %bb.47:
	v_sub_f32_e32 v17, v17, v16
	s_mov_b32 s33, 0x3fb8aa3b
	v_mul_f32_e32 v28, 0x3fb8aa3b, v17
	v_fma_f32 v29, v17, s33, -v28
	v_rndne_f32_e32 v30, v28
	v_fmac_f32_e32 v29, 0x32a5705f, v17
	v_sub_f32_e32 v28, v28, v30
	v_add_f32_e32 v28, v28, v29
	v_exp_f32_e32 v28, v28
	v_cvt_i32_f32_e32 v29, v30
	s_mov_b32 s33, 0xc2ce8ed0
	v_cmp_ngt_f32_e64 s[48:49], s33, v17
	s_mov_b32 s33, 0x42b17218
	v_ldexp_f32 v28, v28, v29
	v_cndmask_b32_e64 v28, 0, v28, s[48:49]
	v_mov_b32_e32 v29, 0x7f800000
	v_cmp_nlt_f32_e64 s[48:49], s33, v17
	v_cndmask_b32_e64 v46, v29, v28, s[48:49]
	v_add_f32_e32 v17, 1.0, v46
	v_add_f32_e32 v28, -1.0, v17
	v_sub_f32_e32 v29, v28, v17
	v_add_f32_e32 v29, 1.0, v29
	v_sub_f32_e32 v28, v46, v28
	v_add_f32_e32 v30, v28, v29
	v_frexp_mant_f32_e32 v34, v17
	s_mov_b32 s33, 0x3f2aaaab
	v_cvt_f64_f32_e32 v[28:29], v17
	v_frexp_exp_i32_f64_e32 v28, v[28:29]
	v_cmp_gt_f32_e64 s[48:49], s33, v34
	v_subbrev_co_u32_e64 v40, s[48:49], 0, v28, s[48:49]
	v_sub_u32_e32 v28, 0, v40
	v_ldexp_f32 v17, v17, v28
	v_ldexp_f32 v28, v30, v28
	v_add_f32_e32 v30, -1.0, v17
	v_add_f32_e32 v29, 1.0, v30
	v_sub_f32_e32 v29, v17, v29
	v_add_f32_e32 v34, v28, v29
	v_add_f32_e32 v29, 1.0, v17
	v_add_f32_e32 v35, -1.0, v29
	v_sub_f32_e32 v17, v17, v35
	v_add_f32_e32 v17, v28, v17
	v_add_f32_e32 v41, v29, v17
	v_rcp_f32_e32 v42, v41
	v_sub_f32_e32 v28, v29, v41
	v_add_f32_e32 v29, v30, v34
	v_add_f32_e32 v17, v17, v28
	v_sub_f32_e32 v28, v30, v29
	v_mul_f32_e32 v43, v29, v42
	v_add_f32_e32 v30, v34, v28
	v_mul_f32_e32 v34, v41, v43
	v_fma_f32 v36, v43, v41, -v34
	v_fmac_f32_e32 v36, v43, v17
	v_add_f32_e32 v28, v34, v36
	v_sub_f32_e32 v35, v29, v28
	v_pk_add_f32 v[38:39], v[28:29], v[34:35] neg_lo:[0,1] neg_hi:[0,1]
	v_mov_b32_e32 v37, v28
	v_pk_add_f32 v[28:29], v[38:39], v[36:37] neg_lo:[0,1] neg_hi:[0,1]
	v_add_f32_e32 v29, v30, v29
	v_add_f32_e32 v28, v28, v29
	;; [unrolled: 1-line block ×3, first 2 shown]
	v_mul_f32_e32 v30, v42, v29
	v_mul_f32_e32 v34, v41, v30
	v_fma_f32 v36, v30, v41, -v34
	v_fmac_f32_e32 v36, v30, v17
	v_sub_f32_e32 v17, v35, v29
	v_add_f32_e32 v17, v28, v17
	v_add_f32_e32 v28, v34, v36
	v_sub_f32_e32 v35, v29, v28
	v_pk_add_f32 v[38:39], v[28:29], v[34:35] neg_lo:[0,1] neg_hi:[0,1]
	v_mov_b32_e32 v37, v28
	v_pk_add_f32 v[28:29], v[38:39], v[36:37] neg_lo:[0,1] neg_hi:[0,1]
	v_add_f32_e32 v17, v17, v29
	v_add_f32_e32 v17, v28, v17
	;; [unrolled: 1-line block ×4, first 2 shown]
	v_sub_f32_e32 v29, v28, v43
	v_mul_f32_e32 v17, v42, v17
	v_sub_f32_e32 v29, v30, v29
	v_add_f32_e32 v17, v29, v17
	v_add_f32_e32 v30, v28, v17
	v_mul_f32_e32 v35, v30, v30
	v_mov_b32_e32 v34, 0x3ecc95a3
	v_fmac_f32_e32 v34, 0x3e9b6dac, v35
	v_mov_b32_e32 v29, 0x3f2aaada
	v_fmac_f32_e32 v29, v35, v34
	v_cvt_f32_i32_e32 v34, v40
	v_sub_f32_e32 v28, v30, v28
	v_sub_f32_e32 v17, v17, v28
	v_mul_f32_e32 v35, v30, v35
	v_mov_b32_e32 v28, 0x3f317218
	s_mov_b32 s33, 0x3f317218
	v_pk_mul_f32 v[28:29], v[34:35], v[28:29]
	v_fma_f32 v36, v34, s33, -v28
	v_ldexp_f32 v37, v30, 1
	v_fmac_f32_e32 v36, 0xb102e308, v34
	v_pk_add_f32 v[34:35], v[28:29], v[36:37]
	v_sub_f32_e32 v30, v35, v37
	v_ldexp_f32 v17, v17, 1
	v_sub_f32_e32 v30, v29, v30
	v_add_f32_e32 v39, v17, v30
	v_mov_b32_e32 v38, v28
	v_pk_add_f32 v[28:29], v[34:35], v[28:29] neg_lo:[0,1] neg_hi:[0,1]
	v_pk_add_f32 v[40:41], v[34:35], v[38:39]
	v_mov_b32_e32 v29, v41
	v_mov_b32_e32 v37, v34
	v_pk_add_f32 v[42:43], v[36:37], v[28:29] neg_lo:[0,1] neg_hi:[0,1]
	v_pk_add_f32 v[28:29], v[36:37], v[28:29]
	v_mov_b32_e32 v30, v29
	v_pk_add_f32 v[36:37], v[30:31], v[34:35] neg_lo:[0,1] neg_hi:[0,1]
	v_mov_b32_e32 v17, v36
	v_pk_add_f32 v[44:45], v[40:41], v[16:17] neg_lo:[0,1] neg_hi:[0,1]
	v_mov_b32_e32 v28, v41
	v_mov_b32_e32 v40, v35
	;; [unrolled: 1-line block ×4, first 2 shown]
	v_pk_add_f32 v[28:29], v[28:29], v[40:41] neg_lo:[0,1] neg_hi:[0,1]
	v_mov_b32_e32 v36, v39
	v_mov_b32_e32 v37, v34
	v_pk_add_f32 v[28:29], v[36:37], v[28:29] neg_lo:[0,1] neg_hi:[0,1]
	v_mov_b32_e32 v44, v42
	v_pk_add_f32 v[34:35], v[44:45], v[28:29]
	v_mov_b32_e32 v36, v35
	v_pk_add_f32 v[36:37], v[34:35], v[36:37]
	v_pk_add_f32 v[38:39], v[30:31], v[36:37]
	v_mov_b32_e32 v35, v38
	v_pk_add_f32 v[40:41], v[34:35], v[42:43] neg_lo:[0,1] neg_hi:[0,1]
	v_mov_b32_e32 v29, v36
	v_sub_f32_e32 v17, v34, v40
	v_pk_add_f32 v[28:29], v[28:29], v[40:41] neg_lo:[0,1] neg_hi:[0,1]
	v_sub_f32_e32 v17, v42, v17
	s_mov_b32 s52, 0x7f800000
	v_add_f32_e32 v17, v28, v17
	s_mov_b32 s33, 0x33800000
	v_add_f32_e32 v17, v17, v29
	v_cmp_eq_f32_e64 s[48:49], s52, v46
	v_cmp_lt_f32_e64 s[52:53], |v46|, s33
	v_add_f32_e32 v17, v38, v17
	s_or_b64 s[48:49], s[48:49], s[52:53]
	v_cndmask_b32_e64 v17, v17, v46, s[48:49]
	v_add_f32_e32 v34, v16, v17
.LBB164_48:
	s_or_b64 exec, exec, s[50:51]
	v_max_f32_e32 v16, v34, v34
	v_max_f32_e32 v28, v9, v9
	v_min_f32_e32 v17, v16, v28
	v_cmp_u_f32_e64 s[50:51], v34, v34
	v_max_f32_e32 v16, v16, v28
	v_cndmask_b32_e64 v17, v17, v34, s[50:51]
	v_cmp_u_f32_e64 s[48:49], v9, v9
	v_cndmask_b32_e64 v16, v16, v34, s[50:51]
	v_cndmask_b32_e64 v17, v17, v9, s[48:49]
	;; [unrolled: 1-line block ×3, first 2 shown]
	s_movk_i32 s33, 0x1f8
	v_cmp_neq_f32_e64 s[50:51], v17, v16
	v_cmp_class_f32_e64 s[52:53], v17, s33
	s_or_b64 s[50:51], s[50:51], s[52:53]
	s_and_saveexec_b64 s[52:53], s[50:51]
	s_cbranch_execz .LBB164_50
; %bb.49:
	v_sub_f32_e32 v17, v17, v16
	s_mov_b32 s50, 0x3fb8aa3b
	v_mul_f32_e32 v29, 0x3fb8aa3b, v17
	v_fma_f32 v30, v17, s50, -v29
	v_rndne_f32_e32 v34, v29
	v_fmac_f32_e32 v30, 0x32a5705f, v17
	v_sub_f32_e32 v29, v29, v34
	v_add_f32_e32 v29, v29, v30
	v_exp_f32_e32 v29, v29
	v_cvt_i32_f32_e32 v30, v34
	s_mov_b32 s50, 0xc2ce8ed0
	v_cmp_ngt_f32_e64 s[50:51], s50, v17
	s_mov_b32 s58, 0x7f800000
	v_ldexp_f32 v29, v29, v30
	v_cndmask_b32_e64 v29, 0, v29, s[50:51]
	s_mov_b32 s50, 0x42b17218
	v_mov_b32_e32 v30, 0x7f800000
	v_cmp_nlt_f32_e64 s[50:51], s50, v17
	v_cndmask_b32_e64 v29, v30, v29, s[50:51]
	v_add_f32_e32 v17, 1.0, v29
	v_add_f32_e32 v30, -1.0, v17
	v_sub_f32_e32 v34, v30, v17
	v_add_f32_e32 v34, 1.0, v34
	v_sub_f32_e32 v30, v29, v30
	v_add_f32_e32 v30, v30, v34
	v_frexp_mant_f32_e32 v36, v17
	s_mov_b32 s50, 0x3f2aaaab
	v_cvt_f64_f32_e32 v[34:35], v17
	v_frexp_exp_i32_f64_e32 v34, v[34:35]
	v_cmp_gt_f32_e64 s[50:51], s50, v36
	v_subbrev_co_u32_e64 v42, s[50:51], 0, v34, s[50:51]
	v_sub_u32_e32 v34, 0, v42
	v_ldexp_f32 v17, v17, v34
	v_ldexp_f32 v30, v30, v34
	v_add_f32_e32 v34, -1.0, v17
	v_add_f32_e32 v35, 1.0, v34
	v_sub_f32_e32 v35, v17, v35
	v_add_f32_e32 v36, v30, v35
	v_add_f32_e32 v35, 1.0, v17
	v_add_f32_e32 v37, -1.0, v35
	v_sub_f32_e32 v17, v17, v37
	v_add_f32_e32 v17, v30, v17
	v_add_f32_e32 v30, v35, v17
	v_rcp_f32_e32 v43, v30
	v_sub_f32_e32 v35, v35, v30
	v_add_f32_e32 v17, v17, v35
	v_add_f32_e32 v35, v34, v36
	v_sub_f32_e32 v34, v34, v35
	v_mul_f32_e32 v45, v35, v43
	v_add_f32_e32 v44, v36, v34
	v_mul_f32_e32 v36, v30, v45
	v_fma_f32 v38, v45, v30, -v36
	v_fmac_f32_e32 v38, v45, v17
	v_add_f32_e32 v34, v36, v38
	v_sub_f32_e32 v37, v35, v34
	v_pk_add_f32 v[40:41], v[34:35], v[36:37] neg_lo:[0,1] neg_hi:[0,1]
	v_mov_b32_e32 v39, v34
	v_pk_add_f32 v[34:35], v[40:41], v[38:39] neg_lo:[0,1] neg_hi:[0,1]
	v_add_f32_e32 v35, v44, v35
	v_add_f32_e32 v34, v34, v35
	;; [unrolled: 1-line block ×3, first 2 shown]
	v_mul_f32_e32 v44, v43, v35
	v_mul_f32_e32 v36, v30, v44
	v_fma_f32 v38, v44, v30, -v36
	v_fmac_f32_e32 v38, v44, v17
	v_sub_f32_e32 v17, v37, v35
	v_add_f32_e32 v17, v34, v17
	v_add_f32_e32 v34, v36, v38
	v_sub_f32_e32 v37, v35, v34
	v_pk_add_f32 v[40:41], v[34:35], v[36:37] neg_lo:[0,1] neg_hi:[0,1]
	v_mov_b32_e32 v39, v34
	v_pk_add_f32 v[34:35], v[40:41], v[38:39] neg_lo:[0,1] neg_hi:[0,1]
	v_add_f32_e32 v17, v17, v35
	v_add_f32_e32 v17, v34, v17
	;; [unrolled: 1-line block ×4, first 2 shown]
	v_sub_f32_e32 v34, v30, v45
	v_mul_f32_e32 v17, v43, v17
	v_sub_f32_e32 v34, v44, v34
	v_add_f32_e32 v17, v34, v17
	v_add_f32_e32 v34, v30, v17
	v_mul_f32_e32 v37, v34, v34
	v_mov_b32_e32 v36, 0x3ecc95a3
	v_fmac_f32_e32 v36, 0x3e9b6dac, v37
	v_mov_b32_e32 v35, 0x3f2aaada
	v_fmac_f32_e32 v35, v37, v36
	v_cvt_f32_i32_e32 v36, v42
	v_sub_f32_e32 v30, v34, v30
	v_ldexp_f32 v39, v34, 1
	v_mul_f32_e32 v37, v34, v37
	v_mov_b32_e32 v34, 0x3f317218
	s_mov_b32 s50, 0x3f317218
	v_pk_mul_f32 v[34:35], v[36:37], v[34:35]
	v_fma_f32 v38, v36, s50, -v34
	v_fmac_f32_e32 v38, 0xb102e308, v36
	v_pk_add_f32 v[36:37], v[34:35], v[38:39]
	v_sub_f32_e32 v17, v17, v30
	v_sub_f32_e32 v30, v37, v39
	v_ldexp_f32 v17, v17, 1
	v_sub_f32_e32 v30, v35, v30
	v_add_f32_e32 v41, v17, v30
	v_mov_b32_e32 v40, v34
	v_pk_add_f32 v[34:35], v[36:37], v[34:35] neg_lo:[0,1] neg_hi:[0,1]
	v_pk_add_f32 v[42:43], v[36:37], v[40:41]
	v_mov_b32_e32 v35, v43
	v_mov_b32_e32 v39, v36
	v_pk_add_f32 v[44:45], v[38:39], v[34:35] neg_lo:[0,1] neg_hi:[0,1]
	v_pk_add_f32 v[34:35], v[38:39], v[34:35]
	v_mov_b32_e32 v30, v35
	v_pk_add_f32 v[38:39], v[30:31], v[36:37] neg_lo:[0,1] neg_hi:[0,1]
	v_mov_b32_e32 v17, v38
	v_pk_add_f32 v[46:47], v[42:43], v[16:17] neg_lo:[0,1] neg_hi:[0,1]
	v_mov_b32_e32 v34, v43
	v_mov_b32_e32 v42, v37
	;; [unrolled: 1-line block ×4, first 2 shown]
	v_pk_add_f32 v[34:35], v[34:35], v[42:43] neg_lo:[0,1] neg_hi:[0,1]
	v_mov_b32_e32 v38, v41
	v_mov_b32_e32 v39, v36
	v_pk_add_f32 v[34:35], v[38:39], v[34:35] neg_lo:[0,1] neg_hi:[0,1]
	v_mov_b32_e32 v46, v44
	v_pk_add_f32 v[36:37], v[46:47], v[34:35]
	v_mov_b32_e32 v38, v37
	v_pk_add_f32 v[38:39], v[36:37], v[38:39]
	v_pk_add_f32 v[40:41], v[30:31], v[38:39]
	v_mov_b32_e32 v37, v40
	v_pk_add_f32 v[42:43], v[36:37], v[44:45] neg_lo:[0,1] neg_hi:[0,1]
	v_mov_b32_e32 v35, v38
	v_sub_f32_e32 v17, v36, v42
	v_pk_add_f32 v[34:35], v[34:35], v[42:43] neg_lo:[0,1] neg_hi:[0,1]
	v_sub_f32_e32 v17, v44, v17
	v_add_f32_e32 v17, v34, v17
	v_cmp_eq_f32_e64 s[50:51], s58, v29
	s_mov_b32 s58, 0x33800000
	v_add_f32_e32 v17, v17, v35
	v_cmp_lt_f32_e64 s[58:59], |v29|, s58
	v_add_f32_e32 v17, v40, v17
	s_or_b64 s[50:51], s[50:51], s[58:59]
	v_cndmask_b32_e64 v17, v17, v29, s[50:51]
	v_add_f32_e32 v34, v16, v17
.LBB164_50:
	s_or_b64 exec, exec, s[52:53]
	v_max_f32_e32 v16, v34, v34
	v_max_f32_e32 v29, v14, v14
	v_min_f32_e32 v17, v16, v29
	v_cmp_u_f32_e64 s[52:53], v34, v34
	v_max_f32_e32 v16, v16, v29
	v_cndmask_b32_e64 v17, v17, v34, s[52:53]
	v_cmp_u_f32_e64 s[50:51], v14, v14
	v_cndmask_b32_e64 v16, v16, v34, s[52:53]
	v_cndmask_b32_e64 v17, v17, v14, s[50:51]
	;; [unrolled: 1-line block ×3, first 2 shown]
	v_cmp_neq_f32_e64 s[52:53], v17, v16
	v_cmp_class_f32_e64 s[58:59], v17, s33
	s_or_b64 s[52:53], s[52:53], s[58:59]
	s_and_saveexec_b64 s[58:59], s[52:53]
	s_cbranch_execz .LBB164_52
; %bb.51:
	v_sub_f32_e32 v17, v17, v16
	s_mov_b32 s33, 0x3fb8aa3b
	v_mul_f32_e32 v30, 0x3fb8aa3b, v17
	v_fma_f32 v34, v17, s33, -v30
	v_rndne_f32_e32 v35, v30
	v_fmac_f32_e32 v34, 0x32a5705f, v17
	v_sub_f32_e32 v30, v30, v35
	v_add_f32_e32 v30, v30, v34
	v_exp_f32_e32 v30, v30
	v_cvt_i32_f32_e32 v34, v35
	s_mov_b32 s33, 0xc2ce8ed0
	v_cmp_ngt_f32_e64 s[52:53], s33, v17
	s_mov_b32 s33, 0x42b17218
	v_ldexp_f32 v30, v30, v34
	v_cndmask_b32_e64 v30, 0, v30, s[52:53]
	v_mov_b32_e32 v34, 0x7f800000
	v_cmp_nlt_f32_e64 s[52:53], s33, v17
	v_cndmask_b32_e64 v48, v34, v30, s[52:53]
	v_add_f32_e32 v17, 1.0, v48
	v_add_f32_e32 v30, -1.0, v17
	v_sub_f32_e32 v34, v30, v17
	v_add_f32_e32 v34, 1.0, v34
	v_sub_f32_e32 v30, v48, v30
	v_add_f32_e32 v30, v30, v34
	v_frexp_mant_f32_e32 v36, v17
	s_mov_b32 s33, 0x3f2aaaab
	v_cvt_f64_f32_e32 v[34:35], v17
	v_frexp_exp_i32_f64_e32 v34, v[34:35]
	v_cmp_gt_f32_e64 s[52:53], s33, v36
	v_subbrev_co_u32_e64 v42, s[52:53], 0, v34, s[52:53]
	v_sub_u32_e32 v34, 0, v42
	v_ldexp_f32 v17, v17, v34
	v_ldexp_f32 v30, v30, v34
	v_add_f32_e32 v34, -1.0, v17
	v_add_f32_e32 v35, 1.0, v34
	v_sub_f32_e32 v35, v17, v35
	v_add_f32_e32 v36, v30, v35
	v_add_f32_e32 v35, 1.0, v17
	v_add_f32_e32 v37, -1.0, v35
	v_sub_f32_e32 v17, v17, v37
	v_add_f32_e32 v17, v30, v17
	v_add_f32_e32 v30, v35, v17
	v_rcp_f32_e32 v43, v30
	v_sub_f32_e32 v35, v35, v30
	v_add_f32_e32 v17, v17, v35
	v_add_f32_e32 v35, v34, v36
	v_sub_f32_e32 v34, v34, v35
	v_mul_f32_e32 v45, v35, v43
	v_add_f32_e32 v44, v36, v34
	v_mul_f32_e32 v36, v30, v45
	v_fma_f32 v38, v45, v30, -v36
	v_fmac_f32_e32 v38, v45, v17
	v_add_f32_e32 v34, v36, v38
	v_sub_f32_e32 v37, v35, v34
	v_pk_add_f32 v[40:41], v[34:35], v[36:37] neg_lo:[0,1] neg_hi:[0,1]
	v_mov_b32_e32 v39, v34
	v_pk_add_f32 v[34:35], v[40:41], v[38:39] neg_lo:[0,1] neg_hi:[0,1]
	v_add_f32_e32 v35, v44, v35
	v_add_f32_e32 v34, v34, v35
	;; [unrolled: 1-line block ×3, first 2 shown]
	v_mul_f32_e32 v44, v43, v35
	v_mul_f32_e32 v36, v30, v44
	v_fma_f32 v38, v44, v30, -v36
	v_fmac_f32_e32 v38, v44, v17
	v_sub_f32_e32 v17, v37, v35
	v_add_f32_e32 v17, v34, v17
	v_add_f32_e32 v34, v36, v38
	v_sub_f32_e32 v37, v35, v34
	v_pk_add_f32 v[40:41], v[34:35], v[36:37] neg_lo:[0,1] neg_hi:[0,1]
	v_mov_b32_e32 v39, v34
	v_pk_add_f32 v[34:35], v[40:41], v[38:39] neg_lo:[0,1] neg_hi:[0,1]
	v_add_f32_e32 v17, v17, v35
	v_add_f32_e32 v17, v34, v17
	;; [unrolled: 1-line block ×4, first 2 shown]
	v_sub_f32_e32 v34, v30, v45
	v_mul_f32_e32 v17, v43, v17
	v_sub_f32_e32 v34, v44, v34
	v_add_f32_e32 v17, v34, v17
	v_add_f32_e32 v34, v30, v17
	v_mul_f32_e32 v37, v34, v34
	v_mov_b32_e32 v36, 0x3ecc95a3
	v_fmac_f32_e32 v36, 0x3e9b6dac, v37
	v_mov_b32_e32 v35, 0x3f2aaada
	v_fmac_f32_e32 v35, v37, v36
	v_cvt_f32_i32_e32 v36, v42
	v_sub_f32_e32 v30, v34, v30
	v_ldexp_f32 v39, v34, 1
	v_mul_f32_e32 v37, v34, v37
	v_mov_b32_e32 v34, 0x3f317218
	s_mov_b32 s33, 0x3f317218
	v_pk_mul_f32 v[34:35], v[36:37], v[34:35]
	v_fma_f32 v38, v36, s33, -v34
	v_fmac_f32_e32 v38, 0xb102e308, v36
	v_pk_add_f32 v[36:37], v[34:35], v[38:39]
	v_sub_f32_e32 v17, v17, v30
	v_sub_f32_e32 v30, v37, v39
	v_ldexp_f32 v17, v17, 1
	v_sub_f32_e32 v30, v35, v30
	v_add_f32_e32 v41, v17, v30
	v_mov_b32_e32 v40, v34
	v_pk_add_f32 v[34:35], v[36:37], v[34:35] neg_lo:[0,1] neg_hi:[0,1]
	v_pk_add_f32 v[42:43], v[36:37], v[40:41]
	v_mov_b32_e32 v35, v43
	v_mov_b32_e32 v39, v36
	v_pk_add_f32 v[44:45], v[38:39], v[34:35] neg_lo:[0,1] neg_hi:[0,1]
	v_pk_add_f32 v[34:35], v[38:39], v[34:35]
	v_mov_b32_e32 v30, v35
	v_pk_add_f32 v[38:39], v[30:31], v[36:37] neg_lo:[0,1] neg_hi:[0,1]
	v_mov_b32_e32 v17, v38
	v_pk_add_f32 v[46:47], v[42:43], v[16:17] neg_lo:[0,1] neg_hi:[0,1]
	v_mov_b32_e32 v34, v43
	v_mov_b32_e32 v42, v37
	;; [unrolled: 1-line block ×4, first 2 shown]
	v_pk_add_f32 v[34:35], v[34:35], v[42:43] neg_lo:[0,1] neg_hi:[0,1]
	v_mov_b32_e32 v38, v41
	v_mov_b32_e32 v39, v36
	v_pk_add_f32 v[34:35], v[38:39], v[34:35] neg_lo:[0,1] neg_hi:[0,1]
	v_mov_b32_e32 v46, v44
	v_pk_add_f32 v[36:37], v[46:47], v[34:35]
	v_mov_b32_e32 v38, v37
	v_pk_add_f32 v[38:39], v[36:37], v[38:39]
	v_pk_add_f32 v[40:41], v[30:31], v[38:39]
	v_mov_b32_e32 v37, v40
	v_pk_add_f32 v[42:43], v[36:37], v[44:45] neg_lo:[0,1] neg_hi:[0,1]
	v_mov_b32_e32 v35, v38
	v_sub_f32_e32 v17, v36, v42
	v_pk_add_f32 v[34:35], v[34:35], v[42:43] neg_lo:[0,1] neg_hi:[0,1]
	v_sub_f32_e32 v17, v44, v17
	s_mov_b32 s60, 0x7f800000
	v_add_f32_e32 v17, v34, v17
	s_mov_b32 s33, 0x33800000
	v_add_f32_e32 v17, v17, v35
	v_cmp_eq_f32_e64 s[52:53], s60, v48
	v_cmp_lt_f32_e64 s[60:61], |v48|, s33
	v_add_f32_e32 v17, v40, v17
	s_or_b64 s[52:53], s[52:53], s[60:61]
	v_cndmask_b32_e64 v17, v17, v48, s[52:53]
	v_add_f32_e32 v34, v16, v17
.LBB164_52:
	s_or_b64 exec, exec, s[58:59]
	v_max_f32_e32 v16, v34, v34
	v_max_f32_e32 v30, v15, v15
	v_min_f32_e32 v17, v16, v30
	v_cmp_u_f32_e64 s[58:59], v34, v34
	v_max_f32_e32 v16, v16, v30
	v_cndmask_b32_e64 v17, v17, v34, s[58:59]
	v_cmp_u_f32_e64 s[52:53], v15, v15
	v_cndmask_b32_e64 v16, v16, v34, s[58:59]
	v_cndmask_b32_e64 v17, v17, v15, s[52:53]
	;; [unrolled: 1-line block ×3, first 2 shown]
	s_movk_i32 s33, 0x1f8
	v_cmp_neq_f32_e64 s[58:59], v17, v16
	v_cmp_class_f32_e64 s[60:61], v17, s33
	s_or_b64 s[58:59], s[58:59], s[60:61]
	s_and_saveexec_b64 s[60:61], s[58:59]
	s_cbranch_execz .LBB164_54
; %bb.53:
	v_sub_f32_e32 v17, v17, v16
	s_mov_b32 s33, 0x3fb8aa3b
	v_mul_f32_e32 v34, 0x3fb8aa3b, v17
	v_fma_f32 v35, v17, s33, -v34
	v_rndne_f32_e32 v36, v34
	v_fmac_f32_e32 v35, 0x32a5705f, v17
	v_sub_f32_e32 v34, v34, v36
	v_add_f32_e32 v34, v34, v35
	v_exp_f32_e32 v34, v34
	v_cvt_i32_f32_e32 v35, v36
	s_mov_b32 s33, 0xc2ce8ed0
	v_cmp_ngt_f32_e64 s[58:59], s33, v17
	s_mov_b32 s33, 0x42b17218
	v_ldexp_f32 v34, v34, v35
	v_cndmask_b32_e64 v34, 0, v34, s[58:59]
	v_mov_b32_e32 v35, 0x7f800000
	v_cmp_nlt_f32_e64 s[58:59], s33, v17
	v_cndmask_b32_e64 v50, v35, v34, s[58:59]
	v_add_f32_e32 v17, 1.0, v50
	v_add_f32_e32 v34, -1.0, v17
	v_sub_f32_e32 v35, v34, v17
	v_add_f32_e32 v35, 1.0, v35
	v_sub_f32_e32 v34, v50, v34
	v_add_f32_e32 v36, v34, v35
	v_frexp_mant_f32_e32 v37, v17
	s_mov_b32 s33, 0x3f2aaaab
	v_cvt_f64_f32_e32 v[34:35], v17
	v_frexp_exp_i32_f64_e32 v34, v[34:35]
	v_cmp_gt_f32_e64 s[58:59], s33, v37
	v_subbrev_co_u32_e64 v42, s[58:59], 0, v34, s[58:59]
	v_sub_u32_e32 v34, 0, v42
	v_ldexp_f32 v17, v17, v34
	v_ldexp_f32 v34, v36, v34
	v_add_f32_e32 v36, -1.0, v17
	v_add_f32_e32 v35, 1.0, v36
	v_sub_f32_e32 v35, v17, v35
	v_add_f32_e32 v37, v34, v35
	v_add_f32_e32 v35, 1.0, v17
	v_add_f32_e32 v38, -1.0, v35
	v_sub_f32_e32 v17, v17, v38
	v_add_f32_e32 v17, v34, v17
	v_add_f32_e32 v43, v35, v17
	v_rcp_f32_e32 v44, v43
	v_sub_f32_e32 v34, v35, v43
	v_add_f32_e32 v35, v36, v37
	v_add_f32_e32 v17, v17, v34
	v_mul_f32_e32 v46, v35, v44
	v_sub_f32_e32 v34, v36, v35
	v_mul_f32_e32 v36, v43, v46
	v_fma_f32 v38, v46, v43, -v36
	v_fmac_f32_e32 v38, v46, v17
	v_add_f32_e32 v45, v37, v34
	v_add_f32_e32 v34, v36, v38
	v_sub_f32_e32 v37, v35, v34
	v_pk_add_f32 v[40:41], v[34:35], v[36:37] neg_lo:[0,1] neg_hi:[0,1]
	v_mov_b32_e32 v39, v34
	v_pk_add_f32 v[34:35], v[40:41], v[38:39] neg_lo:[0,1] neg_hi:[0,1]
	v_add_f32_e32 v35, v45, v35
	v_add_f32_e32 v34, v34, v35
	v_add_f32_e32 v35, v37, v34
	v_mul_f32_e32 v45, v44, v35
	v_mul_f32_e32 v36, v43, v45
	v_fma_f32 v38, v45, v43, -v36
	v_fmac_f32_e32 v38, v45, v17
	v_sub_f32_e32 v17, v37, v35
	v_add_f32_e32 v17, v34, v17
	v_add_f32_e32 v34, v36, v38
	v_sub_f32_e32 v37, v35, v34
	v_pk_add_f32 v[40:41], v[34:35], v[36:37] neg_lo:[0,1] neg_hi:[0,1]
	v_mov_b32_e32 v39, v34
	v_pk_add_f32 v[34:35], v[40:41], v[38:39] neg_lo:[0,1] neg_hi:[0,1]
	v_add_f32_e32 v17, v17, v35
	v_add_f32_e32 v17, v34, v17
	;; [unrolled: 1-line block ×4, first 2 shown]
	v_sub_f32_e32 v35, v34, v46
	v_mul_f32_e32 v17, v44, v17
	v_sub_f32_e32 v35, v45, v35
	v_add_f32_e32 v17, v35, v17
	v_add_f32_e32 v37, v34, v17
	v_mul_f32_e32 v38, v37, v37
	v_mov_b32_e32 v36, 0x3ecc95a3
	v_fmac_f32_e32 v36, 0x3e9b6dac, v38
	v_mov_b32_e32 v35, 0x3f2aaada
	v_fmac_f32_e32 v35, v38, v36
	v_cvt_f32_i32_e32 v36, v42
	v_sub_f32_e32 v34, v37, v34
	v_sub_f32_e32 v17, v17, v34
	v_ldexp_f32 v39, v37, 1
	v_mul_f32_e32 v37, v37, v38
	v_mov_b32_e32 v34, 0x3f317218
	s_mov_b32 s33, 0x3f317218
	v_pk_mul_f32 v[34:35], v[36:37], v[34:35]
	v_fma_f32 v38, v36, s33, -v34
	v_fmac_f32_e32 v38, 0xb102e308, v36
	v_pk_add_f32 v[36:37], v[34:35], v[38:39]
	v_sub_f32_e32 v39, v37, v39
	v_ldexp_f32 v17, v17, 1
	v_sub_f32_e32 v39, v35, v39
	v_add_f32_e32 v41, v17, v39
	v_mov_b32_e32 v40, v34
	v_pk_add_f32 v[34:35], v[36:37], v[34:35] neg_lo:[0,1] neg_hi:[0,1]
	v_pk_add_f32 v[42:43], v[36:37], v[40:41]
	v_mov_b32_e32 v35, v43
	v_mov_b32_e32 v39, v36
	v_pk_add_f32 v[44:45], v[38:39], v[34:35] neg_lo:[0,1] neg_hi:[0,1]
	v_pk_add_f32 v[34:35], v[38:39], v[34:35]
	v_mov_b32_e32 v38, v35
	v_pk_add_f32 v[46:47], v[38:39], v[36:37] neg_lo:[0,1] neg_hi:[0,1]
	v_mov_b32_e32 v17, v46
	v_pk_add_f32 v[48:49], v[42:43], v[16:17] neg_lo:[0,1] neg_hi:[0,1]
	v_mov_b32_e32 v34, v43
	v_mov_b32_e32 v42, v37
	;; [unrolled: 1-line block ×4, first 2 shown]
	v_pk_add_f32 v[34:35], v[34:35], v[42:43] neg_lo:[0,1] neg_hi:[0,1]
	v_mov_b32_e32 v40, v41
	v_mov_b32_e32 v41, v36
	v_pk_add_f32 v[34:35], v[40:41], v[34:35] neg_lo:[0,1] neg_hi:[0,1]
	v_mov_b32_e32 v48, v44
	v_pk_add_f32 v[36:37], v[48:49], v[34:35]
	v_mov_b32_e32 v40, v37
	v_pk_add_f32 v[40:41], v[36:37], v[40:41]
	v_pk_add_f32 v[38:39], v[38:39], v[40:41]
	v_mov_b32_e32 v37, v38
	v_pk_add_f32 v[42:43], v[36:37], v[44:45] neg_lo:[0,1] neg_hi:[0,1]
	v_mov_b32_e32 v35, v40
	v_sub_f32_e32 v17, v36, v42
	v_pk_add_f32 v[34:35], v[34:35], v[42:43] neg_lo:[0,1] neg_hi:[0,1]
	v_sub_f32_e32 v17, v44, v17
	s_mov_b32 s62, 0x7f800000
	v_add_f32_e32 v17, v34, v17
	s_mov_b32 s33, 0x33800000
	v_add_f32_e32 v17, v17, v35
	v_cmp_eq_f32_e64 s[58:59], s62, v50
	v_cmp_lt_f32_e64 s[62:63], |v50|, s33
	v_add_f32_e32 v17, v38, v17
	s_or_b64 s[58:59], s[58:59], s[62:63]
	v_cndmask_b32_e64 v17, v17, v50, s[58:59]
	v_add_f32_e32 v34, v16, v17
.LBB164_54:
	s_or_b64 exec, exec, s[60:61]
	s_load_dwordx2 s[62:63], s[4:5], 0x18
	v_lshrrev_b32_e32 v16, 3, v0
	v_and_b32_e32 v16, 12, v16
	v_add_u32_e32 v16, v18, v16
	v_cmp_gt_u32_e64 s[4:5], 64, v0
	ds_write_b32 v16, v34
	s_waitcnt lgkmcnt(0)
	s_barrier
	s_and_saveexec_b64 s[64:65], s[4:5]
	s_cbranch_execz .LBB164_86
; %bb.55:
	v_lshlrev_b32_e32 v16, 1, v0
	v_lshrrev_b32_e32 v17, 4, v0
	v_add_lshl_u32 v35, v17, v16, 2
	ds_read2_b32 v[16:17], v35 offset1:1
	s_movk_i32 s33, 0x1f8
	s_waitcnt lgkmcnt(0)
	v_max_f32_e32 v38, v17, v17
	v_max_f32_e32 v36, v16, v16
	v_min_f32_e32 v37, v36, v38
	v_cmp_u_f32_e64 s[4:5], v16, v16
	v_max_f32_e32 v38, v36, v38
	v_cndmask_b32_e64 v37, v37, v16, s[4:5]
	v_cmp_u_f32_e64 s[58:59], v17, v17
	v_cndmask_b32_e64 v38, v38, v16, s[4:5]
	v_cndmask_b32_e64 v37, v37, v17, s[58:59]
	;; [unrolled: 1-line block ×3, first 2 shown]
	v_cmp_neq_f32_e64 s[58:59], v37, v17
	v_cmp_class_f32_e64 s[60:61], v37, s33
	s_or_b64 s[58:59], s[58:59], s[60:61]
	v_mov_b32_e32 v38, v16
	s_and_saveexec_b64 s[60:61], s[58:59]
	s_cbranch_execz .LBB164_57
; %bb.56:
	v_sub_f32_e32 v37, v37, v17
	s_mov_b32 s33, 0x3fb8aa3b
	v_mul_f32_e32 v38, 0x3fb8aa3b, v37
	v_fma_f32 v39, v37, s33, -v38
	v_rndne_f32_e32 v40, v38
	v_fmac_f32_e32 v39, 0x32a5705f, v37
	v_sub_f32_e32 v38, v38, v40
	v_add_f32_e32 v38, v38, v39
	v_exp_f32_e32 v38, v38
	v_cvt_i32_f32_e32 v39, v40
	s_mov_b32 s33, 0xc2ce8ed0
	v_cmp_ngt_f32_e64 s[58:59], s33, v37
	s_mov_b32 s33, 0x42b17218
	v_ldexp_f32 v38, v38, v39
	v_cndmask_b32_e64 v38, 0, v38, s[58:59]
	v_mov_b32_e32 v39, 0x7f800000
	v_cmp_nlt_f32_e64 s[58:59], s33, v37
	v_cndmask_b32_e64 v54, v39, v38, s[58:59]
	v_add_f32_e32 v37, 1.0, v54
	v_add_f32_e32 v38, -1.0, v37
	v_sub_f32_e32 v39, v38, v37
	v_add_f32_e32 v39, 1.0, v39
	v_sub_f32_e32 v38, v54, v38
	v_add_f32_e32 v40, v38, v39
	v_frexp_mant_f32_e32 v41, v37
	s_mov_b32 s33, 0x3f2aaaab
	v_cvt_f64_f32_e32 v[38:39], v37
	v_frexp_exp_i32_f64_e32 v38, v[38:39]
	v_cmp_gt_f32_e64 s[58:59], s33, v41
	v_subbrev_co_u32_e64 v46, s[58:59], 0, v38, s[58:59]
	v_sub_u32_e32 v38, 0, v46
	v_ldexp_f32 v37, v37, v38
	v_ldexp_f32 v38, v40, v38
	v_add_f32_e32 v40, -1.0, v37
	v_add_f32_e32 v39, 1.0, v40
	v_sub_f32_e32 v39, v37, v39
	v_add_f32_e32 v41, v38, v39
	v_add_f32_e32 v39, 1.0, v37
	v_add_f32_e32 v42, -1.0, v39
	v_sub_f32_e32 v37, v37, v42
	v_add_f32_e32 v37, v38, v37
	v_add_f32_e32 v47, v39, v37
	v_rcp_f32_e32 v48, v47
	v_sub_f32_e32 v38, v39, v47
	v_add_f32_e32 v39, v40, v41
	v_add_f32_e32 v37, v37, v38
	v_mul_f32_e32 v50, v39, v48
	v_sub_f32_e32 v38, v40, v39
	v_mul_f32_e32 v40, v47, v50
	v_fma_f32 v42, v50, v47, -v40
	v_fmac_f32_e32 v42, v50, v37
	v_add_f32_e32 v49, v41, v38
	v_add_f32_e32 v38, v40, v42
	v_sub_f32_e32 v41, v39, v38
	v_pk_add_f32 v[44:45], v[38:39], v[40:41] neg_lo:[0,1] neg_hi:[0,1]
	v_mov_b32_e32 v43, v38
	v_pk_add_f32 v[38:39], v[44:45], v[42:43] neg_lo:[0,1] neg_hi:[0,1]
	v_add_f32_e32 v39, v49, v39
	v_add_f32_e32 v38, v38, v39
	;; [unrolled: 1-line block ×3, first 2 shown]
	v_mul_f32_e32 v49, v48, v39
	v_mul_f32_e32 v40, v47, v49
	v_fma_f32 v42, v49, v47, -v40
	v_fmac_f32_e32 v42, v49, v37
	v_sub_f32_e32 v37, v41, v39
	v_add_f32_e32 v37, v38, v37
	v_add_f32_e32 v38, v40, v42
	v_sub_f32_e32 v41, v39, v38
	v_pk_add_f32 v[44:45], v[38:39], v[40:41] neg_lo:[0,1] neg_hi:[0,1]
	v_mov_b32_e32 v43, v38
	v_pk_add_f32 v[38:39], v[44:45], v[42:43] neg_lo:[0,1] neg_hi:[0,1]
	v_add_f32_e32 v37, v37, v39
	v_add_f32_e32 v37, v38, v37
	;; [unrolled: 1-line block ×4, first 2 shown]
	v_sub_f32_e32 v39, v38, v50
	v_mul_f32_e32 v37, v48, v37
	v_sub_f32_e32 v39, v49, v39
	v_add_f32_e32 v37, v39, v37
	v_add_f32_e32 v41, v38, v37
	v_mul_f32_e32 v42, v41, v41
	v_mov_b32_e32 v40, 0x3ecc95a3
	v_fmac_f32_e32 v40, 0x3e9b6dac, v42
	v_mov_b32_e32 v39, 0x3f2aaada
	v_fmac_f32_e32 v39, v42, v40
	v_cvt_f32_i32_e32 v40, v46
	v_sub_f32_e32 v38, v41, v38
	v_sub_f32_e32 v37, v37, v38
	v_ldexp_f32 v43, v41, 1
	v_mul_f32_e32 v41, v41, v42
	v_mov_b32_e32 v38, 0x3f317218
	s_mov_b32 s33, 0x3f317218
	v_pk_mul_f32 v[38:39], v[40:41], v[38:39]
	v_fma_f32 v42, v40, s33, -v38
	v_fmac_f32_e32 v42, 0xb102e308, v40
	v_pk_add_f32 v[40:41], v[38:39], v[42:43]
	v_sub_f32_e32 v43, v41, v43
	v_ldexp_f32 v37, v37, 1
	v_sub_f32_e32 v43, v39, v43
	v_add_f32_e32 v45, v37, v43
	v_mov_b32_e32 v44, v38
	v_pk_add_f32 v[38:39], v[40:41], v[38:39] neg_lo:[0,1] neg_hi:[0,1]
	v_pk_add_f32 v[46:47], v[40:41], v[44:45]
	v_mov_b32_e32 v39, v47
	v_mov_b32_e32 v43, v40
	v_pk_add_f32 v[48:49], v[42:43], v[38:39] neg_lo:[0,1] neg_hi:[0,1]
	v_pk_add_f32 v[38:39], v[42:43], v[38:39]
	v_mov_b32_e32 v42, v39
	v_pk_add_f32 v[50:51], v[42:43], v[40:41] neg_lo:[0,1] neg_hi:[0,1]
	v_mov_b32_e32 v37, v50
	v_pk_add_f32 v[52:53], v[46:47], v[36:37] neg_lo:[0,1] neg_hi:[0,1]
	v_mov_b32_e32 v38, v47
	v_mov_b32_e32 v46, v41
	;; [unrolled: 1-line block ×4, first 2 shown]
	v_pk_add_f32 v[38:39], v[38:39], v[46:47] neg_lo:[0,1] neg_hi:[0,1]
	v_mov_b32_e32 v44, v45
	v_mov_b32_e32 v45, v40
	v_pk_add_f32 v[38:39], v[44:45], v[38:39] neg_lo:[0,1] neg_hi:[0,1]
	v_mov_b32_e32 v52, v48
	v_pk_add_f32 v[40:41], v[52:53], v[38:39]
	v_mov_b32_e32 v44, v41
	v_pk_add_f32 v[44:45], v[40:41], v[44:45]
	v_pk_add_f32 v[42:43], v[42:43], v[44:45]
	v_mov_b32_e32 v41, v42
	v_pk_add_f32 v[46:47], v[40:41], v[48:49] neg_lo:[0,1] neg_hi:[0,1]
	v_mov_b32_e32 v39, v44
	v_sub_f32_e32 v37, v40, v46
	v_pk_add_f32 v[38:39], v[38:39], v[46:47] neg_lo:[0,1] neg_hi:[0,1]
	v_sub_f32_e32 v37, v48, v37
	s_mov_b32 s66, 0x7f800000
	v_add_f32_e32 v37, v38, v37
	s_mov_b32 s33, 0x33800000
	v_add_f32_e32 v37, v37, v39
	v_cmp_eq_f32_e64 s[58:59], s66, v54
	v_cmp_lt_f32_e64 s[66:67], |v54|, s33
	v_add_f32_e32 v37, v42, v37
	s_or_b64 s[58:59], s[58:59], s[66:67]
	v_cndmask_b32_e64 v37, v37, v54, s[58:59]
	v_add_f32_e32 v38, v17, v37
.LBB164_57:
	s_or_b64 exec, exec, s[60:61]
	v_mbcnt_lo_u32_b32 v17, -1, 0
	v_mbcnt_hi_u32_b32 v17, -1, v17
	v_and_b32_e32 v37, 15, v17
	v_mov_b32_dpp v39, v38 row_shr:1 row_mask:0xf bank_mask:0xf
	v_cmp_ne_u32_e64 s[58:59], 0, v37
	s_and_saveexec_b64 s[66:67], s[58:59]
	s_cbranch_execz .LBB164_61
; %bb.58:
	v_max_f32_e32 v41, v38, v38
	v_max_f32_e32 v42, v39, v39
	v_min_f32_e32 v40, v42, v41
	v_cmp_u_f32_e64 s[58:59], v39, v39
	v_max_f32_e32 v41, v42, v41
	v_cndmask_b32_e64 v40, v40, v39, s[58:59]
	v_cmp_u_f32_e64 s[60:61], v38, v38
	v_cndmask_b32_e64 v41, v41, v39, s[58:59]
	v_cndmask_b32_e64 v40, v40, v38, s[60:61]
	;; [unrolled: 1-line block ×3, first 2 shown]
	s_movk_i32 s33, 0x1f8
	v_cmp_neq_f32_e64 s[58:59], v40, v38
	v_cmp_class_f32_e64 s[60:61], v40, s33
	s_or_b64 s[58:59], s[58:59], s[60:61]
	s_and_saveexec_b64 s[60:61], s[58:59]
	s_cbranch_execz .LBB164_60
; %bb.59:
	v_sub_f32_e32 v39, v40, v38
	s_mov_b32 s33, 0x3fb8aa3b
	v_mul_f32_e32 v40, 0x3fb8aa3b, v39
	v_fma_f32 v41, v39, s33, -v40
	v_rndne_f32_e32 v42, v40
	v_fmac_f32_e32 v41, 0x32a5705f, v39
	v_sub_f32_e32 v40, v40, v42
	v_add_f32_e32 v40, v40, v41
	v_exp_f32_e32 v40, v40
	v_cvt_i32_f32_e32 v41, v42
	s_mov_b32 s33, 0xc2ce8ed0
	v_cmp_ngt_f32_e64 s[58:59], s33, v39
	s_mov_b32 s33, 0x42b17218
	v_ldexp_f32 v40, v40, v41
	v_cndmask_b32_e64 v40, 0, v40, s[58:59]
	v_mov_b32_e32 v41, 0x7f800000
	v_cmp_nlt_f32_e64 s[58:59], s33, v39
	v_cndmask_b32_e64 v56, v41, v40, s[58:59]
	v_add_f32_e32 v39, 1.0, v56
	v_add_f32_e32 v40, -1.0, v39
	v_sub_f32_e32 v41, v40, v39
	v_add_f32_e32 v41, 1.0, v41
	v_sub_f32_e32 v40, v56, v40
	v_add_f32_e32 v42, v40, v41
	v_frexp_mant_f32_e32 v43, v39
	s_mov_b32 s33, 0x3f2aaaab
	v_cvt_f64_f32_e32 v[40:41], v39
	v_frexp_exp_i32_f64_e32 v40, v[40:41]
	v_cmp_gt_f32_e64 s[58:59], s33, v43
	v_subbrev_co_u32_e64 v48, s[58:59], 0, v40, s[58:59]
	v_sub_u32_e32 v40, 0, v48
	v_ldexp_f32 v39, v39, v40
	v_ldexp_f32 v40, v42, v40
	v_add_f32_e32 v42, -1.0, v39
	v_add_f32_e32 v41, 1.0, v42
	v_sub_f32_e32 v41, v39, v41
	v_add_f32_e32 v43, v40, v41
	v_add_f32_e32 v41, 1.0, v39
	v_add_f32_e32 v44, -1.0, v41
	v_sub_f32_e32 v39, v39, v44
	v_add_f32_e32 v39, v40, v39
	v_add_f32_e32 v49, v41, v39
	v_rcp_f32_e32 v50, v49
	v_sub_f32_e32 v40, v41, v49
	v_add_f32_e32 v41, v42, v43
	v_add_f32_e32 v39, v39, v40
	v_mul_f32_e32 v52, v41, v50
	v_sub_f32_e32 v40, v42, v41
	v_mul_f32_e32 v42, v49, v52
	v_fma_f32 v44, v52, v49, -v42
	v_fmac_f32_e32 v44, v52, v39
	v_add_f32_e32 v51, v43, v40
	v_add_f32_e32 v40, v42, v44
	v_sub_f32_e32 v43, v41, v40
	v_pk_add_f32 v[46:47], v[40:41], v[42:43] neg_lo:[0,1] neg_hi:[0,1]
	v_mov_b32_e32 v45, v40
	v_pk_add_f32 v[40:41], v[46:47], v[44:45] neg_lo:[0,1] neg_hi:[0,1]
	v_add_f32_e32 v41, v51, v41
	v_add_f32_e32 v40, v40, v41
	;; [unrolled: 1-line block ×3, first 2 shown]
	v_mul_f32_e32 v51, v50, v41
	v_mul_f32_e32 v42, v49, v51
	v_fma_f32 v44, v51, v49, -v42
	v_fmac_f32_e32 v44, v51, v39
	v_sub_f32_e32 v39, v43, v41
	v_add_f32_e32 v39, v40, v39
	v_add_f32_e32 v40, v42, v44
	v_sub_f32_e32 v43, v41, v40
	v_pk_add_f32 v[46:47], v[40:41], v[42:43] neg_lo:[0,1] neg_hi:[0,1]
	v_mov_b32_e32 v45, v40
	v_pk_add_f32 v[40:41], v[46:47], v[44:45] neg_lo:[0,1] neg_hi:[0,1]
	v_add_f32_e32 v39, v39, v41
	v_add_f32_e32 v39, v40, v39
	v_add_f32_e32 v40, v52, v51
	v_add_f32_e32 v39, v43, v39
	v_sub_f32_e32 v41, v40, v52
	v_mul_f32_e32 v39, v50, v39
	v_sub_f32_e32 v41, v51, v41
	v_add_f32_e32 v39, v41, v39
	v_add_f32_e32 v43, v40, v39
	v_mul_f32_e32 v44, v43, v43
	v_mov_b32_e32 v42, 0x3ecc95a3
	v_fmac_f32_e32 v42, 0x3e9b6dac, v44
	v_mov_b32_e32 v41, 0x3f2aaada
	v_fmac_f32_e32 v41, v44, v42
	v_cvt_f32_i32_e32 v42, v48
	v_sub_f32_e32 v40, v43, v40
	v_sub_f32_e32 v39, v39, v40
	v_ldexp_f32 v45, v43, 1
	v_mul_f32_e32 v43, v43, v44
	v_mov_b32_e32 v40, 0x3f317218
	s_mov_b32 s33, 0x3f317218
	v_pk_mul_f32 v[40:41], v[42:43], v[40:41]
	v_fma_f32 v44, v42, s33, -v40
	v_fmac_f32_e32 v44, 0xb102e308, v42
	v_pk_add_f32 v[42:43], v[40:41], v[44:45]
	v_sub_f32_e32 v45, v43, v45
	v_ldexp_f32 v39, v39, 1
	v_sub_f32_e32 v45, v41, v45
	v_add_f32_e32 v47, v39, v45
	v_mov_b32_e32 v46, v40
	v_pk_add_f32 v[40:41], v[42:43], v[40:41] neg_lo:[0,1] neg_hi:[0,1]
	v_pk_add_f32 v[48:49], v[42:43], v[46:47]
	v_mov_b32_e32 v41, v49
	v_mov_b32_e32 v45, v42
	v_pk_add_f32 v[50:51], v[44:45], v[40:41] neg_lo:[0,1] neg_hi:[0,1]
	v_pk_add_f32 v[40:41], v[44:45], v[40:41]
	v_mov_b32_e32 v44, v41
	v_pk_add_f32 v[52:53], v[44:45], v[42:43] neg_lo:[0,1] neg_hi:[0,1]
	v_mov_b32_e32 v39, v52
	v_pk_add_f32 v[54:55], v[48:49], v[38:39] neg_lo:[0,1] neg_hi:[0,1]
	v_mov_b32_e32 v40, v49
	v_mov_b32_e32 v48, v43
	;; [unrolled: 1-line block ×4, first 2 shown]
	v_pk_add_f32 v[40:41], v[40:41], v[48:49] neg_lo:[0,1] neg_hi:[0,1]
	v_mov_b32_e32 v46, v47
	v_mov_b32_e32 v47, v42
	v_pk_add_f32 v[40:41], v[46:47], v[40:41] neg_lo:[0,1] neg_hi:[0,1]
	v_mov_b32_e32 v54, v50
	v_pk_add_f32 v[42:43], v[54:55], v[40:41]
	v_mov_b32_e32 v46, v43
	v_pk_add_f32 v[46:47], v[42:43], v[46:47]
	v_pk_add_f32 v[44:45], v[44:45], v[46:47]
	v_mov_b32_e32 v43, v44
	v_pk_add_f32 v[48:49], v[42:43], v[50:51] neg_lo:[0,1] neg_hi:[0,1]
	v_mov_b32_e32 v41, v46
	v_sub_f32_e32 v39, v42, v48
	v_pk_add_f32 v[40:41], v[40:41], v[48:49] neg_lo:[0,1] neg_hi:[0,1]
	v_sub_f32_e32 v39, v50, v39
	s_mov_b32 s68, 0x7f800000
	v_add_f32_e32 v39, v40, v39
	s_mov_b32 s33, 0x33800000
	v_add_f32_e32 v39, v39, v41
	v_cmp_eq_f32_e64 s[58:59], s68, v56
	v_cmp_lt_f32_e64 s[68:69], |v56|, s33
	v_add_f32_e32 v39, v44, v39
	s_or_b64 s[58:59], s[58:59], s[68:69]
	v_cndmask_b32_e64 v39, v39, v56, s[58:59]
	v_add_f32_e32 v39, v38, v39
.LBB164_60:
	s_or_b64 exec, exec, s[60:61]
	v_mov_b32_e32 v38, v39
.LBB164_61:
	s_or_b64 exec, exec, s[66:67]
	s_nop 0
	v_mov_b32_dpp v39, v38 row_shr:2 row_mask:0xf bank_mask:0xf
	v_cmp_lt_u32_e64 s[58:59], 1, v37
	s_and_saveexec_b64 s[66:67], s[58:59]
	s_cbranch_execz .LBB164_65
; %bb.62:
	v_max_f32_e32 v41, v38, v38
	v_max_f32_e32 v42, v39, v39
	v_min_f32_e32 v40, v42, v41
	v_cmp_u_f32_e64 s[58:59], v39, v39
	v_max_f32_e32 v41, v42, v41
	v_cndmask_b32_e64 v40, v40, v39, s[58:59]
	v_cmp_u_f32_e64 s[60:61], v38, v38
	v_cndmask_b32_e64 v41, v41, v39, s[58:59]
	v_cndmask_b32_e64 v40, v40, v38, s[60:61]
	;; [unrolled: 1-line block ×3, first 2 shown]
	s_movk_i32 s33, 0x1f8
	v_cmp_neq_f32_e64 s[58:59], v40, v38
	v_cmp_class_f32_e64 s[60:61], v40, s33
	s_or_b64 s[58:59], s[58:59], s[60:61]
	s_and_saveexec_b64 s[60:61], s[58:59]
	s_cbranch_execz .LBB164_64
; %bb.63:
	v_sub_f32_e32 v39, v40, v38
	s_mov_b32 s33, 0x3fb8aa3b
	v_mul_f32_e32 v40, 0x3fb8aa3b, v39
	v_fma_f32 v41, v39, s33, -v40
	v_rndne_f32_e32 v42, v40
	v_fmac_f32_e32 v41, 0x32a5705f, v39
	v_sub_f32_e32 v40, v40, v42
	v_add_f32_e32 v40, v40, v41
	v_exp_f32_e32 v40, v40
	v_cvt_i32_f32_e32 v41, v42
	s_mov_b32 s33, 0xc2ce8ed0
	v_cmp_ngt_f32_e64 s[58:59], s33, v39
	s_mov_b32 s33, 0x42b17218
	v_ldexp_f32 v40, v40, v41
	v_cndmask_b32_e64 v40, 0, v40, s[58:59]
	v_mov_b32_e32 v41, 0x7f800000
	v_cmp_nlt_f32_e64 s[58:59], s33, v39
	v_cndmask_b32_e64 v56, v41, v40, s[58:59]
	v_add_f32_e32 v39, 1.0, v56
	v_add_f32_e32 v40, -1.0, v39
	v_sub_f32_e32 v41, v40, v39
	v_add_f32_e32 v41, 1.0, v41
	v_sub_f32_e32 v40, v56, v40
	v_add_f32_e32 v42, v40, v41
	v_frexp_mant_f32_e32 v43, v39
	s_mov_b32 s33, 0x3f2aaaab
	v_cvt_f64_f32_e32 v[40:41], v39
	v_frexp_exp_i32_f64_e32 v40, v[40:41]
	v_cmp_gt_f32_e64 s[58:59], s33, v43
	v_subbrev_co_u32_e64 v48, s[58:59], 0, v40, s[58:59]
	v_sub_u32_e32 v40, 0, v48
	v_ldexp_f32 v39, v39, v40
	v_ldexp_f32 v40, v42, v40
	v_add_f32_e32 v42, -1.0, v39
	v_add_f32_e32 v41, 1.0, v42
	v_sub_f32_e32 v41, v39, v41
	v_add_f32_e32 v43, v40, v41
	v_add_f32_e32 v41, 1.0, v39
	v_add_f32_e32 v44, -1.0, v41
	v_sub_f32_e32 v39, v39, v44
	v_add_f32_e32 v39, v40, v39
	v_add_f32_e32 v49, v41, v39
	v_rcp_f32_e32 v50, v49
	v_sub_f32_e32 v40, v41, v49
	v_add_f32_e32 v41, v42, v43
	v_add_f32_e32 v39, v39, v40
	v_mul_f32_e32 v52, v41, v50
	v_sub_f32_e32 v40, v42, v41
	v_mul_f32_e32 v42, v49, v52
	v_fma_f32 v44, v52, v49, -v42
	v_fmac_f32_e32 v44, v52, v39
	v_add_f32_e32 v51, v43, v40
	v_add_f32_e32 v40, v42, v44
	v_sub_f32_e32 v43, v41, v40
	v_pk_add_f32 v[46:47], v[40:41], v[42:43] neg_lo:[0,1] neg_hi:[0,1]
	v_mov_b32_e32 v45, v40
	v_pk_add_f32 v[40:41], v[46:47], v[44:45] neg_lo:[0,1] neg_hi:[0,1]
	v_add_f32_e32 v41, v51, v41
	v_add_f32_e32 v40, v40, v41
	;; [unrolled: 1-line block ×3, first 2 shown]
	v_mul_f32_e32 v51, v50, v41
	v_mul_f32_e32 v42, v49, v51
	v_fma_f32 v44, v51, v49, -v42
	v_fmac_f32_e32 v44, v51, v39
	v_sub_f32_e32 v39, v43, v41
	v_add_f32_e32 v39, v40, v39
	v_add_f32_e32 v40, v42, v44
	v_sub_f32_e32 v43, v41, v40
	v_pk_add_f32 v[46:47], v[40:41], v[42:43] neg_lo:[0,1] neg_hi:[0,1]
	v_mov_b32_e32 v45, v40
	v_pk_add_f32 v[40:41], v[46:47], v[44:45] neg_lo:[0,1] neg_hi:[0,1]
	v_add_f32_e32 v39, v39, v41
	v_add_f32_e32 v39, v40, v39
	;; [unrolled: 1-line block ×4, first 2 shown]
	v_sub_f32_e32 v41, v40, v52
	v_mul_f32_e32 v39, v50, v39
	v_sub_f32_e32 v41, v51, v41
	v_add_f32_e32 v39, v41, v39
	v_add_f32_e32 v43, v40, v39
	v_mul_f32_e32 v44, v43, v43
	v_mov_b32_e32 v42, 0x3ecc95a3
	v_fmac_f32_e32 v42, 0x3e9b6dac, v44
	v_mov_b32_e32 v41, 0x3f2aaada
	v_fmac_f32_e32 v41, v44, v42
	v_cvt_f32_i32_e32 v42, v48
	v_sub_f32_e32 v40, v43, v40
	v_sub_f32_e32 v39, v39, v40
	v_ldexp_f32 v45, v43, 1
	v_mul_f32_e32 v43, v43, v44
	v_mov_b32_e32 v40, 0x3f317218
	s_mov_b32 s33, 0x3f317218
	v_pk_mul_f32 v[40:41], v[42:43], v[40:41]
	v_fma_f32 v44, v42, s33, -v40
	v_fmac_f32_e32 v44, 0xb102e308, v42
	v_pk_add_f32 v[42:43], v[40:41], v[44:45]
	v_sub_f32_e32 v45, v43, v45
	v_ldexp_f32 v39, v39, 1
	v_sub_f32_e32 v45, v41, v45
	v_add_f32_e32 v47, v39, v45
	v_mov_b32_e32 v46, v40
	v_pk_add_f32 v[40:41], v[42:43], v[40:41] neg_lo:[0,1] neg_hi:[0,1]
	v_pk_add_f32 v[48:49], v[42:43], v[46:47]
	v_mov_b32_e32 v41, v49
	v_mov_b32_e32 v45, v42
	v_pk_add_f32 v[50:51], v[44:45], v[40:41] neg_lo:[0,1] neg_hi:[0,1]
	v_pk_add_f32 v[40:41], v[44:45], v[40:41]
	v_mov_b32_e32 v44, v41
	v_pk_add_f32 v[52:53], v[44:45], v[42:43] neg_lo:[0,1] neg_hi:[0,1]
	v_mov_b32_e32 v39, v52
	v_pk_add_f32 v[54:55], v[48:49], v[38:39] neg_lo:[0,1] neg_hi:[0,1]
	v_mov_b32_e32 v40, v49
	v_mov_b32_e32 v48, v43
	;; [unrolled: 1-line block ×4, first 2 shown]
	v_pk_add_f32 v[40:41], v[40:41], v[48:49] neg_lo:[0,1] neg_hi:[0,1]
	v_mov_b32_e32 v46, v47
	v_mov_b32_e32 v47, v42
	v_pk_add_f32 v[40:41], v[46:47], v[40:41] neg_lo:[0,1] neg_hi:[0,1]
	v_mov_b32_e32 v54, v50
	v_pk_add_f32 v[42:43], v[54:55], v[40:41]
	v_mov_b32_e32 v46, v43
	v_pk_add_f32 v[46:47], v[42:43], v[46:47]
	v_pk_add_f32 v[44:45], v[44:45], v[46:47]
	v_mov_b32_e32 v43, v44
	v_pk_add_f32 v[48:49], v[42:43], v[50:51] neg_lo:[0,1] neg_hi:[0,1]
	v_mov_b32_e32 v41, v46
	v_sub_f32_e32 v39, v42, v48
	v_pk_add_f32 v[40:41], v[40:41], v[48:49] neg_lo:[0,1] neg_hi:[0,1]
	v_sub_f32_e32 v39, v50, v39
	s_mov_b32 s68, 0x7f800000
	v_add_f32_e32 v39, v40, v39
	s_mov_b32 s33, 0x33800000
	v_add_f32_e32 v39, v39, v41
	v_cmp_eq_f32_e64 s[58:59], s68, v56
	v_cmp_lt_f32_e64 s[68:69], |v56|, s33
	v_add_f32_e32 v39, v44, v39
	s_or_b64 s[58:59], s[58:59], s[68:69]
	v_cndmask_b32_e64 v39, v39, v56, s[58:59]
	v_add_f32_e32 v39, v38, v39
.LBB164_64:
	s_or_b64 exec, exec, s[60:61]
	v_mov_b32_e32 v38, v39
.LBB164_65:
	s_or_b64 exec, exec, s[66:67]
	s_nop 0
	v_mov_b32_dpp v39, v38 row_shr:4 row_mask:0xf bank_mask:0xf
	v_cmp_lt_u32_e64 s[58:59], 3, v37
	s_and_saveexec_b64 s[66:67], s[58:59]
	s_cbranch_execz .LBB164_69
; %bb.66:
	v_max_f32_e32 v41, v38, v38
	v_max_f32_e32 v42, v39, v39
	v_min_f32_e32 v40, v42, v41
	v_cmp_u_f32_e64 s[58:59], v39, v39
	v_max_f32_e32 v41, v42, v41
	v_cndmask_b32_e64 v40, v40, v39, s[58:59]
	v_cmp_u_f32_e64 s[60:61], v38, v38
	v_cndmask_b32_e64 v41, v41, v39, s[58:59]
	v_cndmask_b32_e64 v40, v40, v38, s[60:61]
	;; [unrolled: 1-line block ×3, first 2 shown]
	s_movk_i32 s33, 0x1f8
	v_cmp_neq_f32_e64 s[58:59], v40, v38
	v_cmp_class_f32_e64 s[60:61], v40, s33
	s_or_b64 s[58:59], s[58:59], s[60:61]
	s_and_saveexec_b64 s[60:61], s[58:59]
	s_cbranch_execz .LBB164_68
; %bb.67:
	v_sub_f32_e32 v39, v40, v38
	s_mov_b32 s33, 0x3fb8aa3b
	v_mul_f32_e32 v40, 0x3fb8aa3b, v39
	v_fma_f32 v41, v39, s33, -v40
	v_rndne_f32_e32 v42, v40
	v_fmac_f32_e32 v41, 0x32a5705f, v39
	v_sub_f32_e32 v40, v40, v42
	v_add_f32_e32 v40, v40, v41
	v_exp_f32_e32 v40, v40
	v_cvt_i32_f32_e32 v41, v42
	s_mov_b32 s33, 0xc2ce8ed0
	v_cmp_ngt_f32_e64 s[58:59], s33, v39
	s_mov_b32 s33, 0x42b17218
	v_ldexp_f32 v40, v40, v41
	v_cndmask_b32_e64 v40, 0, v40, s[58:59]
	v_mov_b32_e32 v41, 0x7f800000
	v_cmp_nlt_f32_e64 s[58:59], s33, v39
	v_cndmask_b32_e64 v56, v41, v40, s[58:59]
	v_add_f32_e32 v39, 1.0, v56
	v_add_f32_e32 v40, -1.0, v39
	v_sub_f32_e32 v41, v40, v39
	v_add_f32_e32 v41, 1.0, v41
	v_sub_f32_e32 v40, v56, v40
	v_add_f32_e32 v42, v40, v41
	v_frexp_mant_f32_e32 v43, v39
	s_mov_b32 s33, 0x3f2aaaab
	v_cvt_f64_f32_e32 v[40:41], v39
	v_frexp_exp_i32_f64_e32 v40, v[40:41]
	v_cmp_gt_f32_e64 s[58:59], s33, v43
	v_subbrev_co_u32_e64 v48, s[58:59], 0, v40, s[58:59]
	v_sub_u32_e32 v40, 0, v48
	v_ldexp_f32 v39, v39, v40
	v_ldexp_f32 v40, v42, v40
	v_add_f32_e32 v42, -1.0, v39
	v_add_f32_e32 v41, 1.0, v42
	v_sub_f32_e32 v41, v39, v41
	v_add_f32_e32 v43, v40, v41
	v_add_f32_e32 v41, 1.0, v39
	v_add_f32_e32 v44, -1.0, v41
	v_sub_f32_e32 v39, v39, v44
	v_add_f32_e32 v39, v40, v39
	v_add_f32_e32 v49, v41, v39
	v_rcp_f32_e32 v50, v49
	v_sub_f32_e32 v40, v41, v49
	v_add_f32_e32 v41, v42, v43
	v_add_f32_e32 v39, v39, v40
	v_mul_f32_e32 v52, v41, v50
	v_sub_f32_e32 v40, v42, v41
	v_mul_f32_e32 v42, v49, v52
	v_fma_f32 v44, v52, v49, -v42
	v_fmac_f32_e32 v44, v52, v39
	v_add_f32_e32 v51, v43, v40
	v_add_f32_e32 v40, v42, v44
	v_sub_f32_e32 v43, v41, v40
	v_pk_add_f32 v[46:47], v[40:41], v[42:43] neg_lo:[0,1] neg_hi:[0,1]
	v_mov_b32_e32 v45, v40
	v_pk_add_f32 v[40:41], v[46:47], v[44:45] neg_lo:[0,1] neg_hi:[0,1]
	v_add_f32_e32 v41, v51, v41
	v_add_f32_e32 v40, v40, v41
	;; [unrolled: 1-line block ×3, first 2 shown]
	v_mul_f32_e32 v51, v50, v41
	v_mul_f32_e32 v42, v49, v51
	v_fma_f32 v44, v51, v49, -v42
	v_fmac_f32_e32 v44, v51, v39
	v_sub_f32_e32 v39, v43, v41
	v_add_f32_e32 v39, v40, v39
	v_add_f32_e32 v40, v42, v44
	v_sub_f32_e32 v43, v41, v40
	v_pk_add_f32 v[46:47], v[40:41], v[42:43] neg_lo:[0,1] neg_hi:[0,1]
	v_mov_b32_e32 v45, v40
	v_pk_add_f32 v[40:41], v[46:47], v[44:45] neg_lo:[0,1] neg_hi:[0,1]
	v_add_f32_e32 v39, v39, v41
	v_add_f32_e32 v39, v40, v39
	v_add_f32_e32 v40, v52, v51
	v_add_f32_e32 v39, v43, v39
	v_sub_f32_e32 v41, v40, v52
	v_mul_f32_e32 v39, v50, v39
	v_sub_f32_e32 v41, v51, v41
	v_add_f32_e32 v39, v41, v39
	v_add_f32_e32 v43, v40, v39
	v_mul_f32_e32 v44, v43, v43
	v_mov_b32_e32 v42, 0x3ecc95a3
	v_fmac_f32_e32 v42, 0x3e9b6dac, v44
	v_mov_b32_e32 v41, 0x3f2aaada
	v_fmac_f32_e32 v41, v44, v42
	v_cvt_f32_i32_e32 v42, v48
	v_sub_f32_e32 v40, v43, v40
	v_sub_f32_e32 v39, v39, v40
	v_ldexp_f32 v45, v43, 1
	v_mul_f32_e32 v43, v43, v44
	v_mov_b32_e32 v40, 0x3f317218
	s_mov_b32 s33, 0x3f317218
	v_pk_mul_f32 v[40:41], v[42:43], v[40:41]
	v_fma_f32 v44, v42, s33, -v40
	v_fmac_f32_e32 v44, 0xb102e308, v42
	v_pk_add_f32 v[42:43], v[40:41], v[44:45]
	v_sub_f32_e32 v45, v43, v45
	v_ldexp_f32 v39, v39, 1
	v_sub_f32_e32 v45, v41, v45
	v_add_f32_e32 v47, v39, v45
	v_mov_b32_e32 v46, v40
	v_pk_add_f32 v[40:41], v[42:43], v[40:41] neg_lo:[0,1] neg_hi:[0,1]
	v_pk_add_f32 v[48:49], v[42:43], v[46:47]
	v_mov_b32_e32 v41, v49
	v_mov_b32_e32 v45, v42
	v_pk_add_f32 v[50:51], v[44:45], v[40:41] neg_lo:[0,1] neg_hi:[0,1]
	v_pk_add_f32 v[40:41], v[44:45], v[40:41]
	v_mov_b32_e32 v44, v41
	v_pk_add_f32 v[52:53], v[44:45], v[42:43] neg_lo:[0,1] neg_hi:[0,1]
	v_mov_b32_e32 v39, v52
	v_pk_add_f32 v[54:55], v[48:49], v[38:39] neg_lo:[0,1] neg_hi:[0,1]
	v_mov_b32_e32 v40, v49
	v_mov_b32_e32 v48, v43
	;; [unrolled: 1-line block ×4, first 2 shown]
	v_pk_add_f32 v[40:41], v[40:41], v[48:49] neg_lo:[0,1] neg_hi:[0,1]
	v_mov_b32_e32 v46, v47
	v_mov_b32_e32 v47, v42
	v_pk_add_f32 v[40:41], v[46:47], v[40:41] neg_lo:[0,1] neg_hi:[0,1]
	v_mov_b32_e32 v54, v50
	v_pk_add_f32 v[42:43], v[54:55], v[40:41]
	v_mov_b32_e32 v46, v43
	v_pk_add_f32 v[46:47], v[42:43], v[46:47]
	v_pk_add_f32 v[44:45], v[44:45], v[46:47]
	v_mov_b32_e32 v43, v44
	v_pk_add_f32 v[48:49], v[42:43], v[50:51] neg_lo:[0,1] neg_hi:[0,1]
	v_mov_b32_e32 v41, v46
	v_sub_f32_e32 v39, v42, v48
	v_pk_add_f32 v[40:41], v[40:41], v[48:49] neg_lo:[0,1] neg_hi:[0,1]
	v_sub_f32_e32 v39, v50, v39
	s_mov_b32 s68, 0x7f800000
	v_add_f32_e32 v39, v40, v39
	s_mov_b32 s33, 0x33800000
	v_add_f32_e32 v39, v39, v41
	v_cmp_eq_f32_e64 s[58:59], s68, v56
	v_cmp_lt_f32_e64 s[68:69], |v56|, s33
	v_add_f32_e32 v39, v44, v39
	s_or_b64 s[58:59], s[58:59], s[68:69]
	v_cndmask_b32_e64 v39, v39, v56, s[58:59]
	v_add_f32_e32 v39, v38, v39
.LBB164_68:
	s_or_b64 exec, exec, s[60:61]
	v_mov_b32_e32 v38, v39
.LBB164_69:
	s_or_b64 exec, exec, s[66:67]
	s_nop 0
	v_mov_b32_dpp v39, v38 row_shr:8 row_mask:0xf bank_mask:0xf
	v_cmp_lt_u32_e64 s[58:59], 7, v37
	s_and_saveexec_b64 s[66:67], s[58:59]
	s_cbranch_execz .LBB164_73
; %bb.70:
	v_max_f32_e32 v37, v38, v38
	v_max_f32_e32 v41, v39, v39
	v_min_f32_e32 v40, v41, v37
	v_cmp_u_f32_e64 s[58:59], v39, v39
	v_max_f32_e32 v37, v41, v37
	v_cndmask_b32_e64 v40, v40, v39, s[58:59]
	v_cmp_u_f32_e64 s[60:61], v38, v38
	v_cndmask_b32_e64 v37, v37, v39, s[58:59]
	v_cndmask_b32_e64 v40, v40, v38, s[60:61]
	;; [unrolled: 1-line block ×3, first 2 shown]
	s_movk_i32 s33, 0x1f8
	v_cmp_neq_f32_e64 s[58:59], v40, v37
	v_cmp_class_f32_e64 s[60:61], v40, s33
	s_or_b64 s[58:59], s[58:59], s[60:61]
	s_and_saveexec_b64 s[60:61], s[58:59]
	s_cbranch_execz .LBB164_72
; %bb.71:
	v_sub_f32_e32 v38, v40, v37
	s_mov_b32 s33, 0x3fb8aa3b
	v_mul_f32_e32 v39, 0x3fb8aa3b, v38
	v_fma_f32 v40, v38, s33, -v39
	v_rndne_f32_e32 v41, v39
	v_fmac_f32_e32 v40, 0x32a5705f, v38
	v_sub_f32_e32 v39, v39, v41
	v_add_f32_e32 v39, v39, v40
	v_exp_f32_e32 v39, v39
	v_cvt_i32_f32_e32 v40, v41
	s_mov_b32 s33, 0xc2ce8ed0
	v_cmp_ngt_f32_e64 s[58:59], s33, v38
	s_mov_b32 s33, 0x42b17218
	v_ldexp_f32 v39, v39, v40
	v_cndmask_b32_e64 v39, 0, v39, s[58:59]
	v_mov_b32_e32 v40, 0x7f800000
	v_cmp_nlt_f32_e64 s[58:59], s33, v38
	v_cndmask_b32_e64 v54, v40, v39, s[58:59]
	v_add_f32_e32 v40, 1.0, v54
	v_add_f32_e32 v38, -1.0, v40
	v_sub_f32_e32 v39, v38, v40
	v_add_f32_e32 v39, 1.0, v39
	v_sub_f32_e32 v38, v54, v38
	v_add_f32_e32 v41, v38, v39
	v_frexp_mant_f32_e32 v42, v40
	s_mov_b32 s33, 0x3f2aaaab
	v_cvt_f64_f32_e32 v[38:39], v40
	v_frexp_exp_i32_f64_e32 v38, v[38:39]
	v_cmp_gt_f32_e64 s[58:59], s33, v42
	v_subbrev_co_u32_e64 v46, s[58:59], 0, v38, s[58:59]
	v_sub_u32_e32 v38, 0, v46
	v_ldexp_f32 v39, v40, v38
	v_add_f32_e32 v40, -1.0, v39
	v_add_f32_e32 v42, 1.0, v39
	v_ldexp_f32 v38, v41, v38
	v_add_f32_e32 v41, 1.0, v40
	v_add_f32_e32 v43, -1.0, v42
	v_sub_f32_e32 v41, v39, v41
	v_sub_f32_e32 v39, v39, v43
	v_add_f32_e32 v41, v38, v41
	v_add_f32_e32 v38, v38, v39
	;; [unrolled: 1-line block ×3, first 2 shown]
	v_rcp_f32_e32 v49, v47
	v_sub_f32_e32 v39, v42, v47
	v_add_f32_e32 v48, v38, v39
	v_add_f32_e32 v39, v40, v41
	v_mul_f32_e32 v51, v39, v49
	v_sub_f32_e32 v38, v40, v39
	v_mul_f32_e32 v40, v47, v51
	v_fma_f32 v42, v51, v47, -v40
	v_fmac_f32_e32 v42, v51, v48
	v_add_f32_e32 v50, v41, v38
	v_add_f32_e32 v38, v40, v42
	v_sub_f32_e32 v41, v39, v38
	v_pk_add_f32 v[44:45], v[38:39], v[40:41] neg_lo:[0,1] neg_hi:[0,1]
	v_mov_b32_e32 v43, v38
	v_pk_add_f32 v[38:39], v[44:45], v[42:43] neg_lo:[0,1] neg_hi:[0,1]
	v_add_f32_e32 v39, v50, v39
	v_add_f32_e32 v38, v38, v39
	;; [unrolled: 1-line block ×3, first 2 shown]
	v_mul_f32_e32 v50, v49, v39
	v_mul_f32_e32 v40, v47, v50
	v_fma_f32 v42, v50, v47, -v40
	v_fmac_f32_e32 v42, v50, v48
	v_sub_f32_e32 v41, v41, v39
	v_add_f32_e32 v47, v38, v41
	v_add_f32_e32 v38, v40, v42
	v_sub_f32_e32 v41, v39, v38
	v_pk_add_f32 v[44:45], v[38:39], v[40:41] neg_lo:[0,1] neg_hi:[0,1]
	v_mov_b32_e32 v43, v38
	v_pk_add_f32 v[38:39], v[44:45], v[42:43] neg_lo:[0,1] neg_hi:[0,1]
	v_add_f32_e32 v39, v47, v39
	v_add_f32_e32 v38, v38, v39
	v_add_f32_e32 v38, v41, v38
	v_add_f32_e32 v41, v51, v50
	v_sub_f32_e32 v39, v41, v51
	v_mul_f32_e32 v38, v49, v38
	v_sub_f32_e32 v39, v50, v39
	v_add_f32_e32 v38, v39, v38
	v_add_f32_e32 v42, v41, v38
	v_mul_f32_e32 v44, v42, v42
	v_mov_b32_e32 v40, 0x3ecc95a3
	v_fmac_f32_e32 v40, 0x3e9b6dac, v44
	v_mov_b32_e32 v39, 0x3f2aaada
	v_fmac_f32_e32 v39, v44, v40
	v_cvt_f32_i32_e32 v40, v46
	v_sub_f32_e32 v41, v42, v41
	v_sub_f32_e32 v38, v38, v41
	v_ldexp_f32 v45, v38, 1
	v_mul_f32_e32 v41, v42, v44
	v_mov_b32_e32 v38, 0x3f317218
	s_mov_b32 s33, 0x3f317218
	v_pk_mul_f32 v[38:39], v[40:41], v[38:39]
	v_ldexp_f32 v43, v42, 1
	v_fma_f32 v42, v40, s33, -v38
	v_fmac_f32_e32 v42, 0xb102e308, v40
	v_pk_add_f32 v[40:41], v[38:39], v[42:43]
	v_sub_f32_e32 v43, v41, v43
	v_sub_f32_e32 v43, v39, v43
	v_add_f32_e32 v45, v45, v43
	v_mov_b32_e32 v44, v38
	v_pk_add_f32 v[38:39], v[40:41], v[38:39] neg_lo:[0,1] neg_hi:[0,1]
	v_pk_add_f32 v[46:47], v[40:41], v[44:45]
	v_mov_b32_e32 v39, v47
	v_mov_b32_e32 v43, v40
	v_pk_add_f32 v[48:49], v[42:43], v[38:39] neg_lo:[0,1] neg_hi:[0,1]
	v_pk_add_f32 v[38:39], v[42:43], v[38:39]
	v_mov_b32_e32 v42, v39
	v_pk_add_f32 v[50:51], v[42:43], v[40:41] neg_lo:[0,1] neg_hi:[0,1]
	v_mov_b32_e32 v43, v50
	v_pk_add_f32 v[52:53], v[46:47], v[42:43] neg_lo:[0,1] neg_hi:[0,1]
	v_mov_b32_e32 v38, v47
	v_mov_b32_e32 v46, v41
	;; [unrolled: 1-line block ×4, first 2 shown]
	v_pk_add_f32 v[38:39], v[38:39], v[46:47] neg_lo:[0,1] neg_hi:[0,1]
	v_mov_b32_e32 v44, v45
	v_mov_b32_e32 v45, v40
	v_pk_add_f32 v[38:39], v[44:45], v[38:39] neg_lo:[0,1] neg_hi:[0,1]
	v_mov_b32_e32 v52, v48
	v_pk_add_f32 v[40:41], v[52:53], v[38:39]
	v_mov_b32_e32 v44, v41
	v_pk_add_f32 v[44:45], v[40:41], v[44:45]
	v_pk_add_f32 v[42:43], v[42:43], v[44:45]
	v_mov_b32_e32 v41, v42
	v_pk_add_f32 v[46:47], v[40:41], v[48:49] neg_lo:[0,1] neg_hi:[0,1]
	v_mov_b32_e32 v39, v44
	v_sub_f32_e32 v40, v40, v46
	v_pk_add_f32 v[38:39], v[38:39], v[46:47] neg_lo:[0,1] neg_hi:[0,1]
	v_sub_f32_e32 v40, v48, v40
	s_mov_b32 s68, 0x7f800000
	v_add_f32_e32 v38, v38, v40
	s_mov_b32 s33, 0x33800000
	v_add_f32_e32 v38, v38, v39
	v_cmp_eq_f32_e64 s[58:59], s68, v54
	v_cmp_lt_f32_e64 s[68:69], |v54|, s33
	v_add_f32_e32 v38, v42, v38
	s_or_b64 s[58:59], s[58:59], s[68:69]
	v_cndmask_b32_e64 v38, v38, v54, s[58:59]
	v_add_f32_e32 v39, v37, v38
.LBB164_72:
	s_or_b64 exec, exec, s[60:61]
	v_mov_b32_e32 v38, v39
.LBB164_73:
	s_or_b64 exec, exec, s[66:67]
	v_and_b32_e32 v37, 16, v17
	v_mov_b32_dpp v39, v38 row_bcast:15 row_mask:0xf bank_mask:0xf
	v_cmp_ne_u32_e64 s[58:59], 0, v37
	s_and_saveexec_b64 s[66:67], s[58:59]
	s_cbranch_execz .LBB164_77
; %bb.74:
	v_max_f32_e32 v37, v38, v38
	v_max_f32_e32 v41, v39, v39
	v_min_f32_e32 v40, v41, v37
	v_cmp_u_f32_e64 s[58:59], v39, v39
	v_max_f32_e32 v37, v41, v37
	v_cndmask_b32_e64 v40, v40, v39, s[58:59]
	v_cmp_u_f32_e64 s[60:61], v38, v38
	v_cndmask_b32_e64 v37, v37, v39, s[58:59]
	v_cndmask_b32_e64 v40, v40, v38, s[60:61]
	;; [unrolled: 1-line block ×3, first 2 shown]
	s_movk_i32 s33, 0x1f8
	v_cmp_neq_f32_e64 s[58:59], v40, v37
	v_cmp_class_f32_e64 s[60:61], v40, s33
	s_or_b64 s[58:59], s[58:59], s[60:61]
	s_and_saveexec_b64 s[60:61], s[58:59]
	s_cbranch_execz .LBB164_76
; %bb.75:
	v_sub_f32_e32 v38, v40, v37
	s_mov_b32 s33, 0x3fb8aa3b
	v_mul_f32_e32 v39, 0x3fb8aa3b, v38
	v_fma_f32 v40, v38, s33, -v39
	v_rndne_f32_e32 v41, v39
	v_fmac_f32_e32 v40, 0x32a5705f, v38
	v_sub_f32_e32 v39, v39, v41
	v_add_f32_e32 v39, v39, v40
	v_exp_f32_e32 v39, v39
	v_cvt_i32_f32_e32 v40, v41
	s_mov_b32 s33, 0xc2ce8ed0
	v_cmp_ngt_f32_e64 s[58:59], s33, v38
	s_mov_b32 s33, 0x42b17218
	v_ldexp_f32 v39, v39, v40
	v_cndmask_b32_e64 v39, 0, v39, s[58:59]
	v_mov_b32_e32 v40, 0x7f800000
	v_cmp_nlt_f32_e64 s[58:59], s33, v38
	v_cndmask_b32_e64 v54, v40, v39, s[58:59]
	v_add_f32_e32 v40, 1.0, v54
	v_add_f32_e32 v38, -1.0, v40
	v_sub_f32_e32 v39, v38, v40
	v_add_f32_e32 v39, 1.0, v39
	v_sub_f32_e32 v38, v54, v38
	v_add_f32_e32 v41, v38, v39
	v_frexp_mant_f32_e32 v42, v40
	s_mov_b32 s33, 0x3f2aaaab
	v_cvt_f64_f32_e32 v[38:39], v40
	v_frexp_exp_i32_f64_e32 v38, v[38:39]
	v_cmp_gt_f32_e64 s[58:59], s33, v42
	v_subbrev_co_u32_e64 v46, s[58:59], 0, v38, s[58:59]
	v_sub_u32_e32 v38, 0, v46
	v_ldexp_f32 v39, v40, v38
	v_add_f32_e32 v40, -1.0, v39
	v_add_f32_e32 v42, 1.0, v39
	v_ldexp_f32 v38, v41, v38
	v_add_f32_e32 v41, 1.0, v40
	v_add_f32_e32 v43, -1.0, v42
	v_sub_f32_e32 v41, v39, v41
	v_sub_f32_e32 v39, v39, v43
	v_add_f32_e32 v41, v38, v41
	v_add_f32_e32 v38, v38, v39
	v_add_f32_e32 v47, v42, v38
	v_rcp_f32_e32 v49, v47
	v_sub_f32_e32 v39, v42, v47
	v_add_f32_e32 v48, v38, v39
	v_add_f32_e32 v39, v40, v41
	v_mul_f32_e32 v51, v39, v49
	v_sub_f32_e32 v38, v40, v39
	v_mul_f32_e32 v40, v47, v51
	v_fma_f32 v42, v51, v47, -v40
	v_fmac_f32_e32 v42, v51, v48
	v_add_f32_e32 v50, v41, v38
	v_add_f32_e32 v38, v40, v42
	v_sub_f32_e32 v41, v39, v38
	v_pk_add_f32 v[44:45], v[38:39], v[40:41] neg_lo:[0,1] neg_hi:[0,1]
	v_mov_b32_e32 v43, v38
	v_pk_add_f32 v[38:39], v[44:45], v[42:43] neg_lo:[0,1] neg_hi:[0,1]
	v_add_f32_e32 v39, v50, v39
	v_add_f32_e32 v38, v38, v39
	;; [unrolled: 1-line block ×3, first 2 shown]
	v_mul_f32_e32 v50, v49, v39
	v_mul_f32_e32 v40, v47, v50
	v_fma_f32 v42, v50, v47, -v40
	v_fmac_f32_e32 v42, v50, v48
	v_sub_f32_e32 v41, v41, v39
	v_add_f32_e32 v47, v38, v41
	v_add_f32_e32 v38, v40, v42
	v_sub_f32_e32 v41, v39, v38
	v_pk_add_f32 v[44:45], v[38:39], v[40:41] neg_lo:[0,1] neg_hi:[0,1]
	v_mov_b32_e32 v43, v38
	v_pk_add_f32 v[38:39], v[44:45], v[42:43] neg_lo:[0,1] neg_hi:[0,1]
	v_add_f32_e32 v39, v47, v39
	v_add_f32_e32 v38, v38, v39
	;; [unrolled: 1-line block ×4, first 2 shown]
	v_sub_f32_e32 v39, v41, v51
	v_mul_f32_e32 v38, v49, v38
	v_sub_f32_e32 v39, v50, v39
	v_add_f32_e32 v38, v39, v38
	v_add_f32_e32 v42, v41, v38
	v_mul_f32_e32 v44, v42, v42
	v_mov_b32_e32 v40, 0x3ecc95a3
	v_fmac_f32_e32 v40, 0x3e9b6dac, v44
	v_mov_b32_e32 v39, 0x3f2aaada
	v_fmac_f32_e32 v39, v44, v40
	v_cvt_f32_i32_e32 v40, v46
	v_sub_f32_e32 v41, v42, v41
	v_sub_f32_e32 v38, v38, v41
	v_ldexp_f32 v45, v38, 1
	v_mul_f32_e32 v41, v42, v44
	v_mov_b32_e32 v38, 0x3f317218
	s_mov_b32 s33, 0x3f317218
	v_pk_mul_f32 v[38:39], v[40:41], v[38:39]
	v_ldexp_f32 v43, v42, 1
	v_fma_f32 v42, v40, s33, -v38
	v_fmac_f32_e32 v42, 0xb102e308, v40
	v_pk_add_f32 v[40:41], v[38:39], v[42:43]
	v_sub_f32_e32 v43, v41, v43
	v_sub_f32_e32 v43, v39, v43
	v_add_f32_e32 v45, v45, v43
	v_mov_b32_e32 v44, v38
	v_pk_add_f32 v[38:39], v[40:41], v[38:39] neg_lo:[0,1] neg_hi:[0,1]
	v_pk_add_f32 v[46:47], v[40:41], v[44:45]
	v_mov_b32_e32 v39, v47
	v_mov_b32_e32 v43, v40
	v_pk_add_f32 v[48:49], v[42:43], v[38:39] neg_lo:[0,1] neg_hi:[0,1]
	v_pk_add_f32 v[38:39], v[42:43], v[38:39]
	v_mov_b32_e32 v42, v39
	v_pk_add_f32 v[50:51], v[42:43], v[40:41] neg_lo:[0,1] neg_hi:[0,1]
	v_mov_b32_e32 v43, v50
	v_pk_add_f32 v[52:53], v[46:47], v[42:43] neg_lo:[0,1] neg_hi:[0,1]
	v_mov_b32_e32 v38, v47
	v_mov_b32_e32 v46, v41
	;; [unrolled: 1-line block ×4, first 2 shown]
	v_pk_add_f32 v[38:39], v[38:39], v[46:47] neg_lo:[0,1] neg_hi:[0,1]
	v_mov_b32_e32 v44, v45
	v_mov_b32_e32 v45, v40
	v_pk_add_f32 v[38:39], v[44:45], v[38:39] neg_lo:[0,1] neg_hi:[0,1]
	v_mov_b32_e32 v52, v48
	v_pk_add_f32 v[40:41], v[52:53], v[38:39]
	v_mov_b32_e32 v44, v41
	v_pk_add_f32 v[44:45], v[40:41], v[44:45]
	v_pk_add_f32 v[42:43], v[42:43], v[44:45]
	v_mov_b32_e32 v41, v42
	v_pk_add_f32 v[46:47], v[40:41], v[48:49] neg_lo:[0,1] neg_hi:[0,1]
	v_mov_b32_e32 v39, v44
	v_sub_f32_e32 v40, v40, v46
	v_pk_add_f32 v[38:39], v[38:39], v[46:47] neg_lo:[0,1] neg_hi:[0,1]
	v_sub_f32_e32 v40, v48, v40
	s_mov_b32 s68, 0x7f800000
	v_add_f32_e32 v38, v38, v40
	s_mov_b32 s33, 0x33800000
	v_add_f32_e32 v38, v38, v39
	v_cmp_eq_f32_e64 s[58:59], s68, v54
	v_cmp_lt_f32_e64 s[68:69], |v54|, s33
	v_add_f32_e32 v38, v42, v38
	s_or_b64 s[58:59], s[58:59], s[68:69]
	v_cndmask_b32_e64 v38, v38, v54, s[58:59]
	v_add_f32_e32 v39, v37, v38
.LBB164_76:
	s_or_b64 exec, exec, s[60:61]
	v_mov_b32_e32 v38, v39
.LBB164_77:
	s_or_b64 exec, exec, s[66:67]
	s_nop 0
	v_mov_b32_dpp v39, v38 row_bcast:31 row_mask:0xf bank_mask:0xf
	v_cmp_lt_u32_e64 s[58:59], 31, v17
	s_and_saveexec_b64 s[66:67], s[58:59]
	s_cbranch_execz .LBB164_81
; %bb.78:
	v_max_f32_e32 v37, v38, v38
	v_max_f32_e32 v41, v39, v39
	v_min_f32_e32 v40, v41, v37
	v_cmp_u_f32_e64 s[58:59], v39, v39
	v_max_f32_e32 v37, v41, v37
	v_cndmask_b32_e64 v40, v40, v39, s[58:59]
	v_cmp_u_f32_e64 s[60:61], v38, v38
	v_cndmask_b32_e64 v37, v37, v39, s[58:59]
	v_cndmask_b32_e64 v40, v40, v38, s[60:61]
	;; [unrolled: 1-line block ×3, first 2 shown]
	s_movk_i32 s33, 0x1f8
	v_cmp_neq_f32_e64 s[58:59], v40, v37
	v_cmp_class_f32_e64 s[60:61], v40, s33
	s_or_b64 s[58:59], s[58:59], s[60:61]
	s_and_saveexec_b64 s[60:61], s[58:59]
	s_cbranch_execz .LBB164_80
; %bb.79:
	v_sub_f32_e32 v38, v40, v37
	s_mov_b32 s33, 0x3fb8aa3b
	v_mul_f32_e32 v39, 0x3fb8aa3b, v38
	v_fma_f32 v40, v38, s33, -v39
	v_rndne_f32_e32 v41, v39
	v_fmac_f32_e32 v40, 0x32a5705f, v38
	v_sub_f32_e32 v39, v39, v41
	v_add_f32_e32 v39, v39, v40
	v_exp_f32_e32 v39, v39
	v_cvt_i32_f32_e32 v40, v41
	s_mov_b32 s33, 0xc2ce8ed0
	v_cmp_ngt_f32_e64 s[58:59], s33, v38
	s_mov_b32 s33, 0x42b17218
	v_ldexp_f32 v39, v39, v40
	v_cndmask_b32_e64 v39, 0, v39, s[58:59]
	v_mov_b32_e32 v40, 0x7f800000
	v_cmp_nlt_f32_e64 s[58:59], s33, v38
	v_cndmask_b32_e64 v54, v40, v39, s[58:59]
	v_add_f32_e32 v40, 1.0, v54
	v_add_f32_e32 v38, -1.0, v40
	v_sub_f32_e32 v39, v38, v40
	v_add_f32_e32 v39, 1.0, v39
	v_sub_f32_e32 v38, v54, v38
	v_add_f32_e32 v41, v38, v39
	v_frexp_mant_f32_e32 v42, v40
	s_mov_b32 s33, 0x3f2aaaab
	v_cvt_f64_f32_e32 v[38:39], v40
	v_frexp_exp_i32_f64_e32 v38, v[38:39]
	v_cmp_gt_f32_e64 s[58:59], s33, v42
	v_subbrev_co_u32_e64 v46, s[58:59], 0, v38, s[58:59]
	v_sub_u32_e32 v38, 0, v46
	v_ldexp_f32 v39, v40, v38
	v_add_f32_e32 v40, -1.0, v39
	v_add_f32_e32 v42, 1.0, v39
	v_ldexp_f32 v38, v41, v38
	v_add_f32_e32 v41, 1.0, v40
	v_add_f32_e32 v43, -1.0, v42
	v_sub_f32_e32 v41, v39, v41
	v_sub_f32_e32 v39, v39, v43
	v_add_f32_e32 v41, v38, v41
	v_add_f32_e32 v38, v38, v39
	;; [unrolled: 1-line block ×3, first 2 shown]
	v_rcp_f32_e32 v49, v47
	v_sub_f32_e32 v39, v42, v47
	v_add_f32_e32 v48, v38, v39
	v_add_f32_e32 v39, v40, v41
	v_mul_f32_e32 v51, v39, v49
	v_sub_f32_e32 v38, v40, v39
	v_mul_f32_e32 v40, v47, v51
	v_fma_f32 v42, v51, v47, -v40
	v_fmac_f32_e32 v42, v51, v48
	v_add_f32_e32 v50, v41, v38
	v_add_f32_e32 v38, v40, v42
	v_sub_f32_e32 v41, v39, v38
	v_pk_add_f32 v[44:45], v[38:39], v[40:41] neg_lo:[0,1] neg_hi:[0,1]
	v_mov_b32_e32 v43, v38
	v_pk_add_f32 v[38:39], v[44:45], v[42:43] neg_lo:[0,1] neg_hi:[0,1]
	v_add_f32_e32 v39, v50, v39
	v_add_f32_e32 v38, v38, v39
	;; [unrolled: 1-line block ×3, first 2 shown]
	v_mul_f32_e32 v50, v49, v39
	v_mul_f32_e32 v40, v47, v50
	v_fma_f32 v42, v50, v47, -v40
	v_fmac_f32_e32 v42, v50, v48
	v_sub_f32_e32 v41, v41, v39
	v_add_f32_e32 v47, v38, v41
	v_add_f32_e32 v38, v40, v42
	v_sub_f32_e32 v41, v39, v38
	v_pk_add_f32 v[44:45], v[38:39], v[40:41] neg_lo:[0,1] neg_hi:[0,1]
	v_mov_b32_e32 v43, v38
	v_pk_add_f32 v[38:39], v[44:45], v[42:43] neg_lo:[0,1] neg_hi:[0,1]
	v_add_f32_e32 v39, v47, v39
	v_add_f32_e32 v38, v38, v39
	;; [unrolled: 1-line block ×4, first 2 shown]
	v_sub_f32_e32 v39, v41, v51
	v_mul_f32_e32 v38, v49, v38
	v_sub_f32_e32 v39, v50, v39
	v_add_f32_e32 v38, v39, v38
	v_add_f32_e32 v42, v41, v38
	v_mul_f32_e32 v44, v42, v42
	v_mov_b32_e32 v40, 0x3ecc95a3
	v_fmac_f32_e32 v40, 0x3e9b6dac, v44
	v_mov_b32_e32 v39, 0x3f2aaada
	v_fmac_f32_e32 v39, v44, v40
	v_cvt_f32_i32_e32 v40, v46
	v_sub_f32_e32 v41, v42, v41
	v_sub_f32_e32 v38, v38, v41
	v_ldexp_f32 v45, v38, 1
	v_mul_f32_e32 v41, v42, v44
	v_mov_b32_e32 v38, 0x3f317218
	s_mov_b32 s33, 0x3f317218
	v_pk_mul_f32 v[38:39], v[40:41], v[38:39]
	v_ldexp_f32 v43, v42, 1
	v_fma_f32 v42, v40, s33, -v38
	v_fmac_f32_e32 v42, 0xb102e308, v40
	v_pk_add_f32 v[40:41], v[38:39], v[42:43]
	v_sub_f32_e32 v43, v41, v43
	v_sub_f32_e32 v43, v39, v43
	v_add_f32_e32 v45, v45, v43
	v_mov_b32_e32 v44, v38
	v_pk_add_f32 v[38:39], v[40:41], v[38:39] neg_lo:[0,1] neg_hi:[0,1]
	v_pk_add_f32 v[46:47], v[40:41], v[44:45]
	v_mov_b32_e32 v39, v47
	v_mov_b32_e32 v43, v40
	v_pk_add_f32 v[48:49], v[42:43], v[38:39] neg_lo:[0,1] neg_hi:[0,1]
	v_pk_add_f32 v[38:39], v[42:43], v[38:39]
	v_mov_b32_e32 v42, v39
	v_pk_add_f32 v[50:51], v[42:43], v[40:41] neg_lo:[0,1] neg_hi:[0,1]
	v_mov_b32_e32 v43, v50
	v_pk_add_f32 v[52:53], v[46:47], v[42:43] neg_lo:[0,1] neg_hi:[0,1]
	v_mov_b32_e32 v38, v47
	v_mov_b32_e32 v46, v41
	;; [unrolled: 1-line block ×4, first 2 shown]
	v_pk_add_f32 v[38:39], v[38:39], v[46:47] neg_lo:[0,1] neg_hi:[0,1]
	v_mov_b32_e32 v44, v45
	v_mov_b32_e32 v45, v40
	v_pk_add_f32 v[38:39], v[44:45], v[38:39] neg_lo:[0,1] neg_hi:[0,1]
	v_mov_b32_e32 v52, v48
	v_pk_add_f32 v[40:41], v[52:53], v[38:39]
	v_mov_b32_e32 v44, v41
	v_pk_add_f32 v[44:45], v[40:41], v[44:45]
	v_pk_add_f32 v[42:43], v[42:43], v[44:45]
	v_mov_b32_e32 v41, v42
	v_pk_add_f32 v[46:47], v[40:41], v[48:49] neg_lo:[0,1] neg_hi:[0,1]
	v_mov_b32_e32 v39, v44
	v_sub_f32_e32 v40, v40, v46
	v_pk_add_f32 v[38:39], v[38:39], v[46:47] neg_lo:[0,1] neg_hi:[0,1]
	v_sub_f32_e32 v40, v48, v40
	s_mov_b32 s68, 0x7f800000
	v_add_f32_e32 v38, v38, v40
	s_mov_b32 s33, 0x33800000
	v_add_f32_e32 v38, v38, v39
	v_cmp_eq_f32_e64 s[58:59], s68, v54
	v_cmp_lt_f32_e64 s[68:69], |v54|, s33
	v_add_f32_e32 v38, v42, v38
	s_or_b64 s[58:59], s[58:59], s[68:69]
	v_cndmask_b32_e64 v38, v38, v54, s[58:59]
	v_add_f32_e32 v39, v37, v38
.LBB164_80:
	s_or_b64 exec, exec, s[60:61]
	v_mov_b32_e32 v38, v39
.LBB164_81:
	s_or_b64 exec, exec, s[66:67]
	v_add_u32_e32 v37, -1, v17
	v_and_b32_e32 v39, 64, v17
	v_cmp_lt_i32_e64 s[58:59], v37, v39
	v_cndmask_b32_e64 v17, v37, v17, s[58:59]
	v_lshlrev_b32_e32 v17, 2, v17
	ds_bpermute_b32 v17, v17, v38
	s_movk_i32 s33, 0x1f8
	s_waitcnt lgkmcnt(0)
	v_max_f32_e32 v37, v17, v17
	v_min_f32_e32 v38, v37, v36
	v_max_f32_e32 v37, v37, v36
	v_cmp_u_f32_e64 s[58:59], v17, v17
	v_cndmask_b32_e64 v36, v38, v17, s[58:59]
	v_cndmask_b32_e64 v37, v37, v17, s[58:59]
	;; [unrolled: 1-line block ×4, first 2 shown]
	v_cmp_neq_f32_e64 s[4:5], v36, v16
	v_cmp_class_f32_e64 s[58:59], v36, s33
	s_or_b64 s[4:5], s[4:5], s[58:59]
	s_and_saveexec_b64 s[58:59], s[4:5]
	s_cbranch_execz .LBB164_83
; %bb.82:
	v_sub_f32_e32 v17, v36, v16
	s_mov_b32 s4, 0x3fb8aa3b
	v_mul_f32_e32 v36, 0x3fb8aa3b, v17
	v_fma_f32 v37, v17, s4, -v36
	v_rndne_f32_e32 v38, v36
	v_fmac_f32_e32 v37, 0x32a5705f, v17
	v_sub_f32_e32 v36, v36, v38
	v_add_f32_e32 v36, v36, v37
	v_exp_f32_e32 v36, v36
	v_cvt_i32_f32_e32 v37, v38
	s_mov_b32 s4, 0xc2ce8ed0
	v_cmp_ngt_f32_e64 s[4:5], s4, v17
	s_mov_b32 s60, 0x7f800000
	v_ldexp_f32 v36, v36, v37
	v_cndmask_b32_e64 v36, 0, v36, s[4:5]
	s_mov_b32 s4, 0x42b17218
	v_mov_b32_e32 v37, 0x7f800000
	v_cmp_nlt_f32_e64 s[4:5], s4, v17
	v_cndmask_b32_e64 v52, v37, v36, s[4:5]
	v_add_f32_e32 v17, 1.0, v52
	v_add_f32_e32 v36, -1.0, v17
	v_sub_f32_e32 v37, v36, v17
	v_add_f32_e32 v37, 1.0, v37
	v_sub_f32_e32 v36, v52, v36
	v_add_f32_e32 v38, v36, v37
	v_frexp_mant_f32_e32 v39, v17
	s_mov_b32 s4, 0x3f2aaaab
	v_cvt_f64_f32_e32 v[36:37], v17
	v_frexp_exp_i32_f64_e32 v36, v[36:37]
	v_cmp_gt_f32_e64 s[4:5], s4, v39
	v_subbrev_co_u32_e64 v44, s[4:5], 0, v36, s[4:5]
	v_sub_u32_e32 v36, 0, v44
	v_ldexp_f32 v17, v17, v36
	v_ldexp_f32 v36, v38, v36
	v_add_f32_e32 v38, -1.0, v17
	v_add_f32_e32 v37, 1.0, v38
	v_sub_f32_e32 v37, v17, v37
	v_add_f32_e32 v39, v36, v37
	v_add_f32_e32 v37, 1.0, v17
	v_add_f32_e32 v40, -1.0, v37
	v_sub_f32_e32 v17, v17, v40
	v_add_f32_e32 v17, v36, v17
	v_add_f32_e32 v45, v37, v17
	v_rcp_f32_e32 v46, v45
	v_sub_f32_e32 v36, v37, v45
	v_add_f32_e32 v37, v38, v39
	v_add_f32_e32 v17, v17, v36
	v_mul_f32_e32 v48, v37, v46
	v_sub_f32_e32 v36, v38, v37
	v_mul_f32_e32 v38, v45, v48
	v_fma_f32 v40, v48, v45, -v38
	v_fmac_f32_e32 v40, v48, v17
	v_add_f32_e32 v47, v39, v36
	v_add_f32_e32 v36, v38, v40
	v_sub_f32_e32 v39, v37, v36
	v_pk_add_f32 v[42:43], v[36:37], v[38:39] neg_lo:[0,1] neg_hi:[0,1]
	v_mov_b32_e32 v41, v36
	v_pk_add_f32 v[36:37], v[42:43], v[40:41] neg_lo:[0,1] neg_hi:[0,1]
	v_add_f32_e32 v37, v47, v37
	v_add_f32_e32 v36, v36, v37
	;; [unrolled: 1-line block ×3, first 2 shown]
	v_mul_f32_e32 v47, v46, v37
	v_mul_f32_e32 v38, v45, v47
	v_fma_f32 v40, v47, v45, -v38
	v_fmac_f32_e32 v40, v47, v17
	v_sub_f32_e32 v17, v39, v37
	v_add_f32_e32 v17, v36, v17
	v_add_f32_e32 v36, v38, v40
	v_sub_f32_e32 v39, v37, v36
	v_pk_add_f32 v[42:43], v[36:37], v[38:39] neg_lo:[0,1] neg_hi:[0,1]
	v_mov_b32_e32 v41, v36
	v_pk_add_f32 v[36:37], v[42:43], v[40:41] neg_lo:[0,1] neg_hi:[0,1]
	v_add_f32_e32 v17, v17, v37
	v_add_f32_e32 v17, v36, v17
	;; [unrolled: 1-line block ×4, first 2 shown]
	v_sub_f32_e32 v37, v36, v48
	v_mul_f32_e32 v17, v46, v17
	v_sub_f32_e32 v37, v47, v37
	v_add_f32_e32 v17, v37, v17
	v_add_f32_e32 v39, v36, v17
	v_mul_f32_e32 v40, v39, v39
	v_mov_b32_e32 v38, 0x3ecc95a3
	v_fmac_f32_e32 v38, 0x3e9b6dac, v40
	v_mov_b32_e32 v37, 0x3f2aaada
	v_fmac_f32_e32 v37, v40, v38
	v_cvt_f32_i32_e32 v38, v44
	v_sub_f32_e32 v36, v39, v36
	v_sub_f32_e32 v17, v17, v36
	v_ldexp_f32 v41, v39, 1
	v_mul_f32_e32 v39, v39, v40
	v_mov_b32_e32 v36, 0x3f317218
	s_mov_b32 s4, 0x3f317218
	v_pk_mul_f32 v[36:37], v[38:39], v[36:37]
	v_fma_f32 v40, v38, s4, -v36
	v_fmac_f32_e32 v40, 0xb102e308, v38
	v_pk_add_f32 v[38:39], v[36:37], v[40:41]
	v_sub_f32_e32 v41, v39, v41
	v_ldexp_f32 v17, v17, 1
	v_sub_f32_e32 v41, v37, v41
	v_add_f32_e32 v43, v17, v41
	v_mov_b32_e32 v42, v36
	v_pk_add_f32 v[36:37], v[38:39], v[36:37] neg_lo:[0,1] neg_hi:[0,1]
	v_pk_add_f32 v[44:45], v[38:39], v[42:43]
	v_mov_b32_e32 v37, v45
	v_mov_b32_e32 v41, v38
	v_pk_add_f32 v[46:47], v[40:41], v[36:37] neg_lo:[0,1] neg_hi:[0,1]
	v_pk_add_f32 v[36:37], v[40:41], v[36:37]
	v_mov_b32_e32 v40, v37
	v_pk_add_f32 v[48:49], v[40:41], v[38:39] neg_lo:[0,1] neg_hi:[0,1]
	v_mov_b32_e32 v17, v48
	v_pk_add_f32 v[50:51], v[44:45], v[16:17] neg_lo:[0,1] neg_hi:[0,1]
	v_mov_b32_e32 v36, v45
	v_mov_b32_e32 v44, v39
	;; [unrolled: 1-line block ×4, first 2 shown]
	v_pk_add_f32 v[36:37], v[36:37], v[44:45] neg_lo:[0,1] neg_hi:[0,1]
	v_mov_b32_e32 v42, v43
	v_mov_b32_e32 v43, v38
	v_pk_add_f32 v[36:37], v[42:43], v[36:37] neg_lo:[0,1] neg_hi:[0,1]
	v_mov_b32_e32 v50, v46
	v_pk_add_f32 v[38:39], v[50:51], v[36:37]
	v_mov_b32_e32 v42, v39
	v_pk_add_f32 v[42:43], v[38:39], v[42:43]
	v_pk_add_f32 v[40:41], v[40:41], v[42:43]
	v_mov_b32_e32 v39, v40
	v_pk_add_f32 v[44:45], v[38:39], v[46:47] neg_lo:[0,1] neg_hi:[0,1]
	v_mov_b32_e32 v37, v42
	v_sub_f32_e32 v17, v38, v44
	v_pk_add_f32 v[36:37], v[36:37], v[44:45] neg_lo:[0,1] neg_hi:[0,1]
	v_sub_f32_e32 v17, v46, v17
	v_add_f32_e32 v17, v36, v17
	v_cmp_eq_f32_e64 s[4:5], s60, v52
	s_mov_b32 s60, 0x33800000
	v_add_f32_e32 v17, v17, v37
	v_cmp_lt_f32_e64 s[60:61], |v52|, s60
	v_add_f32_e32 v17, v40, v17
	s_or_b64 s[4:5], s[4:5], s[60:61]
	v_cndmask_b32_e64 v17, v17, v52, s[4:5]
	v_add_f32_e32 v17, v16, v17
.LBB164_83:
	s_or_b64 exec, exec, s[58:59]
	v_cmp_eq_u32_e64 s[4:5], 0, v0
	v_cndmask_b32_e64 v17, v17, v34, s[4:5]
	; wave barrier
	ds_write_b32 v35, v17
	; wave barrier
	ds_read_b32 v16, v35 offset:4
	v_max_f32_e32 v37, v17, v17
	v_cmp_u_f32_e64 s[4:5], v17, v17
	s_waitcnt lgkmcnt(0)
	v_max_f32_e32 v38, v16, v16
	v_min_f32_e32 v36, v37, v38
	v_max_f32_e32 v37, v37, v38
	v_cndmask_b32_e64 v36, v36, v17, s[4:5]
	v_cmp_u_f32_e64 s[58:59], v16, v16
	v_cndmask_b32_e64 v37, v37, v17, s[4:5]
	v_cndmask_b32_e64 v36, v36, v16, s[58:59]
	;; [unrolled: 1-line block ×3, first 2 shown]
	v_cmp_neq_f32_e64 s[4:5], v36, v16
	v_cmp_class_f32_e64 s[58:59], v36, s33
	s_or_b64 s[4:5], s[4:5], s[58:59]
	s_and_saveexec_b64 s[58:59], s[4:5]
	s_cbranch_execz .LBB164_85
; %bb.84:
	v_sub_f32_e32 v17, v36, v16
	s_mov_b32 s4, 0x3fb8aa3b
	v_mul_f32_e32 v36, 0x3fb8aa3b, v17
	v_fma_f32 v37, v17, s4, -v36
	v_rndne_f32_e32 v38, v36
	v_fmac_f32_e32 v37, 0x32a5705f, v17
	v_sub_f32_e32 v36, v36, v38
	v_add_f32_e32 v36, v36, v37
	v_exp_f32_e32 v36, v36
	v_cvt_i32_f32_e32 v37, v38
	s_mov_b32 s4, 0xc2ce8ed0
	v_cmp_ngt_f32_e64 s[4:5], s4, v17
	s_mov_b32 s33, 0x7f800000
	v_ldexp_f32 v36, v36, v37
	v_cndmask_b32_e64 v36, 0, v36, s[4:5]
	s_mov_b32 s4, 0x42b17218
	v_mov_b32_e32 v37, 0x7f800000
	v_cmp_nlt_f32_e64 s[4:5], s4, v17
	v_cndmask_b32_e64 v52, v37, v36, s[4:5]
	v_add_f32_e32 v17, 1.0, v52
	v_add_f32_e32 v36, -1.0, v17
	v_sub_f32_e32 v37, v36, v17
	v_add_f32_e32 v37, 1.0, v37
	v_sub_f32_e32 v36, v52, v36
	v_add_f32_e32 v38, v36, v37
	v_frexp_mant_f32_e32 v39, v17
	s_mov_b32 s4, 0x3f2aaaab
	v_cvt_f64_f32_e32 v[36:37], v17
	v_frexp_exp_i32_f64_e32 v36, v[36:37]
	v_cmp_gt_f32_e64 s[4:5], s4, v39
	v_subbrev_co_u32_e64 v44, s[4:5], 0, v36, s[4:5]
	v_sub_u32_e32 v36, 0, v44
	v_ldexp_f32 v17, v17, v36
	v_ldexp_f32 v36, v38, v36
	v_add_f32_e32 v38, -1.0, v17
	v_add_f32_e32 v37, 1.0, v38
	v_sub_f32_e32 v37, v17, v37
	v_add_f32_e32 v39, v36, v37
	v_add_f32_e32 v37, 1.0, v17
	v_add_f32_e32 v40, -1.0, v37
	v_sub_f32_e32 v17, v17, v40
	v_add_f32_e32 v17, v36, v17
	v_add_f32_e32 v45, v37, v17
	v_rcp_f32_e32 v46, v45
	v_sub_f32_e32 v36, v37, v45
	v_add_f32_e32 v37, v38, v39
	v_add_f32_e32 v17, v17, v36
	v_mul_f32_e32 v48, v37, v46
	v_sub_f32_e32 v36, v38, v37
	v_mul_f32_e32 v38, v45, v48
	v_fma_f32 v40, v48, v45, -v38
	v_fmac_f32_e32 v40, v48, v17
	v_add_f32_e32 v47, v39, v36
	v_add_f32_e32 v36, v38, v40
	v_sub_f32_e32 v39, v37, v36
	v_pk_add_f32 v[42:43], v[36:37], v[38:39] neg_lo:[0,1] neg_hi:[0,1]
	v_mov_b32_e32 v41, v36
	v_pk_add_f32 v[36:37], v[42:43], v[40:41] neg_lo:[0,1] neg_hi:[0,1]
	v_add_f32_e32 v37, v47, v37
	v_add_f32_e32 v36, v36, v37
	v_add_f32_e32 v37, v39, v36
	v_mul_f32_e32 v47, v46, v37
	v_mul_f32_e32 v38, v45, v47
	v_fma_f32 v40, v47, v45, -v38
	v_fmac_f32_e32 v40, v47, v17
	v_sub_f32_e32 v17, v39, v37
	v_add_f32_e32 v17, v36, v17
	v_add_f32_e32 v36, v38, v40
	v_sub_f32_e32 v39, v37, v36
	v_pk_add_f32 v[42:43], v[36:37], v[38:39] neg_lo:[0,1] neg_hi:[0,1]
	v_mov_b32_e32 v41, v36
	v_pk_add_f32 v[36:37], v[42:43], v[40:41] neg_lo:[0,1] neg_hi:[0,1]
	v_add_f32_e32 v17, v17, v37
	v_add_f32_e32 v17, v36, v17
	;; [unrolled: 1-line block ×4, first 2 shown]
	v_sub_f32_e32 v37, v36, v48
	v_mul_f32_e32 v17, v46, v17
	v_sub_f32_e32 v37, v47, v37
	v_add_f32_e32 v17, v37, v17
	v_add_f32_e32 v39, v36, v17
	v_mul_f32_e32 v40, v39, v39
	v_mov_b32_e32 v38, 0x3ecc95a3
	v_fmac_f32_e32 v38, 0x3e9b6dac, v40
	v_mov_b32_e32 v37, 0x3f2aaada
	v_fmac_f32_e32 v37, v40, v38
	v_cvt_f32_i32_e32 v38, v44
	v_sub_f32_e32 v36, v39, v36
	v_sub_f32_e32 v17, v17, v36
	v_ldexp_f32 v41, v39, 1
	v_mul_f32_e32 v39, v39, v40
	v_mov_b32_e32 v36, 0x3f317218
	s_mov_b32 s4, 0x3f317218
	v_pk_mul_f32 v[36:37], v[38:39], v[36:37]
	v_fma_f32 v40, v38, s4, -v36
	v_fmac_f32_e32 v40, 0xb102e308, v38
	v_pk_add_f32 v[38:39], v[36:37], v[40:41]
	v_sub_f32_e32 v41, v39, v41
	v_ldexp_f32 v17, v17, 1
	v_sub_f32_e32 v41, v37, v41
	v_add_f32_e32 v43, v17, v41
	v_mov_b32_e32 v42, v36
	v_pk_add_f32 v[36:37], v[38:39], v[36:37] neg_lo:[0,1] neg_hi:[0,1]
	v_pk_add_f32 v[44:45], v[38:39], v[42:43]
	v_mov_b32_e32 v37, v45
	v_mov_b32_e32 v41, v38
	v_pk_add_f32 v[46:47], v[40:41], v[36:37] neg_lo:[0,1] neg_hi:[0,1]
	v_pk_add_f32 v[36:37], v[40:41], v[36:37]
	v_mov_b32_e32 v40, v37
	v_pk_add_f32 v[48:49], v[40:41], v[38:39] neg_lo:[0,1] neg_hi:[0,1]
	v_mov_b32_e32 v17, v48
	v_pk_add_f32 v[50:51], v[44:45], v[16:17] neg_lo:[0,1] neg_hi:[0,1]
	v_mov_b32_e32 v36, v45
	v_mov_b32_e32 v44, v39
	;; [unrolled: 1-line block ×4, first 2 shown]
	v_pk_add_f32 v[36:37], v[36:37], v[44:45] neg_lo:[0,1] neg_hi:[0,1]
	v_mov_b32_e32 v42, v43
	v_mov_b32_e32 v43, v38
	v_pk_add_f32 v[36:37], v[42:43], v[36:37] neg_lo:[0,1] neg_hi:[0,1]
	v_mov_b32_e32 v50, v46
	v_pk_add_f32 v[38:39], v[50:51], v[36:37]
	v_mov_b32_e32 v42, v39
	v_pk_add_f32 v[42:43], v[38:39], v[42:43]
	v_pk_add_f32 v[40:41], v[40:41], v[42:43]
	v_mov_b32_e32 v39, v40
	v_pk_add_f32 v[44:45], v[38:39], v[46:47] neg_lo:[0,1] neg_hi:[0,1]
	v_mov_b32_e32 v37, v42
	v_sub_f32_e32 v17, v38, v44
	v_pk_add_f32 v[36:37], v[36:37], v[44:45] neg_lo:[0,1] neg_hi:[0,1]
	v_sub_f32_e32 v17, v46, v17
	v_add_f32_e32 v17, v36, v17
	v_cmp_eq_f32_e64 s[4:5], s33, v52
	s_mov_b32 s33, 0x33800000
	v_add_f32_e32 v17, v17, v37
	v_cmp_lt_f32_e64 s[60:61], |v52|, s33
	v_add_f32_e32 v17, v40, v17
	s_or_b64 s[4:5], s[4:5], s[60:61]
	v_cndmask_b32_e64 v17, v17, v52, s[4:5]
	v_add_f32_e32 v17, v16, v17
.LBB164_85:
	s_or_b64 exec, exec, s[58:59]
	ds_write_b32 v35, v17 offset:4
.LBB164_86:
	s_or_b64 exec, exec, s[64:65]
	v_mul_u32_u24_e32 v16, 52, v0
	v_cmp_ne_u32_e64 s[4:5], 0, v0
	s_waitcnt lgkmcnt(0)
	s_barrier
	s_and_saveexec_b64 s[58:59], s[4:5]
	s_cbranch_execz .LBB164_88
; %bb.87:
	v_add_u32_e32 v0, -1, v0
	v_lshrrev_b32_e32 v17, 5, v0
	v_add_lshl_u32 v0, v17, v0, 2
	ds_read_b32 v34, v0
.LBB164_88:
	s_or_b64 exec, exec, s[58:59]
	s_and_saveexec_b64 s[58:59], s[4:5]
	s_cbranch_execz .LBB164_92
; %bb.89:
	s_waitcnt lgkmcnt(0)
	v_max_f32_e32 v0, v34, v34
	v_min_f32_e32 v17, v0, v33
	v_cmp_u_f32_e64 s[4:5], v34, v34
	v_max_f32_e32 v0, v0, v33
	v_cndmask_b32_e64 v17, v17, v34, s[4:5]
	v_cndmask_b32_e64 v0, v0, v34, s[4:5]
	;; [unrolled: 1-line block ×4, first 2 shown]
	s_movk_i32 s33, 0x1f8
	v_cmp_neq_f32_e64 s[4:5], v17, v0
	v_cmp_class_f32_e64 s[54:55], v17, s33
	s_or_b64 s[4:5], s[4:5], s[54:55]
	s_and_saveexec_b64 s[54:55], s[4:5]
	s_cbranch_execz .LBB164_91
; %bb.90:
	v_sub_f32_e32 v2, v17, v0
	s_mov_b32 s4, 0x3fb8aa3b
	v_mul_f32_e32 v17, 0x3fb8aa3b, v2
	v_fma_f32 v31, v2, s4, -v17
	v_rndne_f32_e32 v32, v17
	v_fmac_f32_e32 v31, 0x32a5705f, v2
	v_sub_f32_e32 v17, v17, v32
	v_add_f32_e32 v17, v17, v31
	v_exp_f32_e32 v17, v17
	v_cvt_i32_f32_e32 v31, v32
	s_mov_b32 s4, 0xc2ce8ed0
	v_cmp_ngt_f32_e64 s[4:5], s4, v2
	s_mov_b32 s33, 0x7f800000
	v_ldexp_f32 v17, v17, v31
	v_cndmask_b32_e64 v17, 0, v17, s[4:5]
	s_mov_b32 s4, 0x42b17218
	v_mov_b32_e32 v31, 0x7f800000
	v_cmp_nlt_f32_e64 s[4:5], s4, v2
	v_cndmask_b32_e64 v31, v31, v17, s[4:5]
	v_add_f32_e32 v2, 1.0, v31
	v_add_f32_e32 v17, -1.0, v2
	v_sub_f32_e32 v32, v17, v2
	v_add_f32_e32 v32, 1.0, v32
	v_sub_f32_e32 v17, v31, v17
	v_add_f32_e32 v17, v17, v32
	v_frexp_mant_f32_e32 v34, v2
	s_mov_b32 s4, 0x3f2aaaab
	v_cvt_f64_f32_e32 v[32:33], v2
	v_frexp_exp_i32_f64_e32 v32, v[32:33]
	v_cmp_gt_f32_e64 s[4:5], s4, v34
	v_subbrev_co_u32_e64 v40, s[4:5], 0, v32, s[4:5]
	v_sub_u32_e32 v32, 0, v40
	v_ldexp_f32 v2, v2, v32
	v_ldexp_f32 v17, v17, v32
	v_add_f32_e32 v32, -1.0, v2
	v_add_f32_e32 v33, 1.0, v32
	v_sub_f32_e32 v33, v2, v33
	v_add_f32_e32 v34, v17, v33
	v_add_f32_e32 v33, 1.0, v2
	v_add_f32_e32 v35, -1.0, v33
	v_sub_f32_e32 v2, v2, v35
	v_add_f32_e32 v2, v17, v2
	v_add_f32_e32 v17, v33, v2
	v_rcp_f32_e32 v41, v17
	v_sub_f32_e32 v33, v33, v17
	v_add_f32_e32 v2, v2, v33
	v_add_f32_e32 v33, v32, v34
	v_sub_f32_e32 v32, v32, v33
	v_mul_f32_e32 v43, v33, v41
	v_add_f32_e32 v42, v34, v32
	v_mul_f32_e32 v34, v17, v43
	v_fma_f32 v36, v43, v17, -v34
	v_fmac_f32_e32 v36, v43, v2
	v_add_f32_e32 v32, v34, v36
	v_sub_f32_e32 v35, v33, v32
	v_pk_add_f32 v[38:39], v[32:33], v[34:35] neg_lo:[0,1] neg_hi:[0,1]
	v_mov_b32_e32 v37, v32
	v_pk_add_f32 v[32:33], v[38:39], v[36:37] neg_lo:[0,1] neg_hi:[0,1]
	v_add_f32_e32 v33, v42, v33
	v_add_f32_e32 v32, v32, v33
	v_add_f32_e32 v33, v35, v32
	v_mul_f32_e32 v42, v41, v33
	v_mul_f32_e32 v34, v17, v42
	v_fma_f32 v36, v42, v17, -v34
	v_fmac_f32_e32 v36, v42, v2
	v_sub_f32_e32 v2, v35, v33
	v_add_f32_e32 v2, v32, v2
	v_add_f32_e32 v32, v34, v36
	v_sub_f32_e32 v35, v33, v32
	v_pk_add_f32 v[38:39], v[32:33], v[34:35] neg_lo:[0,1] neg_hi:[0,1]
	v_mov_b32_e32 v37, v32
	v_pk_add_f32 v[32:33], v[38:39], v[36:37] neg_lo:[0,1] neg_hi:[0,1]
	v_add_f32_e32 v2, v2, v33
	v_add_f32_e32 v2, v32, v2
	;; [unrolled: 1-line block ×4, first 2 shown]
	v_sub_f32_e32 v32, v17, v43
	v_mul_f32_e32 v2, v41, v2
	v_sub_f32_e32 v32, v42, v32
	v_add_f32_e32 v2, v32, v2
	v_add_f32_e32 v32, v17, v2
	v_mul_f32_e32 v35, v32, v32
	v_mov_b32_e32 v34, 0x3ecc95a3
	v_fmac_f32_e32 v34, 0x3e9b6dac, v35
	v_mov_b32_e32 v33, 0x3f2aaada
	v_fmac_f32_e32 v33, v35, v34
	v_cvt_f32_i32_e32 v34, v40
	v_sub_f32_e32 v17, v32, v17
	v_ldexp_f32 v37, v32, 1
	v_mul_f32_e32 v35, v32, v35
	v_mov_b32_e32 v32, 0x3f317218
	s_mov_b32 s4, 0x3f317218
	v_pk_mul_f32 v[32:33], v[34:35], v[32:33]
	v_fma_f32 v36, v34, s4, -v32
	v_fmac_f32_e32 v36, 0xb102e308, v34
	v_pk_add_f32 v[34:35], v[32:33], v[36:37]
	v_sub_f32_e32 v2, v2, v17
	v_sub_f32_e32 v17, v35, v37
	v_ldexp_f32 v2, v2, 1
	v_sub_f32_e32 v17, v33, v17
	v_add_f32_e32 v39, v2, v17
	v_mov_b32_e32 v38, v32
	v_pk_add_f32 v[32:33], v[34:35], v[32:33] neg_lo:[0,1] neg_hi:[0,1]
	v_pk_add_f32 v[40:41], v[34:35], v[38:39]
	v_mov_b32_e32 v33, v41
	v_mov_b32_e32 v37, v34
	v_pk_add_f32 v[42:43], v[36:37], v[32:33] neg_lo:[0,1] neg_hi:[0,1]
	v_pk_add_f32 v[32:33], v[36:37], v[32:33]
	v_mov_b32_e32 v2, v33
	v_pk_add_f32 v[36:37], v[2:3], v[34:35] neg_lo:[0,1] neg_hi:[0,1]
	v_mov_b32_e32 v17, v36
	v_pk_add_f32 v[44:45], v[40:41], v[16:17] neg_lo:[0,1] neg_hi:[0,1]
	v_mov_b32_e32 v32, v41
	v_mov_b32_e32 v40, v35
	;; [unrolled: 1-line block ×4, first 2 shown]
	v_pk_add_f32 v[32:33], v[32:33], v[40:41] neg_lo:[0,1] neg_hi:[0,1]
	v_mov_b32_e32 v36, v39
	v_mov_b32_e32 v37, v34
	v_pk_add_f32 v[32:33], v[36:37], v[32:33] neg_lo:[0,1] neg_hi:[0,1]
	v_mov_b32_e32 v44, v42
	v_pk_add_f32 v[34:35], v[44:45], v[32:33]
	v_mov_b32_e32 v36, v35
	v_pk_add_f32 v[36:37], v[34:35], v[36:37]
	v_pk_add_f32 v[38:39], v[2:3], v[36:37]
	v_mov_b32_e32 v35, v38
	v_pk_add_f32 v[40:41], v[34:35], v[42:43] neg_lo:[0,1] neg_hi:[0,1]
	v_mov_b32_e32 v33, v36
	v_sub_f32_e32 v2, v34, v40
	v_pk_add_f32 v[32:33], v[32:33], v[40:41] neg_lo:[0,1] neg_hi:[0,1]
	v_sub_f32_e32 v2, v42, v2
	v_add_f32_e32 v2, v32, v2
	v_cmp_eq_f32_e64 s[4:5], s33, v31
	s_mov_b32 s33, 0x33800000
	v_add_f32_e32 v2, v2, v33
	v_cmp_lt_f32_e64 s[60:61], |v31|, s33
	v_add_f32_e32 v2, v38, v2
	s_or_b64 s[4:5], s[4:5], s[60:61]
	v_cndmask_b32_e64 v2, v2, v31, s[4:5]
	v_add_f32_e32 v34, v0, v2
.LBB164_91:
	s_or_b64 exec, exec, s[54:55]
	v_max_f32_e32 v0, v34, v34
	v_min_f32_e32 v31, v0, v24
	v_max_f32_e32 v32, v0, v24
	v_mov_b32_e32 v2, v34
	;;#ASMSTART
	;;#ASMEND
.LBB164_92:
	s_or_b64 exec, exec, s[58:59]
	v_cmp_u_f32_e64 s[4:5], v2, v2
	v_cndmask_b32_e64 v0, v31, v2, s[4:5]
	v_cndmask_b32_e64 v17, v0, v3, s[26:27]
	;; [unrolled: 1-line block ×4, first 2 shown]
	s_movk_i32 s33, 0x1f8
	v_cmp_neq_f32_e64 s[4:5], v17, v0
	v_cmp_class_f32_e64 s[26:27], v17, s33
	s_or_b64 s[4:5], s[4:5], s[26:27]
	v_mov_b32_e32 v3, v2
	s_and_saveexec_b64 s[26:27], s[4:5]
	s_cbranch_execz .LBB164_94
; %bb.93:
	v_sub_f32_e32 v3, v17, v0
	s_mov_b32 s4, 0x3fb8aa3b
	v_mul_f32_e32 v17, 0x3fb8aa3b, v3
	v_fma_f32 v24, v3, s4, -v17
	v_rndne_f32_e32 v31, v17
	v_fmac_f32_e32 v24, 0x32a5705f, v3
	v_sub_f32_e32 v17, v17, v31
	v_add_f32_e32 v17, v17, v24
	v_exp_f32_e32 v17, v17
	v_cvt_i32_f32_e32 v24, v31
	s_mov_b32 s4, 0xc2ce8ed0
	v_cmp_ngt_f32_e64 s[4:5], s4, v3
	s_mov_b32 s54, 0x7f800000
	v_ldexp_f32 v17, v17, v24
	v_cndmask_b32_e64 v17, 0, v17, s[4:5]
	s_mov_b32 s4, 0x42b17218
	v_mov_b32_e32 v24, 0x7f800000
	v_cmp_nlt_f32_e64 s[4:5], s4, v3
	v_cndmask_b32_e64 v17, v24, v17, s[4:5]
	v_add_f32_e32 v3, 1.0, v17
	v_add_f32_e32 v24, -1.0, v3
	v_sub_f32_e32 v31, v24, v3
	v_add_f32_e32 v31, 1.0, v31
	v_sub_f32_e32 v24, v17, v24
	v_add_f32_e32 v24, v24, v31
	v_frexp_mant_f32_e32 v31, v3
	s_mov_b32 s4, 0x3f2aaaab
	v_cvt_f64_f32_e32 v[32:33], v3
	v_frexp_exp_i32_f64_e32 v32, v[32:33]
	v_cmp_gt_f32_e64 s[4:5], s4, v31
	v_subbrev_co_u32_e64 v31, s[4:5], 0, v32, s[4:5]
	v_sub_u32_e32 v32, 0, v31
	v_ldexp_f32 v3, v3, v32
	v_ldexp_f32 v24, v24, v32
	v_add_f32_e32 v32, -1.0, v3
	v_add_f32_e32 v33, 1.0, v32
	v_sub_f32_e32 v33, v3, v33
	s_waitcnt lgkmcnt(0)
	v_add_f32_e32 v34, v24, v33
	v_add_f32_e32 v33, 1.0, v3
	v_add_f32_e32 v35, -1.0, v33
	v_sub_f32_e32 v3, v3, v35
	v_add_f32_e32 v3, v24, v3
	v_add_f32_e32 v24, v33, v3
	v_rcp_f32_e32 v40, v24
	v_sub_f32_e32 v33, v33, v24
	v_add_f32_e32 v3, v3, v33
	v_add_f32_e32 v33, v32, v34
	v_sub_f32_e32 v32, v32, v33
	v_mul_f32_e32 v42, v33, v40
	v_add_f32_e32 v41, v34, v32
	v_mul_f32_e32 v34, v24, v42
	v_fma_f32 v36, v42, v24, -v34
	v_fmac_f32_e32 v36, v42, v3
	v_add_f32_e32 v32, v34, v36
	v_sub_f32_e32 v35, v33, v32
	v_pk_add_f32 v[38:39], v[32:33], v[34:35] neg_lo:[0,1] neg_hi:[0,1]
	v_mov_b32_e32 v37, v32
	v_pk_add_f32 v[32:33], v[38:39], v[36:37] neg_lo:[0,1] neg_hi:[0,1]
	v_add_f32_e32 v33, v41, v33
	v_add_f32_e32 v32, v32, v33
	;; [unrolled: 1-line block ×3, first 2 shown]
	v_mul_f32_e32 v41, v40, v33
	v_mul_f32_e32 v34, v24, v41
	v_fma_f32 v36, v41, v24, -v34
	v_fmac_f32_e32 v36, v41, v3
	v_sub_f32_e32 v3, v35, v33
	v_add_f32_e32 v3, v32, v3
	v_add_f32_e32 v32, v34, v36
	v_sub_f32_e32 v35, v33, v32
	v_pk_add_f32 v[38:39], v[32:33], v[34:35] neg_lo:[0,1] neg_hi:[0,1]
	v_mov_b32_e32 v37, v32
	v_pk_add_f32 v[32:33], v[38:39], v[36:37] neg_lo:[0,1] neg_hi:[0,1]
	v_add_f32_e32 v3, v3, v33
	v_add_f32_e32 v3, v32, v3
	;; [unrolled: 1-line block ×4, first 2 shown]
	v_sub_f32_e32 v32, v24, v42
	v_mul_f32_e32 v3, v40, v3
	v_sub_f32_e32 v32, v41, v32
	v_add_f32_e32 v3, v32, v3
	v_add_f32_e32 v32, v24, v3
	v_mul_f32_e32 v35, v32, v32
	v_mov_b32_e32 v34, 0x3ecc95a3
	v_fmac_f32_e32 v34, 0x3e9b6dac, v35
	v_mov_b32_e32 v33, 0x3f2aaada
	v_fmac_f32_e32 v33, v35, v34
	v_cvt_f32_i32_e32 v34, v31
	v_sub_f32_e32 v24, v32, v24
	v_ldexp_f32 v37, v32, 1
	v_mul_f32_e32 v35, v32, v35
	v_mov_b32_e32 v32, 0x3f317218
	s_mov_b32 s4, 0x3f317218
	v_pk_mul_f32 v[32:33], v[34:35], v[32:33]
	v_fma_f32 v36, v34, s4, -v32
	v_fmac_f32_e32 v36, 0xb102e308, v34
	v_pk_add_f32 v[34:35], v[32:33], v[36:37]
	v_sub_f32_e32 v3, v3, v24
	v_sub_f32_e32 v24, v35, v37
	v_ldexp_f32 v3, v3, 1
	v_sub_f32_e32 v24, v33, v24
	v_add_f32_e32 v39, v3, v24
	v_mov_b32_e32 v38, v32
	v_pk_add_f32 v[32:33], v[34:35], v[32:33] neg_lo:[0,1] neg_hi:[0,1]
	v_pk_add_f32 v[40:41], v[34:35], v[38:39]
	v_mov_b32_e32 v33, v41
	v_mov_b32_e32 v37, v34
	v_pk_add_f32 v[42:43], v[36:37], v[32:33] neg_lo:[0,1] neg_hi:[0,1]
	v_pk_add_f32 v[32:33], v[36:37], v[32:33]
	v_mov_b32_e32 v24, v33
	v_pk_add_f32 v[36:37], v[24:25], v[34:35] neg_lo:[0,1] neg_hi:[0,1]
	v_mov_b32_e32 v3, v36
	v_pk_add_f32 v[44:45], v[40:41], v[2:3] neg_lo:[0,1] neg_hi:[0,1]
	v_mov_b32_e32 v32, v41
	v_mov_b32_e32 v40, v35
	;; [unrolled: 1-line block ×4, first 2 shown]
	v_pk_add_f32 v[32:33], v[32:33], v[40:41] neg_lo:[0,1] neg_hi:[0,1]
	v_mov_b32_e32 v36, v39
	v_mov_b32_e32 v37, v34
	v_pk_add_f32 v[32:33], v[36:37], v[32:33] neg_lo:[0,1] neg_hi:[0,1]
	v_mov_b32_e32 v44, v42
	v_pk_add_f32 v[34:35], v[44:45], v[32:33]
	v_mov_b32_e32 v36, v35
	v_pk_add_f32 v[36:37], v[34:35], v[36:37]
	v_pk_add_f32 v[38:39], v[24:25], v[36:37]
	v_mov_b32_e32 v35, v38
	v_pk_add_f32 v[40:41], v[34:35], v[42:43] neg_lo:[0,1] neg_hi:[0,1]
	v_mov_b32_e32 v33, v36
	v_sub_f32_e32 v3, v34, v40
	v_pk_add_f32 v[32:33], v[32:33], v[40:41] neg_lo:[0,1] neg_hi:[0,1]
	v_sub_f32_e32 v3, v42, v3
	v_add_f32_e32 v3, v32, v3
	v_cmp_eq_f32_e64 s[4:5], s54, v17
	s_mov_b32 s54, 0x33800000
	v_add_f32_e32 v3, v3, v33
	v_cmp_lt_f32_e64 s[54:55], |v17|, s54
	v_add_f32_e32 v3, v38, v3
	s_or_b64 s[4:5], s[4:5], s[54:55]
	v_cndmask_b32_e64 v3, v3, v17, s[4:5]
	v_add_f32_e32 v3, v0, v3
.LBB164_94:
	s_or_b64 exec, exec, s[26:27]
	v_max_f32_e32 v0, v3, v3
	v_min_f32_e32 v17, v0, v1
	v_cmp_u_f32_e64 s[4:5], v3, v3
	v_max_f32_e32 v0, v0, v1
	v_cndmask_b32_e64 v17, v17, v3, s[4:5]
	v_cndmask_b32_e64 v0, v0, v3, s[4:5]
	;; [unrolled: 1-line block ×4, first 2 shown]
	v_cmp_neq_f32_e64 s[4:5], v17, v1
	v_cmp_class_f32_e64 s[26:27], v17, s33
	s_or_b64 s[4:5], s[4:5], s[26:27]
	v_mov_b32_e32 v0, v3
	s_and_saveexec_b64 s[26:27], s[4:5]
	s_cbranch_execz .LBB164_96
; %bb.95:
	v_sub_f32_e32 v0, v17, v1
	s_mov_b32 s4, 0x3fb8aa3b
	v_mul_f32_e32 v4, 0x3fb8aa3b, v0
	v_fma_f32 v17, v0, s4, -v4
	v_rndne_f32_e32 v24, v4
	v_fmac_f32_e32 v17, 0x32a5705f, v0
	v_sub_f32_e32 v4, v4, v24
	v_add_f32_e32 v4, v4, v17
	v_exp_f32_e32 v4, v4
	v_cvt_i32_f32_e32 v17, v24
	s_mov_b32 s4, 0xc2ce8ed0
	v_cmp_ngt_f32_e64 s[4:5], s4, v0
	s_mov_b32 s28, 0x7f800000
	v_ldexp_f32 v4, v4, v17
	v_cndmask_b32_e64 v4, 0, v4, s[4:5]
	s_mov_b32 s4, 0x42b17218
	v_mov_b32_e32 v17, 0x7f800000
	v_cmp_nlt_f32_e64 s[4:5], s4, v0
	v_cndmask_b32_e64 v24, v17, v4, s[4:5]
	v_add_f32_e32 v0, 1.0, v24
	v_add_f32_e32 v4, -1.0, v0
	v_sub_f32_e32 v17, v4, v0
	v_add_f32_e32 v17, 1.0, v17
	v_sub_f32_e32 v4, v24, v4
	v_add_f32_e32 v4, v4, v17
	v_frexp_mant_f32_e32 v17, v0
	s_mov_b32 s4, 0x3f2aaaab
	v_cvt_f64_f32_e32 v[32:33], v0
	v_frexp_exp_i32_f64_e32 v31, v[32:33]
	v_cmp_gt_f32_e64 s[4:5], s4, v17
	v_subbrev_co_u32_e64 v17, s[4:5], 0, v31, s[4:5]
	v_sub_u32_e32 v31, 0, v17
	v_ldexp_f32 v0, v0, v31
	v_ldexp_f32 v4, v4, v31
	v_add_f32_e32 v31, -1.0, v0
	v_add_f32_e32 v33, 1.0, v0
	v_add_f32_e32 v32, 1.0, v31
	s_waitcnt lgkmcnt(0)
	v_add_f32_e32 v34, -1.0, v33
	v_sub_f32_e32 v32, v0, v32
	v_sub_f32_e32 v0, v0, v34
	v_add_f32_e32 v0, v4, v0
	v_add_f32_e32 v32, v4, v32
	;; [unrolled: 1-line block ×3, first 2 shown]
	v_rcp_f32_e32 v40, v4
	v_sub_f32_e32 v33, v33, v4
	v_add_f32_e32 v0, v0, v33
	v_add_f32_e32 v33, v31, v32
	v_mul_f32_e32 v41, v33, v40
	v_mul_f32_e32 v34, v4, v41
	v_fma_f32 v36, v41, v4, -v34
	v_sub_f32_e32 v31, v31, v33
	v_fmac_f32_e32 v36, v41, v0
	v_add_f32_e32 v31, v32, v31
	v_add_f32_e32 v32, v34, v36
	v_sub_f32_e32 v35, v33, v32
	v_pk_add_f32 v[38:39], v[32:33], v[34:35] neg_lo:[0,1] neg_hi:[0,1]
	v_mov_b32_e32 v37, v32
	v_pk_add_f32 v[32:33], v[38:39], v[36:37] neg_lo:[0,1] neg_hi:[0,1]
	v_add_f32_e32 v31, v31, v33
	v_add_f32_e32 v31, v32, v31
	v_add_f32_e32 v33, v35, v31
	v_mul_f32_e32 v42, v40, v33
	v_mul_f32_e32 v34, v4, v42
	v_fma_f32 v36, v42, v4, -v34
	v_fmac_f32_e32 v36, v42, v0
	v_add_f32_e32 v32, v34, v36
	v_sub_f32_e32 v0, v35, v33
	v_sub_f32_e32 v35, v33, v32
	v_pk_add_f32 v[38:39], v[32:33], v[34:35] neg_lo:[0,1] neg_hi:[0,1]
	v_mov_b32_e32 v37, v32
	v_add_f32_e32 v0, v31, v0
	v_pk_add_f32 v[32:33], v[38:39], v[36:37] neg_lo:[0,1] neg_hi:[0,1]
	v_add_f32_e32 v0, v0, v33
	v_add_f32_e32 v0, v32, v0
	;; [unrolled: 1-line block ×4, first 2 shown]
	v_sub_f32_e32 v31, v4, v41
	v_mul_f32_e32 v0, v40, v0
	v_sub_f32_e32 v31, v42, v31
	v_add_f32_e32 v0, v31, v0
	v_add_f32_e32 v31, v4, v0
	v_mul_f32_e32 v32, v31, v31
	v_mov_b32_e32 v34, 0x3ecc95a3
	v_fmac_f32_e32 v34, 0x3e9b6dac, v32
	v_mov_b32_e32 v33, 0x3f2aaada
	v_fmac_f32_e32 v33, v32, v34
	v_cvt_f32_i32_e32 v34, v17
	v_mul_f32_e32 v35, v31, v32
	v_mov_b32_e32 v32, 0x3f317218
	s_mov_b32 s4, 0x3f317218
	v_pk_mul_f32 v[32:33], v[34:35], v[32:33]
	v_fma_f32 v36, v34, s4, -v32
	v_ldexp_f32 v37, v31, 1
	v_fmac_f32_e32 v36, 0xb102e308, v34
	v_sub_f32_e32 v4, v31, v4
	v_pk_add_f32 v[34:35], v[32:33], v[36:37]
	v_sub_f32_e32 v0, v0, v4
	v_sub_f32_e32 v4, v35, v37
	v_ldexp_f32 v0, v0, 1
	v_sub_f32_e32 v4, v33, v4
	v_add_f32_e32 v39, v0, v4
	v_mov_b32_e32 v38, v32
	v_pk_add_f32 v[32:33], v[34:35], v[32:33] neg_lo:[0,1] neg_hi:[0,1]
	v_pk_add_f32 v[40:41], v[34:35], v[38:39]
	v_mov_b32_e32 v33, v41
	v_mov_b32_e32 v37, v34
	v_pk_add_f32 v[42:43], v[36:37], v[32:33] neg_lo:[0,1] neg_hi:[0,1]
	v_pk_add_f32 v[32:33], v[36:37], v[32:33]
	v_mov_b32_e32 v0, v33
	v_pk_add_f32 v[36:37], v[0:1], v[34:35] neg_lo:[0,1] neg_hi:[0,1]
	v_mov_b32_e32 v17, v36
	v_pk_add_f32 v[44:45], v[40:41], v[16:17] neg_lo:[0,1] neg_hi:[0,1]
	v_mov_b32_e32 v32, v41
	v_mov_b32_e32 v40, v35
	;; [unrolled: 1-line block ×4, first 2 shown]
	v_pk_add_f32 v[32:33], v[32:33], v[40:41] neg_lo:[0,1] neg_hi:[0,1]
	v_mov_b32_e32 v36, v39
	v_mov_b32_e32 v37, v34
	v_pk_add_f32 v[32:33], v[36:37], v[32:33] neg_lo:[0,1] neg_hi:[0,1]
	v_mov_b32_e32 v44, v42
	v_pk_add_f32 v[34:35], v[44:45], v[32:33]
	v_mov_b32_e32 v4, v35
	v_pk_add_f32 v[36:37], v[34:35], v[4:5]
	v_pk_add_f32 v[38:39], v[0:1], v[36:37]
	v_mov_b32_e32 v35, v38
	v_pk_add_f32 v[40:41], v[34:35], v[42:43] neg_lo:[0,1] neg_hi:[0,1]
	v_mov_b32_e32 v33, v36
	v_sub_f32_e32 v0, v34, v40
	v_pk_add_f32 v[32:33], v[32:33], v[40:41] neg_lo:[0,1] neg_hi:[0,1]
	v_sub_f32_e32 v0, v42, v0
	v_add_f32_e32 v0, v32, v0
	v_cmp_eq_f32_e64 s[4:5], s28, v24
	s_mov_b32 s28, 0x33800000
	v_add_f32_e32 v0, v0, v33
	v_cmp_lt_f32_e64 s[28:29], |v24|, s28
	v_add_f32_e32 v0, v38, v0
	s_or_b64 s[4:5], s[4:5], s[28:29]
	v_cndmask_b32_e64 v0, v0, v24, s[4:5]
	v_add_f32_e32 v0, v1, v0
.LBB164_96:
	s_or_b64 exec, exec, s[26:27]
	v_max_f32_e32 v1, v0, v0
	v_min_f32_e32 v4, v1, v19
	v_cmp_u_f32_e64 s[4:5], v0, v0
	v_max_f32_e32 v1, v1, v19
	v_cndmask_b32_e64 v4, v4, v0, s[4:5]
	v_cndmask_b32_e64 v1, v1, v0, s[4:5]
	;; [unrolled: 1-line block ×4, first 2 shown]
	s_movk_i32 s28, 0x1f8
	v_cmp_neq_f32_e64 s[4:5], v17, v4
	v_cmp_class_f32_e64 s[26:27], v17, s28
	s_or_b64 s[4:5], s[4:5], s[26:27]
	v_mov_b32_e32 v1, v0
	s_and_saveexec_b64 s[26:27], s[4:5]
	s_cbranch_execz .LBB164_98
; %bb.97:
	v_sub_f32_e32 v1, v17, v4
	s_mov_b32 s4, 0x3fb8aa3b
	v_mul_f32_e32 v5, 0x3fb8aa3b, v1
	v_fma_f32 v17, v1, s4, -v5
	v_rndne_f32_e32 v19, v5
	v_fmac_f32_e32 v17, 0x32a5705f, v1
	v_sub_f32_e32 v5, v5, v19
	v_add_f32_e32 v5, v5, v17
	v_exp_f32_e32 v5, v5
	v_cvt_i32_f32_e32 v17, v19
	s_mov_b32 s4, 0xc2ce8ed0
	v_cmp_ngt_f32_e64 s[4:5], s4, v1
	s_mov_b32 s29, 0x7f800000
	v_ldexp_f32 v5, v5, v17
	v_cndmask_b32_e64 v5, 0, v5, s[4:5]
	s_mov_b32 s4, 0x42b17218
	v_mov_b32_e32 v17, 0x7f800000
	v_cmp_nlt_f32_e64 s[4:5], s4, v1
	v_cndmask_b32_e64 v5, v17, v5, s[4:5]
	v_add_f32_e32 v1, 1.0, v5
	v_add_f32_e32 v17, -1.0, v1
	v_sub_f32_e32 v19, v17, v1
	v_add_f32_e32 v19, 1.0, v19
	v_sub_f32_e32 v17, v5, v17
	v_add_f32_e32 v17, v17, v19
	v_frexp_mant_f32_e32 v19, v1
	s_mov_b32 s4, 0x3f2aaaab
	v_cvt_f64_f32_e32 v[32:33], v1
	v_frexp_exp_i32_f64_e32 v24, v[32:33]
	v_cmp_gt_f32_e64 s[4:5], s4, v19
	v_subbrev_co_u32_e64 v19, s[4:5], 0, v24, s[4:5]
	v_sub_u32_e32 v24, 0, v19
	v_ldexp_f32 v1, v1, v24
	v_ldexp_f32 v17, v17, v24
	v_add_f32_e32 v24, -1.0, v1
	v_add_f32_e32 v32, 1.0, v1
	v_add_f32_e32 v31, 1.0, v24
	v_add_f32_e32 v33, -1.0, v32
	v_sub_f32_e32 v31, v1, v31
	v_sub_f32_e32 v1, v1, v33
	v_add_f32_e32 v1, v17, v1
	v_add_f32_e32 v31, v17, v31
	;; [unrolled: 1-line block ×3, first 2 shown]
	v_rcp_f32_e32 v40, v17
	v_add_f32_e32 v33, v24, v31
	v_sub_f32_e32 v24, v24, v33
	v_add_f32_e32 v24, v31, v24
	v_mul_f32_e32 v31, v33, v40
	v_sub_f32_e32 v32, v32, v17
	s_waitcnt lgkmcnt(0)
	v_mul_f32_e32 v34, v17, v31
	v_add_f32_e32 v1, v1, v32
	v_fma_f32 v36, v31, v17, -v34
	v_fmac_f32_e32 v36, v31, v1
	v_add_f32_e32 v32, v34, v36
	v_sub_f32_e32 v35, v33, v32
	v_pk_add_f32 v[38:39], v[32:33], v[34:35] neg_lo:[0,1] neg_hi:[0,1]
	v_mov_b32_e32 v37, v32
	v_pk_add_f32 v[32:33], v[38:39], v[36:37] neg_lo:[0,1] neg_hi:[0,1]
	v_add_f32_e32 v24, v24, v33
	v_add_f32_e32 v24, v32, v24
	;; [unrolled: 1-line block ×3, first 2 shown]
	v_mul_f32_e32 v41, v40, v33
	v_mul_f32_e32 v34, v17, v41
	v_fma_f32 v36, v41, v17, -v34
	v_fmac_f32_e32 v36, v41, v1
	v_add_f32_e32 v32, v34, v36
	v_sub_f32_e32 v1, v35, v33
	v_sub_f32_e32 v35, v33, v32
	v_pk_add_f32 v[38:39], v[32:33], v[34:35] neg_lo:[0,1] neg_hi:[0,1]
	v_mov_b32_e32 v37, v32
	v_add_f32_e32 v1, v24, v1
	v_pk_add_f32 v[32:33], v[38:39], v[36:37] neg_lo:[0,1] neg_hi:[0,1]
	v_add_f32_e32 v1, v1, v33
	v_add_f32_e32 v1, v32, v1
	;; [unrolled: 1-line block ×4, first 2 shown]
	v_sub_f32_e32 v24, v17, v31
	v_mul_f32_e32 v1, v40, v1
	v_sub_f32_e32 v24, v41, v24
	v_add_f32_e32 v1, v24, v1
	v_add_f32_e32 v24, v17, v1
	v_cvt_f32_i32_e32 v34, v19
	v_mul_f32_e32 v31, v24, v24
	v_mov_b32_e32 v32, 0x3ecc95a3
	v_fmac_f32_e32 v32, 0x3e9b6dac, v31
	v_mov_b32_e32 v33, 0x3f2aaada
	v_fmac_f32_e32 v33, v31, v32
	v_mul_f32_e32 v35, v24, v31
	v_mov_b32_e32 v32, 0x3f317218
	s_mov_b32 s4, 0x3f317218
	v_pk_mul_f32 v[32:33], v[34:35], v[32:33]
	v_fma_f32 v36, v34, s4, -v32
	v_ldexp_f32 v37, v24, 1
	v_fmac_f32_e32 v36, 0xb102e308, v34
	v_sub_f32_e32 v17, v24, v17
	v_pk_add_f32 v[34:35], v[32:33], v[36:37]
	v_sub_f32_e32 v1, v1, v17
	v_sub_f32_e32 v17, v35, v37
	v_ldexp_f32 v1, v1, 1
	v_sub_f32_e32 v17, v33, v17
	v_add_f32_e32 v39, v1, v17
	v_mov_b32_e32 v38, v32
	v_pk_add_f32 v[32:33], v[34:35], v[32:33] neg_lo:[0,1] neg_hi:[0,1]
	v_pk_add_f32 v[40:41], v[34:35], v[38:39]
	v_mov_b32_e32 v33, v41
	v_mov_b32_e32 v37, v34
	v_pk_add_f32 v[42:43], v[36:37], v[32:33] neg_lo:[0,1] neg_hi:[0,1]
	v_pk_add_f32 v[32:33], v[36:37], v[32:33]
	v_mov_b32_e32 v24, v33
	v_pk_add_f32 v[36:37], v[24:25], v[34:35] neg_lo:[0,1] neg_hi:[0,1]
	v_mov_b32_e32 v1, v36
	v_pk_add_f32 v[44:45], v[40:41], v[0:1] neg_lo:[0,1] neg_hi:[0,1]
	v_mov_b32_e32 v32, v41
	v_mov_b32_e32 v40, v35
	;; [unrolled: 1-line block ×4, first 2 shown]
	v_pk_add_f32 v[32:33], v[32:33], v[40:41] neg_lo:[0,1] neg_hi:[0,1]
	v_mov_b32_e32 v36, v39
	v_mov_b32_e32 v37, v34
	v_pk_add_f32 v[32:33], v[36:37], v[32:33] neg_lo:[0,1] neg_hi:[0,1]
	v_mov_b32_e32 v44, v42
	v_pk_add_f32 v[34:35], v[44:45], v[32:33]
	v_mov_b32_e32 v36, v35
	v_pk_add_f32 v[36:37], v[34:35], v[36:37]
	v_pk_add_f32 v[38:39], v[24:25], v[36:37]
	v_mov_b32_e32 v35, v38
	v_pk_add_f32 v[40:41], v[34:35], v[42:43] neg_lo:[0,1] neg_hi:[0,1]
	v_mov_b32_e32 v33, v36
	v_sub_f32_e32 v1, v34, v40
	v_pk_add_f32 v[32:33], v[32:33], v[40:41] neg_lo:[0,1] neg_hi:[0,1]
	v_sub_f32_e32 v1, v42, v1
	v_add_f32_e32 v1, v32, v1
	v_cmp_eq_f32_e64 s[4:5], s29, v5
	s_mov_b32 s29, 0x33800000
	v_add_f32_e32 v1, v1, v33
	v_cmp_lt_f32_e64 s[30:31], |v5|, s29
	v_add_f32_e32 v1, v38, v1
	s_or_b64 s[4:5], s[4:5], s[30:31]
	v_cndmask_b32_e64 v1, v1, v5, s[4:5]
	v_add_f32_e32 v1, v4, v1
.LBB164_98:
	s_or_b64 exec, exec, s[26:27]
	v_max_f32_e32 v4, v1, v1
	v_min_f32_e32 v5, v4, v20
	v_cmp_u_f32_e64 s[4:5], v1, v1
	v_max_f32_e32 v4, v4, v20
	v_cndmask_b32_e64 v5, v5, v1, s[4:5]
	v_cndmask_b32_e64 v4, v4, v1, s[4:5]
	v_cndmask_b32_e64 v17, v5, v10, s[34:35]
	v_cndmask_b32_e64 v5, v4, v10, s[34:35]
	v_cmp_neq_f32_e64 s[4:5], v17, v5
	v_cmp_class_f32_e64 s[26:27], v17, s28
	s_or_b64 s[4:5], s[4:5], s[26:27]
	v_mov_b32_e32 v4, v1
	s_and_saveexec_b64 s[26:27], s[4:5]
	s_cbranch_execz .LBB164_100
; %bb.99:
	v_sub_f32_e32 v4, v17, v5
	s_mov_b32 s4, 0x3fb8aa3b
	v_mul_f32_e32 v10, 0x3fb8aa3b, v4
	v_fma_f32 v17, v4, s4, -v10
	v_rndne_f32_e32 v19, v10
	v_fmac_f32_e32 v17, 0x32a5705f, v4
	v_sub_f32_e32 v10, v10, v19
	v_add_f32_e32 v10, v10, v17
	v_exp_f32_e32 v10, v10
	v_cvt_i32_f32_e32 v17, v19
	s_mov_b32 s4, 0xc2ce8ed0
	v_cmp_ngt_f32_e64 s[4:5], s4, v4
	s_mov_b32 s28, 0x7f800000
	v_ldexp_f32 v10, v10, v17
	v_cndmask_b32_e64 v10, 0, v10, s[4:5]
	s_mov_b32 s4, 0x42b17218
	v_mov_b32_e32 v17, 0x7f800000
	v_cmp_nlt_f32_e64 s[4:5], s4, v4
	v_cndmask_b32_e64 v19, v17, v10, s[4:5]
	v_add_f32_e32 v4, 1.0, v19
	v_add_f32_e32 v10, -1.0, v4
	v_sub_f32_e32 v17, v10, v4
	v_add_f32_e32 v17, 1.0, v17
	v_sub_f32_e32 v10, v19, v10
	v_add_f32_e32 v10, v10, v17
	v_frexp_mant_f32_e32 v17, v4
	s_mov_b32 s4, 0x3f2aaaab
	v_cvt_f64_f32_e32 v[32:33], v4
	v_frexp_exp_i32_f64_e32 v20, v[32:33]
	v_cmp_gt_f32_e64 s[4:5], s4, v17
	v_subbrev_co_u32_e64 v17, s[4:5], 0, v20, s[4:5]
	v_sub_u32_e32 v20, 0, v17
	v_ldexp_f32 v4, v4, v20
	v_ldexp_f32 v10, v10, v20
	v_add_f32_e32 v20, -1.0, v4
	v_add_f32_e32 v31, 1.0, v4
	v_add_f32_e32 v24, 1.0, v20
	v_add_f32_e32 v32, -1.0, v31
	v_sub_f32_e32 v24, v4, v24
	v_sub_f32_e32 v4, v4, v32
	v_add_f32_e32 v4, v10, v4
	v_add_f32_e32 v24, v10, v24
	;; [unrolled: 1-line block ×3, first 2 shown]
	v_sub_f32_e32 v31, v31, v10
	v_add_f32_e32 v4, v4, v31
	v_rcp_f32_e32 v31, v10
	v_add_f32_e32 v33, v20, v24
	v_sub_f32_e32 v20, v20, v33
	v_add_f32_e32 v20, v24, v20
	v_mul_f32_e32 v24, v33, v31
	s_waitcnt lgkmcnt(0)
	v_mul_f32_e32 v34, v10, v24
	v_fma_f32 v36, v24, v10, -v34
	v_fmac_f32_e32 v36, v24, v4
	v_add_f32_e32 v32, v34, v36
	v_sub_f32_e32 v35, v33, v32
	v_pk_add_f32 v[38:39], v[32:33], v[34:35] neg_lo:[0,1] neg_hi:[0,1]
	v_mov_b32_e32 v37, v32
	v_pk_add_f32 v[32:33], v[38:39], v[36:37] neg_lo:[0,1] neg_hi:[0,1]
	v_add_f32_e32 v20, v20, v33
	v_add_f32_e32 v20, v32, v20
	v_add_f32_e32 v33, v35, v20
	v_mul_f32_e32 v40, v31, v33
	v_mul_f32_e32 v34, v10, v40
	v_fma_f32 v36, v40, v10, -v34
	v_fmac_f32_e32 v36, v40, v4
	v_add_f32_e32 v32, v34, v36
	v_sub_f32_e32 v4, v35, v33
	v_sub_f32_e32 v35, v33, v32
	v_pk_add_f32 v[38:39], v[32:33], v[34:35] neg_lo:[0,1] neg_hi:[0,1]
	v_mov_b32_e32 v37, v32
	v_add_f32_e32 v4, v20, v4
	v_pk_add_f32 v[32:33], v[38:39], v[36:37] neg_lo:[0,1] neg_hi:[0,1]
	v_add_f32_e32 v4, v4, v33
	v_add_f32_e32 v4, v32, v4
	v_add_f32_e32 v10, v24, v40
	v_add_f32_e32 v4, v35, v4
	v_sub_f32_e32 v20, v10, v24
	v_mul_f32_e32 v4, v31, v4
	v_sub_f32_e32 v20, v40, v20
	v_add_f32_e32 v4, v20, v4
	v_add_f32_e32 v20, v10, v4
	v_cvt_f32_i32_e32 v34, v17
	v_mul_f32_e32 v24, v20, v20
	v_mov_b32_e32 v31, 0x3ecc95a3
	v_fmac_f32_e32 v31, 0x3e9b6dac, v24
	v_mov_b32_e32 v33, 0x3f2aaada
	v_fmac_f32_e32 v33, v24, v31
	v_mul_f32_e32 v35, v20, v24
	v_mov_b32_e32 v32, 0x3f317218
	s_mov_b32 s4, 0x3f317218
	v_pk_mul_f32 v[32:33], v[34:35], v[32:33]
	v_fma_f32 v36, v34, s4, -v32
	v_ldexp_f32 v37, v20, 1
	v_fmac_f32_e32 v36, 0xb102e308, v34
	v_sub_f32_e32 v10, v20, v10
	v_pk_add_f32 v[34:35], v[32:33], v[36:37]
	v_sub_f32_e32 v4, v4, v10
	v_sub_f32_e32 v10, v35, v37
	v_ldexp_f32 v4, v4, 1
	v_sub_f32_e32 v10, v33, v10
	v_add_f32_e32 v39, v4, v10
	v_mov_b32_e32 v38, v32
	v_pk_add_f32 v[32:33], v[34:35], v[32:33] neg_lo:[0,1] neg_hi:[0,1]
	v_pk_add_f32 v[40:41], v[34:35], v[38:39]
	v_mov_b32_e32 v33, v41
	v_mov_b32_e32 v37, v34
	v_pk_add_f32 v[42:43], v[36:37], v[32:33] neg_lo:[0,1] neg_hi:[0,1]
	v_pk_add_f32 v[32:33], v[36:37], v[32:33]
	v_mov_b32_e32 v4, v33
	v_pk_add_f32 v[36:37], v[4:5], v[34:35] neg_lo:[0,1] neg_hi:[0,1]
	v_mov_b32_e32 v17, v36
	v_pk_add_f32 v[44:45], v[40:41], v[16:17] neg_lo:[0,1] neg_hi:[0,1]
	v_mov_b32_e32 v32, v41
	v_mov_b32_e32 v40, v35
	;; [unrolled: 1-line block ×4, first 2 shown]
	v_pk_add_f32 v[32:33], v[32:33], v[40:41] neg_lo:[0,1] neg_hi:[0,1]
	v_mov_b32_e32 v36, v39
	v_mov_b32_e32 v37, v34
	v_pk_add_f32 v[32:33], v[36:37], v[32:33] neg_lo:[0,1] neg_hi:[0,1]
	v_mov_b32_e32 v44, v42
	v_pk_add_f32 v[34:35], v[44:45], v[32:33]
	v_mov_b32_e32 v10, v35
	v_pk_add_f32 v[36:37], v[34:35], v[10:11]
	v_pk_add_f32 v[38:39], v[4:5], v[36:37]
	v_mov_b32_e32 v35, v38
	v_pk_add_f32 v[40:41], v[34:35], v[42:43] neg_lo:[0,1] neg_hi:[0,1]
	v_mov_b32_e32 v33, v36
	v_sub_f32_e32 v4, v34, v40
	v_pk_add_f32 v[32:33], v[32:33], v[40:41] neg_lo:[0,1] neg_hi:[0,1]
	v_sub_f32_e32 v4, v42, v4
	v_add_f32_e32 v4, v32, v4
	v_cmp_eq_f32_e64 s[4:5], s28, v19
	s_mov_b32 s28, 0x33800000
	v_add_f32_e32 v4, v4, v33
	v_cmp_lt_f32_e64 s[28:29], |v19|, s28
	v_add_f32_e32 v4, v38, v4
	s_or_b64 s[4:5], s[4:5], s[28:29]
	v_cndmask_b32_e64 v4, v4, v19, s[4:5]
	v_add_f32_e32 v4, v5, v4
.LBB164_100:
	s_or_b64 exec, exec, s[26:27]
	v_max_f32_e32 v5, v4, v4
	v_min_f32_e32 v10, v5, v21
	v_cmp_u_f32_e64 s[4:5], v4, v4
	v_max_f32_e32 v5, v5, v21
	v_cndmask_b32_e64 v10, v10, v4, s[4:5]
	v_cndmask_b32_e64 v5, v5, v4, s[4:5]
	;; [unrolled: 1-line block ×4, first 2 shown]
	s_movk_i32 s28, 0x1f8
	v_cmp_neq_f32_e64 s[4:5], v17, v10
	v_cmp_class_f32_e64 s[26:27], v17, s28
	s_or_b64 s[4:5], s[4:5], s[26:27]
	v_mov_b32_e32 v5, v4
	s_and_saveexec_b64 s[26:27], s[4:5]
	s_cbranch_execz .LBB164_102
; %bb.101:
	v_sub_f32_e32 v5, v17, v10
	s_mov_b32 s4, 0x3fb8aa3b
	v_mul_f32_e32 v11, 0x3fb8aa3b, v5
	v_fma_f32 v17, v5, s4, -v11
	v_rndne_f32_e32 v19, v11
	v_fmac_f32_e32 v17, 0x32a5705f, v5
	v_sub_f32_e32 v11, v11, v19
	v_add_f32_e32 v11, v11, v17
	v_exp_f32_e32 v11, v11
	v_cvt_i32_f32_e32 v17, v19
	s_mov_b32 s4, 0xc2ce8ed0
	v_cmp_ngt_f32_e64 s[4:5], s4, v5
	s_mov_b32 s29, 0x7f800000
	v_ldexp_f32 v11, v11, v17
	v_cndmask_b32_e64 v11, 0, v11, s[4:5]
	s_mov_b32 s4, 0x42b17218
	v_mov_b32_e32 v17, 0x7f800000
	v_cmp_nlt_f32_e64 s[4:5], s4, v5
	v_cndmask_b32_e64 v11, v17, v11, s[4:5]
	v_add_f32_e32 v5, 1.0, v11
	v_add_f32_e32 v17, -1.0, v5
	v_sub_f32_e32 v19, v17, v5
	v_add_f32_e32 v19, 1.0, v19
	v_sub_f32_e32 v17, v11, v17
	v_add_f32_e32 v17, v17, v19
	v_frexp_mant_f32_e32 v19, v5
	s_mov_b32 s4, 0x3f2aaaab
	v_cvt_f64_f32_e32 v[20:21], v5
	v_frexp_exp_i32_f64_e32 v20, v[20:21]
	v_cmp_gt_f32_e64 s[4:5], s4, v19
	v_subbrev_co_u32_e64 v19, s[4:5], 0, v20, s[4:5]
	v_sub_u32_e32 v20, 0, v19
	v_ldexp_f32 v5, v5, v20
	v_ldexp_f32 v17, v17, v20
	v_add_f32_e32 v20, -1.0, v5
	v_add_f32_e32 v21, 1.0, v20
	v_sub_f32_e32 v21, v5, v21
	v_add_f32_e32 v24, v17, v21
	v_add_f32_e32 v21, 1.0, v5
	v_add_f32_e32 v31, -1.0, v21
	v_sub_f32_e32 v5, v5, v31
	v_add_f32_e32 v5, v17, v5
	v_add_f32_e32 v17, v21, v5
	v_rcp_f32_e32 v31, v17
	v_sub_f32_e32 v21, v21, v17
	v_add_f32_e32 v5, v5, v21
	v_add_f32_e32 v21, v20, v24
	v_mul_f32_e32 v38, v21, v31
	v_mul_f32_e32 v32, v17, v38
	s_waitcnt lgkmcnt(0)
	v_fma_f32 v34, v38, v17, -v32
	v_sub_f32_e32 v20, v20, v21
	v_fmac_f32_e32 v34, v38, v5
	v_add_f32_e32 v24, v24, v20
	v_add_f32_e32 v20, v32, v34
	v_sub_f32_e32 v33, v21, v20
	v_pk_add_f32 v[36:37], v[20:21], v[32:33] neg_lo:[0,1] neg_hi:[0,1]
	v_mov_b32_e32 v35, v20
	v_pk_add_f32 v[20:21], v[36:37], v[34:35] neg_lo:[0,1] neg_hi:[0,1]
	v_add_f32_e32 v21, v24, v21
	v_add_f32_e32 v20, v20, v21
	;; [unrolled: 1-line block ×3, first 2 shown]
	v_mul_f32_e32 v24, v31, v21
	v_mul_f32_e32 v32, v17, v24
	v_fma_f32 v34, v24, v17, -v32
	v_fmac_f32_e32 v34, v24, v5
	v_sub_f32_e32 v5, v33, v21
	v_add_f32_e32 v5, v20, v5
	v_add_f32_e32 v20, v32, v34
	v_sub_f32_e32 v33, v21, v20
	v_pk_add_f32 v[36:37], v[20:21], v[32:33] neg_lo:[0,1] neg_hi:[0,1]
	v_mov_b32_e32 v35, v20
	v_pk_add_f32 v[20:21], v[36:37], v[34:35] neg_lo:[0,1] neg_hi:[0,1]
	v_add_f32_e32 v5, v5, v21
	v_add_f32_e32 v5, v20, v5
	;; [unrolled: 1-line block ×4, first 2 shown]
	v_sub_f32_e32 v20, v17, v38
	v_mul_f32_e32 v5, v31, v5
	v_sub_f32_e32 v20, v24, v20
	v_add_f32_e32 v5, v20, v5
	v_add_f32_e32 v20, v17, v5
	v_cvt_f32_i32_e32 v32, v19
	v_mul_f32_e32 v24, v20, v20
	v_mov_b32_e32 v31, 0x3ecc95a3
	v_fmac_f32_e32 v31, 0x3e9b6dac, v24
	v_mov_b32_e32 v21, 0x3f2aaada
	v_fmac_f32_e32 v21, v24, v31
	v_sub_f32_e32 v17, v20, v17
	v_ldexp_f32 v35, v20, 1
	v_mul_f32_e32 v33, v20, v24
	v_mov_b32_e32 v20, 0x3f317218
	s_mov_b32 s4, 0x3f317218
	v_pk_mul_f32 v[20:21], v[32:33], v[20:21]
	v_fma_f32 v34, v32, s4, -v20
	v_fmac_f32_e32 v34, 0xb102e308, v32
	v_pk_add_f32 v[32:33], v[20:21], v[34:35]
	v_sub_f32_e32 v5, v5, v17
	v_sub_f32_e32 v17, v33, v35
	v_ldexp_f32 v5, v5, 1
	v_sub_f32_e32 v17, v21, v17
	v_add_f32_e32 v37, v5, v17
	v_mov_b32_e32 v36, v20
	v_pk_add_f32 v[20:21], v[32:33], v[20:21] neg_lo:[0,1] neg_hi:[0,1]
	v_pk_add_f32 v[38:39], v[32:33], v[36:37]
	v_mov_b32_e32 v21, v39
	v_mov_b32_e32 v35, v32
	v_pk_add_f32 v[40:41], v[34:35], v[20:21] neg_lo:[0,1] neg_hi:[0,1]
	v_pk_add_f32 v[20:21], v[34:35], v[20:21]
	v_mov_b32_e32 v24, v21
	v_pk_add_f32 v[34:35], v[24:25], v[32:33] neg_lo:[0,1] neg_hi:[0,1]
	v_mov_b32_e32 v5, v34
	v_pk_add_f32 v[42:43], v[38:39], v[4:5] neg_lo:[0,1] neg_hi:[0,1]
	v_mov_b32_e32 v20, v39
	v_mov_b32_e32 v38, v33
	;; [unrolled: 1-line block ×4, first 2 shown]
	v_pk_add_f32 v[20:21], v[20:21], v[38:39] neg_lo:[0,1] neg_hi:[0,1]
	v_mov_b32_e32 v34, v37
	v_mov_b32_e32 v35, v32
	v_pk_add_f32 v[20:21], v[34:35], v[20:21] neg_lo:[0,1] neg_hi:[0,1]
	v_mov_b32_e32 v42, v40
	v_pk_add_f32 v[32:33], v[42:43], v[20:21]
	v_mov_b32_e32 v34, v33
	v_pk_add_f32 v[34:35], v[32:33], v[34:35]
	v_pk_add_f32 v[36:37], v[24:25], v[34:35]
	v_mov_b32_e32 v33, v36
	v_pk_add_f32 v[38:39], v[32:33], v[40:41] neg_lo:[0,1] neg_hi:[0,1]
	v_mov_b32_e32 v21, v34
	v_sub_f32_e32 v5, v32, v38
	v_pk_add_f32 v[20:21], v[20:21], v[38:39] neg_lo:[0,1] neg_hi:[0,1]
	v_sub_f32_e32 v5, v40, v5
	v_add_f32_e32 v5, v20, v5
	v_cmp_eq_f32_e64 s[4:5], s29, v11
	s_mov_b32 s29, 0x33800000
	v_add_f32_e32 v5, v5, v21
	v_cmp_lt_f32_e64 s[30:31], |v11|, s29
	v_add_f32_e32 v5, v36, v5
	s_or_b64 s[4:5], s[4:5], s[30:31]
	v_cndmask_b32_e64 v5, v5, v11, s[4:5]
	v_add_f32_e32 v5, v10, v5
.LBB164_102:
	s_or_b64 exec, exec, s[26:27]
	v_max_f32_e32 v10, v5, v5
	v_min_f32_e32 v11, v10, v22
	v_cmp_u_f32_e64 s[4:5], v5, v5
	v_max_f32_e32 v10, v10, v22
	v_cndmask_b32_e64 v11, v11, v5, s[4:5]
	v_cndmask_b32_e64 v10, v10, v5, s[4:5]
	v_cndmask_b32_e64 v17, v11, v12, s[38:39]
	v_cndmask_b32_e64 v11, v10, v12, s[38:39]
	v_cmp_neq_f32_e64 s[4:5], v17, v11
	v_cmp_class_f32_e64 s[26:27], v17, s28
	s_or_b64 s[4:5], s[4:5], s[26:27]
	v_mov_b32_e32 v10, v5
	s_and_saveexec_b64 s[26:27], s[4:5]
	s_cbranch_execz .LBB164_104
; %bb.103:
	v_sub_f32_e32 v10, v17, v11
	s_mov_b32 s4, 0x3fb8aa3b
	v_mul_f32_e32 v12, 0x3fb8aa3b, v10
	v_fma_f32 v17, v10, s4, -v12
	v_rndne_f32_e32 v19, v12
	v_fmac_f32_e32 v17, 0x32a5705f, v10
	v_sub_f32_e32 v12, v12, v19
	v_add_f32_e32 v12, v12, v17
	v_exp_f32_e32 v12, v12
	v_cvt_i32_f32_e32 v17, v19
	s_mov_b32 s4, 0xc2ce8ed0
	v_cmp_ngt_f32_e64 s[4:5], s4, v10
	s_mov_b32 s28, 0x7f800000
	v_ldexp_f32 v12, v12, v17
	v_cndmask_b32_e64 v12, 0, v12, s[4:5]
	s_mov_b32 s4, 0x42b17218
	v_mov_b32_e32 v17, 0x7f800000
	v_cmp_nlt_f32_e64 s[4:5], s4, v10
	v_cndmask_b32_e64 v19, v17, v12, s[4:5]
	v_add_f32_e32 v10, 1.0, v19
	v_add_f32_e32 v12, -1.0, v10
	v_sub_f32_e32 v17, v12, v10
	v_add_f32_e32 v17, 1.0, v17
	v_sub_f32_e32 v12, v19, v12
	v_add_f32_e32 v12, v12, v17
	v_frexp_mant_f32_e32 v17, v10
	s_mov_b32 s4, 0x3f2aaaab
	v_cvt_f64_f32_e32 v[20:21], v10
	v_frexp_exp_i32_f64_e32 v20, v[20:21]
	v_cmp_gt_f32_e64 s[4:5], s4, v17
	v_subbrev_co_u32_e64 v17, s[4:5], 0, v20, s[4:5]
	v_sub_u32_e32 v20, 0, v17
	v_ldexp_f32 v10, v10, v20
	v_ldexp_f32 v12, v12, v20
	v_add_f32_e32 v20, -1.0, v10
	v_add_f32_e32 v21, 1.0, v20
	v_sub_f32_e32 v21, v10, v21
	v_add_f32_e32 v22, v12, v21
	v_add_f32_e32 v21, 1.0, v10
	v_add_f32_e32 v24, -1.0, v21
	v_sub_f32_e32 v10, v10, v24
	v_add_f32_e32 v10, v12, v10
	v_add_f32_e32 v12, v21, v10
	v_rcp_f32_e32 v24, v12
	v_sub_f32_e32 v21, v21, v12
	v_add_f32_e32 v10, v10, v21
	v_add_f32_e32 v21, v20, v22
	v_mul_f32_e32 v31, v21, v24
	v_mul_f32_e32 v32, v12, v31
	s_waitcnt lgkmcnt(0)
	v_fma_f32 v34, v31, v12, -v32
	v_sub_f32_e32 v20, v20, v21
	v_fmac_f32_e32 v34, v31, v10
	v_add_f32_e32 v22, v22, v20
	v_add_f32_e32 v20, v32, v34
	v_sub_f32_e32 v33, v21, v20
	v_pk_add_f32 v[36:37], v[20:21], v[32:33] neg_lo:[0,1] neg_hi:[0,1]
	v_mov_b32_e32 v35, v20
	v_pk_add_f32 v[20:21], v[36:37], v[34:35] neg_lo:[0,1] neg_hi:[0,1]
	v_add_f32_e32 v21, v22, v21
	v_add_f32_e32 v20, v20, v21
	;; [unrolled: 1-line block ×3, first 2 shown]
	v_mul_f32_e32 v22, v24, v21
	v_mul_f32_e32 v32, v12, v22
	v_fma_f32 v34, v22, v12, -v32
	v_fmac_f32_e32 v34, v22, v10
	v_sub_f32_e32 v10, v33, v21
	v_add_f32_e32 v10, v20, v10
	v_add_f32_e32 v20, v32, v34
	v_sub_f32_e32 v33, v21, v20
	v_pk_add_f32 v[36:37], v[20:21], v[32:33] neg_lo:[0,1] neg_hi:[0,1]
	v_mov_b32_e32 v35, v20
	v_pk_add_f32 v[20:21], v[36:37], v[34:35] neg_lo:[0,1] neg_hi:[0,1]
	v_add_f32_e32 v10, v10, v21
	v_add_f32_e32 v10, v20, v10
	;; [unrolled: 1-line block ×4, first 2 shown]
	v_sub_f32_e32 v20, v12, v31
	v_mul_f32_e32 v10, v24, v10
	v_sub_f32_e32 v20, v22, v20
	v_add_f32_e32 v10, v20, v10
	v_add_f32_e32 v20, v12, v10
	v_cvt_f32_i32_e32 v32, v17
	v_mul_f32_e32 v22, v20, v20
	v_mov_b32_e32 v24, 0x3ecc95a3
	v_fmac_f32_e32 v24, 0x3e9b6dac, v22
	v_mov_b32_e32 v21, 0x3f2aaada
	v_fmac_f32_e32 v21, v22, v24
	v_sub_f32_e32 v12, v20, v12
	v_ldexp_f32 v35, v20, 1
	v_mul_f32_e32 v33, v20, v22
	v_mov_b32_e32 v20, 0x3f317218
	s_mov_b32 s4, 0x3f317218
	v_pk_mul_f32 v[20:21], v[32:33], v[20:21]
	v_fma_f32 v34, v32, s4, -v20
	v_fmac_f32_e32 v34, 0xb102e308, v32
	v_pk_add_f32 v[32:33], v[20:21], v[34:35]
	v_sub_f32_e32 v10, v10, v12
	v_sub_f32_e32 v12, v33, v35
	v_ldexp_f32 v10, v10, 1
	v_sub_f32_e32 v12, v21, v12
	v_add_f32_e32 v37, v10, v12
	v_mov_b32_e32 v36, v20
	v_pk_add_f32 v[20:21], v[32:33], v[20:21] neg_lo:[0,1] neg_hi:[0,1]
	v_pk_add_f32 v[38:39], v[32:33], v[36:37]
	v_mov_b32_e32 v21, v39
	v_mov_b32_e32 v35, v32
	v_pk_add_f32 v[40:41], v[34:35], v[20:21] neg_lo:[0,1] neg_hi:[0,1]
	v_pk_add_f32 v[20:21], v[34:35], v[20:21]
	v_mov_b32_e32 v10, v21
	v_pk_add_f32 v[34:35], v[10:11], v[32:33] neg_lo:[0,1] neg_hi:[0,1]
	v_mov_b32_e32 v17, v34
	v_pk_add_f32 v[42:43], v[38:39], v[16:17] neg_lo:[0,1] neg_hi:[0,1]
	v_mov_b32_e32 v20, v39
	v_mov_b32_e32 v38, v33
	;; [unrolled: 1-line block ×4, first 2 shown]
	v_pk_add_f32 v[20:21], v[20:21], v[38:39] neg_lo:[0,1] neg_hi:[0,1]
	v_mov_b32_e32 v34, v37
	v_mov_b32_e32 v35, v32
	v_pk_add_f32 v[20:21], v[34:35], v[20:21] neg_lo:[0,1] neg_hi:[0,1]
	v_mov_b32_e32 v42, v40
	v_pk_add_f32 v[32:33], v[42:43], v[20:21]
	v_mov_b32_e32 v12, v33
	v_pk_add_f32 v[34:35], v[32:33], v[12:13]
	v_pk_add_f32 v[36:37], v[10:11], v[34:35]
	v_mov_b32_e32 v33, v36
	v_pk_add_f32 v[38:39], v[32:33], v[40:41] neg_lo:[0,1] neg_hi:[0,1]
	v_mov_b32_e32 v21, v34
	v_sub_f32_e32 v10, v32, v38
	v_pk_add_f32 v[20:21], v[20:21], v[38:39] neg_lo:[0,1] neg_hi:[0,1]
	v_sub_f32_e32 v10, v40, v10
	v_add_f32_e32 v10, v20, v10
	v_cmp_eq_f32_e64 s[4:5], s28, v19
	s_mov_b32 s28, 0x33800000
	v_add_f32_e32 v10, v10, v21
	v_cmp_lt_f32_e64 s[28:29], |v19|, s28
	v_add_f32_e32 v10, v36, v10
	s_or_b64 s[4:5], s[4:5], s[28:29]
	v_cndmask_b32_e64 v10, v10, v19, s[4:5]
	v_add_f32_e32 v10, v11, v10
.LBB164_104:
	s_or_b64 exec, exec, s[26:27]
	v_max_f32_e32 v11, v10, v10
	v_min_f32_e32 v12, v11, v23
	v_cmp_u_f32_e64 s[4:5], v10, v10
	v_max_f32_e32 v11, v11, v23
	v_cndmask_b32_e64 v12, v12, v10, s[4:5]
	v_cndmask_b32_e64 v11, v11, v10, s[4:5]
	;; [unrolled: 1-line block ×4, first 2 shown]
	s_movk_i32 s28, 0x1f8
	v_cmp_neq_f32_e64 s[4:5], v17, v12
	v_cmp_class_f32_e64 s[26:27], v17, s28
	s_or_b64 s[4:5], s[4:5], s[26:27]
	v_mov_b32_e32 v11, v10
	s_and_saveexec_b64 s[26:27], s[4:5]
	s_cbranch_execz .LBB164_106
; %bb.105:
	v_sub_f32_e32 v11, v17, v12
	s_mov_b32 s4, 0x3fb8aa3b
	v_mul_f32_e32 v13, 0x3fb8aa3b, v11
	v_fma_f32 v17, v11, s4, -v13
	v_rndne_f32_e32 v19, v13
	v_fmac_f32_e32 v17, 0x32a5705f, v11
	v_sub_f32_e32 v13, v13, v19
	v_add_f32_e32 v13, v13, v17
	v_exp_f32_e32 v13, v13
	v_cvt_i32_f32_e32 v17, v19
	s_mov_b32 s4, 0xc2ce8ed0
	v_cmp_ngt_f32_e64 s[4:5], s4, v11
	s_mov_b32 s29, 0x7f800000
	v_ldexp_f32 v13, v13, v17
	v_cndmask_b32_e64 v13, 0, v13, s[4:5]
	s_mov_b32 s4, 0x42b17218
	v_mov_b32_e32 v17, 0x7f800000
	v_cmp_nlt_f32_e64 s[4:5], s4, v11
	v_cndmask_b32_e64 v13, v17, v13, s[4:5]
	v_add_f32_e32 v11, 1.0, v13
	v_add_f32_e32 v17, -1.0, v11
	v_sub_f32_e32 v19, v17, v11
	v_add_f32_e32 v19, 1.0, v19
	v_sub_f32_e32 v17, v13, v17
	v_add_f32_e32 v17, v17, v19
	v_frexp_mant_f32_e32 v19, v11
	s_mov_b32 s4, 0x3f2aaaab
	v_cvt_f64_f32_e32 v[20:21], v11
	v_frexp_exp_i32_f64_e32 v20, v[20:21]
	v_cmp_gt_f32_e64 s[4:5], s4, v19
	v_subbrev_co_u32_e64 v19, s[4:5], 0, v20, s[4:5]
	v_sub_u32_e32 v20, 0, v19
	v_ldexp_f32 v11, v11, v20
	v_ldexp_f32 v17, v17, v20
	v_add_f32_e32 v20, -1.0, v11
	v_add_f32_e32 v21, 1.0, v20
	v_sub_f32_e32 v21, v11, v21
	v_add_f32_e32 v22, v17, v21
	v_add_f32_e32 v21, 1.0, v11
	v_add_f32_e32 v23, -1.0, v21
	v_sub_f32_e32 v11, v11, v23
	v_add_f32_e32 v11, v17, v11
	v_add_f32_e32 v17, v21, v11
	v_rcp_f32_e32 v24, v17
	v_sub_f32_e32 v21, v21, v17
	v_add_f32_e32 v11, v11, v21
	v_add_f32_e32 v21, v20, v22
	v_sub_f32_e32 v20, v20, v21
	v_mul_f32_e32 v36, v21, v24
	v_add_f32_e32 v31, v22, v20
	v_mul_f32_e32 v22, v17, v36
	v_fma_f32 v32, v36, v17, -v22
	v_fmac_f32_e32 v32, v36, v11
	v_add_f32_e32 v20, v22, v32
	v_sub_f32_e32 v23, v21, v20
	s_waitcnt lgkmcnt(0)
	v_pk_add_f32 v[34:35], v[20:21], v[22:23] neg_lo:[0,1] neg_hi:[0,1]
	v_mov_b32_e32 v33, v20
	v_pk_add_f32 v[20:21], v[34:35], v[32:33] neg_lo:[0,1] neg_hi:[0,1]
	v_add_f32_e32 v21, v31, v21
	v_add_f32_e32 v20, v20, v21
	v_add_f32_e32 v21, v23, v20
	v_mul_f32_e32 v31, v24, v21
	v_mul_f32_e32 v22, v17, v31
	v_fma_f32 v32, v31, v17, -v22
	v_fmac_f32_e32 v32, v31, v11
	v_sub_f32_e32 v11, v23, v21
	v_add_f32_e32 v11, v20, v11
	v_add_f32_e32 v20, v22, v32
	v_sub_f32_e32 v23, v21, v20
	v_pk_add_f32 v[34:35], v[20:21], v[22:23] neg_lo:[0,1] neg_hi:[0,1]
	v_mov_b32_e32 v33, v20
	v_pk_add_f32 v[20:21], v[34:35], v[32:33] neg_lo:[0,1] neg_hi:[0,1]
	v_add_f32_e32 v11, v11, v21
	v_add_f32_e32 v11, v20, v11
	;; [unrolled: 1-line block ×4, first 2 shown]
	v_sub_f32_e32 v20, v17, v36
	v_mul_f32_e32 v11, v24, v11
	v_sub_f32_e32 v20, v31, v20
	v_add_f32_e32 v11, v20, v11
	v_add_f32_e32 v20, v17, v11
	v_mul_f32_e32 v23, v20, v20
	v_mov_b32_e32 v22, 0x3ecc95a3
	v_fmac_f32_e32 v22, 0x3e9b6dac, v23
	v_mov_b32_e32 v21, 0x3f2aaada
	v_fmac_f32_e32 v21, v23, v22
	v_cvt_f32_i32_e32 v22, v19
	v_sub_f32_e32 v17, v20, v17
	v_ldexp_f32 v33, v20, 1
	v_mul_f32_e32 v23, v20, v23
	v_mov_b32_e32 v20, 0x3f317218
	s_mov_b32 s4, 0x3f317218
	v_pk_mul_f32 v[20:21], v[22:23], v[20:21]
	v_fma_f32 v32, v22, s4, -v20
	v_fmac_f32_e32 v32, 0xb102e308, v22
	v_pk_add_f32 v[22:23], v[20:21], v[32:33]
	v_sub_f32_e32 v11, v11, v17
	v_sub_f32_e32 v17, v23, v33
	v_ldexp_f32 v11, v11, 1
	v_sub_f32_e32 v17, v21, v17
	v_add_f32_e32 v35, v11, v17
	v_mov_b32_e32 v34, v20
	v_pk_add_f32 v[20:21], v[22:23], v[20:21] neg_lo:[0,1] neg_hi:[0,1]
	v_pk_add_f32 v[36:37], v[22:23], v[34:35]
	v_mov_b32_e32 v21, v37
	v_mov_b32_e32 v33, v22
	v_pk_add_f32 v[38:39], v[32:33], v[20:21] neg_lo:[0,1] neg_hi:[0,1]
	v_pk_add_f32 v[20:21], v[32:33], v[20:21]
	v_mov_b32_e32 v24, v21
	v_pk_add_f32 v[32:33], v[24:25], v[22:23] neg_lo:[0,1] neg_hi:[0,1]
	v_mov_b32_e32 v11, v32
	v_pk_add_f32 v[40:41], v[36:37], v[10:11] neg_lo:[0,1] neg_hi:[0,1]
	v_mov_b32_e32 v20, v37
	v_mov_b32_e32 v36, v23
	;; [unrolled: 1-line block ×4, first 2 shown]
	v_pk_add_f32 v[20:21], v[20:21], v[36:37] neg_lo:[0,1] neg_hi:[0,1]
	v_mov_b32_e32 v32, v35
	v_mov_b32_e32 v33, v22
	v_pk_add_f32 v[20:21], v[32:33], v[20:21] neg_lo:[0,1] neg_hi:[0,1]
	v_mov_b32_e32 v40, v38
	v_pk_add_f32 v[22:23], v[40:41], v[20:21]
	v_mov_b32_e32 v32, v23
	v_pk_add_f32 v[32:33], v[22:23], v[32:33]
	v_pk_add_f32 v[34:35], v[24:25], v[32:33]
	v_mov_b32_e32 v23, v34
	v_pk_add_f32 v[36:37], v[22:23], v[38:39] neg_lo:[0,1] neg_hi:[0,1]
	v_mov_b32_e32 v21, v32
	v_sub_f32_e32 v11, v22, v36
	v_pk_add_f32 v[20:21], v[20:21], v[36:37] neg_lo:[0,1] neg_hi:[0,1]
	v_sub_f32_e32 v11, v38, v11
	v_add_f32_e32 v11, v20, v11
	v_cmp_eq_f32_e64 s[4:5], s29, v13
	s_mov_b32 s29, 0x33800000
	v_add_f32_e32 v11, v11, v21
	v_cmp_lt_f32_e64 s[30:31], |v13|, s29
	v_add_f32_e32 v11, v34, v11
	s_or_b64 s[4:5], s[4:5], s[30:31]
	v_cndmask_b32_e64 v11, v11, v13, s[4:5]
	v_add_f32_e32 v11, v12, v11
.LBB164_106:
	s_or_b64 exec, exec, s[26:27]
	v_max_f32_e32 v12, v11, v11
	v_min_f32_e32 v13, v12, v25
	v_cmp_u_f32_e64 s[4:5], v11, v11
	v_max_f32_e32 v12, v12, v25
	v_cndmask_b32_e64 v13, v13, v11, s[4:5]
	v_cndmask_b32_e64 v12, v12, v11, s[4:5]
	;; [unrolled: 1-line block ×4, first 2 shown]
	v_cmp_neq_f32_e64 s[4:5], v13, v12
	v_cmp_class_f32_e64 s[26:27], v13, s28
	s_or_b64 s[4:5], s[4:5], s[26:27]
	v_mov_b32_e32 v6, v11
	s_and_saveexec_b64 s[26:27], s[4:5]
	s_cbranch_execz .LBB164_108
; %bb.107:
	v_sub_f32_e32 v6, v13, v12
	s_mov_b32 s4, 0x3fb8aa3b
	v_mul_f32_e32 v13, 0x3fb8aa3b, v6
	v_fma_f32 v17, v6, s4, -v13
	v_rndne_f32_e32 v19, v13
	v_fmac_f32_e32 v17, 0x32a5705f, v6
	v_sub_f32_e32 v13, v13, v19
	v_add_f32_e32 v13, v13, v17
	v_exp_f32_e32 v13, v13
	v_cvt_i32_f32_e32 v17, v19
	s_mov_b32 s4, 0xc2ce8ed0
	v_cmp_ngt_f32_e64 s[4:5], s4, v6
	s_mov_b32 s28, 0x7f800000
	v_ldexp_f32 v13, v13, v17
	v_cndmask_b32_e64 v13, 0, v13, s[4:5]
	s_mov_b32 s4, 0x42b17218
	v_mov_b32_e32 v17, 0x7f800000
	v_cmp_nlt_f32_e64 s[4:5], s4, v6
	v_cndmask_b32_e64 v17, v17, v13, s[4:5]
	v_add_f32_e32 v6, 1.0, v17
	v_add_f32_e32 v13, -1.0, v6
	v_sub_f32_e32 v19, v13, v6
	v_add_f32_e32 v19, 1.0, v19
	v_sub_f32_e32 v13, v17, v13
	v_add_f32_e32 v13, v13, v19
	v_frexp_mant_f32_e32 v19, v6
	s_mov_b32 s4, 0x3f2aaaab
	v_cvt_f64_f32_e32 v[20:21], v6
	v_frexp_exp_i32_f64_e32 v20, v[20:21]
	v_cmp_gt_f32_e64 s[4:5], s4, v19
	v_subbrev_co_u32_e64 v19, s[4:5], 0, v20, s[4:5]
	v_sub_u32_e32 v20, 0, v19
	v_ldexp_f32 v6, v6, v20
	v_ldexp_f32 v13, v13, v20
	v_add_f32_e32 v20, -1.0, v6
	v_add_f32_e32 v21, 1.0, v20
	v_sub_f32_e32 v21, v6, v21
	v_add_f32_e32 v22, v13, v21
	v_add_f32_e32 v21, 1.0, v6
	v_add_f32_e32 v23, -1.0, v21
	v_sub_f32_e32 v6, v6, v23
	v_add_f32_e32 v6, v13, v6
	v_add_f32_e32 v13, v21, v6
	v_rcp_f32_e32 v31, v13
	v_sub_f32_e32 v21, v21, v13
	v_add_f32_e32 v6, v6, v21
	v_add_f32_e32 v21, v20, v22
	v_sub_f32_e32 v20, v20, v21
	v_mul_f32_e32 v35, v21, v31
	s_waitcnt lgkmcnt(0)
	v_add_f32_e32 v34, v22, v20
	v_mul_f32_e32 v22, v13, v35
	v_fma_f32 v24, v35, v13, -v22
	v_fmac_f32_e32 v24, v35, v6
	v_add_f32_e32 v20, v22, v24
	v_sub_f32_e32 v23, v21, v20
	v_pk_add_f32 v[32:33], v[20:21], v[22:23] neg_lo:[0,1] neg_hi:[0,1]
	v_mov_b32_e32 v25, v20
	v_pk_add_f32 v[20:21], v[32:33], v[24:25] neg_lo:[0,1] neg_hi:[0,1]
	v_add_f32_e32 v21, v34, v21
	v_add_f32_e32 v20, v20, v21
	;; [unrolled: 1-line block ×3, first 2 shown]
	v_mul_f32_e32 v34, v31, v21
	v_mul_f32_e32 v22, v13, v34
	v_fma_f32 v24, v34, v13, -v22
	v_fmac_f32_e32 v24, v34, v6
	v_sub_f32_e32 v6, v23, v21
	v_add_f32_e32 v6, v20, v6
	v_add_f32_e32 v20, v22, v24
	v_sub_f32_e32 v23, v21, v20
	v_pk_add_f32 v[32:33], v[20:21], v[22:23] neg_lo:[0,1] neg_hi:[0,1]
	v_mov_b32_e32 v25, v20
	v_pk_add_f32 v[20:21], v[32:33], v[24:25] neg_lo:[0,1] neg_hi:[0,1]
	v_add_f32_e32 v6, v6, v21
	v_add_f32_e32 v6, v20, v6
	;; [unrolled: 1-line block ×4, first 2 shown]
	v_sub_f32_e32 v20, v13, v35
	v_mul_f32_e32 v6, v31, v6
	v_sub_f32_e32 v20, v34, v20
	v_add_f32_e32 v6, v20, v6
	v_add_f32_e32 v20, v13, v6
	v_mul_f32_e32 v23, v20, v20
	v_mov_b32_e32 v22, 0x3ecc95a3
	v_fmac_f32_e32 v22, 0x3e9b6dac, v23
	v_mov_b32_e32 v21, 0x3f2aaada
	v_fmac_f32_e32 v21, v23, v22
	v_cvt_f32_i32_e32 v22, v19
	v_sub_f32_e32 v13, v20, v13
	v_ldexp_f32 v25, v20, 1
	v_mul_f32_e32 v23, v20, v23
	v_mov_b32_e32 v20, 0x3f317218
	s_mov_b32 s4, 0x3f317218
	v_pk_mul_f32 v[20:21], v[22:23], v[20:21]
	v_fma_f32 v24, v22, s4, -v20
	v_fmac_f32_e32 v24, 0xb102e308, v22
	v_pk_add_f32 v[22:23], v[20:21], v[24:25]
	v_sub_f32_e32 v6, v6, v13
	v_sub_f32_e32 v13, v23, v25
	v_ldexp_f32 v6, v6, 1
	v_sub_f32_e32 v13, v21, v13
	v_add_f32_e32 v33, v6, v13
	v_mov_b32_e32 v32, v20
	v_pk_add_f32 v[20:21], v[22:23], v[20:21] neg_lo:[0,1] neg_hi:[0,1]
	v_pk_add_f32 v[34:35], v[22:23], v[32:33]
	v_mov_b32_e32 v21, v35
	v_mov_b32_e32 v25, v22
	v_pk_add_f32 v[36:37], v[24:25], v[20:21] neg_lo:[0,1] neg_hi:[0,1]
	v_pk_add_f32 v[20:21], v[24:25], v[20:21]
	v_mov_b32_e32 v6, v21
	v_pk_add_f32 v[24:25], v[6:7], v[22:23] neg_lo:[0,1] neg_hi:[0,1]
	v_mov_b32_e32 v13, v24
	v_pk_add_f32 v[38:39], v[34:35], v[12:13] neg_lo:[0,1] neg_hi:[0,1]
	v_mov_b32_e32 v20, v35
	v_mov_b32_e32 v34, v23
	;; [unrolled: 1-line block ×4, first 2 shown]
	v_pk_add_f32 v[20:21], v[20:21], v[34:35] neg_lo:[0,1] neg_hi:[0,1]
	v_mov_b32_e32 v24, v33
	v_mov_b32_e32 v25, v22
	v_pk_add_f32 v[20:21], v[24:25], v[20:21] neg_lo:[0,1] neg_hi:[0,1]
	v_mov_b32_e32 v38, v36
	v_pk_add_f32 v[22:23], v[38:39], v[20:21]
	v_mov_b32_e32 v24, v23
	v_pk_add_f32 v[24:25], v[22:23], v[24:25]
	v_pk_add_f32 v[32:33], v[6:7], v[24:25]
	v_mov_b32_e32 v23, v32
	v_pk_add_f32 v[34:35], v[22:23], v[36:37] neg_lo:[0,1] neg_hi:[0,1]
	v_mov_b32_e32 v21, v24
	v_sub_f32_e32 v6, v22, v34
	v_pk_add_f32 v[20:21], v[20:21], v[34:35] neg_lo:[0,1] neg_hi:[0,1]
	v_sub_f32_e32 v6, v36, v6
	v_add_f32_e32 v6, v20, v6
	v_cmp_eq_f32_e64 s[4:5], s28, v17
	s_mov_b32 s28, 0x33800000
	v_add_f32_e32 v6, v6, v21
	v_cmp_lt_f32_e64 s[28:29], |v17|, s28
	v_add_f32_e32 v6, v32, v6
	s_or_b64 s[4:5], s[4:5], s[28:29]
	v_cndmask_b32_e64 v6, v6, v17, s[4:5]
	v_add_f32_e32 v6, v12, v6
.LBB164_108:
	s_or_b64 exec, exec, s[26:27]
	v_max_f32_e32 v12, v6, v6
	v_min_f32_e32 v13, v12, v26
	v_cmp_u_f32_e64 s[4:5], v6, v6
	v_max_f32_e32 v12, v12, v26
	v_cndmask_b32_e64 v13, v13, v6, s[4:5]
	v_cndmask_b32_e64 v12, v12, v6, s[4:5]
	;; [unrolled: 1-line block ×4, first 2 shown]
	s_movk_i32 s28, 0x1f8
	v_cmp_neq_f32_e64 s[4:5], v13, v12
	v_cmp_class_f32_e64 s[26:27], v13, s28
	s_or_b64 s[4:5], s[4:5], s[26:27]
	v_mov_b32_e32 v7, v6
	s_and_saveexec_b64 s[26:27], s[4:5]
	s_cbranch_execz .LBB164_110
; %bb.109:
	v_sub_f32_e32 v7, v13, v12
	s_mov_b32 s4, 0x3fb8aa3b
	v_mul_f32_e32 v13, 0x3fb8aa3b, v7
	v_fma_f32 v17, v7, s4, -v13
	v_rndne_f32_e32 v19, v13
	v_fmac_f32_e32 v17, 0x32a5705f, v7
	v_sub_f32_e32 v13, v13, v19
	v_add_f32_e32 v13, v13, v17
	v_exp_f32_e32 v13, v13
	v_cvt_i32_f32_e32 v17, v19
	s_mov_b32 s4, 0xc2ce8ed0
	v_cmp_ngt_f32_e64 s[4:5], s4, v7
	s_mov_b32 s29, 0x7f800000
	v_ldexp_f32 v13, v13, v17
	v_cndmask_b32_e64 v13, 0, v13, s[4:5]
	s_mov_b32 s4, 0x42b17218
	v_mov_b32_e32 v17, 0x7f800000
	v_cmp_nlt_f32_e64 s[4:5], s4, v7
	v_cndmask_b32_e64 v13, v17, v13, s[4:5]
	v_add_f32_e32 v7, 1.0, v13
	v_add_f32_e32 v17, -1.0, v7
	v_sub_f32_e32 v19, v17, v7
	v_add_f32_e32 v19, 1.0, v19
	v_sub_f32_e32 v17, v13, v17
	v_add_f32_e32 v17, v17, v19
	v_frexp_mant_f32_e32 v19, v7
	s_mov_b32 s4, 0x3f2aaaab
	v_cvt_f64_f32_e32 v[20:21], v7
	v_frexp_exp_i32_f64_e32 v20, v[20:21]
	v_cmp_gt_f32_e64 s[4:5], s4, v19
	v_subbrev_co_u32_e64 v19, s[4:5], 0, v20, s[4:5]
	v_sub_u32_e32 v20, 0, v19
	v_ldexp_f32 v7, v7, v20
	v_ldexp_f32 v17, v17, v20
	v_add_f32_e32 v20, -1.0, v7
	v_add_f32_e32 v21, 1.0, v20
	v_sub_f32_e32 v21, v7, v21
	v_add_f32_e32 v22, v17, v21
	v_add_f32_e32 v21, 1.0, v7
	v_add_f32_e32 v23, -1.0, v21
	v_sub_f32_e32 v7, v7, v23
	v_add_f32_e32 v7, v17, v7
	v_add_f32_e32 v17, v21, v7
	v_rcp_f32_e32 v26, v17
	v_sub_f32_e32 v21, v21, v17
	v_add_f32_e32 v7, v7, v21
	v_add_f32_e32 v21, v20, v22
	v_sub_f32_e32 v20, v20, v21
	s_waitcnt lgkmcnt(0)
	v_mul_f32_e32 v34, v21, v26
	v_add_f32_e32 v31, v22, v20
	v_mul_f32_e32 v22, v17, v34
	v_fma_f32 v24, v34, v17, -v22
	v_fmac_f32_e32 v24, v34, v7
	v_add_f32_e32 v20, v22, v24
	v_sub_f32_e32 v23, v21, v20
	v_pk_add_f32 v[32:33], v[20:21], v[22:23] neg_lo:[0,1] neg_hi:[0,1]
	v_mov_b32_e32 v25, v20
	v_pk_add_f32 v[20:21], v[32:33], v[24:25] neg_lo:[0,1] neg_hi:[0,1]
	v_add_f32_e32 v21, v31, v21
	v_add_f32_e32 v20, v20, v21
	;; [unrolled: 1-line block ×3, first 2 shown]
	v_mul_f32_e32 v31, v26, v21
	v_mul_f32_e32 v22, v17, v31
	v_fma_f32 v24, v31, v17, -v22
	v_fmac_f32_e32 v24, v31, v7
	v_sub_f32_e32 v7, v23, v21
	v_add_f32_e32 v7, v20, v7
	v_add_f32_e32 v20, v22, v24
	v_sub_f32_e32 v23, v21, v20
	v_pk_add_f32 v[32:33], v[20:21], v[22:23] neg_lo:[0,1] neg_hi:[0,1]
	v_mov_b32_e32 v25, v20
	v_pk_add_f32 v[20:21], v[32:33], v[24:25] neg_lo:[0,1] neg_hi:[0,1]
	v_add_f32_e32 v7, v7, v21
	v_add_f32_e32 v7, v20, v7
	;; [unrolled: 1-line block ×4, first 2 shown]
	v_sub_f32_e32 v20, v17, v34
	v_mul_f32_e32 v7, v26, v7
	v_sub_f32_e32 v20, v31, v20
	v_add_f32_e32 v7, v20, v7
	v_add_f32_e32 v20, v17, v7
	v_mul_f32_e32 v23, v20, v20
	v_mov_b32_e32 v22, 0x3ecc95a3
	v_fmac_f32_e32 v22, 0x3e9b6dac, v23
	v_mov_b32_e32 v21, 0x3f2aaada
	v_fmac_f32_e32 v21, v23, v22
	v_cvt_f32_i32_e32 v22, v19
	v_sub_f32_e32 v17, v20, v17
	v_ldexp_f32 v25, v20, 1
	v_mul_f32_e32 v23, v20, v23
	v_mov_b32_e32 v20, 0x3f317218
	s_mov_b32 s4, 0x3f317218
	v_pk_mul_f32 v[20:21], v[22:23], v[20:21]
	v_fma_f32 v24, v22, s4, -v20
	v_fmac_f32_e32 v24, 0xb102e308, v22
	v_pk_add_f32 v[22:23], v[20:21], v[24:25]
	v_sub_f32_e32 v7, v7, v17
	v_sub_f32_e32 v17, v23, v25
	v_ldexp_f32 v7, v7, 1
	v_sub_f32_e32 v17, v21, v17
	v_add_f32_e32 v33, v7, v17
	v_mov_b32_e32 v32, v20
	v_pk_add_f32 v[20:21], v[22:23], v[20:21] neg_lo:[0,1] neg_hi:[0,1]
	v_pk_add_f32 v[34:35], v[22:23], v[32:33]
	v_mov_b32_e32 v21, v35
	v_mov_b32_e32 v25, v22
	v_pk_add_f32 v[36:37], v[24:25], v[20:21] neg_lo:[0,1] neg_hi:[0,1]
	v_pk_add_f32 v[20:21], v[24:25], v[20:21]
	v_mov_b32_e32 v24, v21
	v_pk_add_f32 v[38:39], v[24:25], v[22:23] neg_lo:[0,1] neg_hi:[0,1]
	v_mov_b32_e32 v7, v38
	v_pk_add_f32 v[40:41], v[34:35], v[6:7] neg_lo:[0,1] neg_hi:[0,1]
	v_mov_b32_e32 v20, v35
	v_mov_b32_e32 v34, v23
	;; [unrolled: 1-line block ×4, first 2 shown]
	v_pk_add_f32 v[20:21], v[20:21], v[34:35] neg_lo:[0,1] neg_hi:[0,1]
	v_mov_b32_e32 v32, v33
	v_mov_b32_e32 v33, v22
	v_pk_add_f32 v[20:21], v[32:33], v[20:21] neg_lo:[0,1] neg_hi:[0,1]
	v_mov_b32_e32 v40, v36
	v_pk_add_f32 v[22:23], v[40:41], v[20:21]
	v_mov_b32_e32 v26, v23
	v_pk_add_f32 v[32:33], v[22:23], v[26:27]
	v_pk_add_f32 v[24:25], v[24:25], v[32:33]
	v_mov_b32_e32 v23, v24
	v_pk_add_f32 v[34:35], v[22:23], v[36:37] neg_lo:[0,1] neg_hi:[0,1]
	v_mov_b32_e32 v21, v32
	v_sub_f32_e32 v7, v22, v34
	v_pk_add_f32 v[20:21], v[20:21], v[34:35] neg_lo:[0,1] neg_hi:[0,1]
	v_sub_f32_e32 v7, v36, v7
	v_add_f32_e32 v7, v20, v7
	v_cmp_eq_f32_e64 s[4:5], s29, v13
	s_mov_b32 s29, 0x33800000
	v_add_f32_e32 v7, v7, v21
	v_cmp_lt_f32_e64 s[30:31], |v13|, s29
	v_add_f32_e32 v7, v24, v7
	s_or_b64 s[4:5], s[4:5], s[30:31]
	v_cndmask_b32_e64 v7, v7, v13, s[4:5]
	v_add_f32_e32 v7, v12, v7
.LBB164_110:
	s_or_b64 exec, exec, s[26:27]
	v_max_f32_e32 v12, v7, v7
	v_min_f32_e32 v13, v12, v27
	v_cmp_u_f32_e64 s[4:5], v7, v7
	v_max_f32_e32 v12, v12, v27
	v_cndmask_b32_e64 v13, v13, v7, s[4:5]
	v_cndmask_b32_e64 v12, v12, v7, s[4:5]
	;; [unrolled: 1-line block ×4, first 2 shown]
	v_cmp_neq_f32_e64 s[4:5], v13, v12
	v_cmp_class_f32_e64 s[26:27], v13, s28
	s_or_b64 s[4:5], s[4:5], s[26:27]
	v_mov_b32_e32 v8, v7
	s_and_saveexec_b64 s[26:27], s[4:5]
	s_cbranch_execz .LBB164_112
; %bb.111:
	v_sub_f32_e32 v8, v13, v12
	s_mov_b32 s4, 0x3fb8aa3b
	v_mul_f32_e32 v13, 0x3fb8aa3b, v8
	v_fma_f32 v17, v8, s4, -v13
	v_rndne_f32_e32 v19, v13
	v_fmac_f32_e32 v17, 0x32a5705f, v8
	v_sub_f32_e32 v13, v13, v19
	v_add_f32_e32 v13, v13, v17
	v_exp_f32_e32 v13, v13
	v_cvt_i32_f32_e32 v17, v19
	s_mov_b32 s4, 0xc2ce8ed0
	v_cmp_ngt_f32_e64 s[4:5], s4, v8
	s_mov_b32 s28, 0x7f800000
	v_ldexp_f32 v13, v13, v17
	v_cndmask_b32_e64 v13, 0, v13, s[4:5]
	s_mov_b32 s4, 0x42b17218
	v_mov_b32_e32 v17, 0x7f800000
	v_cmp_nlt_f32_e64 s[4:5], s4, v8
	v_cndmask_b32_e64 v17, v17, v13, s[4:5]
	v_add_f32_e32 v8, 1.0, v17
	v_add_f32_e32 v13, -1.0, v8
	v_sub_f32_e32 v19, v13, v8
	v_add_f32_e32 v19, 1.0, v19
	v_sub_f32_e32 v13, v17, v13
	v_add_f32_e32 v13, v13, v19
	v_frexp_mant_f32_e32 v19, v8
	s_mov_b32 s4, 0x3f2aaaab
	v_cvt_f64_f32_e32 v[20:21], v8
	v_frexp_exp_i32_f64_e32 v20, v[20:21]
	v_cmp_gt_f32_e64 s[4:5], s4, v19
	v_subbrev_co_u32_e64 v19, s[4:5], 0, v20, s[4:5]
	v_sub_u32_e32 v20, 0, v19
	v_ldexp_f32 v8, v8, v20
	v_ldexp_f32 v13, v13, v20
	v_add_f32_e32 v20, -1.0, v8
	v_add_f32_e32 v21, 1.0, v20
	v_sub_f32_e32 v21, v8, v21
	v_add_f32_e32 v22, v13, v21
	v_add_f32_e32 v21, 1.0, v8
	v_add_f32_e32 v23, -1.0, v21
	v_sub_f32_e32 v8, v8, v23
	v_add_f32_e32 v8, v13, v8
	v_add_f32_e32 v13, v21, v8
	v_rcp_f32_e32 v31, v13
	v_sub_f32_e32 v21, v21, v13
	v_add_f32_e32 v8, v8, v21
	v_add_f32_e32 v21, v20, v22
	v_sub_f32_e32 v20, v20, v21
	v_mul_f32_e32 v33, v21, v31
	v_add_f32_e32 v32, v22, v20
	v_mul_f32_e32 v22, v13, v33
	v_fma_f32 v24, v33, v13, -v22
	v_fmac_f32_e32 v24, v33, v8
	v_add_f32_e32 v20, v22, v24
	v_sub_f32_e32 v23, v21, v20
	v_pk_add_f32 v[26:27], v[20:21], v[22:23] neg_lo:[0,1] neg_hi:[0,1]
	v_mov_b32_e32 v25, v20
	v_pk_add_f32 v[20:21], v[26:27], v[24:25] neg_lo:[0,1] neg_hi:[0,1]
	v_add_f32_e32 v21, v32, v21
	v_add_f32_e32 v20, v20, v21
	;; [unrolled: 1-line block ×3, first 2 shown]
	v_mul_f32_e32 v32, v31, v21
	v_mul_f32_e32 v22, v13, v32
	v_fma_f32 v24, v32, v13, -v22
	v_fmac_f32_e32 v24, v32, v8
	v_sub_f32_e32 v8, v23, v21
	v_add_f32_e32 v8, v20, v8
	v_add_f32_e32 v20, v22, v24
	v_sub_f32_e32 v23, v21, v20
	v_pk_add_f32 v[26:27], v[20:21], v[22:23] neg_lo:[0,1] neg_hi:[0,1]
	v_mov_b32_e32 v25, v20
	v_pk_add_f32 v[20:21], v[26:27], v[24:25] neg_lo:[0,1] neg_hi:[0,1]
	v_add_f32_e32 v8, v8, v21
	v_add_f32_e32 v8, v20, v8
	;; [unrolled: 1-line block ×4, first 2 shown]
	v_sub_f32_e32 v20, v13, v33
	v_mul_f32_e32 v8, v31, v8
	v_sub_f32_e32 v20, v32, v20
	v_add_f32_e32 v8, v20, v8
	v_add_f32_e32 v20, v13, v8
	v_mul_f32_e32 v23, v20, v20
	v_mov_b32_e32 v22, 0x3ecc95a3
	v_fmac_f32_e32 v22, 0x3e9b6dac, v23
	v_mov_b32_e32 v21, 0x3f2aaada
	v_fmac_f32_e32 v21, v23, v22
	v_cvt_f32_i32_e32 v22, v19
	v_sub_f32_e32 v13, v20, v13
	v_ldexp_f32 v25, v20, 1
	v_mul_f32_e32 v23, v20, v23
	v_mov_b32_e32 v20, 0x3f317218
	s_mov_b32 s4, 0x3f317218
	v_pk_mul_f32 v[20:21], v[22:23], v[20:21]
	v_fma_f32 v24, v22, s4, -v20
	v_fmac_f32_e32 v24, 0xb102e308, v22
	v_pk_add_f32 v[22:23], v[20:21], v[24:25]
	v_sub_f32_e32 v8, v8, v13
	v_sub_f32_e32 v13, v23, v25
	v_ldexp_f32 v8, v8, 1
	v_sub_f32_e32 v13, v21, v13
	v_add_f32_e32 v27, v8, v13
	v_mov_b32_e32 v26, v20
	v_pk_add_f32 v[20:21], v[22:23], v[20:21] neg_lo:[0,1] neg_hi:[0,1]
	v_pk_add_f32 v[32:33], v[22:23], v[26:27]
	v_mov_b32_e32 v21, v33
	v_mov_b32_e32 v25, v22
	s_waitcnt lgkmcnt(0)
	v_pk_add_f32 v[34:35], v[24:25], v[20:21] neg_lo:[0,1] neg_hi:[0,1]
	v_pk_add_f32 v[20:21], v[24:25], v[20:21]
	v_mov_b32_e32 v8, v21
	v_pk_add_f32 v[24:25], v[8:9], v[22:23] neg_lo:[0,1] neg_hi:[0,1]
	v_mov_b32_e32 v13, v24
	v_pk_add_f32 v[36:37], v[32:33], v[12:13] neg_lo:[0,1] neg_hi:[0,1]
	v_mov_b32_e32 v20, v33
	v_mov_b32_e32 v32, v23
	;; [unrolled: 1-line block ×4, first 2 shown]
	v_pk_add_f32 v[20:21], v[20:21], v[32:33] neg_lo:[0,1] neg_hi:[0,1]
	v_mov_b32_e32 v24, v27
	v_mov_b32_e32 v25, v22
	v_pk_add_f32 v[20:21], v[24:25], v[20:21] neg_lo:[0,1] neg_hi:[0,1]
	v_mov_b32_e32 v36, v34
	v_pk_add_f32 v[22:23], v[36:37], v[20:21]
	v_mov_b32_e32 v24, v23
	v_pk_add_f32 v[24:25], v[22:23], v[24:25]
	v_pk_add_f32 v[26:27], v[8:9], v[24:25]
	v_mov_b32_e32 v23, v26
	v_pk_add_f32 v[32:33], v[22:23], v[34:35] neg_lo:[0,1] neg_hi:[0,1]
	v_mov_b32_e32 v21, v24
	v_sub_f32_e32 v8, v22, v32
	v_pk_add_f32 v[20:21], v[20:21], v[32:33] neg_lo:[0,1] neg_hi:[0,1]
	v_sub_f32_e32 v8, v34, v8
	v_add_f32_e32 v8, v20, v8
	v_cmp_eq_f32_e64 s[4:5], s28, v17
	s_mov_b32 s28, 0x33800000
	v_add_f32_e32 v8, v8, v21
	v_cmp_lt_f32_e64 s[28:29], |v17|, s28
	v_add_f32_e32 v8, v26, v8
	s_or_b64 s[4:5], s[4:5], s[28:29]
	v_cndmask_b32_e64 v8, v8, v17, s[4:5]
	v_add_f32_e32 v8, v12, v8
.LBB164_112:
	s_or_b64 exec, exec, s[26:27]
	v_max_f32_e32 v12, v8, v8
	v_min_f32_e32 v13, v12, v28
	v_cmp_u_f32_e64 s[4:5], v8, v8
	v_max_f32_e32 v12, v12, v28
	v_cndmask_b32_e64 v13, v13, v8, s[4:5]
	v_cndmask_b32_e64 v12, v12, v8, s[4:5]
	;; [unrolled: 1-line block ×4, first 2 shown]
	s_movk_i32 s28, 0x1f8
	v_cmp_neq_f32_e64 s[4:5], v13, v12
	v_cmp_class_f32_e64 s[26:27], v13, s28
	s_or_b64 s[4:5], s[4:5], s[26:27]
	v_mov_b32_e32 v9, v8
	s_and_saveexec_b64 s[26:27], s[4:5]
	s_cbranch_execz .LBB164_114
; %bb.113:
	v_sub_f32_e32 v9, v13, v12
	s_mov_b32 s4, 0x3fb8aa3b
	v_mul_f32_e32 v13, 0x3fb8aa3b, v9
	v_fma_f32 v17, v9, s4, -v13
	v_rndne_f32_e32 v19, v13
	v_fmac_f32_e32 v17, 0x32a5705f, v9
	v_sub_f32_e32 v13, v13, v19
	v_add_f32_e32 v13, v13, v17
	v_exp_f32_e32 v13, v13
	v_cvt_i32_f32_e32 v17, v19
	s_mov_b32 s4, 0xc2ce8ed0
	v_cmp_ngt_f32_e64 s[4:5], s4, v9
	s_mov_b32 s29, 0x7f800000
	v_ldexp_f32 v13, v13, v17
	v_cndmask_b32_e64 v13, 0, v13, s[4:5]
	s_mov_b32 s4, 0x42b17218
	v_mov_b32_e32 v17, 0x7f800000
	v_cmp_nlt_f32_e64 s[4:5], s4, v9
	v_cndmask_b32_e64 v13, v17, v13, s[4:5]
	v_add_f32_e32 v9, 1.0, v13
	v_add_f32_e32 v17, -1.0, v9
	v_sub_f32_e32 v19, v17, v9
	v_add_f32_e32 v19, 1.0, v19
	v_sub_f32_e32 v17, v13, v17
	v_add_f32_e32 v17, v17, v19
	v_frexp_mant_f32_e32 v19, v9
	s_mov_b32 s4, 0x3f2aaaab
	v_cvt_f64_f32_e32 v[20:21], v9
	v_frexp_exp_i32_f64_e32 v20, v[20:21]
	v_cmp_gt_f32_e64 s[4:5], s4, v19
	v_subbrev_co_u32_e64 v19, s[4:5], 0, v20, s[4:5]
	v_sub_u32_e32 v20, 0, v19
	v_ldexp_f32 v9, v9, v20
	v_ldexp_f32 v17, v17, v20
	v_add_f32_e32 v20, -1.0, v9
	v_add_f32_e32 v21, 1.0, v20
	v_sub_f32_e32 v21, v9, v21
	v_add_f32_e32 v22, v17, v21
	v_add_f32_e32 v21, 1.0, v9
	v_add_f32_e32 v23, -1.0, v21
	v_sub_f32_e32 v9, v9, v23
	v_add_f32_e32 v9, v17, v9
	v_add_f32_e32 v17, v21, v9
	v_rcp_f32_e32 v28, v17
	v_sub_f32_e32 v21, v21, v17
	v_add_f32_e32 v9, v9, v21
	v_add_f32_e32 v21, v20, v22
	v_sub_f32_e32 v20, v20, v21
	v_mul_f32_e32 v32, v21, v28
	v_add_f32_e32 v31, v22, v20
	v_mul_f32_e32 v22, v17, v32
	v_fma_f32 v24, v32, v17, -v22
	v_fmac_f32_e32 v24, v32, v9
	v_add_f32_e32 v20, v22, v24
	v_sub_f32_e32 v23, v21, v20
	v_pk_add_f32 v[26:27], v[20:21], v[22:23] neg_lo:[0,1] neg_hi:[0,1]
	v_mov_b32_e32 v25, v20
	v_pk_add_f32 v[20:21], v[26:27], v[24:25] neg_lo:[0,1] neg_hi:[0,1]
	v_add_f32_e32 v21, v31, v21
	v_add_f32_e32 v20, v20, v21
	;; [unrolled: 1-line block ×3, first 2 shown]
	v_mul_f32_e32 v31, v28, v21
	v_mul_f32_e32 v22, v17, v31
	v_fma_f32 v24, v31, v17, -v22
	v_fmac_f32_e32 v24, v31, v9
	v_sub_f32_e32 v9, v23, v21
	v_add_f32_e32 v9, v20, v9
	v_add_f32_e32 v20, v22, v24
	v_sub_f32_e32 v23, v21, v20
	v_pk_add_f32 v[26:27], v[20:21], v[22:23] neg_lo:[0,1] neg_hi:[0,1]
	v_mov_b32_e32 v25, v20
	v_pk_add_f32 v[20:21], v[26:27], v[24:25] neg_lo:[0,1] neg_hi:[0,1]
	v_add_f32_e32 v9, v9, v21
	v_add_f32_e32 v9, v20, v9
	v_add_f32_e32 v17, v32, v31
	v_add_f32_e32 v9, v23, v9
	v_sub_f32_e32 v20, v17, v32
	v_mul_f32_e32 v9, v28, v9
	v_sub_f32_e32 v20, v31, v20
	v_add_f32_e32 v9, v20, v9
	v_add_f32_e32 v20, v17, v9
	v_mul_f32_e32 v23, v20, v20
	v_mov_b32_e32 v22, 0x3ecc95a3
	v_fmac_f32_e32 v22, 0x3e9b6dac, v23
	v_mov_b32_e32 v21, 0x3f2aaada
	v_fmac_f32_e32 v21, v23, v22
	v_cvt_f32_i32_e32 v22, v19
	v_sub_f32_e32 v17, v20, v17
	v_ldexp_f32 v25, v20, 1
	v_mul_f32_e32 v23, v20, v23
	v_mov_b32_e32 v20, 0x3f317218
	s_mov_b32 s4, 0x3f317218
	v_pk_mul_f32 v[20:21], v[22:23], v[20:21]
	v_fma_f32 v24, v22, s4, -v20
	v_fmac_f32_e32 v24, 0xb102e308, v22
	v_pk_add_f32 v[22:23], v[20:21], v[24:25]
	v_sub_f32_e32 v9, v9, v17
	v_sub_f32_e32 v17, v23, v25
	v_ldexp_f32 v9, v9, 1
	v_sub_f32_e32 v17, v21, v17
	v_add_f32_e32 v27, v9, v17
	v_mov_b32_e32 v26, v20
	v_pk_add_f32 v[20:21], v[22:23], v[20:21] neg_lo:[0,1] neg_hi:[0,1]
	v_pk_add_f32 v[32:33], v[22:23], v[26:27]
	v_mov_b32_e32 v21, v33
	v_mov_b32_e32 v25, v22
	s_waitcnt lgkmcnt(0)
	v_pk_add_f32 v[34:35], v[24:25], v[20:21] neg_lo:[0,1] neg_hi:[0,1]
	v_pk_add_f32 v[20:21], v[24:25], v[20:21]
	v_mov_b32_e32 v24, v21
	v_pk_add_f32 v[36:37], v[24:25], v[22:23] neg_lo:[0,1] neg_hi:[0,1]
	v_mov_b32_e32 v9, v36
	v_pk_add_f32 v[38:39], v[32:33], v[8:9] neg_lo:[0,1] neg_hi:[0,1]
	v_mov_b32_e32 v20, v33
	v_mov_b32_e32 v32, v23
	;; [unrolled: 1-line block ×4, first 2 shown]
	v_pk_add_f32 v[20:21], v[20:21], v[32:33] neg_lo:[0,1] neg_hi:[0,1]
	v_mov_b32_e32 v26, v27
	v_mov_b32_e32 v27, v22
	v_pk_add_f32 v[20:21], v[26:27], v[20:21] neg_lo:[0,1] neg_hi:[0,1]
	v_mov_b32_e32 v38, v34
	v_pk_add_f32 v[22:23], v[38:39], v[20:21]
	v_mov_b32_e32 v26, v23
	v_pk_add_f32 v[26:27], v[22:23], v[26:27]
	v_pk_add_f32 v[24:25], v[24:25], v[26:27]
	v_mov_b32_e32 v23, v24
	v_pk_add_f32 v[32:33], v[22:23], v[34:35] neg_lo:[0,1] neg_hi:[0,1]
	v_mov_b32_e32 v21, v26
	v_sub_f32_e32 v9, v22, v32
	v_pk_add_f32 v[20:21], v[20:21], v[32:33] neg_lo:[0,1] neg_hi:[0,1]
	v_sub_f32_e32 v9, v34, v9
	v_add_f32_e32 v9, v20, v9
	v_cmp_eq_f32_e64 s[4:5], s29, v13
	s_mov_b32 s29, 0x33800000
	v_add_f32_e32 v9, v9, v21
	v_cmp_lt_f32_e64 s[30:31], |v13|, s29
	v_add_f32_e32 v9, v24, v9
	s_or_b64 s[4:5], s[4:5], s[30:31]
	v_cndmask_b32_e64 v9, v9, v13, s[4:5]
	v_add_f32_e32 v9, v12, v9
.LBB164_114:
	s_or_b64 exec, exec, s[26:27]
	v_max_f32_e32 v12, v9, v9
	v_min_f32_e32 v13, v12, v29
	v_cmp_u_f32_e64 s[4:5], v9, v9
	v_max_f32_e32 v12, v12, v29
	v_cndmask_b32_e64 v13, v13, v9, s[4:5]
	v_cndmask_b32_e64 v12, v12, v9, s[4:5]
	;; [unrolled: 1-line block ×4, first 2 shown]
	v_cmp_neq_f32_e64 s[4:5], v17, v13
	v_cmp_class_f32_e64 s[26:27], v17, s28
	s_or_b64 s[4:5], s[4:5], s[26:27]
	v_mov_b32_e32 v12, v9
	s_and_saveexec_b64 s[26:27], s[4:5]
	s_cbranch_execz .LBB164_116
; %bb.115:
	v_sub_f32_e32 v12, v17, v13
	s_mov_b32 s4, 0x3fb8aa3b
	v_mul_f32_e32 v14, 0x3fb8aa3b, v12
	v_fma_f32 v17, v12, s4, -v14
	v_rndne_f32_e32 v19, v14
	v_fmac_f32_e32 v17, 0x32a5705f, v12
	v_sub_f32_e32 v14, v14, v19
	v_add_f32_e32 v14, v14, v17
	v_exp_f32_e32 v14, v14
	v_cvt_i32_f32_e32 v17, v19
	s_mov_b32 s4, 0xc2ce8ed0
	v_cmp_ngt_f32_e64 s[4:5], s4, v12
	s_mov_b32 s28, 0x7f800000
	v_ldexp_f32 v14, v14, v17
	v_cndmask_b32_e64 v14, 0, v14, s[4:5]
	s_mov_b32 s4, 0x42b17218
	v_mov_b32_e32 v17, 0x7f800000
	v_cmp_nlt_f32_e64 s[4:5], s4, v12
	v_cndmask_b32_e64 v19, v17, v14, s[4:5]
	v_add_f32_e32 v12, 1.0, v19
	v_add_f32_e32 v14, -1.0, v12
	v_sub_f32_e32 v17, v14, v12
	v_add_f32_e32 v17, 1.0, v17
	v_sub_f32_e32 v14, v19, v14
	v_add_f32_e32 v14, v14, v17
	v_frexp_mant_f32_e32 v17, v12
	s_mov_b32 s4, 0x3f2aaaab
	v_cvt_f64_f32_e32 v[20:21], v12
	v_frexp_exp_i32_f64_e32 v20, v[20:21]
	v_cmp_gt_f32_e64 s[4:5], s4, v17
	v_subbrev_co_u32_e64 v17, s[4:5], 0, v20, s[4:5]
	v_sub_u32_e32 v20, 0, v17
	v_ldexp_f32 v12, v12, v20
	v_ldexp_f32 v14, v14, v20
	v_add_f32_e32 v20, -1.0, v12
	v_add_f32_e32 v21, 1.0, v20
	v_sub_f32_e32 v21, v12, v21
	v_add_f32_e32 v22, v14, v21
	v_add_f32_e32 v21, 1.0, v12
	v_add_f32_e32 v23, -1.0, v21
	v_sub_f32_e32 v12, v12, v23
	v_add_f32_e32 v12, v14, v12
	v_add_f32_e32 v14, v21, v12
	v_rcp_f32_e32 v28, v14
	v_sub_f32_e32 v21, v21, v14
	v_add_f32_e32 v12, v12, v21
	v_add_f32_e32 v21, v20, v22
	v_sub_f32_e32 v20, v20, v21
	v_mul_f32_e32 v31, v21, v28
	v_add_f32_e32 v29, v22, v20
	v_mul_f32_e32 v22, v14, v31
	v_fma_f32 v24, v31, v14, -v22
	v_fmac_f32_e32 v24, v31, v12
	v_add_f32_e32 v20, v22, v24
	v_sub_f32_e32 v23, v21, v20
	v_pk_add_f32 v[26:27], v[20:21], v[22:23] neg_lo:[0,1] neg_hi:[0,1]
	v_mov_b32_e32 v25, v20
	v_pk_add_f32 v[20:21], v[26:27], v[24:25] neg_lo:[0,1] neg_hi:[0,1]
	v_add_f32_e32 v21, v29, v21
	v_add_f32_e32 v20, v20, v21
	;; [unrolled: 1-line block ×3, first 2 shown]
	v_mul_f32_e32 v29, v28, v21
	v_mul_f32_e32 v22, v14, v29
	v_fma_f32 v24, v29, v14, -v22
	v_fmac_f32_e32 v24, v29, v12
	v_sub_f32_e32 v12, v23, v21
	v_add_f32_e32 v12, v20, v12
	v_add_f32_e32 v20, v22, v24
	v_sub_f32_e32 v23, v21, v20
	v_pk_add_f32 v[26:27], v[20:21], v[22:23] neg_lo:[0,1] neg_hi:[0,1]
	v_mov_b32_e32 v25, v20
	v_pk_add_f32 v[20:21], v[26:27], v[24:25] neg_lo:[0,1] neg_hi:[0,1]
	v_add_f32_e32 v12, v12, v21
	v_add_f32_e32 v12, v20, v12
	;; [unrolled: 1-line block ×4, first 2 shown]
	v_sub_f32_e32 v20, v14, v31
	v_mul_f32_e32 v12, v28, v12
	v_sub_f32_e32 v20, v29, v20
	v_add_f32_e32 v12, v20, v12
	v_add_f32_e32 v20, v14, v12
	v_mul_f32_e32 v23, v20, v20
	v_mov_b32_e32 v22, 0x3ecc95a3
	v_fmac_f32_e32 v22, 0x3e9b6dac, v23
	v_mov_b32_e32 v21, 0x3f2aaada
	v_fmac_f32_e32 v21, v23, v22
	v_cvt_f32_i32_e32 v22, v17
	v_sub_f32_e32 v14, v20, v14
	v_ldexp_f32 v25, v20, 1
	v_mul_f32_e32 v23, v20, v23
	v_mov_b32_e32 v20, 0x3f317218
	s_mov_b32 s4, 0x3f317218
	v_pk_mul_f32 v[20:21], v[22:23], v[20:21]
	v_fma_f32 v24, v22, s4, -v20
	v_fmac_f32_e32 v24, 0xb102e308, v22
	v_pk_add_f32 v[22:23], v[20:21], v[24:25]
	v_sub_f32_e32 v12, v12, v14
	v_sub_f32_e32 v14, v23, v25
	v_ldexp_f32 v12, v12, 1
	v_sub_f32_e32 v14, v21, v14
	v_add_f32_e32 v27, v12, v14
	v_mov_b32_e32 v26, v20
	v_pk_add_f32 v[20:21], v[22:23], v[20:21] neg_lo:[0,1] neg_hi:[0,1]
	v_pk_add_f32 v[28:29], v[22:23], v[26:27]
	v_mov_b32_e32 v21, v29
	v_mov_b32_e32 v25, v22
	v_pk_add_f32 v[32:33], v[24:25], v[20:21] neg_lo:[0,1] neg_hi:[0,1]
	v_pk_add_f32 v[20:21], v[24:25], v[20:21]
	v_mov_b32_e32 v12, v21
	v_pk_add_f32 v[24:25], v[12:13], v[22:23] neg_lo:[0,1] neg_hi:[0,1]
	v_mov_b32_e32 v17, v24
	s_waitcnt lgkmcnt(0)
	v_pk_add_f32 v[34:35], v[28:29], v[16:17] neg_lo:[0,1] neg_hi:[0,1]
	v_mov_b32_e32 v20, v29
	v_mov_b32_e32 v28, v23
	;; [unrolled: 1-line block ×4, first 2 shown]
	v_pk_add_f32 v[20:21], v[20:21], v[28:29] neg_lo:[0,1] neg_hi:[0,1]
	v_mov_b32_e32 v24, v27
	v_mov_b32_e32 v25, v22
	v_pk_add_f32 v[20:21], v[24:25], v[20:21] neg_lo:[0,1] neg_hi:[0,1]
	v_mov_b32_e32 v34, v32
	v_pk_add_f32 v[22:23], v[34:35], v[20:21]
	v_mov_b32_e32 v14, v23
	v_pk_add_f32 v[24:25], v[22:23], v[14:15]
	v_pk_add_f32 v[26:27], v[12:13], v[24:25]
	v_mov_b32_e32 v23, v26
	v_pk_add_f32 v[28:29], v[22:23], v[32:33] neg_lo:[0,1] neg_hi:[0,1]
	v_mov_b32_e32 v21, v24
	v_sub_f32_e32 v12, v22, v28
	v_pk_add_f32 v[20:21], v[20:21], v[28:29] neg_lo:[0,1] neg_hi:[0,1]
	v_sub_f32_e32 v12, v32, v12
	v_add_f32_e32 v12, v20, v12
	v_cmp_eq_f32_e64 s[4:5], s28, v19
	s_mov_b32 s28, 0x33800000
	v_add_f32_e32 v12, v12, v21
	v_cmp_lt_f32_e64 s[28:29], |v19|, s28
	v_add_f32_e32 v12, v26, v12
	s_or_b64 s[4:5], s[4:5], s[28:29]
	v_cndmask_b32_e64 v12, v12, v19, s[4:5]
	v_add_f32_e32 v12, v13, v12
.LBB164_116:
	s_or_b64 exec, exec, s[26:27]
	v_max_f32_e32 v13, v12, v12
	v_min_f32_e32 v14, v13, v30
	v_cmp_u_f32_e64 s[4:5], v12, v12
	v_max_f32_e32 v13, v13, v30
	v_cndmask_b32_e64 v14, v14, v12, s[4:5]
	v_cndmask_b32_e64 v13, v13, v12, s[4:5]
	;; [unrolled: 1-line block ×4, first 2 shown]
	s_movk_i32 s26, 0x1f8
	v_cmp_neq_f32_e64 s[4:5], v17, v14
	v_cmp_class_f32_e64 s[26:27], v17, s26
	s_or_b64 s[4:5], s[4:5], s[26:27]
	v_mov_b32_e32 v13, v12
	s_and_saveexec_b64 s[26:27], s[4:5]
	s_cbranch_execz .LBB164_118
; %bb.117:
	v_sub_f32_e32 v13, v17, v14
	s_mov_b32 s4, 0x3fb8aa3b
	v_mul_f32_e32 v15, 0x3fb8aa3b, v13
	v_fma_f32 v17, v13, s4, -v15
	v_rndne_f32_e32 v19, v15
	v_fmac_f32_e32 v17, 0x32a5705f, v13
	v_sub_f32_e32 v15, v15, v19
	v_add_f32_e32 v15, v15, v17
	v_exp_f32_e32 v15, v15
	v_cvt_i32_f32_e32 v17, v19
	s_mov_b32 s4, 0xc2ce8ed0
	v_cmp_ngt_f32_e64 s[4:5], s4, v13
	s_mov_b32 s28, 0x7f800000
	v_ldexp_f32 v15, v15, v17
	v_cndmask_b32_e64 v15, 0, v15, s[4:5]
	s_mov_b32 s4, 0x42b17218
	v_mov_b32_e32 v17, 0x7f800000
	v_cmp_nlt_f32_e64 s[4:5], s4, v13
	v_cndmask_b32_e64 v15, v17, v15, s[4:5]
	v_add_f32_e32 v13, 1.0, v15
	v_add_f32_e32 v17, -1.0, v13
	v_sub_f32_e32 v19, v17, v13
	v_add_f32_e32 v19, 1.0, v19
	v_sub_f32_e32 v17, v15, v17
	v_add_f32_e32 v17, v17, v19
	v_frexp_mant_f32_e32 v19, v13
	s_mov_b32 s4, 0x3f2aaaab
	v_cvt_f64_f32_e32 v[20:21], v13
	v_frexp_exp_i32_f64_e32 v20, v[20:21]
	v_cmp_gt_f32_e64 s[4:5], s4, v19
	v_subbrev_co_u32_e64 v19, s[4:5], 0, v20, s[4:5]
	v_sub_u32_e32 v20, 0, v19
	v_ldexp_f32 v13, v13, v20
	v_ldexp_f32 v17, v17, v20
	v_add_f32_e32 v20, -1.0, v13
	v_add_f32_e32 v21, 1.0, v20
	v_sub_f32_e32 v21, v13, v21
	v_add_f32_e32 v22, v17, v21
	v_add_f32_e32 v21, 1.0, v13
	v_add_f32_e32 v23, -1.0, v21
	v_sub_f32_e32 v13, v13, v23
	v_add_f32_e32 v13, v17, v13
	v_add_f32_e32 v17, v21, v13
	v_rcp_f32_e32 v28, v17
	v_sub_f32_e32 v21, v21, v17
	v_add_f32_e32 v13, v13, v21
	v_add_f32_e32 v21, v20, v22
	v_sub_f32_e32 v20, v20, v21
	v_mul_f32_e32 v30, v21, v28
	v_add_f32_e32 v29, v22, v20
	v_mul_f32_e32 v22, v17, v30
	v_fma_f32 v24, v30, v17, -v22
	v_fmac_f32_e32 v24, v30, v13
	v_add_f32_e32 v20, v22, v24
	v_sub_f32_e32 v23, v21, v20
	v_pk_add_f32 v[26:27], v[20:21], v[22:23] neg_lo:[0,1] neg_hi:[0,1]
	v_mov_b32_e32 v25, v20
	v_pk_add_f32 v[20:21], v[26:27], v[24:25] neg_lo:[0,1] neg_hi:[0,1]
	v_add_f32_e32 v21, v29, v21
	v_add_f32_e32 v20, v20, v21
	;; [unrolled: 1-line block ×3, first 2 shown]
	v_mul_f32_e32 v29, v28, v21
	v_mul_f32_e32 v22, v17, v29
	v_fma_f32 v24, v29, v17, -v22
	v_fmac_f32_e32 v24, v29, v13
	v_sub_f32_e32 v13, v23, v21
	v_add_f32_e32 v13, v20, v13
	v_add_f32_e32 v20, v22, v24
	v_sub_f32_e32 v23, v21, v20
	v_pk_add_f32 v[26:27], v[20:21], v[22:23] neg_lo:[0,1] neg_hi:[0,1]
	v_mov_b32_e32 v25, v20
	v_pk_add_f32 v[20:21], v[26:27], v[24:25] neg_lo:[0,1] neg_hi:[0,1]
	v_add_f32_e32 v13, v13, v21
	v_add_f32_e32 v13, v20, v13
	;; [unrolled: 1-line block ×4, first 2 shown]
	v_sub_f32_e32 v20, v17, v30
	v_mul_f32_e32 v13, v28, v13
	v_sub_f32_e32 v20, v29, v20
	v_add_f32_e32 v13, v20, v13
	v_add_f32_e32 v20, v17, v13
	v_mul_f32_e32 v23, v20, v20
	v_mov_b32_e32 v22, 0x3ecc95a3
	v_fmac_f32_e32 v22, 0x3e9b6dac, v23
	v_mov_b32_e32 v21, 0x3f2aaada
	v_fmac_f32_e32 v21, v23, v22
	v_cvt_f32_i32_e32 v22, v19
	v_sub_f32_e32 v17, v20, v17
	v_ldexp_f32 v25, v20, 1
	v_mul_f32_e32 v23, v20, v23
	v_mov_b32_e32 v20, 0x3f317218
	s_mov_b32 s4, 0x3f317218
	v_pk_mul_f32 v[20:21], v[22:23], v[20:21]
	v_fma_f32 v24, v22, s4, -v20
	v_fmac_f32_e32 v24, 0xb102e308, v22
	v_pk_add_f32 v[22:23], v[20:21], v[24:25]
	v_sub_f32_e32 v13, v13, v17
	v_sub_f32_e32 v17, v23, v25
	v_ldexp_f32 v13, v13, 1
	v_sub_f32_e32 v17, v21, v17
	v_add_f32_e32 v27, v13, v17
	v_mov_b32_e32 v26, v20
	v_pk_add_f32 v[20:21], v[22:23], v[20:21] neg_lo:[0,1] neg_hi:[0,1]
	v_pk_add_f32 v[28:29], v[22:23], v[26:27]
	v_mov_b32_e32 v21, v29
	v_mov_b32_e32 v25, v22
	v_pk_add_f32 v[30:31], v[24:25], v[20:21] neg_lo:[0,1] neg_hi:[0,1]
	v_pk_add_f32 v[20:21], v[24:25], v[20:21]
	v_mov_b32_e32 v24, v21
	v_pk_add_f32 v[32:33], v[24:25], v[22:23] neg_lo:[0,1] neg_hi:[0,1]
	v_mov_b32_e32 v13, v32
	s_waitcnt lgkmcnt(0)
	v_pk_add_f32 v[34:35], v[28:29], v[12:13] neg_lo:[0,1] neg_hi:[0,1]
	v_mov_b32_e32 v20, v29
	v_mov_b32_e32 v28, v23
	;; [unrolled: 1-line block ×4, first 2 shown]
	v_pk_add_f32 v[20:21], v[20:21], v[28:29] neg_lo:[0,1] neg_hi:[0,1]
	v_mov_b32_e32 v26, v27
	v_mov_b32_e32 v27, v22
	v_pk_add_f32 v[20:21], v[26:27], v[20:21] neg_lo:[0,1] neg_hi:[0,1]
	v_mov_b32_e32 v34, v30
	v_pk_add_f32 v[22:23], v[34:35], v[20:21]
	v_mov_b32_e32 v26, v23
	v_pk_add_f32 v[26:27], v[22:23], v[26:27]
	v_pk_add_f32 v[24:25], v[24:25], v[26:27]
	v_mov_b32_e32 v23, v24
	v_pk_add_f32 v[28:29], v[22:23], v[30:31] neg_lo:[0,1] neg_hi:[0,1]
	v_mov_b32_e32 v21, v26
	v_sub_f32_e32 v13, v22, v28
	v_pk_add_f32 v[20:21], v[20:21], v[28:29] neg_lo:[0,1] neg_hi:[0,1]
	v_sub_f32_e32 v13, v30, v13
	v_add_f32_e32 v13, v20, v13
	v_cmp_eq_f32_e64 s[4:5], s28, v15
	s_mov_b32 s28, 0x33800000
	v_add_f32_e32 v13, v13, v21
	v_cmp_lt_f32_e64 s[28:29], |v15|, s28
	v_add_f32_e32 v13, v24, v13
	s_or_b64 s[4:5], s[4:5], s[28:29]
	v_cndmask_b32_e64 v13, v13, v15, s[4:5]
	v_add_f32_e32 v13, v14, v13
.LBB164_118:
	s_or_b64 exec, exec, s[26:27]
	v_add_u32_e32 v14, v18, v16
	s_waitcnt lgkmcnt(0)
	s_barrier
	ds_write2_b64 v14, v[2:3], v[0:1] offset1:1
	ds_write2_b64 v14, v[4:5], v[10:11] offset0:2 offset1:3
	ds_write2_b64 v14, v[6:7], v[8:9] offset0:4 offset1:5
	ds_write_b64 v14, v[12:13] offset:48
	s_waitcnt lgkmcnt(0)
	s_barrier
	ds_read2st64_b32 v[12:13], v18 offset0:2 offset1:4
	ds_read2st64_b32 v[10:11], v18 offset0:6 offset1:8
	;; [unrolled: 1-line block ×6, first 2 shown]
	ds_read_b32 v14, v18 offset:6656
	v_mov_b32_e32 v1, s63
	v_add_co_u32_e64 v0, s[4:5], s62, v18
	v_addc_co_u32_e64 v1, s[4:5], 0, v1, s[4:5]
	s_and_saveexec_b64 s[4:5], vcc
	s_cbranch_execnz .LBB164_133
; %bb.119:
	s_or_b64 exec, exec, s[4:5]
	s_and_saveexec_b64 s[4:5], s[0:1]
	s_cbranch_execnz .LBB164_134
.LBB164_120:
	s_or_b64 exec, exec, s[4:5]
	s_and_saveexec_b64 s[0:1], s[2:3]
	s_cbranch_execnz .LBB164_135
.LBB164_121:
	s_or_b64 exec, exec, s[0:1]
	s_and_saveexec_b64 s[0:1], s[56:57]
	s_cbranch_execnz .LBB164_136
.LBB164_122:
	s_or_b64 exec, exec, s[0:1]
	s_and_saveexec_b64 s[0:1], s[6:7]
	s_cbranch_execnz .LBB164_137
.LBB164_123:
	s_or_b64 exec, exec, s[0:1]
	s_and_saveexec_b64 s[0:1], s[8:9]
	s_cbranch_execnz .LBB164_138
.LBB164_124:
	s_or_b64 exec, exec, s[0:1]
	s_and_saveexec_b64 s[0:1], s[10:11]
	s_cbranch_execnz .LBB164_139
.LBB164_125:
	s_or_b64 exec, exec, s[0:1]
	s_and_saveexec_b64 s[0:1], s[12:13]
	s_cbranch_execnz .LBB164_140
.LBB164_126:
	s_or_b64 exec, exec, s[0:1]
	s_and_saveexec_b64 s[0:1], s[14:15]
	s_cbranch_execnz .LBB164_141
.LBB164_127:
	s_or_b64 exec, exec, s[0:1]
	s_and_saveexec_b64 s[0:1], s[16:17]
	s_cbranch_execnz .LBB164_142
.LBB164_128:
	s_or_b64 exec, exec, s[0:1]
	s_and_saveexec_b64 s[0:1], s[18:19]
	s_cbranch_execnz .LBB164_143
.LBB164_129:
	s_or_b64 exec, exec, s[0:1]
	s_and_saveexec_b64 s[0:1], s[20:21]
	s_cbranch_execnz .LBB164_144
.LBB164_130:
	s_or_b64 exec, exec, s[0:1]
	s_and_saveexec_b64 s[0:1], s[22:23]
	s_cbranch_execnz .LBB164_145
.LBB164_131:
	s_or_b64 exec, exec, s[0:1]
	s_and_saveexec_b64 s[0:1], s[24:25]
	s_cbranch_execnz .LBB164_146
.LBB164_132:
	s_endpgm
.LBB164_133:
	ds_read_b32 v15, v18
	s_waitcnt lgkmcnt(0)
	global_store_dword v[0:1], v15, off
	s_or_b64 exec, exec, s[4:5]
	s_and_saveexec_b64 s[4:5], s[0:1]
	s_cbranch_execz .LBB164_120
.LBB164_134:
	s_waitcnt lgkmcnt(6)
	global_store_dword v[0:1], v12, off offset:512
	s_or_b64 exec, exec, s[4:5]
	s_and_saveexec_b64 s[0:1], s[2:3]
	s_cbranch_execz .LBB164_121
.LBB164_135:
	s_waitcnt lgkmcnt(6)
	global_store_dword v[0:1], v13, off offset:1024
	s_or_b64 exec, exec, s[0:1]
	s_and_saveexec_b64 s[0:1], s[56:57]
	s_cbranch_execz .LBB164_122
.LBB164_136:
	s_waitcnt lgkmcnt(5)
	global_store_dword v[0:1], v10, off offset:1536
	s_or_b64 exec, exec, s[0:1]
	s_and_saveexec_b64 s[0:1], s[6:7]
	s_cbranch_execz .LBB164_123
.LBB164_137:
	s_waitcnt lgkmcnt(5)
	global_store_dword v[0:1], v11, off offset:2048
	s_or_b64 exec, exec, s[0:1]
	s_and_saveexec_b64 s[0:1], s[8:9]
	s_cbranch_execz .LBB164_124
.LBB164_138:
	s_waitcnt lgkmcnt(4)
	global_store_dword v[0:1], v8, off offset:2560
	s_or_b64 exec, exec, s[0:1]
	s_and_saveexec_b64 s[0:1], s[10:11]
	s_cbranch_execz .LBB164_125
.LBB164_139:
	s_waitcnt lgkmcnt(4)
	global_store_dword v[0:1], v9, off offset:3072
	s_or_b64 exec, exec, s[0:1]
	s_and_saveexec_b64 s[0:1], s[12:13]
	s_cbranch_execz .LBB164_126
.LBB164_140:
	s_waitcnt lgkmcnt(3)
	global_store_dword v[0:1], v6, off offset:3584
	s_or_b64 exec, exec, s[0:1]
	s_and_saveexec_b64 s[0:1], s[14:15]
	s_cbranch_execz .LBB164_127
.LBB164_141:
	s_waitcnt lgkmcnt(4)
	v_add_co_u32_e32 v8, vcc, 0x1000, v0
	v_addc_co_u32_e32 v9, vcc, 0, v1, vcc
	s_waitcnt lgkmcnt(3)
	global_store_dword v[8:9], v7, off
	s_or_b64 exec, exec, s[0:1]
	s_and_saveexec_b64 s[0:1], s[16:17]
	s_cbranch_execz .LBB164_128
.LBB164_142:
	s_waitcnt lgkmcnt(3)
	v_add_co_u32_e32 v6, vcc, 0x1000, v0
	v_addc_co_u32_e32 v7, vcc, 0, v1, vcc
	s_waitcnt lgkmcnt(2)
	global_store_dword v[6:7], v4, off offset:512
	s_or_b64 exec, exec, s[0:1]
	s_and_saveexec_b64 s[0:1], s[18:19]
	s_cbranch_execz .LBB164_129
.LBB164_143:
	s_waitcnt lgkmcnt(3)
	v_add_co_u32_e32 v6, vcc, 0x1000, v0
	v_addc_co_u32_e32 v7, vcc, 0, v1, vcc
	s_waitcnt lgkmcnt(2)
	global_store_dword v[6:7], v5, off offset:1024
	s_or_b64 exec, exec, s[0:1]
	s_and_saveexec_b64 s[0:1], s[20:21]
	s_cbranch_execz .LBB164_130
.LBB164_144:
	s_waitcnt lgkmcnt(2)
	v_add_co_u32_e32 v4, vcc, 0x1000, v0
	v_addc_co_u32_e32 v5, vcc, 0, v1, vcc
	s_waitcnt lgkmcnt(1)
	global_store_dword v[4:5], v2, off offset:1536
	s_or_b64 exec, exec, s[0:1]
	s_and_saveexec_b64 s[0:1], s[22:23]
	s_cbranch_execz .LBB164_131
.LBB164_145:
	s_waitcnt lgkmcnt(2)
	v_add_co_u32_e32 v4, vcc, 0x1000, v0
	v_addc_co_u32_e32 v5, vcc, 0, v1, vcc
	s_waitcnt lgkmcnt(1)
	global_store_dword v[4:5], v3, off offset:2048
	s_or_b64 exec, exec, s[0:1]
	s_and_saveexec_b64 s[0:1], s[24:25]
	s_cbranch_execz .LBB164_132
.LBB164_146:
	v_add_co_u32_e32 v0, vcc, 0x1000, v0
	v_addc_co_u32_e32 v1, vcc, 0, v1, vcc
	s_waitcnt lgkmcnt(0)
	global_store_dword v[0:1], v14, off offset:2560
	s_endpgm
	.section	.rodata,"a",@progbits
	.p2align	6, 0x0
	.amdhsa_kernel _ZN7rocprim17ROCPRIM_400000_NS6detail17trampoline_kernelINS0_14default_configENS1_20scan_config_selectorIfEEZZNS1_9scan_implILNS1_25lookback_scan_determinismE0ELb0ELb0ES3_PKfPffZZZN2at6native31launch_logcumsumexp_cuda_kernelERKNSB_10TensorBaseESF_lENKUlvE_clEvENKUlvE0_clEvEUlffE_fEEDaPvRmT3_T4_T5_mT6_P12ihipStream_tbENKUlT_T0_E_clISt17integral_constantIbLb0EESV_IbLb1EEEEDaSR_SS_EUlSR_E0_NS1_11comp_targetILNS1_3genE4ELNS1_11target_archE910ELNS1_3gpuE8ELNS1_3repE0EEENS1_30default_config_static_selectorELNS0_4arch9wavefront6targetE1EEEvT1_
		.amdhsa_group_segment_fixed_size 7168
		.amdhsa_private_segment_fixed_size 0
		.amdhsa_kernarg_size 32
		.amdhsa_user_sgpr_count 6
		.amdhsa_user_sgpr_private_segment_buffer 1
		.amdhsa_user_sgpr_dispatch_ptr 0
		.amdhsa_user_sgpr_queue_ptr 0
		.amdhsa_user_sgpr_kernarg_segment_ptr 1
		.amdhsa_user_sgpr_dispatch_id 0
		.amdhsa_user_sgpr_flat_scratch_init 0
		.amdhsa_user_sgpr_kernarg_preload_length 0
		.amdhsa_user_sgpr_kernarg_preload_offset 0
		.amdhsa_user_sgpr_private_segment_size 0
		.amdhsa_uses_dynamic_stack 0
		.amdhsa_system_sgpr_private_segment_wavefront_offset 0
		.amdhsa_system_sgpr_workgroup_id_x 1
		.amdhsa_system_sgpr_workgroup_id_y 0
		.amdhsa_system_sgpr_workgroup_id_z 0
		.amdhsa_system_sgpr_workgroup_info 0
		.amdhsa_system_vgpr_workitem_id 0
		.amdhsa_next_free_vgpr 57
		.amdhsa_next_free_sgpr 70
		.amdhsa_accum_offset 60
		.amdhsa_reserve_vcc 1
		.amdhsa_reserve_flat_scratch 0
		.amdhsa_float_round_mode_32 0
		.amdhsa_float_round_mode_16_64 0
		.amdhsa_float_denorm_mode_32 3
		.amdhsa_float_denorm_mode_16_64 3
		.amdhsa_dx10_clamp 1
		.amdhsa_ieee_mode 1
		.amdhsa_fp16_overflow 0
		.amdhsa_tg_split 0
		.amdhsa_exception_fp_ieee_invalid_op 0
		.amdhsa_exception_fp_denorm_src 0
		.amdhsa_exception_fp_ieee_div_zero 0
		.amdhsa_exception_fp_ieee_overflow 0
		.amdhsa_exception_fp_ieee_underflow 0
		.amdhsa_exception_fp_ieee_inexact 0
		.amdhsa_exception_int_div_zero 0
	.end_amdhsa_kernel
	.section	.text._ZN7rocprim17ROCPRIM_400000_NS6detail17trampoline_kernelINS0_14default_configENS1_20scan_config_selectorIfEEZZNS1_9scan_implILNS1_25lookback_scan_determinismE0ELb0ELb0ES3_PKfPffZZZN2at6native31launch_logcumsumexp_cuda_kernelERKNSB_10TensorBaseESF_lENKUlvE_clEvENKUlvE0_clEvEUlffE_fEEDaPvRmT3_T4_T5_mT6_P12ihipStream_tbENKUlT_T0_E_clISt17integral_constantIbLb0EESV_IbLb1EEEEDaSR_SS_EUlSR_E0_NS1_11comp_targetILNS1_3genE4ELNS1_11target_archE910ELNS1_3gpuE8ELNS1_3repE0EEENS1_30default_config_static_selectorELNS0_4arch9wavefront6targetE1EEEvT1_,"axG",@progbits,_ZN7rocprim17ROCPRIM_400000_NS6detail17trampoline_kernelINS0_14default_configENS1_20scan_config_selectorIfEEZZNS1_9scan_implILNS1_25lookback_scan_determinismE0ELb0ELb0ES3_PKfPffZZZN2at6native31launch_logcumsumexp_cuda_kernelERKNSB_10TensorBaseESF_lENKUlvE_clEvENKUlvE0_clEvEUlffE_fEEDaPvRmT3_T4_T5_mT6_P12ihipStream_tbENKUlT_T0_E_clISt17integral_constantIbLb0EESV_IbLb1EEEEDaSR_SS_EUlSR_E0_NS1_11comp_targetILNS1_3genE4ELNS1_11target_archE910ELNS1_3gpuE8ELNS1_3repE0EEENS1_30default_config_static_selectorELNS0_4arch9wavefront6targetE1EEEvT1_,comdat
.Lfunc_end164:
	.size	_ZN7rocprim17ROCPRIM_400000_NS6detail17trampoline_kernelINS0_14default_configENS1_20scan_config_selectorIfEEZZNS1_9scan_implILNS1_25lookback_scan_determinismE0ELb0ELb0ES3_PKfPffZZZN2at6native31launch_logcumsumexp_cuda_kernelERKNSB_10TensorBaseESF_lENKUlvE_clEvENKUlvE0_clEvEUlffE_fEEDaPvRmT3_T4_T5_mT6_P12ihipStream_tbENKUlT_T0_E_clISt17integral_constantIbLb0EESV_IbLb1EEEEDaSR_SS_EUlSR_E0_NS1_11comp_targetILNS1_3genE4ELNS1_11target_archE910ELNS1_3gpuE8ELNS1_3repE0EEENS1_30default_config_static_selectorELNS0_4arch9wavefront6targetE1EEEvT1_, .Lfunc_end164-_ZN7rocprim17ROCPRIM_400000_NS6detail17trampoline_kernelINS0_14default_configENS1_20scan_config_selectorIfEEZZNS1_9scan_implILNS1_25lookback_scan_determinismE0ELb0ELb0ES3_PKfPffZZZN2at6native31launch_logcumsumexp_cuda_kernelERKNSB_10TensorBaseESF_lENKUlvE_clEvENKUlvE0_clEvEUlffE_fEEDaPvRmT3_T4_T5_mT6_P12ihipStream_tbENKUlT_T0_E_clISt17integral_constantIbLb0EESV_IbLb1EEEEDaSR_SS_EUlSR_E0_NS1_11comp_targetILNS1_3genE4ELNS1_11target_archE910ELNS1_3gpuE8ELNS1_3repE0EEENS1_30default_config_static_selectorELNS0_4arch9wavefront6targetE1EEEvT1_
                                        ; -- End function
	.section	.AMDGPU.csdata,"",@progbits
; Kernel info:
; codeLenInByte = 33048
; NumSgprs: 74
; NumVgprs: 57
; NumAgprs: 0
; TotalNumVgprs: 57
; ScratchSize: 0
; MemoryBound: 0
; FloatMode: 240
; IeeeMode: 1
; LDSByteSize: 7168 bytes/workgroup (compile time only)
; SGPRBlocks: 9
; VGPRBlocks: 7
; NumSGPRsForWavesPerEU: 74
; NumVGPRsForWavesPerEU: 57
; AccumOffset: 60
; Occupancy: 5
; WaveLimiterHint : 0
; COMPUTE_PGM_RSRC2:SCRATCH_EN: 0
; COMPUTE_PGM_RSRC2:USER_SGPR: 6
; COMPUTE_PGM_RSRC2:TRAP_HANDLER: 0
; COMPUTE_PGM_RSRC2:TGID_X_EN: 1
; COMPUTE_PGM_RSRC2:TGID_Y_EN: 0
; COMPUTE_PGM_RSRC2:TGID_Z_EN: 0
; COMPUTE_PGM_RSRC2:TIDIG_COMP_CNT: 0
; COMPUTE_PGM_RSRC3_GFX90A:ACCUM_OFFSET: 14
; COMPUTE_PGM_RSRC3_GFX90A:TG_SPLIT: 0
	.section	.text._ZN7rocprim17ROCPRIM_400000_NS6detail17trampoline_kernelINS0_14default_configENS1_20scan_config_selectorIfEEZZNS1_9scan_implILNS1_25lookback_scan_determinismE0ELb0ELb0ES3_PKfPffZZZN2at6native31launch_logcumsumexp_cuda_kernelERKNSB_10TensorBaseESF_lENKUlvE_clEvENKUlvE0_clEvEUlffE_fEEDaPvRmT3_T4_T5_mT6_P12ihipStream_tbENKUlT_T0_E_clISt17integral_constantIbLb0EESV_IbLb1EEEEDaSR_SS_EUlSR_E0_NS1_11comp_targetILNS1_3genE3ELNS1_11target_archE908ELNS1_3gpuE7ELNS1_3repE0EEENS1_30default_config_static_selectorELNS0_4arch9wavefront6targetE1EEEvT1_,"axG",@progbits,_ZN7rocprim17ROCPRIM_400000_NS6detail17trampoline_kernelINS0_14default_configENS1_20scan_config_selectorIfEEZZNS1_9scan_implILNS1_25lookback_scan_determinismE0ELb0ELb0ES3_PKfPffZZZN2at6native31launch_logcumsumexp_cuda_kernelERKNSB_10TensorBaseESF_lENKUlvE_clEvENKUlvE0_clEvEUlffE_fEEDaPvRmT3_T4_T5_mT6_P12ihipStream_tbENKUlT_T0_E_clISt17integral_constantIbLb0EESV_IbLb1EEEEDaSR_SS_EUlSR_E0_NS1_11comp_targetILNS1_3genE3ELNS1_11target_archE908ELNS1_3gpuE7ELNS1_3repE0EEENS1_30default_config_static_selectorELNS0_4arch9wavefront6targetE1EEEvT1_,comdat
	.globl	_ZN7rocprim17ROCPRIM_400000_NS6detail17trampoline_kernelINS0_14default_configENS1_20scan_config_selectorIfEEZZNS1_9scan_implILNS1_25lookback_scan_determinismE0ELb0ELb0ES3_PKfPffZZZN2at6native31launch_logcumsumexp_cuda_kernelERKNSB_10TensorBaseESF_lENKUlvE_clEvENKUlvE0_clEvEUlffE_fEEDaPvRmT3_T4_T5_mT6_P12ihipStream_tbENKUlT_T0_E_clISt17integral_constantIbLb0EESV_IbLb1EEEEDaSR_SS_EUlSR_E0_NS1_11comp_targetILNS1_3genE3ELNS1_11target_archE908ELNS1_3gpuE7ELNS1_3repE0EEENS1_30default_config_static_selectorELNS0_4arch9wavefront6targetE1EEEvT1_ ; -- Begin function _ZN7rocprim17ROCPRIM_400000_NS6detail17trampoline_kernelINS0_14default_configENS1_20scan_config_selectorIfEEZZNS1_9scan_implILNS1_25lookback_scan_determinismE0ELb0ELb0ES3_PKfPffZZZN2at6native31launch_logcumsumexp_cuda_kernelERKNSB_10TensorBaseESF_lENKUlvE_clEvENKUlvE0_clEvEUlffE_fEEDaPvRmT3_T4_T5_mT6_P12ihipStream_tbENKUlT_T0_E_clISt17integral_constantIbLb0EESV_IbLb1EEEEDaSR_SS_EUlSR_E0_NS1_11comp_targetILNS1_3genE3ELNS1_11target_archE908ELNS1_3gpuE7ELNS1_3repE0EEENS1_30default_config_static_selectorELNS0_4arch9wavefront6targetE1EEEvT1_
	.p2align	8
	.type	_ZN7rocprim17ROCPRIM_400000_NS6detail17trampoline_kernelINS0_14default_configENS1_20scan_config_selectorIfEEZZNS1_9scan_implILNS1_25lookback_scan_determinismE0ELb0ELb0ES3_PKfPffZZZN2at6native31launch_logcumsumexp_cuda_kernelERKNSB_10TensorBaseESF_lENKUlvE_clEvENKUlvE0_clEvEUlffE_fEEDaPvRmT3_T4_T5_mT6_P12ihipStream_tbENKUlT_T0_E_clISt17integral_constantIbLb0EESV_IbLb1EEEEDaSR_SS_EUlSR_E0_NS1_11comp_targetILNS1_3genE3ELNS1_11target_archE908ELNS1_3gpuE7ELNS1_3repE0EEENS1_30default_config_static_selectorELNS0_4arch9wavefront6targetE1EEEvT1_,@function
_ZN7rocprim17ROCPRIM_400000_NS6detail17trampoline_kernelINS0_14default_configENS1_20scan_config_selectorIfEEZZNS1_9scan_implILNS1_25lookback_scan_determinismE0ELb0ELb0ES3_PKfPffZZZN2at6native31launch_logcumsumexp_cuda_kernelERKNSB_10TensorBaseESF_lENKUlvE_clEvENKUlvE0_clEvEUlffE_fEEDaPvRmT3_T4_T5_mT6_P12ihipStream_tbENKUlT_T0_E_clISt17integral_constantIbLb0EESV_IbLb1EEEEDaSR_SS_EUlSR_E0_NS1_11comp_targetILNS1_3genE3ELNS1_11target_archE908ELNS1_3gpuE7ELNS1_3repE0EEENS1_30default_config_static_selectorELNS0_4arch9wavefront6targetE1EEEvT1_: ; @_ZN7rocprim17ROCPRIM_400000_NS6detail17trampoline_kernelINS0_14default_configENS1_20scan_config_selectorIfEEZZNS1_9scan_implILNS1_25lookback_scan_determinismE0ELb0ELb0ES3_PKfPffZZZN2at6native31launch_logcumsumexp_cuda_kernelERKNSB_10TensorBaseESF_lENKUlvE_clEvENKUlvE0_clEvEUlffE_fEEDaPvRmT3_T4_T5_mT6_P12ihipStream_tbENKUlT_T0_E_clISt17integral_constantIbLb0EESV_IbLb1EEEEDaSR_SS_EUlSR_E0_NS1_11comp_targetILNS1_3genE3ELNS1_11target_archE908ELNS1_3gpuE7ELNS1_3repE0EEENS1_30default_config_static_selectorELNS0_4arch9wavefront6targetE1EEEvT1_
; %bb.0:
	.section	.rodata,"a",@progbits
	.p2align	6, 0x0
	.amdhsa_kernel _ZN7rocprim17ROCPRIM_400000_NS6detail17trampoline_kernelINS0_14default_configENS1_20scan_config_selectorIfEEZZNS1_9scan_implILNS1_25lookback_scan_determinismE0ELb0ELb0ES3_PKfPffZZZN2at6native31launch_logcumsumexp_cuda_kernelERKNSB_10TensorBaseESF_lENKUlvE_clEvENKUlvE0_clEvEUlffE_fEEDaPvRmT3_T4_T5_mT6_P12ihipStream_tbENKUlT_T0_E_clISt17integral_constantIbLb0EESV_IbLb1EEEEDaSR_SS_EUlSR_E0_NS1_11comp_targetILNS1_3genE3ELNS1_11target_archE908ELNS1_3gpuE7ELNS1_3repE0EEENS1_30default_config_static_selectorELNS0_4arch9wavefront6targetE1EEEvT1_
		.amdhsa_group_segment_fixed_size 0
		.amdhsa_private_segment_fixed_size 0
		.amdhsa_kernarg_size 32
		.amdhsa_user_sgpr_count 6
		.amdhsa_user_sgpr_private_segment_buffer 1
		.amdhsa_user_sgpr_dispatch_ptr 0
		.amdhsa_user_sgpr_queue_ptr 0
		.amdhsa_user_sgpr_kernarg_segment_ptr 1
		.amdhsa_user_sgpr_dispatch_id 0
		.amdhsa_user_sgpr_flat_scratch_init 0
		.amdhsa_user_sgpr_kernarg_preload_length 0
		.amdhsa_user_sgpr_kernarg_preload_offset 0
		.amdhsa_user_sgpr_private_segment_size 0
		.amdhsa_uses_dynamic_stack 0
		.amdhsa_system_sgpr_private_segment_wavefront_offset 0
		.amdhsa_system_sgpr_workgroup_id_x 1
		.amdhsa_system_sgpr_workgroup_id_y 0
		.amdhsa_system_sgpr_workgroup_id_z 0
		.amdhsa_system_sgpr_workgroup_info 0
		.amdhsa_system_vgpr_workitem_id 0
		.amdhsa_next_free_vgpr 1
		.amdhsa_next_free_sgpr 0
		.amdhsa_accum_offset 4
		.amdhsa_reserve_vcc 0
		.amdhsa_reserve_flat_scratch 0
		.amdhsa_float_round_mode_32 0
		.amdhsa_float_round_mode_16_64 0
		.amdhsa_float_denorm_mode_32 3
		.amdhsa_float_denorm_mode_16_64 3
		.amdhsa_dx10_clamp 1
		.amdhsa_ieee_mode 1
		.amdhsa_fp16_overflow 0
		.amdhsa_tg_split 0
		.amdhsa_exception_fp_ieee_invalid_op 0
		.amdhsa_exception_fp_denorm_src 0
		.amdhsa_exception_fp_ieee_div_zero 0
		.amdhsa_exception_fp_ieee_overflow 0
		.amdhsa_exception_fp_ieee_underflow 0
		.amdhsa_exception_fp_ieee_inexact 0
		.amdhsa_exception_int_div_zero 0
	.end_amdhsa_kernel
	.section	.text._ZN7rocprim17ROCPRIM_400000_NS6detail17trampoline_kernelINS0_14default_configENS1_20scan_config_selectorIfEEZZNS1_9scan_implILNS1_25lookback_scan_determinismE0ELb0ELb0ES3_PKfPffZZZN2at6native31launch_logcumsumexp_cuda_kernelERKNSB_10TensorBaseESF_lENKUlvE_clEvENKUlvE0_clEvEUlffE_fEEDaPvRmT3_T4_T5_mT6_P12ihipStream_tbENKUlT_T0_E_clISt17integral_constantIbLb0EESV_IbLb1EEEEDaSR_SS_EUlSR_E0_NS1_11comp_targetILNS1_3genE3ELNS1_11target_archE908ELNS1_3gpuE7ELNS1_3repE0EEENS1_30default_config_static_selectorELNS0_4arch9wavefront6targetE1EEEvT1_,"axG",@progbits,_ZN7rocprim17ROCPRIM_400000_NS6detail17trampoline_kernelINS0_14default_configENS1_20scan_config_selectorIfEEZZNS1_9scan_implILNS1_25lookback_scan_determinismE0ELb0ELb0ES3_PKfPffZZZN2at6native31launch_logcumsumexp_cuda_kernelERKNSB_10TensorBaseESF_lENKUlvE_clEvENKUlvE0_clEvEUlffE_fEEDaPvRmT3_T4_T5_mT6_P12ihipStream_tbENKUlT_T0_E_clISt17integral_constantIbLb0EESV_IbLb1EEEEDaSR_SS_EUlSR_E0_NS1_11comp_targetILNS1_3genE3ELNS1_11target_archE908ELNS1_3gpuE7ELNS1_3repE0EEENS1_30default_config_static_selectorELNS0_4arch9wavefront6targetE1EEEvT1_,comdat
.Lfunc_end165:
	.size	_ZN7rocprim17ROCPRIM_400000_NS6detail17trampoline_kernelINS0_14default_configENS1_20scan_config_selectorIfEEZZNS1_9scan_implILNS1_25lookback_scan_determinismE0ELb0ELb0ES3_PKfPffZZZN2at6native31launch_logcumsumexp_cuda_kernelERKNSB_10TensorBaseESF_lENKUlvE_clEvENKUlvE0_clEvEUlffE_fEEDaPvRmT3_T4_T5_mT6_P12ihipStream_tbENKUlT_T0_E_clISt17integral_constantIbLb0EESV_IbLb1EEEEDaSR_SS_EUlSR_E0_NS1_11comp_targetILNS1_3genE3ELNS1_11target_archE908ELNS1_3gpuE7ELNS1_3repE0EEENS1_30default_config_static_selectorELNS0_4arch9wavefront6targetE1EEEvT1_, .Lfunc_end165-_ZN7rocprim17ROCPRIM_400000_NS6detail17trampoline_kernelINS0_14default_configENS1_20scan_config_selectorIfEEZZNS1_9scan_implILNS1_25lookback_scan_determinismE0ELb0ELb0ES3_PKfPffZZZN2at6native31launch_logcumsumexp_cuda_kernelERKNSB_10TensorBaseESF_lENKUlvE_clEvENKUlvE0_clEvEUlffE_fEEDaPvRmT3_T4_T5_mT6_P12ihipStream_tbENKUlT_T0_E_clISt17integral_constantIbLb0EESV_IbLb1EEEEDaSR_SS_EUlSR_E0_NS1_11comp_targetILNS1_3genE3ELNS1_11target_archE908ELNS1_3gpuE7ELNS1_3repE0EEENS1_30default_config_static_selectorELNS0_4arch9wavefront6targetE1EEEvT1_
                                        ; -- End function
	.section	.AMDGPU.csdata,"",@progbits
; Kernel info:
; codeLenInByte = 0
; NumSgprs: 4
; NumVgprs: 0
; NumAgprs: 0
; TotalNumVgprs: 0
; ScratchSize: 0
; MemoryBound: 0
; FloatMode: 240
; IeeeMode: 1
; LDSByteSize: 0 bytes/workgroup (compile time only)
; SGPRBlocks: 0
; VGPRBlocks: 0
; NumSGPRsForWavesPerEU: 4
; NumVGPRsForWavesPerEU: 1
; AccumOffset: 4
; Occupancy: 8
; WaveLimiterHint : 0
; COMPUTE_PGM_RSRC2:SCRATCH_EN: 0
; COMPUTE_PGM_RSRC2:USER_SGPR: 6
; COMPUTE_PGM_RSRC2:TRAP_HANDLER: 0
; COMPUTE_PGM_RSRC2:TGID_X_EN: 1
; COMPUTE_PGM_RSRC2:TGID_Y_EN: 0
; COMPUTE_PGM_RSRC2:TGID_Z_EN: 0
; COMPUTE_PGM_RSRC2:TIDIG_COMP_CNT: 0
; COMPUTE_PGM_RSRC3_GFX90A:ACCUM_OFFSET: 0
; COMPUTE_PGM_RSRC3_GFX90A:TG_SPLIT: 0
	.section	.text._ZN7rocprim17ROCPRIM_400000_NS6detail17trampoline_kernelINS0_14default_configENS1_20scan_config_selectorIfEEZZNS1_9scan_implILNS1_25lookback_scan_determinismE0ELb0ELb0ES3_PKfPffZZZN2at6native31launch_logcumsumexp_cuda_kernelERKNSB_10TensorBaseESF_lENKUlvE_clEvENKUlvE0_clEvEUlffE_fEEDaPvRmT3_T4_T5_mT6_P12ihipStream_tbENKUlT_T0_E_clISt17integral_constantIbLb0EESV_IbLb1EEEEDaSR_SS_EUlSR_E0_NS1_11comp_targetILNS1_3genE2ELNS1_11target_archE906ELNS1_3gpuE6ELNS1_3repE0EEENS1_30default_config_static_selectorELNS0_4arch9wavefront6targetE1EEEvT1_,"axG",@progbits,_ZN7rocprim17ROCPRIM_400000_NS6detail17trampoline_kernelINS0_14default_configENS1_20scan_config_selectorIfEEZZNS1_9scan_implILNS1_25lookback_scan_determinismE0ELb0ELb0ES3_PKfPffZZZN2at6native31launch_logcumsumexp_cuda_kernelERKNSB_10TensorBaseESF_lENKUlvE_clEvENKUlvE0_clEvEUlffE_fEEDaPvRmT3_T4_T5_mT6_P12ihipStream_tbENKUlT_T0_E_clISt17integral_constantIbLb0EESV_IbLb1EEEEDaSR_SS_EUlSR_E0_NS1_11comp_targetILNS1_3genE2ELNS1_11target_archE906ELNS1_3gpuE6ELNS1_3repE0EEENS1_30default_config_static_selectorELNS0_4arch9wavefront6targetE1EEEvT1_,comdat
	.globl	_ZN7rocprim17ROCPRIM_400000_NS6detail17trampoline_kernelINS0_14default_configENS1_20scan_config_selectorIfEEZZNS1_9scan_implILNS1_25lookback_scan_determinismE0ELb0ELb0ES3_PKfPffZZZN2at6native31launch_logcumsumexp_cuda_kernelERKNSB_10TensorBaseESF_lENKUlvE_clEvENKUlvE0_clEvEUlffE_fEEDaPvRmT3_T4_T5_mT6_P12ihipStream_tbENKUlT_T0_E_clISt17integral_constantIbLb0EESV_IbLb1EEEEDaSR_SS_EUlSR_E0_NS1_11comp_targetILNS1_3genE2ELNS1_11target_archE906ELNS1_3gpuE6ELNS1_3repE0EEENS1_30default_config_static_selectorELNS0_4arch9wavefront6targetE1EEEvT1_ ; -- Begin function _ZN7rocprim17ROCPRIM_400000_NS6detail17trampoline_kernelINS0_14default_configENS1_20scan_config_selectorIfEEZZNS1_9scan_implILNS1_25lookback_scan_determinismE0ELb0ELb0ES3_PKfPffZZZN2at6native31launch_logcumsumexp_cuda_kernelERKNSB_10TensorBaseESF_lENKUlvE_clEvENKUlvE0_clEvEUlffE_fEEDaPvRmT3_T4_T5_mT6_P12ihipStream_tbENKUlT_T0_E_clISt17integral_constantIbLb0EESV_IbLb1EEEEDaSR_SS_EUlSR_E0_NS1_11comp_targetILNS1_3genE2ELNS1_11target_archE906ELNS1_3gpuE6ELNS1_3repE0EEENS1_30default_config_static_selectorELNS0_4arch9wavefront6targetE1EEEvT1_
	.p2align	8
	.type	_ZN7rocprim17ROCPRIM_400000_NS6detail17trampoline_kernelINS0_14default_configENS1_20scan_config_selectorIfEEZZNS1_9scan_implILNS1_25lookback_scan_determinismE0ELb0ELb0ES3_PKfPffZZZN2at6native31launch_logcumsumexp_cuda_kernelERKNSB_10TensorBaseESF_lENKUlvE_clEvENKUlvE0_clEvEUlffE_fEEDaPvRmT3_T4_T5_mT6_P12ihipStream_tbENKUlT_T0_E_clISt17integral_constantIbLb0EESV_IbLb1EEEEDaSR_SS_EUlSR_E0_NS1_11comp_targetILNS1_3genE2ELNS1_11target_archE906ELNS1_3gpuE6ELNS1_3repE0EEENS1_30default_config_static_selectorELNS0_4arch9wavefront6targetE1EEEvT1_,@function
_ZN7rocprim17ROCPRIM_400000_NS6detail17trampoline_kernelINS0_14default_configENS1_20scan_config_selectorIfEEZZNS1_9scan_implILNS1_25lookback_scan_determinismE0ELb0ELb0ES3_PKfPffZZZN2at6native31launch_logcumsumexp_cuda_kernelERKNSB_10TensorBaseESF_lENKUlvE_clEvENKUlvE0_clEvEUlffE_fEEDaPvRmT3_T4_T5_mT6_P12ihipStream_tbENKUlT_T0_E_clISt17integral_constantIbLb0EESV_IbLb1EEEEDaSR_SS_EUlSR_E0_NS1_11comp_targetILNS1_3genE2ELNS1_11target_archE906ELNS1_3gpuE6ELNS1_3repE0EEENS1_30default_config_static_selectorELNS0_4arch9wavefront6targetE1EEEvT1_: ; @_ZN7rocprim17ROCPRIM_400000_NS6detail17trampoline_kernelINS0_14default_configENS1_20scan_config_selectorIfEEZZNS1_9scan_implILNS1_25lookback_scan_determinismE0ELb0ELb0ES3_PKfPffZZZN2at6native31launch_logcumsumexp_cuda_kernelERKNSB_10TensorBaseESF_lENKUlvE_clEvENKUlvE0_clEvEUlffE_fEEDaPvRmT3_T4_T5_mT6_P12ihipStream_tbENKUlT_T0_E_clISt17integral_constantIbLb0EESV_IbLb1EEEEDaSR_SS_EUlSR_E0_NS1_11comp_targetILNS1_3genE2ELNS1_11target_archE906ELNS1_3gpuE6ELNS1_3repE0EEENS1_30default_config_static_selectorELNS0_4arch9wavefront6targetE1EEEvT1_
; %bb.0:
	.section	.rodata,"a",@progbits
	.p2align	6, 0x0
	.amdhsa_kernel _ZN7rocprim17ROCPRIM_400000_NS6detail17trampoline_kernelINS0_14default_configENS1_20scan_config_selectorIfEEZZNS1_9scan_implILNS1_25lookback_scan_determinismE0ELb0ELb0ES3_PKfPffZZZN2at6native31launch_logcumsumexp_cuda_kernelERKNSB_10TensorBaseESF_lENKUlvE_clEvENKUlvE0_clEvEUlffE_fEEDaPvRmT3_T4_T5_mT6_P12ihipStream_tbENKUlT_T0_E_clISt17integral_constantIbLb0EESV_IbLb1EEEEDaSR_SS_EUlSR_E0_NS1_11comp_targetILNS1_3genE2ELNS1_11target_archE906ELNS1_3gpuE6ELNS1_3repE0EEENS1_30default_config_static_selectorELNS0_4arch9wavefront6targetE1EEEvT1_
		.amdhsa_group_segment_fixed_size 0
		.amdhsa_private_segment_fixed_size 0
		.amdhsa_kernarg_size 32
		.amdhsa_user_sgpr_count 6
		.amdhsa_user_sgpr_private_segment_buffer 1
		.amdhsa_user_sgpr_dispatch_ptr 0
		.amdhsa_user_sgpr_queue_ptr 0
		.amdhsa_user_sgpr_kernarg_segment_ptr 1
		.amdhsa_user_sgpr_dispatch_id 0
		.amdhsa_user_sgpr_flat_scratch_init 0
		.amdhsa_user_sgpr_kernarg_preload_length 0
		.amdhsa_user_sgpr_kernarg_preload_offset 0
		.amdhsa_user_sgpr_private_segment_size 0
		.amdhsa_uses_dynamic_stack 0
		.amdhsa_system_sgpr_private_segment_wavefront_offset 0
		.amdhsa_system_sgpr_workgroup_id_x 1
		.amdhsa_system_sgpr_workgroup_id_y 0
		.amdhsa_system_sgpr_workgroup_id_z 0
		.amdhsa_system_sgpr_workgroup_info 0
		.amdhsa_system_vgpr_workitem_id 0
		.amdhsa_next_free_vgpr 1
		.amdhsa_next_free_sgpr 0
		.amdhsa_accum_offset 4
		.amdhsa_reserve_vcc 0
		.amdhsa_reserve_flat_scratch 0
		.amdhsa_float_round_mode_32 0
		.amdhsa_float_round_mode_16_64 0
		.amdhsa_float_denorm_mode_32 3
		.amdhsa_float_denorm_mode_16_64 3
		.amdhsa_dx10_clamp 1
		.amdhsa_ieee_mode 1
		.amdhsa_fp16_overflow 0
		.amdhsa_tg_split 0
		.amdhsa_exception_fp_ieee_invalid_op 0
		.amdhsa_exception_fp_denorm_src 0
		.amdhsa_exception_fp_ieee_div_zero 0
		.amdhsa_exception_fp_ieee_overflow 0
		.amdhsa_exception_fp_ieee_underflow 0
		.amdhsa_exception_fp_ieee_inexact 0
		.amdhsa_exception_int_div_zero 0
	.end_amdhsa_kernel
	.section	.text._ZN7rocprim17ROCPRIM_400000_NS6detail17trampoline_kernelINS0_14default_configENS1_20scan_config_selectorIfEEZZNS1_9scan_implILNS1_25lookback_scan_determinismE0ELb0ELb0ES3_PKfPffZZZN2at6native31launch_logcumsumexp_cuda_kernelERKNSB_10TensorBaseESF_lENKUlvE_clEvENKUlvE0_clEvEUlffE_fEEDaPvRmT3_T4_T5_mT6_P12ihipStream_tbENKUlT_T0_E_clISt17integral_constantIbLb0EESV_IbLb1EEEEDaSR_SS_EUlSR_E0_NS1_11comp_targetILNS1_3genE2ELNS1_11target_archE906ELNS1_3gpuE6ELNS1_3repE0EEENS1_30default_config_static_selectorELNS0_4arch9wavefront6targetE1EEEvT1_,"axG",@progbits,_ZN7rocprim17ROCPRIM_400000_NS6detail17trampoline_kernelINS0_14default_configENS1_20scan_config_selectorIfEEZZNS1_9scan_implILNS1_25lookback_scan_determinismE0ELb0ELb0ES3_PKfPffZZZN2at6native31launch_logcumsumexp_cuda_kernelERKNSB_10TensorBaseESF_lENKUlvE_clEvENKUlvE0_clEvEUlffE_fEEDaPvRmT3_T4_T5_mT6_P12ihipStream_tbENKUlT_T0_E_clISt17integral_constantIbLb0EESV_IbLb1EEEEDaSR_SS_EUlSR_E0_NS1_11comp_targetILNS1_3genE2ELNS1_11target_archE906ELNS1_3gpuE6ELNS1_3repE0EEENS1_30default_config_static_selectorELNS0_4arch9wavefront6targetE1EEEvT1_,comdat
.Lfunc_end166:
	.size	_ZN7rocprim17ROCPRIM_400000_NS6detail17trampoline_kernelINS0_14default_configENS1_20scan_config_selectorIfEEZZNS1_9scan_implILNS1_25lookback_scan_determinismE0ELb0ELb0ES3_PKfPffZZZN2at6native31launch_logcumsumexp_cuda_kernelERKNSB_10TensorBaseESF_lENKUlvE_clEvENKUlvE0_clEvEUlffE_fEEDaPvRmT3_T4_T5_mT6_P12ihipStream_tbENKUlT_T0_E_clISt17integral_constantIbLb0EESV_IbLb1EEEEDaSR_SS_EUlSR_E0_NS1_11comp_targetILNS1_3genE2ELNS1_11target_archE906ELNS1_3gpuE6ELNS1_3repE0EEENS1_30default_config_static_selectorELNS0_4arch9wavefront6targetE1EEEvT1_, .Lfunc_end166-_ZN7rocprim17ROCPRIM_400000_NS6detail17trampoline_kernelINS0_14default_configENS1_20scan_config_selectorIfEEZZNS1_9scan_implILNS1_25lookback_scan_determinismE0ELb0ELb0ES3_PKfPffZZZN2at6native31launch_logcumsumexp_cuda_kernelERKNSB_10TensorBaseESF_lENKUlvE_clEvENKUlvE0_clEvEUlffE_fEEDaPvRmT3_T4_T5_mT6_P12ihipStream_tbENKUlT_T0_E_clISt17integral_constantIbLb0EESV_IbLb1EEEEDaSR_SS_EUlSR_E0_NS1_11comp_targetILNS1_3genE2ELNS1_11target_archE906ELNS1_3gpuE6ELNS1_3repE0EEENS1_30default_config_static_selectorELNS0_4arch9wavefront6targetE1EEEvT1_
                                        ; -- End function
	.section	.AMDGPU.csdata,"",@progbits
; Kernel info:
; codeLenInByte = 0
; NumSgprs: 4
; NumVgprs: 0
; NumAgprs: 0
; TotalNumVgprs: 0
; ScratchSize: 0
; MemoryBound: 0
; FloatMode: 240
; IeeeMode: 1
; LDSByteSize: 0 bytes/workgroup (compile time only)
; SGPRBlocks: 0
; VGPRBlocks: 0
; NumSGPRsForWavesPerEU: 4
; NumVGPRsForWavesPerEU: 1
; AccumOffset: 4
; Occupancy: 8
; WaveLimiterHint : 0
; COMPUTE_PGM_RSRC2:SCRATCH_EN: 0
; COMPUTE_PGM_RSRC2:USER_SGPR: 6
; COMPUTE_PGM_RSRC2:TRAP_HANDLER: 0
; COMPUTE_PGM_RSRC2:TGID_X_EN: 1
; COMPUTE_PGM_RSRC2:TGID_Y_EN: 0
; COMPUTE_PGM_RSRC2:TGID_Z_EN: 0
; COMPUTE_PGM_RSRC2:TIDIG_COMP_CNT: 0
; COMPUTE_PGM_RSRC3_GFX90A:ACCUM_OFFSET: 0
; COMPUTE_PGM_RSRC3_GFX90A:TG_SPLIT: 0
	.section	.text._ZN7rocprim17ROCPRIM_400000_NS6detail17trampoline_kernelINS0_14default_configENS1_20scan_config_selectorIfEEZZNS1_9scan_implILNS1_25lookback_scan_determinismE0ELb0ELb0ES3_PKfPffZZZN2at6native31launch_logcumsumexp_cuda_kernelERKNSB_10TensorBaseESF_lENKUlvE_clEvENKUlvE0_clEvEUlffE_fEEDaPvRmT3_T4_T5_mT6_P12ihipStream_tbENKUlT_T0_E_clISt17integral_constantIbLb0EESV_IbLb1EEEEDaSR_SS_EUlSR_E0_NS1_11comp_targetILNS1_3genE10ELNS1_11target_archE1201ELNS1_3gpuE5ELNS1_3repE0EEENS1_30default_config_static_selectorELNS0_4arch9wavefront6targetE1EEEvT1_,"axG",@progbits,_ZN7rocprim17ROCPRIM_400000_NS6detail17trampoline_kernelINS0_14default_configENS1_20scan_config_selectorIfEEZZNS1_9scan_implILNS1_25lookback_scan_determinismE0ELb0ELb0ES3_PKfPffZZZN2at6native31launch_logcumsumexp_cuda_kernelERKNSB_10TensorBaseESF_lENKUlvE_clEvENKUlvE0_clEvEUlffE_fEEDaPvRmT3_T4_T5_mT6_P12ihipStream_tbENKUlT_T0_E_clISt17integral_constantIbLb0EESV_IbLb1EEEEDaSR_SS_EUlSR_E0_NS1_11comp_targetILNS1_3genE10ELNS1_11target_archE1201ELNS1_3gpuE5ELNS1_3repE0EEENS1_30default_config_static_selectorELNS0_4arch9wavefront6targetE1EEEvT1_,comdat
	.globl	_ZN7rocprim17ROCPRIM_400000_NS6detail17trampoline_kernelINS0_14default_configENS1_20scan_config_selectorIfEEZZNS1_9scan_implILNS1_25lookback_scan_determinismE0ELb0ELb0ES3_PKfPffZZZN2at6native31launch_logcumsumexp_cuda_kernelERKNSB_10TensorBaseESF_lENKUlvE_clEvENKUlvE0_clEvEUlffE_fEEDaPvRmT3_T4_T5_mT6_P12ihipStream_tbENKUlT_T0_E_clISt17integral_constantIbLb0EESV_IbLb1EEEEDaSR_SS_EUlSR_E0_NS1_11comp_targetILNS1_3genE10ELNS1_11target_archE1201ELNS1_3gpuE5ELNS1_3repE0EEENS1_30default_config_static_selectorELNS0_4arch9wavefront6targetE1EEEvT1_ ; -- Begin function _ZN7rocprim17ROCPRIM_400000_NS6detail17trampoline_kernelINS0_14default_configENS1_20scan_config_selectorIfEEZZNS1_9scan_implILNS1_25lookback_scan_determinismE0ELb0ELb0ES3_PKfPffZZZN2at6native31launch_logcumsumexp_cuda_kernelERKNSB_10TensorBaseESF_lENKUlvE_clEvENKUlvE0_clEvEUlffE_fEEDaPvRmT3_T4_T5_mT6_P12ihipStream_tbENKUlT_T0_E_clISt17integral_constantIbLb0EESV_IbLb1EEEEDaSR_SS_EUlSR_E0_NS1_11comp_targetILNS1_3genE10ELNS1_11target_archE1201ELNS1_3gpuE5ELNS1_3repE0EEENS1_30default_config_static_selectorELNS0_4arch9wavefront6targetE1EEEvT1_
	.p2align	8
	.type	_ZN7rocprim17ROCPRIM_400000_NS6detail17trampoline_kernelINS0_14default_configENS1_20scan_config_selectorIfEEZZNS1_9scan_implILNS1_25lookback_scan_determinismE0ELb0ELb0ES3_PKfPffZZZN2at6native31launch_logcumsumexp_cuda_kernelERKNSB_10TensorBaseESF_lENKUlvE_clEvENKUlvE0_clEvEUlffE_fEEDaPvRmT3_T4_T5_mT6_P12ihipStream_tbENKUlT_T0_E_clISt17integral_constantIbLb0EESV_IbLb1EEEEDaSR_SS_EUlSR_E0_NS1_11comp_targetILNS1_3genE10ELNS1_11target_archE1201ELNS1_3gpuE5ELNS1_3repE0EEENS1_30default_config_static_selectorELNS0_4arch9wavefront6targetE1EEEvT1_,@function
_ZN7rocprim17ROCPRIM_400000_NS6detail17trampoline_kernelINS0_14default_configENS1_20scan_config_selectorIfEEZZNS1_9scan_implILNS1_25lookback_scan_determinismE0ELb0ELb0ES3_PKfPffZZZN2at6native31launch_logcumsumexp_cuda_kernelERKNSB_10TensorBaseESF_lENKUlvE_clEvENKUlvE0_clEvEUlffE_fEEDaPvRmT3_T4_T5_mT6_P12ihipStream_tbENKUlT_T0_E_clISt17integral_constantIbLb0EESV_IbLb1EEEEDaSR_SS_EUlSR_E0_NS1_11comp_targetILNS1_3genE10ELNS1_11target_archE1201ELNS1_3gpuE5ELNS1_3repE0EEENS1_30default_config_static_selectorELNS0_4arch9wavefront6targetE1EEEvT1_: ; @_ZN7rocprim17ROCPRIM_400000_NS6detail17trampoline_kernelINS0_14default_configENS1_20scan_config_selectorIfEEZZNS1_9scan_implILNS1_25lookback_scan_determinismE0ELb0ELb0ES3_PKfPffZZZN2at6native31launch_logcumsumexp_cuda_kernelERKNSB_10TensorBaseESF_lENKUlvE_clEvENKUlvE0_clEvEUlffE_fEEDaPvRmT3_T4_T5_mT6_P12ihipStream_tbENKUlT_T0_E_clISt17integral_constantIbLb0EESV_IbLb1EEEEDaSR_SS_EUlSR_E0_NS1_11comp_targetILNS1_3genE10ELNS1_11target_archE1201ELNS1_3gpuE5ELNS1_3repE0EEENS1_30default_config_static_selectorELNS0_4arch9wavefront6targetE1EEEvT1_
; %bb.0:
	.section	.rodata,"a",@progbits
	.p2align	6, 0x0
	.amdhsa_kernel _ZN7rocprim17ROCPRIM_400000_NS6detail17trampoline_kernelINS0_14default_configENS1_20scan_config_selectorIfEEZZNS1_9scan_implILNS1_25lookback_scan_determinismE0ELb0ELb0ES3_PKfPffZZZN2at6native31launch_logcumsumexp_cuda_kernelERKNSB_10TensorBaseESF_lENKUlvE_clEvENKUlvE0_clEvEUlffE_fEEDaPvRmT3_T4_T5_mT6_P12ihipStream_tbENKUlT_T0_E_clISt17integral_constantIbLb0EESV_IbLb1EEEEDaSR_SS_EUlSR_E0_NS1_11comp_targetILNS1_3genE10ELNS1_11target_archE1201ELNS1_3gpuE5ELNS1_3repE0EEENS1_30default_config_static_selectorELNS0_4arch9wavefront6targetE1EEEvT1_
		.amdhsa_group_segment_fixed_size 0
		.amdhsa_private_segment_fixed_size 0
		.amdhsa_kernarg_size 32
		.amdhsa_user_sgpr_count 6
		.amdhsa_user_sgpr_private_segment_buffer 1
		.amdhsa_user_sgpr_dispatch_ptr 0
		.amdhsa_user_sgpr_queue_ptr 0
		.amdhsa_user_sgpr_kernarg_segment_ptr 1
		.amdhsa_user_sgpr_dispatch_id 0
		.amdhsa_user_sgpr_flat_scratch_init 0
		.amdhsa_user_sgpr_kernarg_preload_length 0
		.amdhsa_user_sgpr_kernarg_preload_offset 0
		.amdhsa_user_sgpr_private_segment_size 0
		.amdhsa_uses_dynamic_stack 0
		.amdhsa_system_sgpr_private_segment_wavefront_offset 0
		.amdhsa_system_sgpr_workgroup_id_x 1
		.amdhsa_system_sgpr_workgroup_id_y 0
		.amdhsa_system_sgpr_workgroup_id_z 0
		.amdhsa_system_sgpr_workgroup_info 0
		.amdhsa_system_vgpr_workitem_id 0
		.amdhsa_next_free_vgpr 1
		.amdhsa_next_free_sgpr 0
		.amdhsa_accum_offset 4
		.amdhsa_reserve_vcc 0
		.amdhsa_reserve_flat_scratch 0
		.amdhsa_float_round_mode_32 0
		.amdhsa_float_round_mode_16_64 0
		.amdhsa_float_denorm_mode_32 3
		.amdhsa_float_denorm_mode_16_64 3
		.amdhsa_dx10_clamp 1
		.amdhsa_ieee_mode 1
		.amdhsa_fp16_overflow 0
		.amdhsa_tg_split 0
		.amdhsa_exception_fp_ieee_invalid_op 0
		.amdhsa_exception_fp_denorm_src 0
		.amdhsa_exception_fp_ieee_div_zero 0
		.amdhsa_exception_fp_ieee_overflow 0
		.amdhsa_exception_fp_ieee_underflow 0
		.amdhsa_exception_fp_ieee_inexact 0
		.amdhsa_exception_int_div_zero 0
	.end_amdhsa_kernel
	.section	.text._ZN7rocprim17ROCPRIM_400000_NS6detail17trampoline_kernelINS0_14default_configENS1_20scan_config_selectorIfEEZZNS1_9scan_implILNS1_25lookback_scan_determinismE0ELb0ELb0ES3_PKfPffZZZN2at6native31launch_logcumsumexp_cuda_kernelERKNSB_10TensorBaseESF_lENKUlvE_clEvENKUlvE0_clEvEUlffE_fEEDaPvRmT3_T4_T5_mT6_P12ihipStream_tbENKUlT_T0_E_clISt17integral_constantIbLb0EESV_IbLb1EEEEDaSR_SS_EUlSR_E0_NS1_11comp_targetILNS1_3genE10ELNS1_11target_archE1201ELNS1_3gpuE5ELNS1_3repE0EEENS1_30default_config_static_selectorELNS0_4arch9wavefront6targetE1EEEvT1_,"axG",@progbits,_ZN7rocprim17ROCPRIM_400000_NS6detail17trampoline_kernelINS0_14default_configENS1_20scan_config_selectorIfEEZZNS1_9scan_implILNS1_25lookback_scan_determinismE0ELb0ELb0ES3_PKfPffZZZN2at6native31launch_logcumsumexp_cuda_kernelERKNSB_10TensorBaseESF_lENKUlvE_clEvENKUlvE0_clEvEUlffE_fEEDaPvRmT3_T4_T5_mT6_P12ihipStream_tbENKUlT_T0_E_clISt17integral_constantIbLb0EESV_IbLb1EEEEDaSR_SS_EUlSR_E0_NS1_11comp_targetILNS1_3genE10ELNS1_11target_archE1201ELNS1_3gpuE5ELNS1_3repE0EEENS1_30default_config_static_selectorELNS0_4arch9wavefront6targetE1EEEvT1_,comdat
.Lfunc_end167:
	.size	_ZN7rocprim17ROCPRIM_400000_NS6detail17trampoline_kernelINS0_14default_configENS1_20scan_config_selectorIfEEZZNS1_9scan_implILNS1_25lookback_scan_determinismE0ELb0ELb0ES3_PKfPffZZZN2at6native31launch_logcumsumexp_cuda_kernelERKNSB_10TensorBaseESF_lENKUlvE_clEvENKUlvE0_clEvEUlffE_fEEDaPvRmT3_T4_T5_mT6_P12ihipStream_tbENKUlT_T0_E_clISt17integral_constantIbLb0EESV_IbLb1EEEEDaSR_SS_EUlSR_E0_NS1_11comp_targetILNS1_3genE10ELNS1_11target_archE1201ELNS1_3gpuE5ELNS1_3repE0EEENS1_30default_config_static_selectorELNS0_4arch9wavefront6targetE1EEEvT1_, .Lfunc_end167-_ZN7rocprim17ROCPRIM_400000_NS6detail17trampoline_kernelINS0_14default_configENS1_20scan_config_selectorIfEEZZNS1_9scan_implILNS1_25lookback_scan_determinismE0ELb0ELb0ES3_PKfPffZZZN2at6native31launch_logcumsumexp_cuda_kernelERKNSB_10TensorBaseESF_lENKUlvE_clEvENKUlvE0_clEvEUlffE_fEEDaPvRmT3_T4_T5_mT6_P12ihipStream_tbENKUlT_T0_E_clISt17integral_constantIbLb0EESV_IbLb1EEEEDaSR_SS_EUlSR_E0_NS1_11comp_targetILNS1_3genE10ELNS1_11target_archE1201ELNS1_3gpuE5ELNS1_3repE0EEENS1_30default_config_static_selectorELNS0_4arch9wavefront6targetE1EEEvT1_
                                        ; -- End function
	.section	.AMDGPU.csdata,"",@progbits
; Kernel info:
; codeLenInByte = 0
; NumSgprs: 4
; NumVgprs: 0
; NumAgprs: 0
; TotalNumVgprs: 0
; ScratchSize: 0
; MemoryBound: 0
; FloatMode: 240
; IeeeMode: 1
; LDSByteSize: 0 bytes/workgroup (compile time only)
; SGPRBlocks: 0
; VGPRBlocks: 0
; NumSGPRsForWavesPerEU: 4
; NumVGPRsForWavesPerEU: 1
; AccumOffset: 4
; Occupancy: 8
; WaveLimiterHint : 0
; COMPUTE_PGM_RSRC2:SCRATCH_EN: 0
; COMPUTE_PGM_RSRC2:USER_SGPR: 6
; COMPUTE_PGM_RSRC2:TRAP_HANDLER: 0
; COMPUTE_PGM_RSRC2:TGID_X_EN: 1
; COMPUTE_PGM_RSRC2:TGID_Y_EN: 0
; COMPUTE_PGM_RSRC2:TGID_Z_EN: 0
; COMPUTE_PGM_RSRC2:TIDIG_COMP_CNT: 0
; COMPUTE_PGM_RSRC3_GFX90A:ACCUM_OFFSET: 0
; COMPUTE_PGM_RSRC3_GFX90A:TG_SPLIT: 0
	.section	.text._ZN7rocprim17ROCPRIM_400000_NS6detail17trampoline_kernelINS0_14default_configENS1_20scan_config_selectorIfEEZZNS1_9scan_implILNS1_25lookback_scan_determinismE0ELb0ELb0ES3_PKfPffZZZN2at6native31launch_logcumsumexp_cuda_kernelERKNSB_10TensorBaseESF_lENKUlvE_clEvENKUlvE0_clEvEUlffE_fEEDaPvRmT3_T4_T5_mT6_P12ihipStream_tbENKUlT_T0_E_clISt17integral_constantIbLb0EESV_IbLb1EEEEDaSR_SS_EUlSR_E0_NS1_11comp_targetILNS1_3genE10ELNS1_11target_archE1200ELNS1_3gpuE4ELNS1_3repE0EEENS1_30default_config_static_selectorELNS0_4arch9wavefront6targetE1EEEvT1_,"axG",@progbits,_ZN7rocprim17ROCPRIM_400000_NS6detail17trampoline_kernelINS0_14default_configENS1_20scan_config_selectorIfEEZZNS1_9scan_implILNS1_25lookback_scan_determinismE0ELb0ELb0ES3_PKfPffZZZN2at6native31launch_logcumsumexp_cuda_kernelERKNSB_10TensorBaseESF_lENKUlvE_clEvENKUlvE0_clEvEUlffE_fEEDaPvRmT3_T4_T5_mT6_P12ihipStream_tbENKUlT_T0_E_clISt17integral_constantIbLb0EESV_IbLb1EEEEDaSR_SS_EUlSR_E0_NS1_11comp_targetILNS1_3genE10ELNS1_11target_archE1200ELNS1_3gpuE4ELNS1_3repE0EEENS1_30default_config_static_selectorELNS0_4arch9wavefront6targetE1EEEvT1_,comdat
	.globl	_ZN7rocprim17ROCPRIM_400000_NS6detail17trampoline_kernelINS0_14default_configENS1_20scan_config_selectorIfEEZZNS1_9scan_implILNS1_25lookback_scan_determinismE0ELb0ELb0ES3_PKfPffZZZN2at6native31launch_logcumsumexp_cuda_kernelERKNSB_10TensorBaseESF_lENKUlvE_clEvENKUlvE0_clEvEUlffE_fEEDaPvRmT3_T4_T5_mT6_P12ihipStream_tbENKUlT_T0_E_clISt17integral_constantIbLb0EESV_IbLb1EEEEDaSR_SS_EUlSR_E0_NS1_11comp_targetILNS1_3genE10ELNS1_11target_archE1200ELNS1_3gpuE4ELNS1_3repE0EEENS1_30default_config_static_selectorELNS0_4arch9wavefront6targetE1EEEvT1_ ; -- Begin function _ZN7rocprim17ROCPRIM_400000_NS6detail17trampoline_kernelINS0_14default_configENS1_20scan_config_selectorIfEEZZNS1_9scan_implILNS1_25lookback_scan_determinismE0ELb0ELb0ES3_PKfPffZZZN2at6native31launch_logcumsumexp_cuda_kernelERKNSB_10TensorBaseESF_lENKUlvE_clEvENKUlvE0_clEvEUlffE_fEEDaPvRmT3_T4_T5_mT6_P12ihipStream_tbENKUlT_T0_E_clISt17integral_constantIbLb0EESV_IbLb1EEEEDaSR_SS_EUlSR_E0_NS1_11comp_targetILNS1_3genE10ELNS1_11target_archE1200ELNS1_3gpuE4ELNS1_3repE0EEENS1_30default_config_static_selectorELNS0_4arch9wavefront6targetE1EEEvT1_
	.p2align	8
	.type	_ZN7rocprim17ROCPRIM_400000_NS6detail17trampoline_kernelINS0_14default_configENS1_20scan_config_selectorIfEEZZNS1_9scan_implILNS1_25lookback_scan_determinismE0ELb0ELb0ES3_PKfPffZZZN2at6native31launch_logcumsumexp_cuda_kernelERKNSB_10TensorBaseESF_lENKUlvE_clEvENKUlvE0_clEvEUlffE_fEEDaPvRmT3_T4_T5_mT6_P12ihipStream_tbENKUlT_T0_E_clISt17integral_constantIbLb0EESV_IbLb1EEEEDaSR_SS_EUlSR_E0_NS1_11comp_targetILNS1_3genE10ELNS1_11target_archE1200ELNS1_3gpuE4ELNS1_3repE0EEENS1_30default_config_static_selectorELNS0_4arch9wavefront6targetE1EEEvT1_,@function
_ZN7rocprim17ROCPRIM_400000_NS6detail17trampoline_kernelINS0_14default_configENS1_20scan_config_selectorIfEEZZNS1_9scan_implILNS1_25lookback_scan_determinismE0ELb0ELb0ES3_PKfPffZZZN2at6native31launch_logcumsumexp_cuda_kernelERKNSB_10TensorBaseESF_lENKUlvE_clEvENKUlvE0_clEvEUlffE_fEEDaPvRmT3_T4_T5_mT6_P12ihipStream_tbENKUlT_T0_E_clISt17integral_constantIbLb0EESV_IbLb1EEEEDaSR_SS_EUlSR_E0_NS1_11comp_targetILNS1_3genE10ELNS1_11target_archE1200ELNS1_3gpuE4ELNS1_3repE0EEENS1_30default_config_static_selectorELNS0_4arch9wavefront6targetE1EEEvT1_: ; @_ZN7rocprim17ROCPRIM_400000_NS6detail17trampoline_kernelINS0_14default_configENS1_20scan_config_selectorIfEEZZNS1_9scan_implILNS1_25lookback_scan_determinismE0ELb0ELb0ES3_PKfPffZZZN2at6native31launch_logcumsumexp_cuda_kernelERKNSB_10TensorBaseESF_lENKUlvE_clEvENKUlvE0_clEvEUlffE_fEEDaPvRmT3_T4_T5_mT6_P12ihipStream_tbENKUlT_T0_E_clISt17integral_constantIbLb0EESV_IbLb1EEEEDaSR_SS_EUlSR_E0_NS1_11comp_targetILNS1_3genE10ELNS1_11target_archE1200ELNS1_3gpuE4ELNS1_3repE0EEENS1_30default_config_static_selectorELNS0_4arch9wavefront6targetE1EEEvT1_
; %bb.0:
	.section	.rodata,"a",@progbits
	.p2align	6, 0x0
	.amdhsa_kernel _ZN7rocprim17ROCPRIM_400000_NS6detail17trampoline_kernelINS0_14default_configENS1_20scan_config_selectorIfEEZZNS1_9scan_implILNS1_25lookback_scan_determinismE0ELb0ELb0ES3_PKfPffZZZN2at6native31launch_logcumsumexp_cuda_kernelERKNSB_10TensorBaseESF_lENKUlvE_clEvENKUlvE0_clEvEUlffE_fEEDaPvRmT3_T4_T5_mT6_P12ihipStream_tbENKUlT_T0_E_clISt17integral_constantIbLb0EESV_IbLb1EEEEDaSR_SS_EUlSR_E0_NS1_11comp_targetILNS1_3genE10ELNS1_11target_archE1200ELNS1_3gpuE4ELNS1_3repE0EEENS1_30default_config_static_selectorELNS0_4arch9wavefront6targetE1EEEvT1_
		.amdhsa_group_segment_fixed_size 0
		.amdhsa_private_segment_fixed_size 0
		.amdhsa_kernarg_size 32
		.amdhsa_user_sgpr_count 6
		.amdhsa_user_sgpr_private_segment_buffer 1
		.amdhsa_user_sgpr_dispatch_ptr 0
		.amdhsa_user_sgpr_queue_ptr 0
		.amdhsa_user_sgpr_kernarg_segment_ptr 1
		.amdhsa_user_sgpr_dispatch_id 0
		.amdhsa_user_sgpr_flat_scratch_init 0
		.amdhsa_user_sgpr_kernarg_preload_length 0
		.amdhsa_user_sgpr_kernarg_preload_offset 0
		.amdhsa_user_sgpr_private_segment_size 0
		.amdhsa_uses_dynamic_stack 0
		.amdhsa_system_sgpr_private_segment_wavefront_offset 0
		.amdhsa_system_sgpr_workgroup_id_x 1
		.amdhsa_system_sgpr_workgroup_id_y 0
		.amdhsa_system_sgpr_workgroup_id_z 0
		.amdhsa_system_sgpr_workgroup_info 0
		.amdhsa_system_vgpr_workitem_id 0
		.amdhsa_next_free_vgpr 1
		.amdhsa_next_free_sgpr 0
		.amdhsa_accum_offset 4
		.amdhsa_reserve_vcc 0
		.amdhsa_reserve_flat_scratch 0
		.amdhsa_float_round_mode_32 0
		.amdhsa_float_round_mode_16_64 0
		.amdhsa_float_denorm_mode_32 3
		.amdhsa_float_denorm_mode_16_64 3
		.amdhsa_dx10_clamp 1
		.amdhsa_ieee_mode 1
		.amdhsa_fp16_overflow 0
		.amdhsa_tg_split 0
		.amdhsa_exception_fp_ieee_invalid_op 0
		.amdhsa_exception_fp_denorm_src 0
		.amdhsa_exception_fp_ieee_div_zero 0
		.amdhsa_exception_fp_ieee_overflow 0
		.amdhsa_exception_fp_ieee_underflow 0
		.amdhsa_exception_fp_ieee_inexact 0
		.amdhsa_exception_int_div_zero 0
	.end_amdhsa_kernel
	.section	.text._ZN7rocprim17ROCPRIM_400000_NS6detail17trampoline_kernelINS0_14default_configENS1_20scan_config_selectorIfEEZZNS1_9scan_implILNS1_25lookback_scan_determinismE0ELb0ELb0ES3_PKfPffZZZN2at6native31launch_logcumsumexp_cuda_kernelERKNSB_10TensorBaseESF_lENKUlvE_clEvENKUlvE0_clEvEUlffE_fEEDaPvRmT3_T4_T5_mT6_P12ihipStream_tbENKUlT_T0_E_clISt17integral_constantIbLb0EESV_IbLb1EEEEDaSR_SS_EUlSR_E0_NS1_11comp_targetILNS1_3genE10ELNS1_11target_archE1200ELNS1_3gpuE4ELNS1_3repE0EEENS1_30default_config_static_selectorELNS0_4arch9wavefront6targetE1EEEvT1_,"axG",@progbits,_ZN7rocprim17ROCPRIM_400000_NS6detail17trampoline_kernelINS0_14default_configENS1_20scan_config_selectorIfEEZZNS1_9scan_implILNS1_25lookback_scan_determinismE0ELb0ELb0ES3_PKfPffZZZN2at6native31launch_logcumsumexp_cuda_kernelERKNSB_10TensorBaseESF_lENKUlvE_clEvENKUlvE0_clEvEUlffE_fEEDaPvRmT3_T4_T5_mT6_P12ihipStream_tbENKUlT_T0_E_clISt17integral_constantIbLb0EESV_IbLb1EEEEDaSR_SS_EUlSR_E0_NS1_11comp_targetILNS1_3genE10ELNS1_11target_archE1200ELNS1_3gpuE4ELNS1_3repE0EEENS1_30default_config_static_selectorELNS0_4arch9wavefront6targetE1EEEvT1_,comdat
.Lfunc_end168:
	.size	_ZN7rocprim17ROCPRIM_400000_NS6detail17trampoline_kernelINS0_14default_configENS1_20scan_config_selectorIfEEZZNS1_9scan_implILNS1_25lookback_scan_determinismE0ELb0ELb0ES3_PKfPffZZZN2at6native31launch_logcumsumexp_cuda_kernelERKNSB_10TensorBaseESF_lENKUlvE_clEvENKUlvE0_clEvEUlffE_fEEDaPvRmT3_T4_T5_mT6_P12ihipStream_tbENKUlT_T0_E_clISt17integral_constantIbLb0EESV_IbLb1EEEEDaSR_SS_EUlSR_E0_NS1_11comp_targetILNS1_3genE10ELNS1_11target_archE1200ELNS1_3gpuE4ELNS1_3repE0EEENS1_30default_config_static_selectorELNS0_4arch9wavefront6targetE1EEEvT1_, .Lfunc_end168-_ZN7rocprim17ROCPRIM_400000_NS6detail17trampoline_kernelINS0_14default_configENS1_20scan_config_selectorIfEEZZNS1_9scan_implILNS1_25lookback_scan_determinismE0ELb0ELb0ES3_PKfPffZZZN2at6native31launch_logcumsumexp_cuda_kernelERKNSB_10TensorBaseESF_lENKUlvE_clEvENKUlvE0_clEvEUlffE_fEEDaPvRmT3_T4_T5_mT6_P12ihipStream_tbENKUlT_T0_E_clISt17integral_constantIbLb0EESV_IbLb1EEEEDaSR_SS_EUlSR_E0_NS1_11comp_targetILNS1_3genE10ELNS1_11target_archE1200ELNS1_3gpuE4ELNS1_3repE0EEENS1_30default_config_static_selectorELNS0_4arch9wavefront6targetE1EEEvT1_
                                        ; -- End function
	.section	.AMDGPU.csdata,"",@progbits
; Kernel info:
; codeLenInByte = 0
; NumSgprs: 4
; NumVgprs: 0
; NumAgprs: 0
; TotalNumVgprs: 0
; ScratchSize: 0
; MemoryBound: 0
; FloatMode: 240
; IeeeMode: 1
; LDSByteSize: 0 bytes/workgroup (compile time only)
; SGPRBlocks: 0
; VGPRBlocks: 0
; NumSGPRsForWavesPerEU: 4
; NumVGPRsForWavesPerEU: 1
; AccumOffset: 4
; Occupancy: 8
; WaveLimiterHint : 0
; COMPUTE_PGM_RSRC2:SCRATCH_EN: 0
; COMPUTE_PGM_RSRC2:USER_SGPR: 6
; COMPUTE_PGM_RSRC2:TRAP_HANDLER: 0
; COMPUTE_PGM_RSRC2:TGID_X_EN: 1
; COMPUTE_PGM_RSRC2:TGID_Y_EN: 0
; COMPUTE_PGM_RSRC2:TGID_Z_EN: 0
; COMPUTE_PGM_RSRC2:TIDIG_COMP_CNT: 0
; COMPUTE_PGM_RSRC3_GFX90A:ACCUM_OFFSET: 0
; COMPUTE_PGM_RSRC3_GFX90A:TG_SPLIT: 0
	.section	.text._ZN7rocprim17ROCPRIM_400000_NS6detail17trampoline_kernelINS0_14default_configENS1_20scan_config_selectorIfEEZZNS1_9scan_implILNS1_25lookback_scan_determinismE0ELb0ELb0ES3_PKfPffZZZN2at6native31launch_logcumsumexp_cuda_kernelERKNSB_10TensorBaseESF_lENKUlvE_clEvENKUlvE0_clEvEUlffE_fEEDaPvRmT3_T4_T5_mT6_P12ihipStream_tbENKUlT_T0_E_clISt17integral_constantIbLb0EESV_IbLb1EEEEDaSR_SS_EUlSR_E0_NS1_11comp_targetILNS1_3genE9ELNS1_11target_archE1100ELNS1_3gpuE3ELNS1_3repE0EEENS1_30default_config_static_selectorELNS0_4arch9wavefront6targetE1EEEvT1_,"axG",@progbits,_ZN7rocprim17ROCPRIM_400000_NS6detail17trampoline_kernelINS0_14default_configENS1_20scan_config_selectorIfEEZZNS1_9scan_implILNS1_25lookback_scan_determinismE0ELb0ELb0ES3_PKfPffZZZN2at6native31launch_logcumsumexp_cuda_kernelERKNSB_10TensorBaseESF_lENKUlvE_clEvENKUlvE0_clEvEUlffE_fEEDaPvRmT3_T4_T5_mT6_P12ihipStream_tbENKUlT_T0_E_clISt17integral_constantIbLb0EESV_IbLb1EEEEDaSR_SS_EUlSR_E0_NS1_11comp_targetILNS1_3genE9ELNS1_11target_archE1100ELNS1_3gpuE3ELNS1_3repE0EEENS1_30default_config_static_selectorELNS0_4arch9wavefront6targetE1EEEvT1_,comdat
	.globl	_ZN7rocprim17ROCPRIM_400000_NS6detail17trampoline_kernelINS0_14default_configENS1_20scan_config_selectorIfEEZZNS1_9scan_implILNS1_25lookback_scan_determinismE0ELb0ELb0ES3_PKfPffZZZN2at6native31launch_logcumsumexp_cuda_kernelERKNSB_10TensorBaseESF_lENKUlvE_clEvENKUlvE0_clEvEUlffE_fEEDaPvRmT3_T4_T5_mT6_P12ihipStream_tbENKUlT_T0_E_clISt17integral_constantIbLb0EESV_IbLb1EEEEDaSR_SS_EUlSR_E0_NS1_11comp_targetILNS1_3genE9ELNS1_11target_archE1100ELNS1_3gpuE3ELNS1_3repE0EEENS1_30default_config_static_selectorELNS0_4arch9wavefront6targetE1EEEvT1_ ; -- Begin function _ZN7rocprim17ROCPRIM_400000_NS6detail17trampoline_kernelINS0_14default_configENS1_20scan_config_selectorIfEEZZNS1_9scan_implILNS1_25lookback_scan_determinismE0ELb0ELb0ES3_PKfPffZZZN2at6native31launch_logcumsumexp_cuda_kernelERKNSB_10TensorBaseESF_lENKUlvE_clEvENKUlvE0_clEvEUlffE_fEEDaPvRmT3_T4_T5_mT6_P12ihipStream_tbENKUlT_T0_E_clISt17integral_constantIbLb0EESV_IbLb1EEEEDaSR_SS_EUlSR_E0_NS1_11comp_targetILNS1_3genE9ELNS1_11target_archE1100ELNS1_3gpuE3ELNS1_3repE0EEENS1_30default_config_static_selectorELNS0_4arch9wavefront6targetE1EEEvT1_
	.p2align	8
	.type	_ZN7rocprim17ROCPRIM_400000_NS6detail17trampoline_kernelINS0_14default_configENS1_20scan_config_selectorIfEEZZNS1_9scan_implILNS1_25lookback_scan_determinismE0ELb0ELb0ES3_PKfPffZZZN2at6native31launch_logcumsumexp_cuda_kernelERKNSB_10TensorBaseESF_lENKUlvE_clEvENKUlvE0_clEvEUlffE_fEEDaPvRmT3_T4_T5_mT6_P12ihipStream_tbENKUlT_T0_E_clISt17integral_constantIbLb0EESV_IbLb1EEEEDaSR_SS_EUlSR_E0_NS1_11comp_targetILNS1_3genE9ELNS1_11target_archE1100ELNS1_3gpuE3ELNS1_3repE0EEENS1_30default_config_static_selectorELNS0_4arch9wavefront6targetE1EEEvT1_,@function
_ZN7rocprim17ROCPRIM_400000_NS6detail17trampoline_kernelINS0_14default_configENS1_20scan_config_selectorIfEEZZNS1_9scan_implILNS1_25lookback_scan_determinismE0ELb0ELb0ES3_PKfPffZZZN2at6native31launch_logcumsumexp_cuda_kernelERKNSB_10TensorBaseESF_lENKUlvE_clEvENKUlvE0_clEvEUlffE_fEEDaPvRmT3_T4_T5_mT6_P12ihipStream_tbENKUlT_T0_E_clISt17integral_constantIbLb0EESV_IbLb1EEEEDaSR_SS_EUlSR_E0_NS1_11comp_targetILNS1_3genE9ELNS1_11target_archE1100ELNS1_3gpuE3ELNS1_3repE0EEENS1_30default_config_static_selectorELNS0_4arch9wavefront6targetE1EEEvT1_: ; @_ZN7rocprim17ROCPRIM_400000_NS6detail17trampoline_kernelINS0_14default_configENS1_20scan_config_selectorIfEEZZNS1_9scan_implILNS1_25lookback_scan_determinismE0ELb0ELb0ES3_PKfPffZZZN2at6native31launch_logcumsumexp_cuda_kernelERKNSB_10TensorBaseESF_lENKUlvE_clEvENKUlvE0_clEvEUlffE_fEEDaPvRmT3_T4_T5_mT6_P12ihipStream_tbENKUlT_T0_E_clISt17integral_constantIbLb0EESV_IbLb1EEEEDaSR_SS_EUlSR_E0_NS1_11comp_targetILNS1_3genE9ELNS1_11target_archE1100ELNS1_3gpuE3ELNS1_3repE0EEENS1_30default_config_static_selectorELNS0_4arch9wavefront6targetE1EEEvT1_
; %bb.0:
	.section	.rodata,"a",@progbits
	.p2align	6, 0x0
	.amdhsa_kernel _ZN7rocprim17ROCPRIM_400000_NS6detail17trampoline_kernelINS0_14default_configENS1_20scan_config_selectorIfEEZZNS1_9scan_implILNS1_25lookback_scan_determinismE0ELb0ELb0ES3_PKfPffZZZN2at6native31launch_logcumsumexp_cuda_kernelERKNSB_10TensorBaseESF_lENKUlvE_clEvENKUlvE0_clEvEUlffE_fEEDaPvRmT3_T4_T5_mT6_P12ihipStream_tbENKUlT_T0_E_clISt17integral_constantIbLb0EESV_IbLb1EEEEDaSR_SS_EUlSR_E0_NS1_11comp_targetILNS1_3genE9ELNS1_11target_archE1100ELNS1_3gpuE3ELNS1_3repE0EEENS1_30default_config_static_selectorELNS0_4arch9wavefront6targetE1EEEvT1_
		.amdhsa_group_segment_fixed_size 0
		.amdhsa_private_segment_fixed_size 0
		.amdhsa_kernarg_size 32
		.amdhsa_user_sgpr_count 6
		.amdhsa_user_sgpr_private_segment_buffer 1
		.amdhsa_user_sgpr_dispatch_ptr 0
		.amdhsa_user_sgpr_queue_ptr 0
		.amdhsa_user_sgpr_kernarg_segment_ptr 1
		.amdhsa_user_sgpr_dispatch_id 0
		.amdhsa_user_sgpr_flat_scratch_init 0
		.amdhsa_user_sgpr_kernarg_preload_length 0
		.amdhsa_user_sgpr_kernarg_preload_offset 0
		.amdhsa_user_sgpr_private_segment_size 0
		.amdhsa_uses_dynamic_stack 0
		.amdhsa_system_sgpr_private_segment_wavefront_offset 0
		.amdhsa_system_sgpr_workgroup_id_x 1
		.amdhsa_system_sgpr_workgroup_id_y 0
		.amdhsa_system_sgpr_workgroup_id_z 0
		.amdhsa_system_sgpr_workgroup_info 0
		.amdhsa_system_vgpr_workitem_id 0
		.amdhsa_next_free_vgpr 1
		.amdhsa_next_free_sgpr 0
		.amdhsa_accum_offset 4
		.amdhsa_reserve_vcc 0
		.amdhsa_reserve_flat_scratch 0
		.amdhsa_float_round_mode_32 0
		.amdhsa_float_round_mode_16_64 0
		.amdhsa_float_denorm_mode_32 3
		.amdhsa_float_denorm_mode_16_64 3
		.amdhsa_dx10_clamp 1
		.amdhsa_ieee_mode 1
		.amdhsa_fp16_overflow 0
		.amdhsa_tg_split 0
		.amdhsa_exception_fp_ieee_invalid_op 0
		.amdhsa_exception_fp_denorm_src 0
		.amdhsa_exception_fp_ieee_div_zero 0
		.amdhsa_exception_fp_ieee_overflow 0
		.amdhsa_exception_fp_ieee_underflow 0
		.amdhsa_exception_fp_ieee_inexact 0
		.amdhsa_exception_int_div_zero 0
	.end_amdhsa_kernel
	.section	.text._ZN7rocprim17ROCPRIM_400000_NS6detail17trampoline_kernelINS0_14default_configENS1_20scan_config_selectorIfEEZZNS1_9scan_implILNS1_25lookback_scan_determinismE0ELb0ELb0ES3_PKfPffZZZN2at6native31launch_logcumsumexp_cuda_kernelERKNSB_10TensorBaseESF_lENKUlvE_clEvENKUlvE0_clEvEUlffE_fEEDaPvRmT3_T4_T5_mT6_P12ihipStream_tbENKUlT_T0_E_clISt17integral_constantIbLb0EESV_IbLb1EEEEDaSR_SS_EUlSR_E0_NS1_11comp_targetILNS1_3genE9ELNS1_11target_archE1100ELNS1_3gpuE3ELNS1_3repE0EEENS1_30default_config_static_selectorELNS0_4arch9wavefront6targetE1EEEvT1_,"axG",@progbits,_ZN7rocprim17ROCPRIM_400000_NS6detail17trampoline_kernelINS0_14default_configENS1_20scan_config_selectorIfEEZZNS1_9scan_implILNS1_25lookback_scan_determinismE0ELb0ELb0ES3_PKfPffZZZN2at6native31launch_logcumsumexp_cuda_kernelERKNSB_10TensorBaseESF_lENKUlvE_clEvENKUlvE0_clEvEUlffE_fEEDaPvRmT3_T4_T5_mT6_P12ihipStream_tbENKUlT_T0_E_clISt17integral_constantIbLb0EESV_IbLb1EEEEDaSR_SS_EUlSR_E0_NS1_11comp_targetILNS1_3genE9ELNS1_11target_archE1100ELNS1_3gpuE3ELNS1_3repE0EEENS1_30default_config_static_selectorELNS0_4arch9wavefront6targetE1EEEvT1_,comdat
.Lfunc_end169:
	.size	_ZN7rocprim17ROCPRIM_400000_NS6detail17trampoline_kernelINS0_14default_configENS1_20scan_config_selectorIfEEZZNS1_9scan_implILNS1_25lookback_scan_determinismE0ELb0ELb0ES3_PKfPffZZZN2at6native31launch_logcumsumexp_cuda_kernelERKNSB_10TensorBaseESF_lENKUlvE_clEvENKUlvE0_clEvEUlffE_fEEDaPvRmT3_T4_T5_mT6_P12ihipStream_tbENKUlT_T0_E_clISt17integral_constantIbLb0EESV_IbLb1EEEEDaSR_SS_EUlSR_E0_NS1_11comp_targetILNS1_3genE9ELNS1_11target_archE1100ELNS1_3gpuE3ELNS1_3repE0EEENS1_30default_config_static_selectorELNS0_4arch9wavefront6targetE1EEEvT1_, .Lfunc_end169-_ZN7rocprim17ROCPRIM_400000_NS6detail17trampoline_kernelINS0_14default_configENS1_20scan_config_selectorIfEEZZNS1_9scan_implILNS1_25lookback_scan_determinismE0ELb0ELb0ES3_PKfPffZZZN2at6native31launch_logcumsumexp_cuda_kernelERKNSB_10TensorBaseESF_lENKUlvE_clEvENKUlvE0_clEvEUlffE_fEEDaPvRmT3_T4_T5_mT6_P12ihipStream_tbENKUlT_T0_E_clISt17integral_constantIbLb0EESV_IbLb1EEEEDaSR_SS_EUlSR_E0_NS1_11comp_targetILNS1_3genE9ELNS1_11target_archE1100ELNS1_3gpuE3ELNS1_3repE0EEENS1_30default_config_static_selectorELNS0_4arch9wavefront6targetE1EEEvT1_
                                        ; -- End function
	.section	.AMDGPU.csdata,"",@progbits
; Kernel info:
; codeLenInByte = 0
; NumSgprs: 4
; NumVgprs: 0
; NumAgprs: 0
; TotalNumVgprs: 0
; ScratchSize: 0
; MemoryBound: 0
; FloatMode: 240
; IeeeMode: 1
; LDSByteSize: 0 bytes/workgroup (compile time only)
; SGPRBlocks: 0
; VGPRBlocks: 0
; NumSGPRsForWavesPerEU: 4
; NumVGPRsForWavesPerEU: 1
; AccumOffset: 4
; Occupancy: 8
; WaveLimiterHint : 0
; COMPUTE_PGM_RSRC2:SCRATCH_EN: 0
; COMPUTE_PGM_RSRC2:USER_SGPR: 6
; COMPUTE_PGM_RSRC2:TRAP_HANDLER: 0
; COMPUTE_PGM_RSRC2:TGID_X_EN: 1
; COMPUTE_PGM_RSRC2:TGID_Y_EN: 0
; COMPUTE_PGM_RSRC2:TGID_Z_EN: 0
; COMPUTE_PGM_RSRC2:TIDIG_COMP_CNT: 0
; COMPUTE_PGM_RSRC3_GFX90A:ACCUM_OFFSET: 0
; COMPUTE_PGM_RSRC3_GFX90A:TG_SPLIT: 0
	.section	.text._ZN7rocprim17ROCPRIM_400000_NS6detail17trampoline_kernelINS0_14default_configENS1_20scan_config_selectorIfEEZZNS1_9scan_implILNS1_25lookback_scan_determinismE0ELb0ELb0ES3_PKfPffZZZN2at6native31launch_logcumsumexp_cuda_kernelERKNSB_10TensorBaseESF_lENKUlvE_clEvENKUlvE0_clEvEUlffE_fEEDaPvRmT3_T4_T5_mT6_P12ihipStream_tbENKUlT_T0_E_clISt17integral_constantIbLb0EESV_IbLb1EEEEDaSR_SS_EUlSR_E0_NS1_11comp_targetILNS1_3genE8ELNS1_11target_archE1030ELNS1_3gpuE2ELNS1_3repE0EEENS1_30default_config_static_selectorELNS0_4arch9wavefront6targetE1EEEvT1_,"axG",@progbits,_ZN7rocprim17ROCPRIM_400000_NS6detail17trampoline_kernelINS0_14default_configENS1_20scan_config_selectorIfEEZZNS1_9scan_implILNS1_25lookback_scan_determinismE0ELb0ELb0ES3_PKfPffZZZN2at6native31launch_logcumsumexp_cuda_kernelERKNSB_10TensorBaseESF_lENKUlvE_clEvENKUlvE0_clEvEUlffE_fEEDaPvRmT3_T4_T5_mT6_P12ihipStream_tbENKUlT_T0_E_clISt17integral_constantIbLb0EESV_IbLb1EEEEDaSR_SS_EUlSR_E0_NS1_11comp_targetILNS1_3genE8ELNS1_11target_archE1030ELNS1_3gpuE2ELNS1_3repE0EEENS1_30default_config_static_selectorELNS0_4arch9wavefront6targetE1EEEvT1_,comdat
	.globl	_ZN7rocprim17ROCPRIM_400000_NS6detail17trampoline_kernelINS0_14default_configENS1_20scan_config_selectorIfEEZZNS1_9scan_implILNS1_25lookback_scan_determinismE0ELb0ELb0ES3_PKfPffZZZN2at6native31launch_logcumsumexp_cuda_kernelERKNSB_10TensorBaseESF_lENKUlvE_clEvENKUlvE0_clEvEUlffE_fEEDaPvRmT3_T4_T5_mT6_P12ihipStream_tbENKUlT_T0_E_clISt17integral_constantIbLb0EESV_IbLb1EEEEDaSR_SS_EUlSR_E0_NS1_11comp_targetILNS1_3genE8ELNS1_11target_archE1030ELNS1_3gpuE2ELNS1_3repE0EEENS1_30default_config_static_selectorELNS0_4arch9wavefront6targetE1EEEvT1_ ; -- Begin function _ZN7rocprim17ROCPRIM_400000_NS6detail17trampoline_kernelINS0_14default_configENS1_20scan_config_selectorIfEEZZNS1_9scan_implILNS1_25lookback_scan_determinismE0ELb0ELb0ES3_PKfPffZZZN2at6native31launch_logcumsumexp_cuda_kernelERKNSB_10TensorBaseESF_lENKUlvE_clEvENKUlvE0_clEvEUlffE_fEEDaPvRmT3_T4_T5_mT6_P12ihipStream_tbENKUlT_T0_E_clISt17integral_constantIbLb0EESV_IbLb1EEEEDaSR_SS_EUlSR_E0_NS1_11comp_targetILNS1_3genE8ELNS1_11target_archE1030ELNS1_3gpuE2ELNS1_3repE0EEENS1_30default_config_static_selectorELNS0_4arch9wavefront6targetE1EEEvT1_
	.p2align	8
	.type	_ZN7rocprim17ROCPRIM_400000_NS6detail17trampoline_kernelINS0_14default_configENS1_20scan_config_selectorIfEEZZNS1_9scan_implILNS1_25lookback_scan_determinismE0ELb0ELb0ES3_PKfPffZZZN2at6native31launch_logcumsumexp_cuda_kernelERKNSB_10TensorBaseESF_lENKUlvE_clEvENKUlvE0_clEvEUlffE_fEEDaPvRmT3_T4_T5_mT6_P12ihipStream_tbENKUlT_T0_E_clISt17integral_constantIbLb0EESV_IbLb1EEEEDaSR_SS_EUlSR_E0_NS1_11comp_targetILNS1_3genE8ELNS1_11target_archE1030ELNS1_3gpuE2ELNS1_3repE0EEENS1_30default_config_static_selectorELNS0_4arch9wavefront6targetE1EEEvT1_,@function
_ZN7rocprim17ROCPRIM_400000_NS6detail17trampoline_kernelINS0_14default_configENS1_20scan_config_selectorIfEEZZNS1_9scan_implILNS1_25lookback_scan_determinismE0ELb0ELb0ES3_PKfPffZZZN2at6native31launch_logcumsumexp_cuda_kernelERKNSB_10TensorBaseESF_lENKUlvE_clEvENKUlvE0_clEvEUlffE_fEEDaPvRmT3_T4_T5_mT6_P12ihipStream_tbENKUlT_T0_E_clISt17integral_constantIbLb0EESV_IbLb1EEEEDaSR_SS_EUlSR_E0_NS1_11comp_targetILNS1_3genE8ELNS1_11target_archE1030ELNS1_3gpuE2ELNS1_3repE0EEENS1_30default_config_static_selectorELNS0_4arch9wavefront6targetE1EEEvT1_: ; @_ZN7rocprim17ROCPRIM_400000_NS6detail17trampoline_kernelINS0_14default_configENS1_20scan_config_selectorIfEEZZNS1_9scan_implILNS1_25lookback_scan_determinismE0ELb0ELb0ES3_PKfPffZZZN2at6native31launch_logcumsumexp_cuda_kernelERKNSB_10TensorBaseESF_lENKUlvE_clEvENKUlvE0_clEvEUlffE_fEEDaPvRmT3_T4_T5_mT6_P12ihipStream_tbENKUlT_T0_E_clISt17integral_constantIbLb0EESV_IbLb1EEEEDaSR_SS_EUlSR_E0_NS1_11comp_targetILNS1_3genE8ELNS1_11target_archE1030ELNS1_3gpuE2ELNS1_3repE0EEENS1_30default_config_static_selectorELNS0_4arch9wavefront6targetE1EEEvT1_
; %bb.0:
	.section	.rodata,"a",@progbits
	.p2align	6, 0x0
	.amdhsa_kernel _ZN7rocprim17ROCPRIM_400000_NS6detail17trampoline_kernelINS0_14default_configENS1_20scan_config_selectorIfEEZZNS1_9scan_implILNS1_25lookback_scan_determinismE0ELb0ELb0ES3_PKfPffZZZN2at6native31launch_logcumsumexp_cuda_kernelERKNSB_10TensorBaseESF_lENKUlvE_clEvENKUlvE0_clEvEUlffE_fEEDaPvRmT3_T4_T5_mT6_P12ihipStream_tbENKUlT_T0_E_clISt17integral_constantIbLb0EESV_IbLb1EEEEDaSR_SS_EUlSR_E0_NS1_11comp_targetILNS1_3genE8ELNS1_11target_archE1030ELNS1_3gpuE2ELNS1_3repE0EEENS1_30default_config_static_selectorELNS0_4arch9wavefront6targetE1EEEvT1_
		.amdhsa_group_segment_fixed_size 0
		.amdhsa_private_segment_fixed_size 0
		.amdhsa_kernarg_size 32
		.amdhsa_user_sgpr_count 6
		.amdhsa_user_sgpr_private_segment_buffer 1
		.amdhsa_user_sgpr_dispatch_ptr 0
		.amdhsa_user_sgpr_queue_ptr 0
		.amdhsa_user_sgpr_kernarg_segment_ptr 1
		.amdhsa_user_sgpr_dispatch_id 0
		.amdhsa_user_sgpr_flat_scratch_init 0
		.amdhsa_user_sgpr_kernarg_preload_length 0
		.amdhsa_user_sgpr_kernarg_preload_offset 0
		.amdhsa_user_sgpr_private_segment_size 0
		.amdhsa_uses_dynamic_stack 0
		.amdhsa_system_sgpr_private_segment_wavefront_offset 0
		.amdhsa_system_sgpr_workgroup_id_x 1
		.amdhsa_system_sgpr_workgroup_id_y 0
		.amdhsa_system_sgpr_workgroup_id_z 0
		.amdhsa_system_sgpr_workgroup_info 0
		.amdhsa_system_vgpr_workitem_id 0
		.amdhsa_next_free_vgpr 1
		.amdhsa_next_free_sgpr 0
		.amdhsa_accum_offset 4
		.amdhsa_reserve_vcc 0
		.amdhsa_reserve_flat_scratch 0
		.amdhsa_float_round_mode_32 0
		.amdhsa_float_round_mode_16_64 0
		.amdhsa_float_denorm_mode_32 3
		.amdhsa_float_denorm_mode_16_64 3
		.amdhsa_dx10_clamp 1
		.amdhsa_ieee_mode 1
		.amdhsa_fp16_overflow 0
		.amdhsa_tg_split 0
		.amdhsa_exception_fp_ieee_invalid_op 0
		.amdhsa_exception_fp_denorm_src 0
		.amdhsa_exception_fp_ieee_div_zero 0
		.amdhsa_exception_fp_ieee_overflow 0
		.amdhsa_exception_fp_ieee_underflow 0
		.amdhsa_exception_fp_ieee_inexact 0
		.amdhsa_exception_int_div_zero 0
	.end_amdhsa_kernel
	.section	.text._ZN7rocprim17ROCPRIM_400000_NS6detail17trampoline_kernelINS0_14default_configENS1_20scan_config_selectorIfEEZZNS1_9scan_implILNS1_25lookback_scan_determinismE0ELb0ELb0ES3_PKfPffZZZN2at6native31launch_logcumsumexp_cuda_kernelERKNSB_10TensorBaseESF_lENKUlvE_clEvENKUlvE0_clEvEUlffE_fEEDaPvRmT3_T4_T5_mT6_P12ihipStream_tbENKUlT_T0_E_clISt17integral_constantIbLb0EESV_IbLb1EEEEDaSR_SS_EUlSR_E0_NS1_11comp_targetILNS1_3genE8ELNS1_11target_archE1030ELNS1_3gpuE2ELNS1_3repE0EEENS1_30default_config_static_selectorELNS0_4arch9wavefront6targetE1EEEvT1_,"axG",@progbits,_ZN7rocprim17ROCPRIM_400000_NS6detail17trampoline_kernelINS0_14default_configENS1_20scan_config_selectorIfEEZZNS1_9scan_implILNS1_25lookback_scan_determinismE0ELb0ELb0ES3_PKfPffZZZN2at6native31launch_logcumsumexp_cuda_kernelERKNSB_10TensorBaseESF_lENKUlvE_clEvENKUlvE0_clEvEUlffE_fEEDaPvRmT3_T4_T5_mT6_P12ihipStream_tbENKUlT_T0_E_clISt17integral_constantIbLb0EESV_IbLb1EEEEDaSR_SS_EUlSR_E0_NS1_11comp_targetILNS1_3genE8ELNS1_11target_archE1030ELNS1_3gpuE2ELNS1_3repE0EEENS1_30default_config_static_selectorELNS0_4arch9wavefront6targetE1EEEvT1_,comdat
.Lfunc_end170:
	.size	_ZN7rocprim17ROCPRIM_400000_NS6detail17trampoline_kernelINS0_14default_configENS1_20scan_config_selectorIfEEZZNS1_9scan_implILNS1_25lookback_scan_determinismE0ELb0ELb0ES3_PKfPffZZZN2at6native31launch_logcumsumexp_cuda_kernelERKNSB_10TensorBaseESF_lENKUlvE_clEvENKUlvE0_clEvEUlffE_fEEDaPvRmT3_T4_T5_mT6_P12ihipStream_tbENKUlT_T0_E_clISt17integral_constantIbLb0EESV_IbLb1EEEEDaSR_SS_EUlSR_E0_NS1_11comp_targetILNS1_3genE8ELNS1_11target_archE1030ELNS1_3gpuE2ELNS1_3repE0EEENS1_30default_config_static_selectorELNS0_4arch9wavefront6targetE1EEEvT1_, .Lfunc_end170-_ZN7rocprim17ROCPRIM_400000_NS6detail17trampoline_kernelINS0_14default_configENS1_20scan_config_selectorIfEEZZNS1_9scan_implILNS1_25lookback_scan_determinismE0ELb0ELb0ES3_PKfPffZZZN2at6native31launch_logcumsumexp_cuda_kernelERKNSB_10TensorBaseESF_lENKUlvE_clEvENKUlvE0_clEvEUlffE_fEEDaPvRmT3_T4_T5_mT6_P12ihipStream_tbENKUlT_T0_E_clISt17integral_constantIbLb0EESV_IbLb1EEEEDaSR_SS_EUlSR_E0_NS1_11comp_targetILNS1_3genE8ELNS1_11target_archE1030ELNS1_3gpuE2ELNS1_3repE0EEENS1_30default_config_static_selectorELNS0_4arch9wavefront6targetE1EEEvT1_
                                        ; -- End function
	.section	.AMDGPU.csdata,"",@progbits
; Kernel info:
; codeLenInByte = 0
; NumSgprs: 4
; NumVgprs: 0
; NumAgprs: 0
; TotalNumVgprs: 0
; ScratchSize: 0
; MemoryBound: 0
; FloatMode: 240
; IeeeMode: 1
; LDSByteSize: 0 bytes/workgroup (compile time only)
; SGPRBlocks: 0
; VGPRBlocks: 0
; NumSGPRsForWavesPerEU: 4
; NumVGPRsForWavesPerEU: 1
; AccumOffset: 4
; Occupancy: 8
; WaveLimiterHint : 0
; COMPUTE_PGM_RSRC2:SCRATCH_EN: 0
; COMPUTE_PGM_RSRC2:USER_SGPR: 6
; COMPUTE_PGM_RSRC2:TRAP_HANDLER: 0
; COMPUTE_PGM_RSRC2:TGID_X_EN: 1
; COMPUTE_PGM_RSRC2:TGID_Y_EN: 0
; COMPUTE_PGM_RSRC2:TGID_Z_EN: 0
; COMPUTE_PGM_RSRC2:TIDIG_COMP_CNT: 0
; COMPUTE_PGM_RSRC3_GFX90A:ACCUM_OFFSET: 0
; COMPUTE_PGM_RSRC3_GFX90A:TG_SPLIT: 0
	.section	.text._ZN2at6native32tensor_kernel_scan_innermost_dimIfZZZNS0_31launch_logcumsumexp_cuda_kernelERKNS_10TensorBaseES4_lENKUlvE_clEvENKUlvE0_clEvEUlffE_EEvPT_PKS8_jjjS8_T0_,"axG",@progbits,_ZN2at6native32tensor_kernel_scan_innermost_dimIfZZZNS0_31launch_logcumsumexp_cuda_kernelERKNS_10TensorBaseES4_lENKUlvE_clEvENKUlvE0_clEvEUlffE_EEvPT_PKS8_jjjS8_T0_,comdat
	.globl	_ZN2at6native32tensor_kernel_scan_innermost_dimIfZZZNS0_31launch_logcumsumexp_cuda_kernelERKNS_10TensorBaseES4_lENKUlvE_clEvENKUlvE0_clEvEUlffE_EEvPT_PKS8_jjjS8_T0_ ; -- Begin function _ZN2at6native32tensor_kernel_scan_innermost_dimIfZZZNS0_31launch_logcumsumexp_cuda_kernelERKNS_10TensorBaseES4_lENKUlvE_clEvENKUlvE0_clEvEUlffE_EEvPT_PKS8_jjjS8_T0_
	.p2align	8
	.type	_ZN2at6native32tensor_kernel_scan_innermost_dimIfZZZNS0_31launch_logcumsumexp_cuda_kernelERKNS_10TensorBaseES4_lENKUlvE_clEvENKUlvE0_clEvEUlffE_EEvPT_PKS8_jjjS8_T0_,@function
_ZN2at6native32tensor_kernel_scan_innermost_dimIfZZZNS0_31launch_logcumsumexp_cuda_kernelERKNS_10TensorBaseES4_lENKUlvE_clEvENKUlvE0_clEvEUlffE_EEvPT_PKS8_jjjS8_T0_: ; @_ZN2at6native32tensor_kernel_scan_innermost_dimIfZZZNS0_31launch_logcumsumexp_cuda_kernelERKNS_10TensorBaseES4_lENKUlvE_clEvENKUlvE0_clEvEUlffE_EEvPT_PKS8_jjjS8_T0_
; %bb.0:
	s_load_dwordx8 s[16:23], s[4:5], 0x0
	v_bfe_u32 v2, v0, 10, 10
	s_waitcnt lgkmcnt(0)
	s_lshl_b32 s7, 2, s22
	v_mul_lo_u32 v1, s7, v2
	s_mul_hi_u32 s0, s20, s21
	s_mov_b32 s14, s20
	v_lshl_add_u32 v3, v1, 2, 0
	s_cmp_lg_u32 s0, 0
	s_mov_b64 s[0:1], -1
	s_cbranch_scc1 .LBB171_30
; %bb.1:
	s_load_dword s2, s[4:5], 0x34
	s_add_u32 s0, s4, 40
	s_addc_u32 s1, s5, 0
	s_waitcnt lgkmcnt(0)
	s_lshr_b32 s2, s2, 16
	s_mul_i32 s15, s6, s2
	s_cmp_ge_u32 s15, s20
	s_cbranch_scc1 .LBB171_29
; %bb.2:
	s_load_dword s29, s[0:1], 0x0
	s_lshl_b32 s28, 1, s22
	s_cmp_lg_u32 s21, 0
	v_and_b32_e32 v1, 0x3ff, v0
	v_lshl_add_u32 v10, v1, 2, v3
	s_waitcnt lgkmcnt(0)
	s_mul_i32 s29, s29, s2
	s_cselect_b64 s[2:3], -1, 0
	v_add_u32_e32 v12, -4, v3
	v_cndmask_b32_e64 v4, 0, 1, s[2:3]
	v_lshl_add_u32 v11, s28, 2, v10
	v_cmp_eq_u32_e64 s[0:1], 0, v1
	v_lshl_add_u32 v13, s7, 2, v12
	s_add_i32 s30, s22, 1
	v_cmp_ne_u32_e64 s[2:3], 1, v4
	v_mov_b32_e32 v5, 0
	s_movk_i32 s31, 0x1f8
	s_mov_b32 s33, 0x3fb8aa3b
	s_mov_b32 s34, 0xc2ce8ed0
	;; [unrolled: 1-line block ×5, first 2 shown]
	v_mov_b32_e32 v14, 0x3f2aaada
	s_mov_b32 s38, 0x3f317218
	s_mov_b32 s39, 0x33800000
	v_mov_b32_e32 v15, 0x7f800000
	v_mov_b32_e32 v6, 0x3f317218
	s_branch .LBB171_4
.LBB171_3:                              ;   in Loop: Header=BB171_4 Depth=1
	s_add_i32 s15, s15, s29
	s_cmp_ge_u32 s15, s20
	s_cbranch_scc1 .LBB171_29
.LBB171_4:                              ; =>This Loop Header: Depth=1
                                        ;     Child Loop BB171_7 Depth 2
                                        ;       Child Loop BB171_19 Depth 3
	s_and_b64 vcc, exec, s[2:3]
	s_cbranch_vccnz .LBB171_3
; %bb.5:                                ;   in Loop: Header=BB171_4 Depth=1
	v_add_u32_e32 v7, s15, v2
	v_mul_lo_u32 v4, v7, s21
	v_lshlrev_b64 v[8:9], 2, v[4:5]
	v_mov_b32_e32 v4, s19
	v_add_co_u32_e32 v16, vcc, s18, v8
	v_addc_co_u32_e32 v17, vcc, v4, v9, vcc
	v_mov_b32_e32 v4, s17
	v_add_co_u32_e32 v18, vcc, s16, v8
	v_addc_co_u32_e32 v19, vcc, v4, v9, vcc
	v_cmp_gt_u32_e32 vcc, s20, v7
	v_cmp_le_u32_e64 s[8:9], s20, v7
	s_mov_b32 s40, 0
	v_mov_b32_e32 v7, s23
	s_branch .LBB171_7
.LBB171_6:                              ;   in Loop: Header=BB171_7 Depth=2
	s_or_b64 exec, exec, s[12:13]
	ds_read_b32 v7, v13
	s_add_i32 s40, s40, s7
	s_cmp_ge_u32 s40, s21
	s_waitcnt lgkmcnt(0)
	s_barrier
	s_cbranch_scc1 .LBB171_3
.LBB171_7:                              ;   Parent Loop BB171_4 Depth=1
                                        ; =>  This Loop Header: Depth=2
                                        ;       Child Loop BB171_19 Depth 3
	v_add_u32_e32 v4, s40, v1
	v_add_u32_e32 v8, s28, v4
	s_and_saveexec_b64 s[24:25], vcc
	s_cbranch_execz .LBB171_16
; %bb.8:                                ;   in Loop: Header=BB171_7 Depth=2
	v_cmp_gt_u32_e64 s[10:11], s21, v4
	v_mov_b32_e32 v9, s23
	s_and_saveexec_b64 s[12:13], s[10:11]
	s_cbranch_execz .LBB171_10
; %bb.9:                                ;   in Loop: Header=BB171_7 Depth=2
	v_lshlrev_b64 v[20:21], 2, v[4:5]
	v_add_co_u32_e64 v20, s[10:11], v16, v20
	v_addc_co_u32_e64 v21, s[10:11], v17, v21, s[10:11]
	global_load_dword v9, v[20:21], off
.LBB171_10:                             ;   in Loop: Header=BB171_7 Depth=2
	s_or_b64 exec, exec, s[12:13]
	s_waitcnt vmcnt(0)
	ds_write_b32 v10, v9
	v_cmp_gt_u32_e64 s[10:11], s21, v8
	v_mov_b32_e32 v9, s23
	s_and_saveexec_b64 s[12:13], s[10:11]
	s_cbranch_execz .LBB171_12
; %bb.11:                               ;   in Loop: Header=BB171_7 Depth=2
	v_mov_b32_e32 v9, v5
	v_lshlrev_b64 v[20:21], 2, v[8:9]
	v_add_co_u32_e64 v20, s[10:11], v16, v20
	v_addc_co_u32_e64 v21, s[10:11], v17, v21, s[10:11]
	global_load_dword v9, v[20:21], off
.LBB171_12:                             ;   in Loop: Header=BB171_7 Depth=2
	s_or_b64 exec, exec, s[12:13]
	s_waitcnt vmcnt(0)
	ds_write_b32 v11, v9
	s_and_b64 exec, exec, s[0:1]
	s_cbranch_execz .LBB171_16
; %bb.13:                               ;   in Loop: Header=BB171_7 Depth=2
	ds_read_b32 v20, v3
	v_max_f32_e32 v9, v7, v7
	v_cmp_u_f32_e64 s[12:13], v7, v7
	s_waitcnt lgkmcnt(0)
	v_max_f32_e32 v21, v20, v20
	v_min_f32_e32 v22, v21, v9
	v_max_f32_e32 v9, v21, v9
	v_cmp_u_f32_e64 s[10:11], v20, v20
	v_cndmask_b32_e64 v21, v22, v20, s[10:11]
	v_cndmask_b32_e64 v9, v9, v20, s[10:11]
	;; [unrolled: 1-line block ×4, first 2 shown]
	v_cmp_neq_f32_e64 s[10:11], v21, v9
	v_cmp_class_f32_e64 s[12:13], v21, s31
	s_or_b64 s[10:11], s[10:11], s[12:13]
	s_and_saveexec_b64 s[12:13], s[10:11]
	s_cbranch_execz .LBB171_15
; %bb.14:                               ;   in Loop: Header=BB171_7 Depth=2
	v_sub_f32_e32 v7, v21, v9
	v_mul_f32_e32 v20, 0x3fb8aa3b, v7
	v_fma_f32 v21, v7, s33, -v20
	v_rndne_f32_e32 v22, v20
	v_fmac_f32_e32 v21, 0x32a5705f, v7
	v_sub_f32_e32 v20, v20, v22
	v_add_f32_e32 v20, v20, v21
	v_cvt_i32_f32_e32 v21, v22
	v_exp_f32_e32 v20, v20
	v_cmp_ngt_f32_e64 s[10:11], s34, v7
	v_ldexp_f32 v20, v20, v21
	v_cndmask_b32_e64 v20, 0, v20, s[10:11]
	v_cmp_nlt_f32_e64 s[10:11], s35, v7
	v_cndmask_b32_e64 v36, v15, v20, s[10:11]
	v_add_f32_e32 v7, 1.0, v36
	v_add_f32_e32 v20, -1.0, v7
	v_sub_f32_e32 v21, v20, v7
	v_add_f32_e32 v21, 1.0, v21
	v_sub_f32_e32 v20, v36, v20
	v_add_f32_e32 v22, v20, v21
	v_frexp_mant_f32_e32 v23, v7
	v_cvt_f64_f32_e32 v[20:21], v7
	v_frexp_exp_i32_f64_e32 v20, v[20:21]
	v_cmp_gt_f32_e64 s[10:11], s37, v23
	v_subbrev_co_u32_e64 v28, s[10:11], 0, v20, s[10:11]
	v_sub_u32_e32 v20, 0, v28
	v_ldexp_f32 v7, v7, v20
	v_ldexp_f32 v20, v22, v20
	v_add_f32_e32 v22, -1.0, v7
	v_add_f32_e32 v21, 1.0, v22
	v_sub_f32_e32 v21, v7, v21
	v_add_f32_e32 v23, v20, v21
	v_add_f32_e32 v21, 1.0, v7
	v_add_f32_e32 v24, -1.0, v21
	v_sub_f32_e32 v7, v7, v24
	v_add_f32_e32 v7, v20, v7
	v_add_f32_e32 v29, v21, v7
	v_rcp_f32_e32 v30, v29
	v_sub_f32_e32 v20, v21, v29
	v_add_f32_e32 v21, v22, v23
	v_add_f32_e32 v7, v7, v20
	v_mul_f32_e32 v32, v21, v30
	v_sub_f32_e32 v20, v22, v21
	v_mul_f32_e32 v22, v29, v32
	v_fma_f32 v24, v32, v29, -v22
	v_fmac_f32_e32 v24, v32, v7
	v_add_f32_e32 v31, v23, v20
	v_add_f32_e32 v20, v22, v24
	v_sub_f32_e32 v23, v21, v20
	v_pk_add_f32 v[26:27], v[20:21], v[22:23] neg_lo:[0,1] neg_hi:[0,1]
	v_mov_b32_e32 v25, v20
	v_pk_add_f32 v[20:21], v[26:27], v[24:25] neg_lo:[0,1] neg_hi:[0,1]
	v_add_f32_e32 v21, v31, v21
	v_add_f32_e32 v20, v20, v21
	;; [unrolled: 1-line block ×3, first 2 shown]
	v_mul_f32_e32 v31, v30, v21
	v_mul_f32_e32 v22, v29, v31
	v_fma_f32 v24, v31, v29, -v22
	v_fmac_f32_e32 v24, v31, v7
	v_sub_f32_e32 v7, v23, v21
	v_add_f32_e32 v7, v20, v7
	v_add_f32_e32 v20, v22, v24
	v_sub_f32_e32 v23, v21, v20
	v_pk_add_f32 v[26:27], v[20:21], v[22:23] neg_lo:[0,1] neg_hi:[0,1]
	v_mov_b32_e32 v25, v20
	v_pk_add_f32 v[20:21], v[26:27], v[24:25] neg_lo:[0,1] neg_hi:[0,1]
	v_add_f32_e32 v7, v7, v21
	v_add_f32_e32 v7, v20, v7
	;; [unrolled: 1-line block ×4, first 2 shown]
	v_sub_f32_e32 v20, v21, v32
	v_mul_f32_e32 v7, v30, v7
	v_sub_f32_e32 v20, v31, v20
	v_add_f32_e32 v22, v20, v7
	v_add_f32_e32 v24, v21, v22
	v_cvt_f32_i32_e32 v20, v28
	v_mul_f32_e32 v25, v24, v24
	v_mov_b32_e32 v7, 0x3ecc95a3
	v_sub_f32_e32 v21, v24, v21
	v_fmac_f32_e32 v7, 0x3e9b6dac, v25
	v_sub_f32_e32 v21, v22, v21
	v_fma_f32 v7, v25, v7, v14
	v_ldexp_f32 v26, v21, 1
	v_mul_f32_e32 v21, v24, v25
	v_ldexp_f32 v23, v24, 1
	v_pk_mul_f32 v[24:25], v[20:21], v[6:7]
	v_fma_f32 v22, v20, s38, -v24
	v_fmac_f32_e32 v22, 0xb102e308, v20
	v_pk_add_f32 v[20:21], v[24:25], v[22:23]
	v_sub_f32_e32 v7, v21, v23
	v_sub_f32_e32 v7, v25, v7
	v_add_f32_e32 v27, v26, v7
	v_mov_b32_e32 v26, v24
	v_pk_add_f32 v[24:25], v[20:21], v[24:25] neg_lo:[0,1] neg_hi:[0,1]
	v_pk_add_f32 v[28:29], v[20:21], v[26:27]
	v_mov_b32_e32 v25, v29
	v_mov_b32_e32 v23, v20
	v_pk_add_f32 v[30:31], v[22:23], v[24:25] neg_lo:[0,1] neg_hi:[0,1]
	v_pk_add_f32 v[22:23], v[22:23], v[24:25]
	v_mov_b32_e32 v24, v23
	v_pk_add_f32 v[32:33], v[24:25], v[20:21] neg_lo:[0,1] neg_hi:[0,1]
	v_mov_b32_e32 v7, v32
	v_pk_add_f32 v[34:35], v[28:29], v[6:7] neg_lo:[0,1] neg_hi:[0,1]
	v_mov_b32_e32 v22, v29
	v_mov_b32_e32 v28, v21
	v_mov_b32_e32 v29, v32
	v_mov_b32_e32 v31, v23
	v_pk_add_f32 v[22:23], v[22:23], v[28:29] neg_lo:[0,1] neg_hi:[0,1]
	v_mov_b32_e32 v26, v27
	v_mov_b32_e32 v27, v20
	v_pk_add_f32 v[20:21], v[26:27], v[22:23] neg_lo:[0,1] neg_hi:[0,1]
	v_mov_b32_e32 v34, v30
	v_pk_add_f32 v[22:23], v[34:35], v[20:21]
	v_mov_b32_e32 v26, v23
	v_pk_add_f32 v[26:27], v[22:23], v[26:27]
	v_pk_add_f32 v[24:25], v[24:25], v[26:27]
	v_mov_b32_e32 v23, v24
	v_pk_add_f32 v[28:29], v[22:23], v[30:31] neg_lo:[0,1] neg_hi:[0,1]
	v_mov_b32_e32 v21, v26
	v_sub_f32_e32 v7, v22, v28
	v_pk_add_f32 v[20:21], v[20:21], v[28:29] neg_lo:[0,1] neg_hi:[0,1]
	v_sub_f32_e32 v7, v30, v7
	v_add_f32_e32 v7, v20, v7
	v_add_f32_e32 v7, v7, v21
	v_cmp_eq_f32_e64 s[10:11], s36, v36
	v_cmp_lt_f32_e64 s[26:27], |v36|, s39
	v_add_f32_e32 v7, v24, v7
	s_or_b64 s[10:11], s[10:11], s[26:27]
	v_cndmask_b32_e64 v7, v7, v36, s[10:11]
	v_add_f32_e32 v20, v9, v7
.LBB171_15:                             ;   in Loop: Header=BB171_7 Depth=2
	s_or_b64 exec, exec, s[12:13]
	ds_write_b32 v3, v20
.LBB171_16:                             ;   in Loop: Header=BB171_7 Depth=2
	s_or_b64 exec, exec, s[24:25]
	s_mov_b64 s[24:25], 0
	v_mov_b32_e32 v7, 0
	s_waitcnt lgkmcnt(0)
	s_barrier
	s_branch .LBB171_19
.LBB171_17:                             ;   in Loop: Header=BB171_19 Depth=3
	s_or_b64 exec, exec, s[12:13]
	ds_write_b32 v20, v7
.LBB171_18:                             ;   in Loop: Header=BB171_19 Depth=3
	s_or_b64 exec, exec, s[26:27]
	v_cmp_eq_u32_e64 s[10:11], s30, v9
	s_or_b64 s[24:25], s[10:11], s[24:25]
	v_mov_b32_e32 v7, v9
	s_waitcnt lgkmcnt(0)
	s_barrier
	s_andn2_b64 exec, exec, s[24:25]
	s_cbranch_execz .LBB171_24
.LBB171_19:                             ;   Parent Loop BB171_4 Depth=1
                                        ;     Parent Loop BB171_7 Depth=2
                                        ; =>    This Inner Loop Header: Depth=3
	v_add_u32_e32 v9, 1, v7
	s_and_saveexec_b64 s[10:11], s[8:9]
	s_xor_b64 s[10:11], exec, s[10:11]
; %bb.20:                               ;   in Loop: Header=BB171_19 Depth=3
	v_add_u32_e32 v9, 1, v7
                                        ; implicit-def: $vgpr7
; %bb.21:                               ;   in Loop: Header=BB171_19 Depth=3
	s_andn2_saveexec_b64 s[26:27], s[10:11]
	s_cbranch_execz .LBB171_18
; %bb.22:                               ;   in Loop: Header=BB171_19 Depth=3
	v_lshlrev_b32_e64 v20, v7, 1
	v_lshrrev_b32_e32 v21, v7, v1
	v_bfm_b32 v7, v7, 0
	v_lshl_or_b32 v20, v21, v9, v20
	v_and_b32_e32 v7, v7, v1
	v_lshlrev_b32_e32 v21, 2, v20
	v_lshlrev_b32_e32 v7, 2, v7
	v_add3_u32 v20, v3, v21, v7
	v_add_u32_e32 v7, v12, v21
	ds_read_b32 v21, v7
	ds_read_b32 v7, v20
	s_waitcnt lgkmcnt(1)
	v_max_f32_e32 v23, v21, v21
	s_waitcnt lgkmcnt(0)
	v_max_f32_e32 v24, v7, v7
	v_min_f32_e32 v22, v24, v23
	v_cmp_u_f32_e64 s[10:11], v7, v7
	v_max_f32_e32 v23, v24, v23
	v_cndmask_b32_e64 v22, v22, v7, s[10:11]
	v_cmp_u_f32_e64 s[12:13], v21, v21
	v_cndmask_b32_e64 v23, v23, v7, s[10:11]
	v_cndmask_b32_e64 v22, v22, v21, s[12:13]
	v_cndmask_b32_e64 v21, v23, v21, s[12:13]
	v_cmp_neq_f32_e64 s[10:11], v22, v21
	v_cmp_class_f32_e64 s[12:13], v22, s31
	s_or_b64 s[10:11], s[10:11], s[12:13]
	s_and_saveexec_b64 s[12:13], s[10:11]
	s_cbranch_execz .LBB171_17
; %bb.23:                               ;   in Loop: Header=BB171_19 Depth=3
	v_sub_f32_e32 v7, v22, v21
	v_mul_f32_e32 v22, 0x3fb8aa3b, v7
	v_fma_f32 v23, v7, s33, -v22
	v_rndne_f32_e32 v24, v22
	v_fmac_f32_e32 v23, 0x32a5705f, v7
	v_sub_f32_e32 v22, v22, v24
	v_add_f32_e32 v22, v22, v23
	v_cvt_i32_f32_e32 v23, v24
	v_exp_f32_e32 v22, v22
	v_cmp_ngt_f32_e64 s[10:11], s34, v7
	v_ldexp_f32 v22, v22, v23
	v_cndmask_b32_e64 v22, 0, v22, s[10:11]
	v_cmp_nlt_f32_e64 s[10:11], s35, v7
	v_cndmask_b32_e64 v38, v15, v22, s[10:11]
	v_add_f32_e32 v7, 1.0, v38
	v_add_f32_e32 v22, -1.0, v7
	v_sub_f32_e32 v23, v22, v7
	v_add_f32_e32 v23, 1.0, v23
	v_sub_f32_e32 v22, v38, v22
	v_add_f32_e32 v24, v22, v23
	v_frexp_mant_f32_e32 v25, v7
	v_cvt_f64_f32_e32 v[22:23], v7
	v_frexp_exp_i32_f64_e32 v22, v[22:23]
	v_cmp_gt_f32_e64 s[10:11], s37, v25
	v_subbrev_co_u32_e64 v30, s[10:11], 0, v22, s[10:11]
	v_sub_u32_e32 v22, 0, v30
	v_ldexp_f32 v7, v7, v22
	v_ldexp_f32 v22, v24, v22
	v_add_f32_e32 v24, -1.0, v7
	v_add_f32_e32 v23, 1.0, v24
	v_sub_f32_e32 v23, v7, v23
	v_add_f32_e32 v25, v22, v23
	v_add_f32_e32 v23, 1.0, v7
	v_add_f32_e32 v26, -1.0, v23
	v_sub_f32_e32 v7, v7, v26
	v_add_f32_e32 v7, v22, v7
	v_add_f32_e32 v31, v23, v7
	v_rcp_f32_e32 v32, v31
	v_sub_f32_e32 v22, v23, v31
	v_add_f32_e32 v23, v24, v25
	v_add_f32_e32 v7, v7, v22
	v_mul_f32_e32 v34, v23, v32
	v_sub_f32_e32 v22, v24, v23
	v_mul_f32_e32 v24, v31, v34
	v_fma_f32 v26, v34, v31, -v24
	v_fmac_f32_e32 v26, v34, v7
	v_add_f32_e32 v33, v25, v22
	v_add_f32_e32 v22, v24, v26
	v_sub_f32_e32 v25, v23, v22
	v_pk_add_f32 v[28:29], v[22:23], v[24:25] neg_lo:[0,1] neg_hi:[0,1]
	v_mov_b32_e32 v27, v22
	v_pk_add_f32 v[22:23], v[28:29], v[26:27] neg_lo:[0,1] neg_hi:[0,1]
	v_add_f32_e32 v23, v33, v23
	v_add_f32_e32 v22, v22, v23
	;; [unrolled: 1-line block ×3, first 2 shown]
	v_mul_f32_e32 v33, v32, v23
	v_mul_f32_e32 v24, v31, v33
	v_fma_f32 v26, v33, v31, -v24
	v_fmac_f32_e32 v26, v33, v7
	v_sub_f32_e32 v7, v25, v23
	v_add_f32_e32 v7, v22, v7
	v_add_f32_e32 v22, v24, v26
	v_sub_f32_e32 v25, v23, v22
	v_pk_add_f32 v[28:29], v[22:23], v[24:25] neg_lo:[0,1] neg_hi:[0,1]
	v_mov_b32_e32 v27, v22
	v_pk_add_f32 v[22:23], v[28:29], v[26:27] neg_lo:[0,1] neg_hi:[0,1]
	v_add_f32_e32 v7, v7, v23
	v_add_f32_e32 v7, v22, v7
	v_add_f32_e32 v23, v34, v33
	v_add_f32_e32 v7, v25, v7
	v_sub_f32_e32 v22, v23, v34
	v_mul_f32_e32 v7, v32, v7
	v_sub_f32_e32 v22, v33, v22
	v_add_f32_e32 v24, v22, v7
	v_add_f32_e32 v26, v23, v24
	v_cvt_f32_i32_e32 v22, v30
	v_mul_f32_e32 v27, v26, v26
	v_mov_b32_e32 v7, 0x3ecc95a3
	v_sub_f32_e32 v23, v26, v23
	v_fmac_f32_e32 v7, 0x3e9b6dac, v27
	v_sub_f32_e32 v23, v24, v23
	v_fma_f32 v7, v27, v7, v14
	v_ldexp_f32 v28, v23, 1
	v_mul_f32_e32 v23, v26, v27
	v_ldexp_f32 v25, v26, 1
	v_pk_mul_f32 v[26:27], v[22:23], v[6:7]
	v_fma_f32 v24, v22, s38, -v26
	v_fmac_f32_e32 v24, 0xb102e308, v22
	v_pk_add_f32 v[22:23], v[26:27], v[24:25]
	v_sub_f32_e32 v7, v23, v25
	v_sub_f32_e32 v7, v27, v7
	v_add_f32_e32 v29, v28, v7
	v_mov_b32_e32 v28, v26
	v_pk_add_f32 v[26:27], v[22:23], v[26:27] neg_lo:[0,1] neg_hi:[0,1]
	v_pk_add_f32 v[30:31], v[22:23], v[28:29]
	v_mov_b32_e32 v27, v31
	v_mov_b32_e32 v25, v22
	v_pk_add_f32 v[32:33], v[24:25], v[26:27] neg_lo:[0,1] neg_hi:[0,1]
	v_pk_add_f32 v[24:25], v[24:25], v[26:27]
	v_mov_b32_e32 v26, v25
	v_pk_add_f32 v[34:35], v[26:27], v[22:23] neg_lo:[0,1] neg_hi:[0,1]
	v_mov_b32_e32 v7, v34
	v_pk_add_f32 v[36:37], v[30:31], v[6:7] neg_lo:[0,1] neg_hi:[0,1]
	v_mov_b32_e32 v24, v31
	v_mov_b32_e32 v30, v23
	;; [unrolled: 1-line block ×4, first 2 shown]
	v_pk_add_f32 v[24:25], v[24:25], v[30:31] neg_lo:[0,1] neg_hi:[0,1]
	v_mov_b32_e32 v28, v29
	v_mov_b32_e32 v29, v22
	v_pk_add_f32 v[22:23], v[28:29], v[24:25] neg_lo:[0,1] neg_hi:[0,1]
	v_mov_b32_e32 v36, v32
	v_pk_add_f32 v[24:25], v[36:37], v[22:23]
	v_mov_b32_e32 v28, v25
	v_pk_add_f32 v[28:29], v[24:25], v[28:29]
	v_pk_add_f32 v[26:27], v[26:27], v[28:29]
	v_mov_b32_e32 v25, v26
	v_pk_add_f32 v[30:31], v[24:25], v[32:33] neg_lo:[0,1] neg_hi:[0,1]
	v_mov_b32_e32 v23, v28
	v_sub_f32_e32 v7, v24, v30
	v_pk_add_f32 v[22:23], v[22:23], v[30:31] neg_lo:[0,1] neg_hi:[0,1]
	v_sub_f32_e32 v7, v32, v7
	v_add_f32_e32 v7, v22, v7
	v_add_f32_e32 v7, v7, v23
	v_cmp_eq_f32_e64 s[10:11], s36, v38
	v_cmp_lt_f32_e64 s[42:43], |v38|, s39
	v_add_f32_e32 v7, v26, v7
	s_or_b64 s[10:11], s[10:11], s[42:43]
	v_cndmask_b32_e64 v7, v7, v38, s[10:11]
	v_add_f32_e32 v7, v21, v7
	s_branch .LBB171_17
.LBB171_24:                             ;   in Loop: Header=BB171_7 Depth=2
	s_or_b64 exec, exec, s[24:25]
	s_and_saveexec_b64 s[12:13], vcc
	s_cbranch_execz .LBB171_6
; %bb.25:                               ;   in Loop: Header=BB171_7 Depth=2
	v_cmp_gt_u32_e64 s[10:11], s21, v4
	s_and_saveexec_b64 s[24:25], s[10:11]
	s_cbranch_execz .LBB171_27
; %bb.26:                               ;   in Loop: Header=BB171_7 Depth=2
	v_lshlrev_b64 v[20:21], 2, v[4:5]
	ds_read_b32 v4, v10
	v_add_co_u32_e64 v20, s[10:11], v18, v20
	v_addc_co_u32_e64 v21, s[10:11], v19, v21, s[10:11]
	s_waitcnt lgkmcnt(0)
	global_store_dword v[20:21], v4, off
.LBB171_27:                             ;   in Loop: Header=BB171_7 Depth=2
	s_or_b64 exec, exec, s[24:25]
	v_cmp_gt_u32_e64 s[10:11], s21, v8
	s_and_b64 exec, exec, s[10:11]
	s_cbranch_execz .LBB171_6
; %bb.28:                               ;   in Loop: Header=BB171_7 Depth=2
	ds_read_b32 v4, v11
	v_mov_b32_e32 v9, v5
	v_lshlrev_b64 v[8:9], 2, v[8:9]
	v_add_co_u32_e64 v8, s[10:11], v18, v8
	v_addc_co_u32_e64 v9, s[10:11], v19, v9, s[10:11]
	s_waitcnt lgkmcnt(0)
	global_store_dword v[8:9], v4, off
	s_branch .LBB171_6
.LBB171_29:
	s_mov_b64 s[0:1], 0
.LBB171_30:
	s_andn2_b64 vcc, exec, s[0:1]
	s_cbranch_vccnz .LBB171_61
; %bb.31:
	s_load_dword s0, s[4:5], 0x34
	s_add_u32 s2, s4, 40
	s_mov_b32 s15, 0
	s_addc_u32 s3, s5, 0
	v_pk_mov_b32 v[4:5], s[14:15], s[14:15] op_sel:[0,1]
	s_waitcnt lgkmcnt(0)
	s_lshr_b32 s0, s0, 16
	s_mul_hi_u32 s11, s0, s6
	s_mul_i32 s10, s0, s6
	v_cmp_ge_u64_e32 vcc, s[10:11], v[4:5]
	s_cbranch_vccnz .LBB171_61
; %bb.32:
	s_lshl_b32 s12, 1, s22
	s_load_dword s5, s[2:3], 0x0
	s_and_b32 s4, 0xffff, s0
	s_ashr_i32 s13, s12, 31
	s_cmp_lg_u32 s21, 0
	s_mov_b32 s24, s21
	v_and_b32_e32 v0, 0x3ff, v0
	s_cselect_b64 s[2:3], -1, 0
	s_lshl_b64 s[20:21], s[12:13], 1
	v_lshl_add_u32 v14, v0, 2, v3
	s_lshl_b32 s6, s20, 2
	v_cndmask_b32_e64 v4, 0, 1, s[2:3]
	v_mov_b32_e32 v1, 0
	s_mov_b32 s25, s15
	v_lshl_add_u32 v15, s12, 2, v14
	v_cmp_eq_u32_e64 s[0:1], 0, v0
	v_add3_u32 v16, v3, s6, -4
	s_waitcnt lgkmcnt(0)
	s_mul_i32 s33, s5, s4
	s_add_i32 s22, s22, 1
	v_cmp_ne_u32_e64 s[2:3], 1, v4
	s_movk_i32 s34, 0x1f8
	s_mov_b32 s35, 0x3fb8aa3b
	s_mov_b32 s36, 0xc2ce8ed0
	;; [unrolled: 1-line block ×5, first 2 shown]
	v_mov_b32_e32 v17, 0x3f2aaada
	s_mov_b32 s40, 0x3f317218
	s_mov_b32 s41, 0x33800000
	v_mov_b32_e32 v18, 0x7f800000
	v_mov_b32_e32 v4, 0x3f317218
	s_branch .LBB171_34
.LBB171_33:                             ;   in Loop: Header=BB171_34 Depth=1
	s_add_u32 s10, s10, s33
	s_addc_u32 s11, s11, 0
	v_pk_mov_b32 v[6:7], s[14:15], s[14:15] op_sel:[0,1]
	v_cmp_ge_u64_e32 vcc, s[10:11], v[6:7]
	s_cbranch_vccnz .LBB171_61
.LBB171_34:                             ; =>This Loop Header: Depth=1
                                        ;     Child Loop BB171_37 Depth 2
                                        ;       Child Loop BB171_49 Depth 3
	s_and_b64 vcc, exec, s[2:3]
	s_cbranch_vccnz .LBB171_33
; %bb.35:                               ;   in Loop: Header=BB171_34 Depth=1
	v_add_co_u32_e32 v6, vcc, s10, v2
	v_mov_b32_e32 v5, s11
	v_mad_u64_u32 v[8:9], s[4:5], v6, s24, 0
	v_addc_co_u32_e32 v7, vcc, 0, v5, vcc
	v_mov_b32_e32 v10, v9
	v_mad_u64_u32 v[10:11], s[4:5], v7, s24, v[10:11]
	v_mov_b32_e32 v9, v10
	v_lshlrev_b64 v[8:9], 2, v[8:9]
	v_mov_b32_e32 v5, s19
	v_add_co_u32_e32 v19, vcc, s18, v8
	v_addc_co_u32_e32 v20, vcc, v5, v9, vcc
	v_mov_b32_e32 v5, s17
	v_add_co_u32_e32 v21, vcc, s16, v8
	v_addc_co_u32_e32 v22, vcc, v5, v9, vcc
	v_cmp_gt_u64_e64 s[4:5], s[14:15], v[6:7]
	v_cmp_le_u64_e64 s[6:7], s[14:15], v[6:7]
	s_mov_b64 s[26:27], 0
	v_mov_b32_e32 v5, s23
	s_branch .LBB171_37
.LBB171_36:                             ;   in Loop: Header=BB171_37 Depth=2
	s_or_b64 exec, exec, s[8:9]
	ds_read_b32 v5, v16
	s_add_u32 s26, s26, s20
	s_addc_u32 s27, s27, s21
	v_pk_mov_b32 v[6:7], s[24:25], s[24:25] op_sel:[0,1]
	v_cmp_ge_u64_e32 vcc, s[26:27], v[6:7]
	s_waitcnt lgkmcnt(0)
	s_barrier
	s_cbranch_vccnz .LBB171_33
.LBB171_37:                             ;   Parent Loop BB171_34 Depth=1
                                        ; =>  This Loop Header: Depth=2
                                        ;       Child Loop BB171_49 Depth 3
	v_mov_b32_e32 v6, s27
	v_add_co_u32_e32 v8, vcc, s26, v0
	v_addc_co_u32_e32 v9, vcc, 0, v6, vcc
	v_mov_b32_e32 v7, s13
	v_add_co_u32_e32 v6, vcc, s12, v8
	v_addc_co_u32_e32 v7, vcc, v9, v7, vcc
	s_and_saveexec_b64 s[28:29], s[4:5]
	s_cbranch_execz .LBB171_46
; %bb.38:                               ;   in Loop: Header=BB171_37 Depth=2
	v_cmp_gt_u64_e32 vcc, s[24:25], v[8:9]
	v_mov_b32_e32 v10, s23
	s_and_saveexec_b64 s[8:9], vcc
	s_cbranch_execz .LBB171_40
; %bb.39:                               ;   in Loop: Header=BB171_37 Depth=2
	v_lshlrev_b64 v[10:11], 2, v[8:9]
	v_add_co_u32_e32 v10, vcc, v19, v10
	v_addc_co_u32_e32 v11, vcc, v20, v11, vcc
	global_load_dword v10, v[10:11], off
.LBB171_40:                             ;   in Loop: Header=BB171_37 Depth=2
	s_or_b64 exec, exec, s[8:9]
	s_waitcnt vmcnt(0)
	ds_write_b32 v14, v10
	v_cmp_gt_u64_e32 vcc, s[24:25], v[6:7]
	v_mov_b32_e32 v10, s23
	s_and_saveexec_b64 s[8:9], vcc
	s_cbranch_execz .LBB171_42
; %bb.41:                               ;   in Loop: Header=BB171_37 Depth=2
	v_lshlrev_b64 v[10:11], 2, v[6:7]
	v_add_co_u32_e32 v10, vcc, v19, v10
	v_addc_co_u32_e32 v11, vcc, v20, v11, vcc
	global_load_dword v10, v[10:11], off
.LBB171_42:                             ;   in Loop: Header=BB171_37 Depth=2
	s_or_b64 exec, exec, s[8:9]
	s_waitcnt vmcnt(0)
	ds_write_b32 v15, v10
	s_and_b64 exec, exec, s[0:1]
	s_cbranch_execz .LBB171_46
; %bb.43:                               ;   in Loop: Header=BB171_37 Depth=2
	ds_read_b32 v11, v3
	v_max_f32_e32 v10, v5, v5
	v_cmp_u_f32_e64 s[8:9], v5, v5
	s_waitcnt lgkmcnt(0)
	v_max_f32_e32 v12, v11, v11
	v_min_f32_e32 v13, v12, v10
	v_max_f32_e32 v10, v12, v10
	v_cmp_u_f32_e32 vcc, v11, v11
	v_cndmask_b32_e32 v12, v13, v11, vcc
	v_cndmask_b32_e32 v10, v10, v11, vcc
	v_cndmask_b32_e64 v12, v12, v5, s[8:9]
	v_cndmask_b32_e64 v10, v10, v5, s[8:9]
	v_cmp_neq_f32_e32 vcc, v12, v10
	v_cmp_class_f32_e64 s[8:9], v12, s34
	s_or_b64 s[30:31], vcc, s[8:9]
	s_and_saveexec_b64 s[8:9], s[30:31]
	s_cbranch_execz .LBB171_45
; %bb.44:                               ;   in Loop: Header=BB171_37 Depth=2
	v_sub_f32_e32 v5, v12, v10
	v_mul_f32_e32 v11, 0x3fb8aa3b, v5
	v_fma_f32 v12, v5, s35, -v11
	v_rndne_f32_e32 v13, v11
	v_fmac_f32_e32 v12, 0x32a5705f, v5
	v_sub_f32_e32 v11, v11, v13
	v_add_f32_e32 v11, v11, v12
	v_cvt_i32_f32_e32 v12, v13
	v_exp_f32_e32 v11, v11
	v_cmp_ngt_f32_e32 vcc, s36, v5
	v_ldexp_f32 v11, v11, v12
	v_cndmask_b32_e32 v11, 0, v11, vcc
	v_cmp_nlt_f32_e32 vcc, s37, v5
	v_cndmask_b32_e32 v11, v18, v11, vcc
	v_add_f32_e32 v5, 1.0, v11
	v_add_f32_e32 v12, -1.0, v5
	v_sub_f32_e32 v13, v12, v5
	v_add_f32_e32 v13, 1.0, v13
	v_sub_f32_e32 v12, v11, v12
	v_add_f32_e32 v23, v12, v13
	v_frexp_mant_f32_e32 v24, v5
	v_cvt_f64_f32_e32 v[12:13], v5
	v_frexp_exp_i32_f64_e32 v12, v[12:13]
	v_cmp_gt_f32_e32 vcc, s39, v24
	v_subbrev_co_u32_e32 v30, vcc, 0, v12, vcc
	v_sub_u32_e32 v12, 0, v30
	v_ldexp_f32 v5, v5, v12
	v_ldexp_f32 v12, v23, v12
	v_add_f32_e32 v23, -1.0, v5
	v_add_f32_e32 v13, 1.0, v23
	v_sub_f32_e32 v13, v5, v13
	v_add_f32_e32 v24, v12, v13
	v_add_f32_e32 v13, 1.0, v5
	v_add_f32_e32 v25, -1.0, v13
	v_sub_f32_e32 v5, v5, v25
	v_add_f32_e32 v5, v12, v5
	v_add_f32_e32 v31, v13, v5
	v_rcp_f32_e32 v32, v31
	v_sub_f32_e32 v12, v13, v31
	v_add_f32_e32 v13, v23, v24
	v_add_f32_e32 v5, v5, v12
	v_sub_f32_e32 v12, v23, v13
	v_mul_f32_e32 v33, v13, v32
	v_add_f32_e32 v23, v24, v12
	v_mul_f32_e32 v24, v31, v33
	v_fma_f32 v26, v33, v31, -v24
	v_fmac_f32_e32 v26, v33, v5
	v_add_f32_e32 v12, v24, v26
	v_sub_f32_e32 v25, v13, v12
	v_pk_add_f32 v[28:29], v[12:13], v[24:25] neg_lo:[0,1] neg_hi:[0,1]
	v_mov_b32_e32 v27, v12
	v_pk_add_f32 v[12:13], v[28:29], v[26:27] neg_lo:[0,1] neg_hi:[0,1]
	v_add_f32_e32 v13, v23, v13
	v_add_f32_e32 v12, v12, v13
	;; [unrolled: 1-line block ×3, first 2 shown]
	v_mul_f32_e32 v23, v32, v13
	v_mul_f32_e32 v24, v31, v23
	v_fma_f32 v26, v23, v31, -v24
	v_fmac_f32_e32 v26, v23, v5
	v_sub_f32_e32 v5, v25, v13
	v_add_f32_e32 v5, v12, v5
	v_add_f32_e32 v12, v24, v26
	v_sub_f32_e32 v25, v13, v12
	v_pk_add_f32 v[28:29], v[12:13], v[24:25] neg_lo:[0,1] neg_hi:[0,1]
	v_mov_b32_e32 v27, v12
	v_pk_add_f32 v[12:13], v[28:29], v[26:27] neg_lo:[0,1] neg_hi:[0,1]
	v_add_f32_e32 v5, v5, v13
	v_add_f32_e32 v5, v12, v5
	;; [unrolled: 1-line block ×4, first 2 shown]
	v_sub_f32_e32 v12, v13, v33
	v_mul_f32_e32 v5, v32, v5
	v_sub_f32_e32 v12, v23, v12
	v_add_f32_e32 v23, v12, v5
	v_add_f32_e32 v24, v13, v23
	v_cvt_f32_i32_e32 v12, v30
	v_mul_f32_e32 v26, v24, v24
	v_mov_b32_e32 v5, 0x3ecc95a3
	v_sub_f32_e32 v13, v24, v13
	v_fmac_f32_e32 v5, 0x3e9b6dac, v26
	v_sub_f32_e32 v13, v23, v13
	v_fma_f32 v5, v26, v5, v17
	v_ldexp_f32 v23, v13, 1
	v_mul_f32_e32 v13, v24, v26
	v_pk_mul_f32 v[26:27], v[12:13], v[4:5]
	v_ldexp_f32 v25, v24, 1
	v_fma_f32 v24, v12, s40, -v26
	v_fmac_f32_e32 v24, 0xb102e308, v12
	v_pk_add_f32 v[12:13], v[26:27], v[24:25]
	v_sub_f32_e32 v5, v13, v25
	v_sub_f32_e32 v5, v27, v5
	v_add_f32_e32 v29, v23, v5
	v_mov_b32_e32 v28, v26
	v_pk_add_f32 v[26:27], v[12:13], v[26:27] neg_lo:[0,1] neg_hi:[0,1]
	v_pk_add_f32 v[30:31], v[12:13], v[28:29]
	v_mov_b32_e32 v27, v31
	v_mov_b32_e32 v25, v12
	v_pk_add_f32 v[32:33], v[24:25], v[26:27] neg_lo:[0,1] neg_hi:[0,1]
	v_pk_add_f32 v[24:25], v[24:25], v[26:27]
	v_mov_b32_e32 v26, v25
	v_pk_add_f32 v[34:35], v[26:27], v[12:13] neg_lo:[0,1] neg_hi:[0,1]
	v_mov_b32_e32 v5, v34
	v_pk_add_f32 v[36:37], v[30:31], v[4:5] neg_lo:[0,1] neg_hi:[0,1]
	v_mov_b32_e32 v24, v31
	v_mov_b32_e32 v30, v13
	;; [unrolled: 1-line block ×4, first 2 shown]
	v_pk_add_f32 v[24:25], v[24:25], v[30:31] neg_lo:[0,1] neg_hi:[0,1]
	v_mov_b32_e32 v28, v29
	v_mov_b32_e32 v29, v12
	v_pk_add_f32 v[12:13], v[28:29], v[24:25] neg_lo:[0,1] neg_hi:[0,1]
	v_mov_b32_e32 v36, v32
	v_pk_add_f32 v[24:25], v[36:37], v[12:13]
	v_mov_b32_e32 v28, v25
	v_pk_add_f32 v[28:29], v[24:25], v[28:29]
	v_pk_add_f32 v[26:27], v[26:27], v[28:29]
	v_mov_b32_e32 v25, v26
	v_pk_add_f32 v[30:31], v[24:25], v[32:33] neg_lo:[0,1] neg_hi:[0,1]
	v_mov_b32_e32 v13, v28
	v_sub_f32_e32 v5, v24, v30
	v_pk_add_f32 v[12:13], v[12:13], v[30:31] neg_lo:[0,1] neg_hi:[0,1]
	v_sub_f32_e32 v5, v32, v5
	v_add_f32_e32 v5, v12, v5
	v_add_f32_e32 v5, v5, v13
	v_cmp_eq_f32_e32 vcc, s38, v11
	v_cmp_lt_f32_e64 s[30:31], |v11|, s41
	v_add_f32_e32 v5, v26, v5
	s_or_b64 vcc, vcc, s[30:31]
	v_cndmask_b32_e32 v5, v5, v11, vcc
	v_add_f32_e32 v11, v10, v5
.LBB171_45:                             ;   in Loop: Header=BB171_37 Depth=2
	s_or_b64 exec, exec, s[8:9]
	ds_write_b32 v3, v11
.LBB171_46:                             ;   in Loop: Header=BB171_37 Depth=2
	s_or_b64 exec, exec, s[28:29]
	s_mov_b64 s[28:29], 0
	v_mov_b32_e32 v5, 0
	s_waitcnt lgkmcnt(0)
	s_barrier
	s_branch .LBB171_49
.LBB171_47:                             ;   in Loop: Header=BB171_49 Depth=3
	s_or_b64 exec, exec, s[8:9]
	ds_write_b32 v10, v5
.LBB171_48:                             ;   in Loop: Header=BB171_49 Depth=3
	s_or_b64 exec, exec, s[30:31]
	v_cmp_eq_u32_e32 vcc, s22, v23
	s_or_b64 s[28:29], vcc, s[28:29]
	v_mov_b32_e32 v5, v23
	s_waitcnt lgkmcnt(0)
	s_barrier
	s_andn2_b64 exec, exec, s[28:29]
	s_cbranch_execz .LBB171_56
.LBB171_49:                             ;   Parent Loop BB171_34 Depth=1
                                        ;     Parent Loop BB171_37 Depth=2
                                        ; =>    This Inner Loop Header: Depth=3
	v_add_u32_e32 v23, 1, v5
	s_and_saveexec_b64 s[8:9], s[6:7]
	s_xor_b64 s[8:9], exec, s[8:9]
; %bb.50:                               ;   in Loop: Header=BB171_49 Depth=3
	v_add_u32_e32 v23, 1, v5
                                        ; implicit-def: $vgpr5
; %bb.51:                               ;   in Loop: Header=BB171_49 Depth=3
	s_andn2_saveexec_b64 s[30:31], s[8:9]
	s_cbranch_execz .LBB171_48
; %bb.52:                               ;   in Loop: Header=BB171_49 Depth=3
	v_lshlrev_b32_e64 v10, v5, 1
	v_ashrrev_i32_e32 v11, 31, v10
	v_cmp_ge_u64_e32 vcc, v[0:1], v[10:11]
	v_pk_mov_b32 v[12:13], v[0:1], v[0:1] op_sel:[0,1]
	s_and_saveexec_b64 s[8:9], vcc
	s_cbranch_execz .LBB171_54
; %bb.53:                               ;   in Loop: Header=BB171_49 Depth=3
	v_cvt_f32_u32_e32 v11, v10
	v_sub_u32_e32 v12, 0, v10
	v_rcp_iflag_f32_e32 v11, v11
	v_mul_f32_e32 v11, 0x4f7ffffe, v11
	v_cvt_u32_f32_e32 v11, v11
	v_mul_lo_u32 v12, v12, v11
	v_mul_hi_u32 v12, v11, v12
	v_add_u32_e32 v11, v11, v12
	v_mul_hi_u32 v11, v0, v11
	v_mul_lo_u32 v11, v11, v10
	v_sub_u32_e32 v11, v0, v11
	v_sub_u32_e32 v12, v11, v10
	v_cmp_ge_u32_e32 vcc, v11, v10
	v_cndmask_b32_e32 v11, v11, v12, vcc
	v_sub_u32_e32 v12, v11, v10
	v_cmp_ge_u32_e32 vcc, v11, v10
	v_cndmask_b32_e32 v12, v11, v12, vcc
.LBB171_54:                             ;   in Loop: Header=BB171_49 Depth=3
	s_or_b64 exec, exec, s[8:9]
	v_lshrrev_b32_e32 v5, v5, v0
	v_lshl_or_b32 v5, v5, v23, v10
	v_lshl_add_u32 v5, v5, 2, v3
	v_lshl_add_u32 v10, v12, 2, v5
	v_add_u32_e32 v5, -4, v5
	ds_read_b32 v11, v5
	ds_read_b32 v5, v10
	s_waitcnt lgkmcnt(1)
	v_max_f32_e32 v13, v11, v11
	s_waitcnt lgkmcnt(0)
	v_max_f32_e32 v24, v5, v5
	v_min_f32_e32 v12, v24, v13
	v_cmp_u_f32_e32 vcc, v5, v5
	v_max_f32_e32 v13, v24, v13
	v_cndmask_b32_e32 v12, v12, v5, vcc
	v_cmp_u_f32_e64 s[8:9], v11, v11
	v_cndmask_b32_e32 v13, v13, v5, vcc
	v_cndmask_b32_e64 v12, v12, v11, s[8:9]
	v_cndmask_b32_e64 v11, v13, v11, s[8:9]
	v_cmp_neq_f32_e32 vcc, v12, v11
	v_cmp_class_f32_e64 s[8:9], v12, s34
	s_or_b64 s[42:43], vcc, s[8:9]
	s_and_saveexec_b64 s[8:9], s[42:43]
	s_cbranch_execz .LBB171_47
; %bb.55:                               ;   in Loop: Header=BB171_49 Depth=3
	v_sub_f32_e32 v5, v12, v11
	v_mul_f32_e32 v12, 0x3fb8aa3b, v5
	v_fma_f32 v13, v5, s35, -v12
	v_rndne_f32_e32 v24, v12
	v_fmac_f32_e32 v13, 0x32a5705f, v5
	v_sub_f32_e32 v12, v12, v24
	v_add_f32_e32 v12, v12, v13
	v_cvt_i32_f32_e32 v13, v24
	v_exp_f32_e32 v12, v12
	v_cmp_ngt_f32_e32 vcc, s36, v5
	v_ldexp_f32 v12, v12, v13
	v_cndmask_b32_e32 v12, 0, v12, vcc
	v_cmp_nlt_f32_e32 vcc, s37, v5
	v_cndmask_b32_e32 v38, v18, v12, vcc
	v_add_f32_e32 v5, 1.0, v38
	v_add_f32_e32 v12, -1.0, v5
	v_sub_f32_e32 v13, v12, v5
	v_add_f32_e32 v13, 1.0, v13
	v_sub_f32_e32 v12, v38, v12
	v_add_f32_e32 v24, v12, v13
	v_frexp_mant_f32_e32 v25, v5
	v_cvt_f64_f32_e32 v[12:13], v5
	v_frexp_exp_i32_f64_e32 v12, v[12:13]
	v_cmp_gt_f32_e32 vcc, s39, v25
	v_subbrev_co_u32_e32 v30, vcc, 0, v12, vcc
	v_sub_u32_e32 v12, 0, v30
	v_ldexp_f32 v5, v5, v12
	v_ldexp_f32 v12, v24, v12
	v_add_f32_e32 v24, -1.0, v5
	v_add_f32_e32 v13, 1.0, v24
	v_sub_f32_e32 v13, v5, v13
	v_add_f32_e32 v25, v12, v13
	v_add_f32_e32 v13, 1.0, v5
	v_add_f32_e32 v26, -1.0, v13
	v_sub_f32_e32 v5, v5, v26
	v_add_f32_e32 v5, v12, v5
	v_add_f32_e32 v31, v13, v5
	v_rcp_f32_e32 v32, v31
	v_sub_f32_e32 v12, v13, v31
	v_add_f32_e32 v13, v24, v25
	v_add_f32_e32 v5, v5, v12
	v_mul_f32_e32 v34, v13, v32
	v_sub_f32_e32 v12, v24, v13
	v_mul_f32_e32 v24, v31, v34
	v_fma_f32 v26, v34, v31, -v24
	v_fmac_f32_e32 v26, v34, v5
	v_add_f32_e32 v33, v25, v12
	v_add_f32_e32 v12, v24, v26
	v_sub_f32_e32 v25, v13, v12
	v_pk_add_f32 v[28:29], v[12:13], v[24:25] neg_lo:[0,1] neg_hi:[0,1]
	v_mov_b32_e32 v27, v12
	v_pk_add_f32 v[12:13], v[28:29], v[26:27] neg_lo:[0,1] neg_hi:[0,1]
	v_add_f32_e32 v13, v33, v13
	v_add_f32_e32 v12, v12, v13
	;; [unrolled: 1-line block ×3, first 2 shown]
	v_mul_f32_e32 v33, v32, v13
	v_mul_f32_e32 v24, v31, v33
	v_fma_f32 v26, v33, v31, -v24
	v_fmac_f32_e32 v26, v33, v5
	v_sub_f32_e32 v5, v25, v13
	v_add_f32_e32 v5, v12, v5
	v_add_f32_e32 v12, v24, v26
	v_sub_f32_e32 v25, v13, v12
	v_pk_add_f32 v[28:29], v[12:13], v[24:25] neg_lo:[0,1] neg_hi:[0,1]
	v_mov_b32_e32 v27, v12
	v_pk_add_f32 v[12:13], v[28:29], v[26:27] neg_lo:[0,1] neg_hi:[0,1]
	v_add_f32_e32 v5, v5, v13
	v_add_f32_e32 v5, v12, v5
	;; [unrolled: 1-line block ×4, first 2 shown]
	v_sub_f32_e32 v12, v13, v34
	v_mul_f32_e32 v5, v32, v5
	v_sub_f32_e32 v12, v33, v12
	v_add_f32_e32 v24, v12, v5
	v_add_f32_e32 v26, v13, v24
	v_cvt_f32_i32_e32 v12, v30
	v_mul_f32_e32 v27, v26, v26
	v_mov_b32_e32 v5, 0x3ecc95a3
	v_sub_f32_e32 v13, v26, v13
	v_fmac_f32_e32 v5, 0x3e9b6dac, v27
	v_sub_f32_e32 v13, v24, v13
	v_fma_f32 v5, v27, v5, v17
	v_ldexp_f32 v28, v13, 1
	v_mul_f32_e32 v13, v26, v27
	v_ldexp_f32 v25, v26, 1
	v_pk_mul_f32 v[26:27], v[12:13], v[4:5]
	v_fma_f32 v24, v12, s40, -v26
	v_fmac_f32_e32 v24, 0xb102e308, v12
	v_pk_add_f32 v[12:13], v[26:27], v[24:25]
	v_sub_f32_e32 v5, v13, v25
	v_sub_f32_e32 v5, v27, v5
	v_add_f32_e32 v29, v28, v5
	v_mov_b32_e32 v28, v26
	v_pk_add_f32 v[26:27], v[12:13], v[26:27] neg_lo:[0,1] neg_hi:[0,1]
	v_pk_add_f32 v[30:31], v[12:13], v[28:29]
	v_mov_b32_e32 v27, v31
	v_mov_b32_e32 v25, v12
	v_pk_add_f32 v[32:33], v[24:25], v[26:27] neg_lo:[0,1] neg_hi:[0,1]
	v_pk_add_f32 v[24:25], v[24:25], v[26:27]
	v_mov_b32_e32 v26, v25
	v_pk_add_f32 v[34:35], v[26:27], v[12:13] neg_lo:[0,1] neg_hi:[0,1]
	v_mov_b32_e32 v5, v34
	v_pk_add_f32 v[36:37], v[30:31], v[4:5] neg_lo:[0,1] neg_hi:[0,1]
	v_mov_b32_e32 v24, v31
	v_mov_b32_e32 v30, v13
	;; [unrolled: 1-line block ×4, first 2 shown]
	v_pk_add_f32 v[24:25], v[24:25], v[30:31] neg_lo:[0,1] neg_hi:[0,1]
	v_mov_b32_e32 v28, v29
	v_mov_b32_e32 v29, v12
	v_pk_add_f32 v[12:13], v[28:29], v[24:25] neg_lo:[0,1] neg_hi:[0,1]
	v_mov_b32_e32 v36, v32
	v_pk_add_f32 v[24:25], v[36:37], v[12:13]
	v_mov_b32_e32 v28, v25
	v_pk_add_f32 v[28:29], v[24:25], v[28:29]
	v_pk_add_f32 v[26:27], v[26:27], v[28:29]
	v_mov_b32_e32 v25, v26
	v_pk_add_f32 v[30:31], v[24:25], v[32:33] neg_lo:[0,1] neg_hi:[0,1]
	v_mov_b32_e32 v13, v28
	v_sub_f32_e32 v5, v24, v30
	v_pk_add_f32 v[12:13], v[12:13], v[30:31] neg_lo:[0,1] neg_hi:[0,1]
	v_sub_f32_e32 v5, v32, v5
	v_add_f32_e32 v5, v12, v5
	v_add_f32_e32 v5, v5, v13
	v_cmp_eq_f32_e32 vcc, s38, v38
	v_cmp_lt_f32_e64 s[42:43], |v38|, s41
	v_add_f32_e32 v5, v26, v5
	s_or_b64 vcc, vcc, s[42:43]
	v_cndmask_b32_e32 v5, v5, v38, vcc
	v_add_f32_e32 v5, v11, v5
	s_branch .LBB171_47
.LBB171_56:                             ;   in Loop: Header=BB171_37 Depth=2
	s_or_b64 exec, exec, s[28:29]
	s_and_saveexec_b64 s[8:9], s[4:5]
	s_cbranch_execz .LBB171_36
; %bb.57:                               ;   in Loop: Header=BB171_37 Depth=2
	v_cmp_gt_u64_e32 vcc, s[24:25], v[8:9]
	s_and_saveexec_b64 s[28:29], vcc
	s_cbranch_execz .LBB171_59
; %bb.58:                               ;   in Loop: Header=BB171_37 Depth=2
	ds_read_b32 v5, v14
	v_lshlrev_b64 v[8:9], 2, v[8:9]
	v_add_co_u32_e32 v8, vcc, v21, v8
	v_addc_co_u32_e32 v9, vcc, v22, v9, vcc
	s_waitcnt lgkmcnt(0)
	global_store_dword v[8:9], v5, off
.LBB171_59:                             ;   in Loop: Header=BB171_37 Depth=2
	s_or_b64 exec, exec, s[28:29]
	v_cmp_gt_u64_e32 vcc, s[24:25], v[6:7]
	s_and_b64 exec, exec, vcc
	s_cbranch_execz .LBB171_36
; %bb.60:                               ;   in Loop: Header=BB171_37 Depth=2
	ds_read_b32 v5, v15
	v_lshlrev_b64 v[6:7], 2, v[6:7]
	v_add_co_u32_e32 v6, vcc, v21, v6
	v_addc_co_u32_e32 v7, vcc, v22, v7, vcc
	s_waitcnt lgkmcnt(0)
	global_store_dword v[6:7], v5, off
	s_branch .LBB171_36
.LBB171_61:
	s_endpgm
	.section	.rodata,"a",@progbits
	.p2align	6, 0x0
	.amdhsa_kernel _ZN2at6native32tensor_kernel_scan_innermost_dimIfZZZNS0_31launch_logcumsumexp_cuda_kernelERKNS_10TensorBaseES4_lENKUlvE_clEvENKUlvE0_clEvEUlffE_EEvPT_PKS8_jjjS8_T0_
		.amdhsa_group_segment_fixed_size 0
		.amdhsa_private_segment_fixed_size 0
		.amdhsa_kernarg_size 296
		.amdhsa_user_sgpr_count 6
		.amdhsa_user_sgpr_private_segment_buffer 1
		.amdhsa_user_sgpr_dispatch_ptr 0
		.amdhsa_user_sgpr_queue_ptr 0
		.amdhsa_user_sgpr_kernarg_segment_ptr 1
		.amdhsa_user_sgpr_dispatch_id 0
		.amdhsa_user_sgpr_flat_scratch_init 0
		.amdhsa_user_sgpr_kernarg_preload_length 0
		.amdhsa_user_sgpr_kernarg_preload_offset 0
		.amdhsa_user_sgpr_private_segment_size 0
		.amdhsa_uses_dynamic_stack 0
		.amdhsa_system_sgpr_private_segment_wavefront_offset 0
		.amdhsa_system_sgpr_workgroup_id_x 1
		.amdhsa_system_sgpr_workgroup_id_y 0
		.amdhsa_system_sgpr_workgroup_id_z 0
		.amdhsa_system_sgpr_workgroup_info 0
		.amdhsa_system_vgpr_workitem_id 1
		.amdhsa_next_free_vgpr 39
		.amdhsa_next_free_sgpr 44
		.amdhsa_accum_offset 40
		.amdhsa_reserve_vcc 1
		.amdhsa_reserve_flat_scratch 0
		.amdhsa_float_round_mode_32 0
		.amdhsa_float_round_mode_16_64 0
		.amdhsa_float_denorm_mode_32 3
		.amdhsa_float_denorm_mode_16_64 3
		.amdhsa_dx10_clamp 1
		.amdhsa_ieee_mode 1
		.amdhsa_fp16_overflow 0
		.amdhsa_tg_split 0
		.amdhsa_exception_fp_ieee_invalid_op 0
		.amdhsa_exception_fp_denorm_src 0
		.amdhsa_exception_fp_ieee_div_zero 0
		.amdhsa_exception_fp_ieee_overflow 0
		.amdhsa_exception_fp_ieee_underflow 0
		.amdhsa_exception_fp_ieee_inexact 0
		.amdhsa_exception_int_div_zero 0
	.end_amdhsa_kernel
	.section	.text._ZN2at6native32tensor_kernel_scan_innermost_dimIfZZZNS0_31launch_logcumsumexp_cuda_kernelERKNS_10TensorBaseES4_lENKUlvE_clEvENKUlvE0_clEvEUlffE_EEvPT_PKS8_jjjS8_T0_,"axG",@progbits,_ZN2at6native32tensor_kernel_scan_innermost_dimIfZZZNS0_31launch_logcumsumexp_cuda_kernelERKNS_10TensorBaseES4_lENKUlvE_clEvENKUlvE0_clEvEUlffE_EEvPT_PKS8_jjjS8_T0_,comdat
.Lfunc_end171:
	.size	_ZN2at6native32tensor_kernel_scan_innermost_dimIfZZZNS0_31launch_logcumsumexp_cuda_kernelERKNS_10TensorBaseES4_lENKUlvE_clEvENKUlvE0_clEvEUlffE_EEvPT_PKS8_jjjS8_T0_, .Lfunc_end171-_ZN2at6native32tensor_kernel_scan_innermost_dimIfZZZNS0_31launch_logcumsumexp_cuda_kernelERKNS_10TensorBaseES4_lENKUlvE_clEvENKUlvE0_clEvEUlffE_EEvPT_PKS8_jjjS8_T0_
                                        ; -- End function
	.section	.AMDGPU.csdata,"",@progbits
; Kernel info:
; codeLenInByte = 4964
; NumSgprs: 48
; NumVgprs: 39
; NumAgprs: 0
; TotalNumVgprs: 39
; ScratchSize: 0
; MemoryBound: 0
; FloatMode: 240
; IeeeMode: 1
; LDSByteSize: 0 bytes/workgroup (compile time only)
; SGPRBlocks: 5
; VGPRBlocks: 4
; NumSGPRsForWavesPerEU: 48
; NumVGPRsForWavesPerEU: 39
; AccumOffset: 40
; Occupancy: 8
; WaveLimiterHint : 0
; COMPUTE_PGM_RSRC2:SCRATCH_EN: 0
; COMPUTE_PGM_RSRC2:USER_SGPR: 6
; COMPUTE_PGM_RSRC2:TRAP_HANDLER: 0
; COMPUTE_PGM_RSRC2:TGID_X_EN: 1
; COMPUTE_PGM_RSRC2:TGID_Y_EN: 0
; COMPUTE_PGM_RSRC2:TGID_Z_EN: 0
; COMPUTE_PGM_RSRC2:TIDIG_COMP_CNT: 1
; COMPUTE_PGM_RSRC3_GFX90A:ACCUM_OFFSET: 9
; COMPUTE_PGM_RSRC3_GFX90A:TG_SPLIT: 0
	.section	.text._ZN2at6native28tensor_kernel_scan_outer_dimIfjZZZNS0_31launch_logcumsumexp_cuda_kernelERKNS_10TensorBaseES4_lENKUlvE_clEvENKUlvE0_clEvEUlffE_EEvPT_PKS8_jjjS8_T1_,"axG",@progbits,_ZN2at6native28tensor_kernel_scan_outer_dimIfjZZZNS0_31launch_logcumsumexp_cuda_kernelERKNS_10TensorBaseES4_lENKUlvE_clEvENKUlvE0_clEvEUlffE_EEvPT_PKS8_jjjS8_T1_,comdat
	.globl	_ZN2at6native28tensor_kernel_scan_outer_dimIfjZZZNS0_31launch_logcumsumexp_cuda_kernelERKNS_10TensorBaseES4_lENKUlvE_clEvENKUlvE0_clEvEUlffE_EEvPT_PKS8_jjjS8_T1_ ; -- Begin function _ZN2at6native28tensor_kernel_scan_outer_dimIfjZZZNS0_31launch_logcumsumexp_cuda_kernelERKNS_10TensorBaseES4_lENKUlvE_clEvENKUlvE0_clEvEUlffE_EEvPT_PKS8_jjjS8_T1_
	.p2align	8
	.type	_ZN2at6native28tensor_kernel_scan_outer_dimIfjZZZNS0_31launch_logcumsumexp_cuda_kernelERKNS_10TensorBaseES4_lENKUlvE_clEvENKUlvE0_clEvEUlffE_EEvPT_PKS8_jjjS8_T1_,@function
_ZN2at6native28tensor_kernel_scan_outer_dimIfjZZZNS0_31launch_logcumsumexp_cuda_kernelERKNS_10TensorBaseES4_lENKUlvE_clEvENKUlvE0_clEvEUlffE_EEvPT_PKS8_jjjS8_T1_: ; @_ZN2at6native28tensor_kernel_scan_outer_dimIfjZZZNS0_31launch_logcumsumexp_cuda_kernelERKNS_10TensorBaseES4_lENKUlvE_clEvENKUlvE0_clEvEUlffE_EEvPT_PKS8_jjjS8_T1_
; %bb.0:
	s_load_dwordx4 s[8:11], s[4:5], 0x10
	s_waitcnt lgkmcnt(0)
	s_cmp_ge_u32 s6, s8
	s_cbranch_scc1 .LBB172_11
; %bb.1:
	s_load_dword s0, s[4:5], 0x34
	s_load_dwordx4 s[12:15], s[4:5], 0x0
	s_load_dword s28, s[4:5], 0x28
	s_add_u32 s4, s4, 40
	s_addc_u32 s5, s5, 0
	s_waitcnt lgkmcnt(0)
	s_and_b32 s29, s0, 0xffff
	s_cmp_lg_u32 s10, 0
	s_mul_i32 s2, s6, s10
	s_mul_i32 s7, s7, s29
	;; [unrolled: 1-line block ×3, first 2 shown]
	s_cselect_b64 s[2:3], -1, 0
	v_add_u32_e32 v6, s7, v0
	s_mov_b32 s17, 0
	s_mov_b32 s16, s9
	s_mul_i32 s7, s28, s10
	v_cndmask_b32_e64 v0, 0, 1, s[2:3]
	v_cmp_gt_u32_e64 s[0:1], s9, v6
	s_mul_i32 s7, s7, s9
	s_lshl_b64 s[18:19], s[16:17], 2
	v_cmp_ne_u32_e64 s[2:3], 1, v0
	v_mov_b32_e32 v1, 0
	s_movk_i32 s30, 0x1f8
	s_mov_b32 s31, 0x3fb8aa3b
	s_mov_b32 s33, 0xc2ce8ed0
	;; [unrolled: 1-line block ×5, first 2 shown]
	v_mov_b32_e32 v7, 0x3f2aaada
	s_mov_b32 s37, 0x3f317218
	s_mov_b32 s38, 0x33800000
	v_mov_b32_e32 v8, 0x7f800000
	v_mov_b32_e32 v2, 0x3f317218
	s_mov_b32 s16, s20
	s_branch .LBB172_3
.LBB172_2:                              ;   in Loop: Header=BB172_3 Depth=1
	s_or_b64 exec, exec, s[20:21]
	s_add_i32 s6, s28, s6
	s_add_i32 s16, s16, s7
	s_cmp_ge_u32 s6, s8
	s_cbranch_scc1 .LBB172_11
.LBB172_3:                              ; =>This Loop Header: Depth=1
                                        ;     Child Loop BB172_6 Depth 2
                                        ;       Child Loop BB172_9 Depth 3
	s_and_saveexec_b64 s[20:21], s[0:1]
	s_cbranch_execz .LBB172_2
; %bb.4:                                ;   in Loop: Header=BB172_3 Depth=1
	s_load_dword s39, s[4:5], 0x4
	s_lshl_b64 s[22:23], s[16:17], 2
	s_mov_b64 s[24:25], 0
	v_mov_b32_e32 v0, v6
	s_waitcnt lgkmcnt(0)
	s_mul_i32 s39, s39, s29
	s_branch .LBB172_6
.LBB172_5:                              ;   in Loop: Header=BB172_6 Depth=2
	v_add_u32_e32 v0, s39, v0
	v_cmp_le_u32_e32 vcc, s9, v0
	s_or_b64 s[24:25], vcc, s[24:25]
	s_andn2_b64 exec, exec, s[24:25]
	s_cbranch_execz .LBB172_2
.LBB172_6:                              ;   Parent Loop BB172_3 Depth=1
                                        ; =>  This Loop Header: Depth=2
                                        ;       Child Loop BB172_9 Depth 3
	s_and_b64 vcc, exec, s[2:3]
	s_cbranch_vccnz .LBB172_5
; %bb.7:                                ;   in Loop: Header=BB172_6 Depth=2
	v_lshlrev_b64 v[4:5], 2, v[0:1]
	v_mov_b32_e32 v3, s23
	v_add_co_u32_e32 v4, vcc, s22, v4
	v_addc_co_u32_e32 v5, vcc, v3, v5, vcc
	v_mov_b32_e32 v3, s11
	s_mov_b32 s40, s10
	s_branch .LBB172_9
.LBB172_8:                              ;   in Loop: Header=BB172_9 Depth=3
	s_or_b64 exec, exec, s[26:27]
	v_mov_b32_e32 v9, s13
	v_add_co_u32_e32 v10, vcc, s12, v4
	v_addc_co_u32_e32 v11, vcc, v9, v5, vcc
	s_add_i32 s40, s40, -1
	v_mov_b32_e32 v9, s19
	v_add_co_u32_e32 v4, vcc, s18, v4
	s_cmp_eq_u32 s40, 0
	v_addc_co_u32_e32 v5, vcc, v5, v9, vcc
	global_store_dword v[10:11], v3, off
	s_cbranch_scc1 .LBB172_5
.LBB172_9:                              ;   Parent Loop BB172_3 Depth=1
                                        ;     Parent Loop BB172_6 Depth=2
                                        ; =>    This Inner Loop Header: Depth=3
	v_mov_b32_e32 v9, s15
	v_add_co_u32_e32 v10, vcc, s14, v4
	v_addc_co_u32_e32 v11, vcc, v9, v5, vcc
	global_load_dword v9, v[10:11], off
	v_max_f32_e32 v10, v3, v3
	v_cmp_u_f32_e32 vcc, v3, v3
	s_waitcnt vmcnt(0)
	v_max_f32_e32 v11, v9, v9
	v_min_f32_e32 v12, v10, v11
	v_max_f32_e32 v10, v10, v11
	v_cndmask_b32_e32 v11, v12, v3, vcc
	v_cndmask_b32_e32 v12, v10, v3, vcc
	v_cmp_u_f32_e32 vcc, v9, v9
	v_cndmask_b32_e32 v10, v11, v9, vcc
	v_cndmask_b32_e32 v9, v12, v9, vcc
	v_cmp_neq_f32_e32 vcc, v10, v9
	v_cmp_class_f32_e64 s[26:27], v10, s30
	s_or_b64 s[42:43], vcc, s[26:27]
	s_and_saveexec_b64 s[26:27], s[42:43]
	s_cbranch_execz .LBB172_8
; %bb.10:                               ;   in Loop: Header=BB172_9 Depth=3
	v_sub_f32_e32 v3, v10, v9
	v_mul_f32_e32 v10, 0x3fb8aa3b, v3
	v_fma_f32 v11, v3, s31, -v10
	v_rndne_f32_e32 v12, v10
	v_fmac_f32_e32 v11, 0x32a5705f, v3
	v_sub_f32_e32 v10, v10, v12
	v_add_f32_e32 v10, v10, v11
	v_cvt_i32_f32_e32 v11, v12
	v_exp_f32_e32 v10, v10
	v_cmp_ngt_f32_e32 vcc, s33, v3
	v_ldexp_f32 v10, v10, v11
	v_cndmask_b32_e32 v10, 0, v10, vcc
	v_cmp_nlt_f32_e32 vcc, s34, v3
	v_cndmask_b32_e32 v26, v8, v10, vcc
	v_add_f32_e32 v3, 1.0, v26
	v_add_f32_e32 v10, -1.0, v3
	v_sub_f32_e32 v11, v10, v3
	v_add_f32_e32 v11, 1.0, v11
	v_sub_f32_e32 v10, v26, v10
	v_add_f32_e32 v12, v10, v11
	v_frexp_mant_f32_e32 v13, v3
	v_cvt_f64_f32_e32 v[10:11], v3
	v_frexp_exp_i32_f64_e32 v10, v[10:11]
	v_cmp_gt_f32_e32 vcc, s36, v13
	v_subbrev_co_u32_e32 v18, vcc, 0, v10, vcc
	v_sub_u32_e32 v10, 0, v18
	v_ldexp_f32 v3, v3, v10
	v_ldexp_f32 v10, v12, v10
	v_add_f32_e32 v12, -1.0, v3
	v_add_f32_e32 v11, 1.0, v12
	v_sub_f32_e32 v11, v3, v11
	v_add_f32_e32 v13, v10, v11
	v_add_f32_e32 v11, 1.0, v3
	v_add_f32_e32 v14, -1.0, v11
	v_sub_f32_e32 v3, v3, v14
	v_add_f32_e32 v3, v10, v3
	v_add_f32_e32 v19, v11, v3
	v_rcp_f32_e32 v20, v19
	v_sub_f32_e32 v10, v11, v19
	v_add_f32_e32 v11, v12, v13
	v_add_f32_e32 v3, v3, v10
	v_mul_f32_e32 v22, v11, v20
	v_sub_f32_e32 v10, v12, v11
	v_mul_f32_e32 v12, v19, v22
	v_fma_f32 v14, v22, v19, -v12
	v_fmac_f32_e32 v14, v22, v3
	v_add_f32_e32 v21, v13, v10
	v_add_f32_e32 v10, v12, v14
	v_sub_f32_e32 v13, v11, v10
	v_pk_add_f32 v[16:17], v[10:11], v[12:13] neg_lo:[0,1] neg_hi:[0,1]
	v_mov_b32_e32 v15, v10
	v_pk_add_f32 v[10:11], v[16:17], v[14:15] neg_lo:[0,1] neg_hi:[0,1]
	v_add_f32_e32 v11, v21, v11
	v_add_f32_e32 v10, v10, v11
	;; [unrolled: 1-line block ×3, first 2 shown]
	v_mul_f32_e32 v21, v20, v11
	v_mul_f32_e32 v12, v19, v21
	v_fma_f32 v14, v21, v19, -v12
	v_fmac_f32_e32 v14, v21, v3
	v_sub_f32_e32 v3, v13, v11
	v_add_f32_e32 v3, v10, v3
	v_add_f32_e32 v10, v12, v14
	v_sub_f32_e32 v13, v11, v10
	v_pk_add_f32 v[16:17], v[10:11], v[12:13] neg_lo:[0,1] neg_hi:[0,1]
	v_mov_b32_e32 v15, v10
	v_pk_add_f32 v[10:11], v[16:17], v[14:15] neg_lo:[0,1] neg_hi:[0,1]
	v_add_f32_e32 v3, v3, v11
	v_add_f32_e32 v3, v10, v3
	;; [unrolled: 1-line block ×4, first 2 shown]
	v_sub_f32_e32 v10, v11, v22
	v_mul_f32_e32 v3, v20, v3
	v_sub_f32_e32 v10, v21, v10
	v_add_f32_e32 v12, v10, v3
	v_add_f32_e32 v14, v11, v12
	v_cvt_f32_i32_e32 v10, v18
	v_mul_f32_e32 v15, v14, v14
	v_mov_b32_e32 v3, 0x3ecc95a3
	v_sub_f32_e32 v11, v14, v11
	v_fmac_f32_e32 v3, 0x3e9b6dac, v15
	v_sub_f32_e32 v11, v12, v11
	v_fma_f32 v3, v15, v3, v7
	v_ldexp_f32 v16, v11, 1
	v_mul_f32_e32 v11, v14, v15
	v_ldexp_f32 v13, v14, 1
	v_pk_mul_f32 v[14:15], v[10:11], v[2:3]
	v_fma_f32 v12, v10, s37, -v14
	v_fmac_f32_e32 v12, 0xb102e308, v10
	v_pk_add_f32 v[10:11], v[14:15], v[12:13]
	v_sub_f32_e32 v3, v11, v13
	v_sub_f32_e32 v3, v15, v3
	v_add_f32_e32 v17, v16, v3
	v_mov_b32_e32 v16, v14
	v_pk_add_f32 v[14:15], v[10:11], v[14:15] neg_lo:[0,1] neg_hi:[0,1]
	v_pk_add_f32 v[18:19], v[10:11], v[16:17]
	v_mov_b32_e32 v15, v19
	v_mov_b32_e32 v13, v10
	v_pk_add_f32 v[20:21], v[12:13], v[14:15] neg_lo:[0,1] neg_hi:[0,1]
	v_pk_add_f32 v[12:13], v[12:13], v[14:15]
	v_mov_b32_e32 v14, v13
	v_pk_add_f32 v[22:23], v[14:15], v[10:11] neg_lo:[0,1] neg_hi:[0,1]
	v_mov_b32_e32 v3, v22
	v_pk_add_f32 v[24:25], v[18:19], v[2:3] neg_lo:[0,1] neg_hi:[0,1]
	v_mov_b32_e32 v12, v19
	v_mov_b32_e32 v18, v11
	;; [unrolled: 1-line block ×4, first 2 shown]
	v_pk_add_f32 v[12:13], v[12:13], v[18:19] neg_lo:[0,1] neg_hi:[0,1]
	v_mov_b32_e32 v16, v17
	v_mov_b32_e32 v17, v10
	v_pk_add_f32 v[10:11], v[16:17], v[12:13] neg_lo:[0,1] neg_hi:[0,1]
	v_mov_b32_e32 v24, v20
	v_pk_add_f32 v[12:13], v[24:25], v[10:11]
	v_mov_b32_e32 v16, v13
	v_pk_add_f32 v[16:17], v[12:13], v[16:17]
	v_pk_add_f32 v[14:15], v[14:15], v[16:17]
	v_mov_b32_e32 v13, v14
	v_pk_add_f32 v[18:19], v[12:13], v[20:21] neg_lo:[0,1] neg_hi:[0,1]
	v_mov_b32_e32 v11, v16
	v_sub_f32_e32 v3, v12, v18
	v_pk_add_f32 v[10:11], v[10:11], v[18:19] neg_lo:[0,1] neg_hi:[0,1]
	v_sub_f32_e32 v3, v20, v3
	v_add_f32_e32 v3, v10, v3
	v_add_f32_e32 v3, v3, v11
	v_cmp_eq_f32_e32 vcc, s35, v26
	v_cmp_lt_f32_e64 s[42:43], |v26|, s38
	v_add_f32_e32 v3, v14, v3
	s_or_b64 vcc, vcc, s[42:43]
	v_cndmask_b32_e32 v3, v3, v26, vcc
	v_add_f32_e32 v3, v9, v3
	s_branch .LBB172_8
.LBB172_11:
	s_endpgm
	.section	.rodata,"a",@progbits
	.p2align	6, 0x0
	.amdhsa_kernel _ZN2at6native28tensor_kernel_scan_outer_dimIfjZZZNS0_31launch_logcumsumexp_cuda_kernelERKNS_10TensorBaseES4_lENKUlvE_clEvENKUlvE0_clEvEUlffE_EEvPT_PKS8_jjjS8_T1_
		.amdhsa_group_segment_fixed_size 0
		.amdhsa_private_segment_fixed_size 0
		.amdhsa_kernarg_size 296
		.amdhsa_user_sgpr_count 6
		.amdhsa_user_sgpr_private_segment_buffer 1
		.amdhsa_user_sgpr_dispatch_ptr 0
		.amdhsa_user_sgpr_queue_ptr 0
		.amdhsa_user_sgpr_kernarg_segment_ptr 1
		.amdhsa_user_sgpr_dispatch_id 0
		.amdhsa_user_sgpr_flat_scratch_init 0
		.amdhsa_user_sgpr_kernarg_preload_length 0
		.amdhsa_user_sgpr_kernarg_preload_offset 0
		.amdhsa_user_sgpr_private_segment_size 0
		.amdhsa_uses_dynamic_stack 0
		.amdhsa_system_sgpr_private_segment_wavefront_offset 0
		.amdhsa_system_sgpr_workgroup_id_x 1
		.amdhsa_system_sgpr_workgroup_id_y 1
		.amdhsa_system_sgpr_workgroup_id_z 0
		.amdhsa_system_sgpr_workgroup_info 0
		.amdhsa_system_vgpr_workitem_id 0
		.amdhsa_next_free_vgpr 27
		.amdhsa_next_free_sgpr 44
		.amdhsa_accum_offset 28
		.amdhsa_reserve_vcc 1
		.amdhsa_reserve_flat_scratch 0
		.amdhsa_float_round_mode_32 0
		.amdhsa_float_round_mode_16_64 0
		.amdhsa_float_denorm_mode_32 3
		.amdhsa_float_denorm_mode_16_64 3
		.amdhsa_dx10_clamp 1
		.amdhsa_ieee_mode 1
		.amdhsa_fp16_overflow 0
		.amdhsa_tg_split 0
		.amdhsa_exception_fp_ieee_invalid_op 0
		.amdhsa_exception_fp_denorm_src 0
		.amdhsa_exception_fp_ieee_div_zero 0
		.amdhsa_exception_fp_ieee_overflow 0
		.amdhsa_exception_fp_ieee_underflow 0
		.amdhsa_exception_fp_ieee_inexact 0
		.amdhsa_exception_int_div_zero 0
	.end_amdhsa_kernel
	.section	.text._ZN2at6native28tensor_kernel_scan_outer_dimIfjZZZNS0_31launch_logcumsumexp_cuda_kernelERKNS_10TensorBaseES4_lENKUlvE_clEvENKUlvE0_clEvEUlffE_EEvPT_PKS8_jjjS8_T1_,"axG",@progbits,_ZN2at6native28tensor_kernel_scan_outer_dimIfjZZZNS0_31launch_logcumsumexp_cuda_kernelERKNS_10TensorBaseES4_lENKUlvE_clEvENKUlvE0_clEvEUlffE_EEvPT_PKS8_jjjS8_T1_,comdat
.Lfunc_end172:
	.size	_ZN2at6native28tensor_kernel_scan_outer_dimIfjZZZNS0_31launch_logcumsumexp_cuda_kernelERKNS_10TensorBaseES4_lENKUlvE_clEvENKUlvE0_clEvEUlffE_EEvPT_PKS8_jjjS8_T1_, .Lfunc_end172-_ZN2at6native28tensor_kernel_scan_outer_dimIfjZZZNS0_31launch_logcumsumexp_cuda_kernelERKNS_10TensorBaseES4_lENKUlvE_clEvENKUlvE0_clEvEUlffE_EEvPT_PKS8_jjjS8_T1_
                                        ; -- End function
	.section	.AMDGPU.csdata,"",@progbits
; Kernel info:
; codeLenInByte = 1152
; NumSgprs: 48
; NumVgprs: 27
; NumAgprs: 0
; TotalNumVgprs: 27
; ScratchSize: 0
; MemoryBound: 0
; FloatMode: 240
; IeeeMode: 1
; LDSByteSize: 0 bytes/workgroup (compile time only)
; SGPRBlocks: 5
; VGPRBlocks: 3
; NumSGPRsForWavesPerEU: 48
; NumVGPRsForWavesPerEU: 27
; AccumOffset: 28
; Occupancy: 8
; WaveLimiterHint : 0
; COMPUTE_PGM_RSRC2:SCRATCH_EN: 0
; COMPUTE_PGM_RSRC2:USER_SGPR: 6
; COMPUTE_PGM_RSRC2:TRAP_HANDLER: 0
; COMPUTE_PGM_RSRC2:TGID_X_EN: 1
; COMPUTE_PGM_RSRC2:TGID_Y_EN: 1
; COMPUTE_PGM_RSRC2:TGID_Z_EN: 0
; COMPUTE_PGM_RSRC2:TIDIG_COMP_CNT: 0
; COMPUTE_PGM_RSRC3_GFX90A:ACCUM_OFFSET: 6
; COMPUTE_PGM_RSRC3_GFX90A:TG_SPLIT: 0
	.section	.text._ZN2at6native28tensor_kernel_scan_outer_dimIfmZZZNS0_31launch_logcumsumexp_cuda_kernelERKNS_10TensorBaseES4_lENKUlvE_clEvENKUlvE0_clEvEUlffE_EEvPT_PKS8_jjjS8_T1_,"axG",@progbits,_ZN2at6native28tensor_kernel_scan_outer_dimIfmZZZNS0_31launch_logcumsumexp_cuda_kernelERKNS_10TensorBaseES4_lENKUlvE_clEvENKUlvE0_clEvEUlffE_EEvPT_PKS8_jjjS8_T1_,comdat
	.globl	_ZN2at6native28tensor_kernel_scan_outer_dimIfmZZZNS0_31launch_logcumsumexp_cuda_kernelERKNS_10TensorBaseES4_lENKUlvE_clEvENKUlvE0_clEvEUlffE_EEvPT_PKS8_jjjS8_T1_ ; -- Begin function _ZN2at6native28tensor_kernel_scan_outer_dimIfmZZZNS0_31launch_logcumsumexp_cuda_kernelERKNS_10TensorBaseES4_lENKUlvE_clEvENKUlvE0_clEvEUlffE_EEvPT_PKS8_jjjS8_T1_
	.p2align	8
	.type	_ZN2at6native28tensor_kernel_scan_outer_dimIfmZZZNS0_31launch_logcumsumexp_cuda_kernelERKNS_10TensorBaseES4_lENKUlvE_clEvENKUlvE0_clEvEUlffE_EEvPT_PKS8_jjjS8_T1_,@function
_ZN2at6native28tensor_kernel_scan_outer_dimIfmZZZNS0_31launch_logcumsumexp_cuda_kernelERKNS_10TensorBaseES4_lENKUlvE_clEvENKUlvE0_clEvEUlffE_EEvPT_PKS8_jjjS8_T1_: ; @_ZN2at6native28tensor_kernel_scan_outer_dimIfmZZZNS0_31launch_logcumsumexp_cuda_kernelERKNS_10TensorBaseES4_lENKUlvE_clEvENKUlvE0_clEvEUlffE_EEvPT_PKS8_jjjS8_T1_
; %bb.0:
	s_load_dwordx4 s[8:11], s[4:5], 0x10
	s_waitcnt lgkmcnt(0)
	s_cmp_ge_u32 s6, s8
	s_cbranch_scc1 .LBB173_11
; %bb.1:
	s_load_dword s0, s[4:5], 0x34
	s_load_dwordx4 s[12:15], s[4:5], 0x0
	s_load_dword s26, s[4:5], 0x28
	s_add_u32 s4, s4, 40
	s_addc_u32 s5, s5, 0
	s_waitcnt lgkmcnt(0)
	s_and_b32 s27, s0, 0xffff
	s_cmp_lg_u32 s10, 0
	s_mul_i32 s7, s7, s27
	s_cselect_b64 s[20:21], -1, 0
	v_add_u32_e32 v6, s7, v0
	s_mov_b32 s3, 0
	s_mov_b32 s2, s9
	s_mul_hi_u32 s17, s10, s9
	s_mul_i32 s16, s10, s9
	v_cndmask_b32_e64 v0, 0, 1, s[20:21]
	v_cmp_gt_u32_e64 s[0:1], s9, v6
	s_lshl_b64 s[16:17], s[16:17], 2
	s_lshl_b64 s[18:19], s[2:3], 2
	v_cmp_ne_u32_e64 s[2:3], 1, v0
	v_mov_b32_e32 v1, 0
	s_movk_i32 s7, 0x1f8
	s_mov_b32 s28, 0x3fb8aa3b
	s_mov_b32 s29, 0xc2ce8ed0
	;; [unrolled: 1-line block ×5, first 2 shown]
	v_mov_b32_e32 v7, 0x3f2aaada
	s_mov_b32 s34, 0x3f317218
	s_mov_b32 s35, 0x33800000
	v_mov_b32_e32 v8, 0x7f800000
	v_mov_b32_e32 v2, 0x3f317218
	s_branch .LBB173_3
.LBB173_2:                              ;   in Loop: Header=BB173_3 Depth=1
	s_or_b64 exec, exec, s[20:21]
	s_add_i32 s6, s6, s26
	s_cmp_ge_u32 s6, s8
	s_cbranch_scc1 .LBB173_11
.LBB173_3:                              ; =>This Loop Header: Depth=1
                                        ;     Child Loop BB173_6 Depth 2
                                        ;       Child Loop BB173_9 Depth 3
	s_and_saveexec_b64 s[20:21], s[0:1]
	s_cbranch_execz .LBB173_2
; %bb.4:                                ;   in Loop: Header=BB173_3 Depth=1
	s_load_dword s38, s[4:5], 0x4
	s_mul_i32 s22, s17, s6
	s_mul_hi_u32 s23, s16, s6
	s_mul_i32 s36, s16, s6
	s_add_i32 s37, s23, s22
	s_waitcnt lgkmcnt(0)
	s_mul_i32 s38, s38, s27
	s_mov_b64 s[22:23], 0
	v_mov_b32_e32 v0, v6
	s_branch .LBB173_6
.LBB173_5:                              ;   in Loop: Header=BB173_6 Depth=2
	v_add_u32_e32 v0, s38, v0
	v_cmp_le_u32_e32 vcc, s9, v0
	s_or_b64 s[22:23], vcc, s[22:23]
	s_andn2_b64 exec, exec, s[22:23]
	s_cbranch_execz .LBB173_2
.LBB173_6:                              ;   Parent Loop BB173_3 Depth=1
                                        ; =>  This Loop Header: Depth=2
                                        ;       Child Loop BB173_9 Depth 3
	s_and_b64 vcc, exec, s[2:3]
	s_cbranch_vccnz .LBB173_5
; %bb.7:                                ;   in Loop: Header=BB173_6 Depth=2
	v_lshlrev_b64 v[4:5], 2, v[0:1]
	v_mov_b32_e32 v3, s37
	v_add_co_u32_e32 v4, vcc, s36, v4
	v_addc_co_u32_e32 v5, vcc, v3, v5, vcc
	v_mov_b32_e32 v3, s11
	s_mov_b32 s39, s10
	s_branch .LBB173_9
.LBB173_8:                              ;   in Loop: Header=BB173_9 Depth=3
	s_or_b64 exec, exec, s[24:25]
	v_mov_b32_e32 v9, s13
	v_add_co_u32_e32 v10, vcc, s12, v4
	v_addc_co_u32_e32 v11, vcc, v9, v5, vcc
	s_add_i32 s39, s39, -1
	v_mov_b32_e32 v9, s19
	v_add_co_u32_e32 v4, vcc, s18, v4
	s_cmp_eq_u32 s39, 0
	v_addc_co_u32_e32 v5, vcc, v5, v9, vcc
	global_store_dword v[10:11], v3, off
	s_cbranch_scc1 .LBB173_5
.LBB173_9:                              ;   Parent Loop BB173_3 Depth=1
                                        ;     Parent Loop BB173_6 Depth=2
                                        ; =>    This Inner Loop Header: Depth=3
	v_mov_b32_e32 v9, s15
	v_add_co_u32_e32 v10, vcc, s14, v4
	v_addc_co_u32_e32 v11, vcc, v9, v5, vcc
	global_load_dword v9, v[10:11], off
	v_max_f32_e32 v10, v3, v3
	v_cmp_u_f32_e32 vcc, v3, v3
	s_waitcnt vmcnt(0)
	v_max_f32_e32 v11, v9, v9
	v_min_f32_e32 v12, v10, v11
	v_max_f32_e32 v10, v10, v11
	v_cndmask_b32_e32 v11, v12, v3, vcc
	v_cndmask_b32_e32 v12, v10, v3, vcc
	v_cmp_u_f32_e32 vcc, v9, v9
	v_cndmask_b32_e32 v10, v11, v9, vcc
	v_cndmask_b32_e32 v9, v12, v9, vcc
	v_cmp_neq_f32_e32 vcc, v10, v9
	v_cmp_class_f32_e64 s[24:25], v10, s7
	s_or_b64 s[40:41], vcc, s[24:25]
	s_and_saveexec_b64 s[24:25], s[40:41]
	s_cbranch_execz .LBB173_8
; %bb.10:                               ;   in Loop: Header=BB173_9 Depth=3
	v_sub_f32_e32 v3, v10, v9
	v_mul_f32_e32 v10, 0x3fb8aa3b, v3
	v_fma_f32 v11, v3, s28, -v10
	v_rndne_f32_e32 v12, v10
	v_fmac_f32_e32 v11, 0x32a5705f, v3
	v_sub_f32_e32 v10, v10, v12
	v_add_f32_e32 v10, v10, v11
	v_cvt_i32_f32_e32 v11, v12
	v_exp_f32_e32 v10, v10
	v_cmp_ngt_f32_e32 vcc, s29, v3
	v_ldexp_f32 v10, v10, v11
	v_cndmask_b32_e32 v10, 0, v10, vcc
	v_cmp_nlt_f32_e32 vcc, s30, v3
	v_cndmask_b32_e32 v26, v8, v10, vcc
	v_add_f32_e32 v3, 1.0, v26
	v_add_f32_e32 v10, -1.0, v3
	v_sub_f32_e32 v11, v10, v3
	v_add_f32_e32 v11, 1.0, v11
	v_sub_f32_e32 v10, v26, v10
	v_add_f32_e32 v12, v10, v11
	v_frexp_mant_f32_e32 v13, v3
	v_cvt_f64_f32_e32 v[10:11], v3
	v_frexp_exp_i32_f64_e32 v10, v[10:11]
	v_cmp_gt_f32_e32 vcc, s33, v13
	v_subbrev_co_u32_e32 v18, vcc, 0, v10, vcc
	v_sub_u32_e32 v10, 0, v18
	v_ldexp_f32 v3, v3, v10
	v_ldexp_f32 v10, v12, v10
	v_add_f32_e32 v12, -1.0, v3
	v_add_f32_e32 v11, 1.0, v12
	v_sub_f32_e32 v11, v3, v11
	v_add_f32_e32 v13, v10, v11
	v_add_f32_e32 v11, 1.0, v3
	v_add_f32_e32 v14, -1.0, v11
	v_sub_f32_e32 v3, v3, v14
	v_add_f32_e32 v3, v10, v3
	v_add_f32_e32 v19, v11, v3
	v_rcp_f32_e32 v20, v19
	v_sub_f32_e32 v10, v11, v19
	v_add_f32_e32 v11, v12, v13
	v_add_f32_e32 v3, v3, v10
	v_mul_f32_e32 v22, v11, v20
	v_sub_f32_e32 v10, v12, v11
	v_mul_f32_e32 v12, v19, v22
	v_fma_f32 v14, v22, v19, -v12
	v_fmac_f32_e32 v14, v22, v3
	v_add_f32_e32 v21, v13, v10
	v_add_f32_e32 v10, v12, v14
	v_sub_f32_e32 v13, v11, v10
	v_pk_add_f32 v[16:17], v[10:11], v[12:13] neg_lo:[0,1] neg_hi:[0,1]
	v_mov_b32_e32 v15, v10
	v_pk_add_f32 v[10:11], v[16:17], v[14:15] neg_lo:[0,1] neg_hi:[0,1]
	v_add_f32_e32 v11, v21, v11
	v_add_f32_e32 v10, v10, v11
	;; [unrolled: 1-line block ×3, first 2 shown]
	v_mul_f32_e32 v21, v20, v11
	v_mul_f32_e32 v12, v19, v21
	v_fma_f32 v14, v21, v19, -v12
	v_fmac_f32_e32 v14, v21, v3
	v_sub_f32_e32 v3, v13, v11
	v_add_f32_e32 v3, v10, v3
	v_add_f32_e32 v10, v12, v14
	v_sub_f32_e32 v13, v11, v10
	v_pk_add_f32 v[16:17], v[10:11], v[12:13] neg_lo:[0,1] neg_hi:[0,1]
	v_mov_b32_e32 v15, v10
	v_pk_add_f32 v[10:11], v[16:17], v[14:15] neg_lo:[0,1] neg_hi:[0,1]
	v_add_f32_e32 v3, v3, v11
	v_add_f32_e32 v3, v10, v3
	;; [unrolled: 1-line block ×4, first 2 shown]
	v_sub_f32_e32 v10, v11, v22
	v_mul_f32_e32 v3, v20, v3
	v_sub_f32_e32 v10, v21, v10
	v_add_f32_e32 v12, v10, v3
	v_add_f32_e32 v14, v11, v12
	v_cvt_f32_i32_e32 v10, v18
	v_mul_f32_e32 v15, v14, v14
	v_mov_b32_e32 v3, 0x3ecc95a3
	v_sub_f32_e32 v11, v14, v11
	v_fmac_f32_e32 v3, 0x3e9b6dac, v15
	v_sub_f32_e32 v11, v12, v11
	v_fma_f32 v3, v15, v3, v7
	v_ldexp_f32 v16, v11, 1
	v_mul_f32_e32 v11, v14, v15
	v_ldexp_f32 v13, v14, 1
	v_pk_mul_f32 v[14:15], v[10:11], v[2:3]
	v_fma_f32 v12, v10, s34, -v14
	v_fmac_f32_e32 v12, 0xb102e308, v10
	v_pk_add_f32 v[10:11], v[14:15], v[12:13]
	v_sub_f32_e32 v3, v11, v13
	v_sub_f32_e32 v3, v15, v3
	v_add_f32_e32 v17, v16, v3
	v_mov_b32_e32 v16, v14
	v_pk_add_f32 v[14:15], v[10:11], v[14:15] neg_lo:[0,1] neg_hi:[0,1]
	v_pk_add_f32 v[18:19], v[10:11], v[16:17]
	v_mov_b32_e32 v15, v19
	v_mov_b32_e32 v13, v10
	v_pk_add_f32 v[20:21], v[12:13], v[14:15] neg_lo:[0,1] neg_hi:[0,1]
	v_pk_add_f32 v[12:13], v[12:13], v[14:15]
	v_mov_b32_e32 v14, v13
	v_pk_add_f32 v[22:23], v[14:15], v[10:11] neg_lo:[0,1] neg_hi:[0,1]
	v_mov_b32_e32 v3, v22
	v_pk_add_f32 v[24:25], v[18:19], v[2:3] neg_lo:[0,1] neg_hi:[0,1]
	v_mov_b32_e32 v12, v19
	v_mov_b32_e32 v18, v11
	;; [unrolled: 1-line block ×4, first 2 shown]
	v_pk_add_f32 v[12:13], v[12:13], v[18:19] neg_lo:[0,1] neg_hi:[0,1]
	v_mov_b32_e32 v16, v17
	v_mov_b32_e32 v17, v10
	v_pk_add_f32 v[10:11], v[16:17], v[12:13] neg_lo:[0,1] neg_hi:[0,1]
	v_mov_b32_e32 v24, v20
	v_pk_add_f32 v[12:13], v[24:25], v[10:11]
	v_mov_b32_e32 v16, v13
	v_pk_add_f32 v[16:17], v[12:13], v[16:17]
	v_pk_add_f32 v[14:15], v[14:15], v[16:17]
	v_mov_b32_e32 v13, v14
	v_pk_add_f32 v[18:19], v[12:13], v[20:21] neg_lo:[0,1] neg_hi:[0,1]
	v_mov_b32_e32 v11, v16
	v_sub_f32_e32 v3, v12, v18
	v_pk_add_f32 v[10:11], v[10:11], v[18:19] neg_lo:[0,1] neg_hi:[0,1]
	v_sub_f32_e32 v3, v20, v3
	v_add_f32_e32 v3, v10, v3
	v_add_f32_e32 v3, v3, v11
	v_cmp_eq_f32_e32 vcc, s31, v26
	v_cmp_lt_f32_e64 s[40:41], |v26|, s35
	v_add_f32_e32 v3, v14, v3
	s_or_b64 vcc, vcc, s[40:41]
	v_cndmask_b32_e32 v3, v3, v26, vcc
	v_add_f32_e32 v3, v9, v3
	s_branch .LBB173_8
.LBB173_11:
	s_endpgm
	.section	.rodata,"a",@progbits
	.p2align	6, 0x0
	.amdhsa_kernel _ZN2at6native28tensor_kernel_scan_outer_dimIfmZZZNS0_31launch_logcumsumexp_cuda_kernelERKNS_10TensorBaseES4_lENKUlvE_clEvENKUlvE0_clEvEUlffE_EEvPT_PKS8_jjjS8_T1_
		.amdhsa_group_segment_fixed_size 0
		.amdhsa_private_segment_fixed_size 0
		.amdhsa_kernarg_size 296
		.amdhsa_user_sgpr_count 6
		.amdhsa_user_sgpr_private_segment_buffer 1
		.amdhsa_user_sgpr_dispatch_ptr 0
		.amdhsa_user_sgpr_queue_ptr 0
		.amdhsa_user_sgpr_kernarg_segment_ptr 1
		.amdhsa_user_sgpr_dispatch_id 0
		.amdhsa_user_sgpr_flat_scratch_init 0
		.amdhsa_user_sgpr_kernarg_preload_length 0
		.amdhsa_user_sgpr_kernarg_preload_offset 0
		.amdhsa_user_sgpr_private_segment_size 0
		.amdhsa_uses_dynamic_stack 0
		.amdhsa_system_sgpr_private_segment_wavefront_offset 0
		.amdhsa_system_sgpr_workgroup_id_x 1
		.amdhsa_system_sgpr_workgroup_id_y 1
		.amdhsa_system_sgpr_workgroup_id_z 0
		.amdhsa_system_sgpr_workgroup_info 0
		.amdhsa_system_vgpr_workitem_id 0
		.amdhsa_next_free_vgpr 27
		.amdhsa_next_free_sgpr 42
		.amdhsa_accum_offset 28
		.amdhsa_reserve_vcc 1
		.amdhsa_reserve_flat_scratch 0
		.amdhsa_float_round_mode_32 0
		.amdhsa_float_round_mode_16_64 0
		.amdhsa_float_denorm_mode_32 3
		.amdhsa_float_denorm_mode_16_64 3
		.amdhsa_dx10_clamp 1
		.amdhsa_ieee_mode 1
		.amdhsa_fp16_overflow 0
		.amdhsa_tg_split 0
		.amdhsa_exception_fp_ieee_invalid_op 0
		.amdhsa_exception_fp_denorm_src 0
		.amdhsa_exception_fp_ieee_div_zero 0
		.amdhsa_exception_fp_ieee_overflow 0
		.amdhsa_exception_fp_ieee_underflow 0
		.amdhsa_exception_fp_ieee_inexact 0
		.amdhsa_exception_int_div_zero 0
	.end_amdhsa_kernel
	.section	.text._ZN2at6native28tensor_kernel_scan_outer_dimIfmZZZNS0_31launch_logcumsumexp_cuda_kernelERKNS_10TensorBaseES4_lENKUlvE_clEvENKUlvE0_clEvEUlffE_EEvPT_PKS8_jjjS8_T1_,"axG",@progbits,_ZN2at6native28tensor_kernel_scan_outer_dimIfmZZZNS0_31launch_logcumsumexp_cuda_kernelERKNS_10TensorBaseES4_lENKUlvE_clEvENKUlvE0_clEvEUlffE_EEvPT_PKS8_jjjS8_T1_,comdat
.Lfunc_end173:
	.size	_ZN2at6native28tensor_kernel_scan_outer_dimIfmZZZNS0_31launch_logcumsumexp_cuda_kernelERKNS_10TensorBaseES4_lENKUlvE_clEvENKUlvE0_clEvEUlffE_EEvPT_PKS8_jjjS8_T1_, .Lfunc_end173-_ZN2at6native28tensor_kernel_scan_outer_dimIfmZZZNS0_31launch_logcumsumexp_cuda_kernelERKNS_10TensorBaseES4_lENKUlvE_clEvENKUlvE0_clEvEUlffE_EEvPT_PKS8_jjjS8_T1_
                                        ; -- End function
	.section	.AMDGPU.csdata,"",@progbits
; Kernel info:
; codeLenInByte = 1152
; NumSgprs: 46
; NumVgprs: 27
; NumAgprs: 0
; TotalNumVgprs: 27
; ScratchSize: 0
; MemoryBound: 0
; FloatMode: 240
; IeeeMode: 1
; LDSByteSize: 0 bytes/workgroup (compile time only)
; SGPRBlocks: 5
; VGPRBlocks: 3
; NumSGPRsForWavesPerEU: 46
; NumVGPRsForWavesPerEU: 27
; AccumOffset: 28
; Occupancy: 8
; WaveLimiterHint : 0
; COMPUTE_PGM_RSRC2:SCRATCH_EN: 0
; COMPUTE_PGM_RSRC2:USER_SGPR: 6
; COMPUTE_PGM_RSRC2:TRAP_HANDLER: 0
; COMPUTE_PGM_RSRC2:TGID_X_EN: 1
; COMPUTE_PGM_RSRC2:TGID_Y_EN: 1
; COMPUTE_PGM_RSRC2:TGID_Z_EN: 0
; COMPUTE_PGM_RSRC2:TIDIG_COMP_CNT: 0
; COMPUTE_PGM_RSRC3_GFX90A:ACCUM_OFFSET: 6
; COMPUTE_PGM_RSRC3_GFX90A:TG_SPLIT: 0
	.section	.text._ZN7rocprim17ROCPRIM_400000_NS6detail31init_lookback_scan_state_kernelINS1_19lookback_scan_stateIN3c107complexIdEELb0ELb0EEENS1_16block_id_wrapperIjLb0EEEEEvT_jT0_jPNSA_10value_typeE,"axG",@progbits,_ZN7rocprim17ROCPRIM_400000_NS6detail31init_lookback_scan_state_kernelINS1_19lookback_scan_stateIN3c107complexIdEELb0ELb0EEENS1_16block_id_wrapperIjLb0EEEEEvT_jT0_jPNSA_10value_typeE,comdat
	.protected	_ZN7rocprim17ROCPRIM_400000_NS6detail31init_lookback_scan_state_kernelINS1_19lookback_scan_stateIN3c107complexIdEELb0ELb0EEENS1_16block_id_wrapperIjLb0EEEEEvT_jT0_jPNSA_10value_typeE ; -- Begin function _ZN7rocprim17ROCPRIM_400000_NS6detail31init_lookback_scan_state_kernelINS1_19lookback_scan_stateIN3c107complexIdEELb0ELb0EEENS1_16block_id_wrapperIjLb0EEEEEvT_jT0_jPNSA_10value_typeE
	.globl	_ZN7rocprim17ROCPRIM_400000_NS6detail31init_lookback_scan_state_kernelINS1_19lookback_scan_stateIN3c107complexIdEELb0ELb0EEENS1_16block_id_wrapperIjLb0EEEEEvT_jT0_jPNSA_10value_typeE
	.p2align	8
	.type	_ZN7rocprim17ROCPRIM_400000_NS6detail31init_lookback_scan_state_kernelINS1_19lookback_scan_stateIN3c107complexIdEELb0ELb0EEENS1_16block_id_wrapperIjLb0EEEEEvT_jT0_jPNSA_10value_typeE,@function
_ZN7rocprim17ROCPRIM_400000_NS6detail31init_lookback_scan_state_kernelINS1_19lookback_scan_stateIN3c107complexIdEELb0ELb0EEENS1_16block_id_wrapperIjLb0EEEEEvT_jT0_jPNSA_10value_typeE: ; @_ZN7rocprim17ROCPRIM_400000_NS6detail31init_lookback_scan_state_kernelINS1_19lookback_scan_stateIN3c107complexIdEELb0ELb0EEENS1_16block_id_wrapperIjLb0EEEEEvT_jT0_jPNSA_10value_typeE
; %bb.0:
	s_load_dword s0, s[4:5], 0x3c
	s_load_dwordx2 s[10:11], s[4:5], 0x28
	s_load_dwordx2 s[8:9], s[4:5], 0x10
	s_load_dword s14, s[4:5], 0x18
	s_waitcnt lgkmcnt(0)
	s_and_b32 s0, s0, 0xffff
	s_mul_i32 s6, s6, s0
	s_cmp_eq_u64 s[10:11], 0
	v_add_u32_e32 v0, s6, v0
	s_cbranch_scc1 .LBB174_7
; %bb.1:
	s_load_dword s0, s[4:5], 0x20
	s_mov_b32 s13, 0
	s_waitcnt lgkmcnt(0)
	s_cmp_lt_u32 s0, s14
	s_cselect_b32 s1, s0, 0
	v_cmp_eq_u32_e32 vcc, s1, v0
	s_and_saveexec_b64 s[6:7], vcc
	s_cbranch_execz .LBB174_6
; %bb.2:
	s_add_i32 s12, s0, 64
	v_mov_b32_e32 v1, s12
	global_load_ubyte v1, v1, s[8:9] glc
	s_load_dwordx4 s[0:3], s[4:5], 0x0
	s_add_u32 s4, s8, s12
	s_addc_u32 s5, s9, 0
	s_waitcnt vmcnt(0)
	v_cmp_ne_u16_e32 vcc, 0, v1
	v_readfirstlane_b32 s15, v1
	s_cbranch_vccnz .LBB174_5
; %bb.3:
	v_mov_b32_e32 v1, 0
.LBB174_4:                              ; =>This Inner Loop Header: Depth=1
	global_load_ubyte v2, v1, s[4:5] glc
	s_waitcnt vmcnt(0)
	v_cmp_eq_u16_e32 vcc, 0, v2
	v_readfirstlane_b32 s15, v2
	s_cbranch_vccnz .LBB174_4
.LBB174_5:
	s_and_b32 s4, 0xffff, s15
	s_cmp_eq_u32 s4, 1
	s_waitcnt lgkmcnt(0)
	s_cselect_b32 s3, s1, s3
	s_cselect_b32 s2, s0, s2
	s_lshl_b64 s[0:1], s[12:13], 4
	s_add_u32 s0, s2, s0
	s_addc_u32 s1, s3, s1
	v_mov_b32_e32 v1, 0
	buffer_wbinvl1_vol
	global_load_dwordx4 v[2:5], v1, s[0:1]
	s_waitcnt vmcnt(0)
	global_store_dwordx4 v1, v[2:5], s[10:11]
.LBB174_6:
	s_or_b64 exec, exec, s[6:7]
.LBB174_7:
	v_cmp_gt_u32_e32 vcc, s14, v0
	s_and_saveexec_b64 s[0:1], vcc
	s_cbranch_execnz .LBB174_10
; %bb.8:
	s_or_b64 exec, exec, s[0:1]
	v_cmp_gt_u32_e32 vcc, 64, v0
	s_and_saveexec_b64 s[0:1], vcc
	s_cbranch_execnz .LBB174_11
.LBB174_9:
	s_endpgm
.LBB174_10:
	v_add_u32_e32 v1, 64, v0
	v_mov_b32_e32 v2, 0
	global_store_byte v1, v2, s[8:9]
	s_or_b64 exec, exec, s[0:1]
	v_cmp_gt_u32_e32 vcc, 64, v0
	s_and_saveexec_b64 s[0:1], vcc
	s_cbranch_execz .LBB174_9
.LBB174_11:
	v_mov_b32_e32 v1, 0xff
	global_store_byte v0, v1, s[8:9]
	s_endpgm
	.section	.rodata,"a",@progbits
	.p2align	6, 0x0
	.amdhsa_kernel _ZN7rocprim17ROCPRIM_400000_NS6detail31init_lookback_scan_state_kernelINS1_19lookback_scan_stateIN3c107complexIdEELb0ELb0EEENS1_16block_id_wrapperIjLb0EEEEEvT_jT0_jPNSA_10value_typeE
		.amdhsa_group_segment_fixed_size 0
		.amdhsa_private_segment_fixed_size 0
		.amdhsa_kernarg_size 304
		.amdhsa_user_sgpr_count 6
		.amdhsa_user_sgpr_private_segment_buffer 1
		.amdhsa_user_sgpr_dispatch_ptr 0
		.amdhsa_user_sgpr_queue_ptr 0
		.amdhsa_user_sgpr_kernarg_segment_ptr 1
		.amdhsa_user_sgpr_dispatch_id 0
		.amdhsa_user_sgpr_flat_scratch_init 0
		.amdhsa_user_sgpr_kernarg_preload_length 0
		.amdhsa_user_sgpr_kernarg_preload_offset 0
		.amdhsa_user_sgpr_private_segment_size 0
		.amdhsa_uses_dynamic_stack 0
		.amdhsa_system_sgpr_private_segment_wavefront_offset 0
		.amdhsa_system_sgpr_workgroup_id_x 1
		.amdhsa_system_sgpr_workgroup_id_y 0
		.amdhsa_system_sgpr_workgroup_id_z 0
		.amdhsa_system_sgpr_workgroup_info 0
		.amdhsa_system_vgpr_workitem_id 0
		.amdhsa_next_free_vgpr 6
		.amdhsa_next_free_sgpr 16
		.amdhsa_accum_offset 8
		.amdhsa_reserve_vcc 1
		.amdhsa_reserve_flat_scratch 0
		.amdhsa_float_round_mode_32 0
		.amdhsa_float_round_mode_16_64 0
		.amdhsa_float_denorm_mode_32 3
		.amdhsa_float_denorm_mode_16_64 3
		.amdhsa_dx10_clamp 1
		.amdhsa_ieee_mode 1
		.amdhsa_fp16_overflow 0
		.amdhsa_tg_split 0
		.amdhsa_exception_fp_ieee_invalid_op 0
		.amdhsa_exception_fp_denorm_src 0
		.amdhsa_exception_fp_ieee_div_zero 0
		.amdhsa_exception_fp_ieee_overflow 0
		.amdhsa_exception_fp_ieee_underflow 0
		.amdhsa_exception_fp_ieee_inexact 0
		.amdhsa_exception_int_div_zero 0
	.end_amdhsa_kernel
	.section	.text._ZN7rocprim17ROCPRIM_400000_NS6detail31init_lookback_scan_state_kernelINS1_19lookback_scan_stateIN3c107complexIdEELb0ELb0EEENS1_16block_id_wrapperIjLb0EEEEEvT_jT0_jPNSA_10value_typeE,"axG",@progbits,_ZN7rocprim17ROCPRIM_400000_NS6detail31init_lookback_scan_state_kernelINS1_19lookback_scan_stateIN3c107complexIdEELb0ELb0EEENS1_16block_id_wrapperIjLb0EEEEEvT_jT0_jPNSA_10value_typeE,comdat
.Lfunc_end174:
	.size	_ZN7rocprim17ROCPRIM_400000_NS6detail31init_lookback_scan_state_kernelINS1_19lookback_scan_stateIN3c107complexIdEELb0ELb0EEENS1_16block_id_wrapperIjLb0EEEEEvT_jT0_jPNSA_10value_typeE, .Lfunc_end174-_ZN7rocprim17ROCPRIM_400000_NS6detail31init_lookback_scan_state_kernelINS1_19lookback_scan_stateIN3c107complexIdEELb0ELb0EEENS1_16block_id_wrapperIjLb0EEEEEvT_jT0_jPNSA_10value_typeE
                                        ; -- End function
	.section	.AMDGPU.csdata,"",@progbits
; Kernel info:
; codeLenInByte = 328
; NumSgprs: 20
; NumVgprs: 6
; NumAgprs: 0
; TotalNumVgprs: 6
; ScratchSize: 0
; MemoryBound: 0
; FloatMode: 240
; IeeeMode: 1
; LDSByteSize: 0 bytes/workgroup (compile time only)
; SGPRBlocks: 2
; VGPRBlocks: 0
; NumSGPRsForWavesPerEU: 20
; NumVGPRsForWavesPerEU: 6
; AccumOffset: 8
; Occupancy: 8
; WaveLimiterHint : 0
; COMPUTE_PGM_RSRC2:SCRATCH_EN: 0
; COMPUTE_PGM_RSRC2:USER_SGPR: 6
; COMPUTE_PGM_RSRC2:TRAP_HANDLER: 0
; COMPUTE_PGM_RSRC2:TGID_X_EN: 1
; COMPUTE_PGM_RSRC2:TGID_Y_EN: 0
; COMPUTE_PGM_RSRC2:TGID_Z_EN: 0
; COMPUTE_PGM_RSRC2:TIDIG_COMP_CNT: 0
; COMPUTE_PGM_RSRC3_GFX90A:ACCUM_OFFSET: 1
; COMPUTE_PGM_RSRC3_GFX90A:TG_SPLIT: 0
	.section	.text._ZN7rocprim17ROCPRIM_400000_NS6detail17trampoline_kernelINS0_14default_configENS1_20scan_config_selectorIN3c107complexIdEEEEZZNS1_9scan_implILNS1_25lookback_scan_determinismE0ELb0ELb0ES3_PKS7_PS7_S7_ZZZN2at6native31launch_logcumsumexp_cuda_kernelERKNSE_10TensorBaseESI_lENKUlvE_clEvENKUlvE1_clEvEUlS7_S7_E_S7_EEDaPvRmT3_T4_T5_mT6_P12ihipStream_tbENKUlT_T0_E_clISt17integral_constantIbLb0EESZ_EEDaSU_SV_EUlSU_E_NS1_11comp_targetILNS1_3genE0ELNS1_11target_archE4294967295ELNS1_3gpuE0ELNS1_3repE0EEENS1_30default_config_static_selectorELNS0_4arch9wavefront6targetE1EEEvT1_,"axG",@progbits,_ZN7rocprim17ROCPRIM_400000_NS6detail17trampoline_kernelINS0_14default_configENS1_20scan_config_selectorIN3c107complexIdEEEEZZNS1_9scan_implILNS1_25lookback_scan_determinismE0ELb0ELb0ES3_PKS7_PS7_S7_ZZZN2at6native31launch_logcumsumexp_cuda_kernelERKNSE_10TensorBaseESI_lENKUlvE_clEvENKUlvE1_clEvEUlS7_S7_E_S7_EEDaPvRmT3_T4_T5_mT6_P12ihipStream_tbENKUlT_T0_E_clISt17integral_constantIbLb0EESZ_EEDaSU_SV_EUlSU_E_NS1_11comp_targetILNS1_3genE0ELNS1_11target_archE4294967295ELNS1_3gpuE0ELNS1_3repE0EEENS1_30default_config_static_selectorELNS0_4arch9wavefront6targetE1EEEvT1_,comdat
	.globl	_ZN7rocprim17ROCPRIM_400000_NS6detail17trampoline_kernelINS0_14default_configENS1_20scan_config_selectorIN3c107complexIdEEEEZZNS1_9scan_implILNS1_25lookback_scan_determinismE0ELb0ELb0ES3_PKS7_PS7_S7_ZZZN2at6native31launch_logcumsumexp_cuda_kernelERKNSE_10TensorBaseESI_lENKUlvE_clEvENKUlvE1_clEvEUlS7_S7_E_S7_EEDaPvRmT3_T4_T5_mT6_P12ihipStream_tbENKUlT_T0_E_clISt17integral_constantIbLb0EESZ_EEDaSU_SV_EUlSU_E_NS1_11comp_targetILNS1_3genE0ELNS1_11target_archE4294967295ELNS1_3gpuE0ELNS1_3repE0EEENS1_30default_config_static_selectorELNS0_4arch9wavefront6targetE1EEEvT1_ ; -- Begin function _ZN7rocprim17ROCPRIM_400000_NS6detail17trampoline_kernelINS0_14default_configENS1_20scan_config_selectorIN3c107complexIdEEEEZZNS1_9scan_implILNS1_25lookback_scan_determinismE0ELb0ELb0ES3_PKS7_PS7_S7_ZZZN2at6native31launch_logcumsumexp_cuda_kernelERKNSE_10TensorBaseESI_lENKUlvE_clEvENKUlvE1_clEvEUlS7_S7_E_S7_EEDaPvRmT3_T4_T5_mT6_P12ihipStream_tbENKUlT_T0_E_clISt17integral_constantIbLb0EESZ_EEDaSU_SV_EUlSU_E_NS1_11comp_targetILNS1_3genE0ELNS1_11target_archE4294967295ELNS1_3gpuE0ELNS1_3repE0EEENS1_30default_config_static_selectorELNS0_4arch9wavefront6targetE1EEEvT1_
	.p2align	8
	.type	_ZN7rocprim17ROCPRIM_400000_NS6detail17trampoline_kernelINS0_14default_configENS1_20scan_config_selectorIN3c107complexIdEEEEZZNS1_9scan_implILNS1_25lookback_scan_determinismE0ELb0ELb0ES3_PKS7_PS7_S7_ZZZN2at6native31launch_logcumsumexp_cuda_kernelERKNSE_10TensorBaseESI_lENKUlvE_clEvENKUlvE1_clEvEUlS7_S7_E_S7_EEDaPvRmT3_T4_T5_mT6_P12ihipStream_tbENKUlT_T0_E_clISt17integral_constantIbLb0EESZ_EEDaSU_SV_EUlSU_E_NS1_11comp_targetILNS1_3genE0ELNS1_11target_archE4294967295ELNS1_3gpuE0ELNS1_3repE0EEENS1_30default_config_static_selectorELNS0_4arch9wavefront6targetE1EEEvT1_,@function
_ZN7rocprim17ROCPRIM_400000_NS6detail17trampoline_kernelINS0_14default_configENS1_20scan_config_selectorIN3c107complexIdEEEEZZNS1_9scan_implILNS1_25lookback_scan_determinismE0ELb0ELb0ES3_PKS7_PS7_S7_ZZZN2at6native31launch_logcumsumexp_cuda_kernelERKNSE_10TensorBaseESI_lENKUlvE_clEvENKUlvE1_clEvEUlS7_S7_E_S7_EEDaPvRmT3_T4_T5_mT6_P12ihipStream_tbENKUlT_T0_E_clISt17integral_constantIbLb0EESZ_EEDaSU_SV_EUlSU_E_NS1_11comp_targetILNS1_3genE0ELNS1_11target_archE4294967295ELNS1_3gpuE0ELNS1_3repE0EEENS1_30default_config_static_selectorELNS0_4arch9wavefront6targetE1EEEvT1_: ; @_ZN7rocprim17ROCPRIM_400000_NS6detail17trampoline_kernelINS0_14default_configENS1_20scan_config_selectorIN3c107complexIdEEEEZZNS1_9scan_implILNS1_25lookback_scan_determinismE0ELb0ELb0ES3_PKS7_PS7_S7_ZZZN2at6native31launch_logcumsumexp_cuda_kernelERKNSE_10TensorBaseESI_lENKUlvE_clEvENKUlvE1_clEvEUlS7_S7_E_S7_EEDaPvRmT3_T4_T5_mT6_P12ihipStream_tbENKUlT_T0_E_clISt17integral_constantIbLb0EESZ_EEDaSU_SV_EUlSU_E_NS1_11comp_targetILNS1_3genE0ELNS1_11target_archE4294967295ELNS1_3gpuE0ELNS1_3repE0EEENS1_30default_config_static_selectorELNS0_4arch9wavefront6targetE1EEEvT1_
; %bb.0:
	.section	.rodata,"a",@progbits
	.p2align	6, 0x0
	.amdhsa_kernel _ZN7rocprim17ROCPRIM_400000_NS6detail17trampoline_kernelINS0_14default_configENS1_20scan_config_selectorIN3c107complexIdEEEEZZNS1_9scan_implILNS1_25lookback_scan_determinismE0ELb0ELb0ES3_PKS7_PS7_S7_ZZZN2at6native31launch_logcumsumexp_cuda_kernelERKNSE_10TensorBaseESI_lENKUlvE_clEvENKUlvE1_clEvEUlS7_S7_E_S7_EEDaPvRmT3_T4_T5_mT6_P12ihipStream_tbENKUlT_T0_E_clISt17integral_constantIbLb0EESZ_EEDaSU_SV_EUlSU_E_NS1_11comp_targetILNS1_3genE0ELNS1_11target_archE4294967295ELNS1_3gpuE0ELNS1_3repE0EEENS1_30default_config_static_selectorELNS0_4arch9wavefront6targetE1EEEvT1_
		.amdhsa_group_segment_fixed_size 0
		.amdhsa_private_segment_fixed_size 0
		.amdhsa_kernarg_size 128
		.amdhsa_user_sgpr_count 6
		.amdhsa_user_sgpr_private_segment_buffer 1
		.amdhsa_user_sgpr_dispatch_ptr 0
		.amdhsa_user_sgpr_queue_ptr 0
		.amdhsa_user_sgpr_kernarg_segment_ptr 1
		.amdhsa_user_sgpr_dispatch_id 0
		.amdhsa_user_sgpr_flat_scratch_init 0
		.amdhsa_user_sgpr_kernarg_preload_length 0
		.amdhsa_user_sgpr_kernarg_preload_offset 0
		.amdhsa_user_sgpr_private_segment_size 0
		.amdhsa_uses_dynamic_stack 0
		.amdhsa_system_sgpr_private_segment_wavefront_offset 0
		.amdhsa_system_sgpr_workgroup_id_x 1
		.amdhsa_system_sgpr_workgroup_id_y 0
		.amdhsa_system_sgpr_workgroup_id_z 0
		.amdhsa_system_sgpr_workgroup_info 0
		.amdhsa_system_vgpr_workitem_id 0
		.amdhsa_next_free_vgpr 1
		.amdhsa_next_free_sgpr 0
		.amdhsa_accum_offset 4
		.amdhsa_reserve_vcc 0
		.amdhsa_reserve_flat_scratch 0
		.amdhsa_float_round_mode_32 0
		.amdhsa_float_round_mode_16_64 0
		.amdhsa_float_denorm_mode_32 3
		.amdhsa_float_denorm_mode_16_64 3
		.amdhsa_dx10_clamp 1
		.amdhsa_ieee_mode 1
		.amdhsa_fp16_overflow 0
		.amdhsa_tg_split 0
		.amdhsa_exception_fp_ieee_invalid_op 0
		.amdhsa_exception_fp_denorm_src 0
		.amdhsa_exception_fp_ieee_div_zero 0
		.amdhsa_exception_fp_ieee_overflow 0
		.amdhsa_exception_fp_ieee_underflow 0
		.amdhsa_exception_fp_ieee_inexact 0
		.amdhsa_exception_int_div_zero 0
	.end_amdhsa_kernel
	.section	.text._ZN7rocprim17ROCPRIM_400000_NS6detail17trampoline_kernelINS0_14default_configENS1_20scan_config_selectorIN3c107complexIdEEEEZZNS1_9scan_implILNS1_25lookback_scan_determinismE0ELb0ELb0ES3_PKS7_PS7_S7_ZZZN2at6native31launch_logcumsumexp_cuda_kernelERKNSE_10TensorBaseESI_lENKUlvE_clEvENKUlvE1_clEvEUlS7_S7_E_S7_EEDaPvRmT3_T4_T5_mT6_P12ihipStream_tbENKUlT_T0_E_clISt17integral_constantIbLb0EESZ_EEDaSU_SV_EUlSU_E_NS1_11comp_targetILNS1_3genE0ELNS1_11target_archE4294967295ELNS1_3gpuE0ELNS1_3repE0EEENS1_30default_config_static_selectorELNS0_4arch9wavefront6targetE1EEEvT1_,"axG",@progbits,_ZN7rocprim17ROCPRIM_400000_NS6detail17trampoline_kernelINS0_14default_configENS1_20scan_config_selectorIN3c107complexIdEEEEZZNS1_9scan_implILNS1_25lookback_scan_determinismE0ELb0ELb0ES3_PKS7_PS7_S7_ZZZN2at6native31launch_logcumsumexp_cuda_kernelERKNSE_10TensorBaseESI_lENKUlvE_clEvENKUlvE1_clEvEUlS7_S7_E_S7_EEDaPvRmT3_T4_T5_mT6_P12ihipStream_tbENKUlT_T0_E_clISt17integral_constantIbLb0EESZ_EEDaSU_SV_EUlSU_E_NS1_11comp_targetILNS1_3genE0ELNS1_11target_archE4294967295ELNS1_3gpuE0ELNS1_3repE0EEENS1_30default_config_static_selectorELNS0_4arch9wavefront6targetE1EEEvT1_,comdat
.Lfunc_end175:
	.size	_ZN7rocprim17ROCPRIM_400000_NS6detail17trampoline_kernelINS0_14default_configENS1_20scan_config_selectorIN3c107complexIdEEEEZZNS1_9scan_implILNS1_25lookback_scan_determinismE0ELb0ELb0ES3_PKS7_PS7_S7_ZZZN2at6native31launch_logcumsumexp_cuda_kernelERKNSE_10TensorBaseESI_lENKUlvE_clEvENKUlvE1_clEvEUlS7_S7_E_S7_EEDaPvRmT3_T4_T5_mT6_P12ihipStream_tbENKUlT_T0_E_clISt17integral_constantIbLb0EESZ_EEDaSU_SV_EUlSU_E_NS1_11comp_targetILNS1_3genE0ELNS1_11target_archE4294967295ELNS1_3gpuE0ELNS1_3repE0EEENS1_30default_config_static_selectorELNS0_4arch9wavefront6targetE1EEEvT1_, .Lfunc_end175-_ZN7rocprim17ROCPRIM_400000_NS6detail17trampoline_kernelINS0_14default_configENS1_20scan_config_selectorIN3c107complexIdEEEEZZNS1_9scan_implILNS1_25lookback_scan_determinismE0ELb0ELb0ES3_PKS7_PS7_S7_ZZZN2at6native31launch_logcumsumexp_cuda_kernelERKNSE_10TensorBaseESI_lENKUlvE_clEvENKUlvE1_clEvEUlS7_S7_E_S7_EEDaPvRmT3_T4_T5_mT6_P12ihipStream_tbENKUlT_T0_E_clISt17integral_constantIbLb0EESZ_EEDaSU_SV_EUlSU_E_NS1_11comp_targetILNS1_3genE0ELNS1_11target_archE4294967295ELNS1_3gpuE0ELNS1_3repE0EEENS1_30default_config_static_selectorELNS0_4arch9wavefront6targetE1EEEvT1_
                                        ; -- End function
	.section	.AMDGPU.csdata,"",@progbits
; Kernel info:
; codeLenInByte = 0
; NumSgprs: 4
; NumVgprs: 0
; NumAgprs: 0
; TotalNumVgprs: 0
; ScratchSize: 0
; MemoryBound: 0
; FloatMode: 240
; IeeeMode: 1
; LDSByteSize: 0 bytes/workgroup (compile time only)
; SGPRBlocks: 0
; VGPRBlocks: 0
; NumSGPRsForWavesPerEU: 4
; NumVGPRsForWavesPerEU: 1
; AccumOffset: 4
; Occupancy: 8
; WaveLimiterHint : 0
; COMPUTE_PGM_RSRC2:SCRATCH_EN: 0
; COMPUTE_PGM_RSRC2:USER_SGPR: 6
; COMPUTE_PGM_RSRC2:TRAP_HANDLER: 0
; COMPUTE_PGM_RSRC2:TGID_X_EN: 1
; COMPUTE_PGM_RSRC2:TGID_Y_EN: 0
; COMPUTE_PGM_RSRC2:TGID_Z_EN: 0
; COMPUTE_PGM_RSRC2:TIDIG_COMP_CNT: 0
; COMPUTE_PGM_RSRC3_GFX90A:ACCUM_OFFSET: 0
; COMPUTE_PGM_RSRC3_GFX90A:TG_SPLIT: 0
	.section	.text._ZN7rocprim17ROCPRIM_400000_NS6detail17trampoline_kernelINS0_14default_configENS1_20scan_config_selectorIN3c107complexIdEEEEZZNS1_9scan_implILNS1_25lookback_scan_determinismE0ELb0ELb0ES3_PKS7_PS7_S7_ZZZN2at6native31launch_logcumsumexp_cuda_kernelERKNSE_10TensorBaseESI_lENKUlvE_clEvENKUlvE1_clEvEUlS7_S7_E_S7_EEDaPvRmT3_T4_T5_mT6_P12ihipStream_tbENKUlT_T0_E_clISt17integral_constantIbLb0EESZ_EEDaSU_SV_EUlSU_E_NS1_11comp_targetILNS1_3genE5ELNS1_11target_archE942ELNS1_3gpuE9ELNS1_3repE0EEENS1_30default_config_static_selectorELNS0_4arch9wavefront6targetE1EEEvT1_,"axG",@progbits,_ZN7rocprim17ROCPRIM_400000_NS6detail17trampoline_kernelINS0_14default_configENS1_20scan_config_selectorIN3c107complexIdEEEEZZNS1_9scan_implILNS1_25lookback_scan_determinismE0ELb0ELb0ES3_PKS7_PS7_S7_ZZZN2at6native31launch_logcumsumexp_cuda_kernelERKNSE_10TensorBaseESI_lENKUlvE_clEvENKUlvE1_clEvEUlS7_S7_E_S7_EEDaPvRmT3_T4_T5_mT6_P12ihipStream_tbENKUlT_T0_E_clISt17integral_constantIbLb0EESZ_EEDaSU_SV_EUlSU_E_NS1_11comp_targetILNS1_3genE5ELNS1_11target_archE942ELNS1_3gpuE9ELNS1_3repE0EEENS1_30default_config_static_selectorELNS0_4arch9wavefront6targetE1EEEvT1_,comdat
	.globl	_ZN7rocprim17ROCPRIM_400000_NS6detail17trampoline_kernelINS0_14default_configENS1_20scan_config_selectorIN3c107complexIdEEEEZZNS1_9scan_implILNS1_25lookback_scan_determinismE0ELb0ELb0ES3_PKS7_PS7_S7_ZZZN2at6native31launch_logcumsumexp_cuda_kernelERKNSE_10TensorBaseESI_lENKUlvE_clEvENKUlvE1_clEvEUlS7_S7_E_S7_EEDaPvRmT3_T4_T5_mT6_P12ihipStream_tbENKUlT_T0_E_clISt17integral_constantIbLb0EESZ_EEDaSU_SV_EUlSU_E_NS1_11comp_targetILNS1_3genE5ELNS1_11target_archE942ELNS1_3gpuE9ELNS1_3repE0EEENS1_30default_config_static_selectorELNS0_4arch9wavefront6targetE1EEEvT1_ ; -- Begin function _ZN7rocprim17ROCPRIM_400000_NS6detail17trampoline_kernelINS0_14default_configENS1_20scan_config_selectorIN3c107complexIdEEEEZZNS1_9scan_implILNS1_25lookback_scan_determinismE0ELb0ELb0ES3_PKS7_PS7_S7_ZZZN2at6native31launch_logcumsumexp_cuda_kernelERKNSE_10TensorBaseESI_lENKUlvE_clEvENKUlvE1_clEvEUlS7_S7_E_S7_EEDaPvRmT3_T4_T5_mT6_P12ihipStream_tbENKUlT_T0_E_clISt17integral_constantIbLb0EESZ_EEDaSU_SV_EUlSU_E_NS1_11comp_targetILNS1_3genE5ELNS1_11target_archE942ELNS1_3gpuE9ELNS1_3repE0EEENS1_30default_config_static_selectorELNS0_4arch9wavefront6targetE1EEEvT1_
	.p2align	8
	.type	_ZN7rocprim17ROCPRIM_400000_NS6detail17trampoline_kernelINS0_14default_configENS1_20scan_config_selectorIN3c107complexIdEEEEZZNS1_9scan_implILNS1_25lookback_scan_determinismE0ELb0ELb0ES3_PKS7_PS7_S7_ZZZN2at6native31launch_logcumsumexp_cuda_kernelERKNSE_10TensorBaseESI_lENKUlvE_clEvENKUlvE1_clEvEUlS7_S7_E_S7_EEDaPvRmT3_T4_T5_mT6_P12ihipStream_tbENKUlT_T0_E_clISt17integral_constantIbLb0EESZ_EEDaSU_SV_EUlSU_E_NS1_11comp_targetILNS1_3genE5ELNS1_11target_archE942ELNS1_3gpuE9ELNS1_3repE0EEENS1_30default_config_static_selectorELNS0_4arch9wavefront6targetE1EEEvT1_,@function
_ZN7rocprim17ROCPRIM_400000_NS6detail17trampoline_kernelINS0_14default_configENS1_20scan_config_selectorIN3c107complexIdEEEEZZNS1_9scan_implILNS1_25lookback_scan_determinismE0ELb0ELb0ES3_PKS7_PS7_S7_ZZZN2at6native31launch_logcumsumexp_cuda_kernelERKNSE_10TensorBaseESI_lENKUlvE_clEvENKUlvE1_clEvEUlS7_S7_E_S7_EEDaPvRmT3_T4_T5_mT6_P12ihipStream_tbENKUlT_T0_E_clISt17integral_constantIbLb0EESZ_EEDaSU_SV_EUlSU_E_NS1_11comp_targetILNS1_3genE5ELNS1_11target_archE942ELNS1_3gpuE9ELNS1_3repE0EEENS1_30default_config_static_selectorELNS0_4arch9wavefront6targetE1EEEvT1_: ; @_ZN7rocprim17ROCPRIM_400000_NS6detail17trampoline_kernelINS0_14default_configENS1_20scan_config_selectorIN3c107complexIdEEEEZZNS1_9scan_implILNS1_25lookback_scan_determinismE0ELb0ELb0ES3_PKS7_PS7_S7_ZZZN2at6native31launch_logcumsumexp_cuda_kernelERKNSE_10TensorBaseESI_lENKUlvE_clEvENKUlvE1_clEvEUlS7_S7_E_S7_EEDaPvRmT3_T4_T5_mT6_P12ihipStream_tbENKUlT_T0_E_clISt17integral_constantIbLb0EESZ_EEDaSU_SV_EUlSU_E_NS1_11comp_targetILNS1_3genE5ELNS1_11target_archE942ELNS1_3gpuE9ELNS1_3repE0EEENS1_30default_config_static_selectorELNS0_4arch9wavefront6targetE1EEEvT1_
; %bb.0:
	.section	.rodata,"a",@progbits
	.p2align	6, 0x0
	.amdhsa_kernel _ZN7rocprim17ROCPRIM_400000_NS6detail17trampoline_kernelINS0_14default_configENS1_20scan_config_selectorIN3c107complexIdEEEEZZNS1_9scan_implILNS1_25lookback_scan_determinismE0ELb0ELb0ES3_PKS7_PS7_S7_ZZZN2at6native31launch_logcumsumexp_cuda_kernelERKNSE_10TensorBaseESI_lENKUlvE_clEvENKUlvE1_clEvEUlS7_S7_E_S7_EEDaPvRmT3_T4_T5_mT6_P12ihipStream_tbENKUlT_T0_E_clISt17integral_constantIbLb0EESZ_EEDaSU_SV_EUlSU_E_NS1_11comp_targetILNS1_3genE5ELNS1_11target_archE942ELNS1_3gpuE9ELNS1_3repE0EEENS1_30default_config_static_selectorELNS0_4arch9wavefront6targetE1EEEvT1_
		.amdhsa_group_segment_fixed_size 0
		.amdhsa_private_segment_fixed_size 0
		.amdhsa_kernarg_size 128
		.amdhsa_user_sgpr_count 6
		.amdhsa_user_sgpr_private_segment_buffer 1
		.amdhsa_user_sgpr_dispatch_ptr 0
		.amdhsa_user_sgpr_queue_ptr 0
		.amdhsa_user_sgpr_kernarg_segment_ptr 1
		.amdhsa_user_sgpr_dispatch_id 0
		.amdhsa_user_sgpr_flat_scratch_init 0
		.amdhsa_user_sgpr_kernarg_preload_length 0
		.amdhsa_user_sgpr_kernarg_preload_offset 0
		.amdhsa_user_sgpr_private_segment_size 0
		.amdhsa_uses_dynamic_stack 0
		.amdhsa_system_sgpr_private_segment_wavefront_offset 0
		.amdhsa_system_sgpr_workgroup_id_x 1
		.amdhsa_system_sgpr_workgroup_id_y 0
		.amdhsa_system_sgpr_workgroup_id_z 0
		.amdhsa_system_sgpr_workgroup_info 0
		.amdhsa_system_vgpr_workitem_id 0
		.amdhsa_next_free_vgpr 1
		.amdhsa_next_free_sgpr 0
		.amdhsa_accum_offset 4
		.amdhsa_reserve_vcc 0
		.amdhsa_reserve_flat_scratch 0
		.amdhsa_float_round_mode_32 0
		.amdhsa_float_round_mode_16_64 0
		.amdhsa_float_denorm_mode_32 3
		.amdhsa_float_denorm_mode_16_64 3
		.amdhsa_dx10_clamp 1
		.amdhsa_ieee_mode 1
		.amdhsa_fp16_overflow 0
		.amdhsa_tg_split 0
		.amdhsa_exception_fp_ieee_invalid_op 0
		.amdhsa_exception_fp_denorm_src 0
		.amdhsa_exception_fp_ieee_div_zero 0
		.amdhsa_exception_fp_ieee_overflow 0
		.amdhsa_exception_fp_ieee_underflow 0
		.amdhsa_exception_fp_ieee_inexact 0
		.amdhsa_exception_int_div_zero 0
	.end_amdhsa_kernel
	.section	.text._ZN7rocprim17ROCPRIM_400000_NS6detail17trampoline_kernelINS0_14default_configENS1_20scan_config_selectorIN3c107complexIdEEEEZZNS1_9scan_implILNS1_25lookback_scan_determinismE0ELb0ELb0ES3_PKS7_PS7_S7_ZZZN2at6native31launch_logcumsumexp_cuda_kernelERKNSE_10TensorBaseESI_lENKUlvE_clEvENKUlvE1_clEvEUlS7_S7_E_S7_EEDaPvRmT3_T4_T5_mT6_P12ihipStream_tbENKUlT_T0_E_clISt17integral_constantIbLb0EESZ_EEDaSU_SV_EUlSU_E_NS1_11comp_targetILNS1_3genE5ELNS1_11target_archE942ELNS1_3gpuE9ELNS1_3repE0EEENS1_30default_config_static_selectorELNS0_4arch9wavefront6targetE1EEEvT1_,"axG",@progbits,_ZN7rocprim17ROCPRIM_400000_NS6detail17trampoline_kernelINS0_14default_configENS1_20scan_config_selectorIN3c107complexIdEEEEZZNS1_9scan_implILNS1_25lookback_scan_determinismE0ELb0ELb0ES3_PKS7_PS7_S7_ZZZN2at6native31launch_logcumsumexp_cuda_kernelERKNSE_10TensorBaseESI_lENKUlvE_clEvENKUlvE1_clEvEUlS7_S7_E_S7_EEDaPvRmT3_T4_T5_mT6_P12ihipStream_tbENKUlT_T0_E_clISt17integral_constantIbLb0EESZ_EEDaSU_SV_EUlSU_E_NS1_11comp_targetILNS1_3genE5ELNS1_11target_archE942ELNS1_3gpuE9ELNS1_3repE0EEENS1_30default_config_static_selectorELNS0_4arch9wavefront6targetE1EEEvT1_,comdat
.Lfunc_end176:
	.size	_ZN7rocprim17ROCPRIM_400000_NS6detail17trampoline_kernelINS0_14default_configENS1_20scan_config_selectorIN3c107complexIdEEEEZZNS1_9scan_implILNS1_25lookback_scan_determinismE0ELb0ELb0ES3_PKS7_PS7_S7_ZZZN2at6native31launch_logcumsumexp_cuda_kernelERKNSE_10TensorBaseESI_lENKUlvE_clEvENKUlvE1_clEvEUlS7_S7_E_S7_EEDaPvRmT3_T4_T5_mT6_P12ihipStream_tbENKUlT_T0_E_clISt17integral_constantIbLb0EESZ_EEDaSU_SV_EUlSU_E_NS1_11comp_targetILNS1_3genE5ELNS1_11target_archE942ELNS1_3gpuE9ELNS1_3repE0EEENS1_30default_config_static_selectorELNS0_4arch9wavefront6targetE1EEEvT1_, .Lfunc_end176-_ZN7rocprim17ROCPRIM_400000_NS6detail17trampoline_kernelINS0_14default_configENS1_20scan_config_selectorIN3c107complexIdEEEEZZNS1_9scan_implILNS1_25lookback_scan_determinismE0ELb0ELb0ES3_PKS7_PS7_S7_ZZZN2at6native31launch_logcumsumexp_cuda_kernelERKNSE_10TensorBaseESI_lENKUlvE_clEvENKUlvE1_clEvEUlS7_S7_E_S7_EEDaPvRmT3_T4_T5_mT6_P12ihipStream_tbENKUlT_T0_E_clISt17integral_constantIbLb0EESZ_EEDaSU_SV_EUlSU_E_NS1_11comp_targetILNS1_3genE5ELNS1_11target_archE942ELNS1_3gpuE9ELNS1_3repE0EEENS1_30default_config_static_selectorELNS0_4arch9wavefront6targetE1EEEvT1_
                                        ; -- End function
	.section	.AMDGPU.csdata,"",@progbits
; Kernel info:
; codeLenInByte = 0
; NumSgprs: 4
; NumVgprs: 0
; NumAgprs: 0
; TotalNumVgprs: 0
; ScratchSize: 0
; MemoryBound: 0
; FloatMode: 240
; IeeeMode: 1
; LDSByteSize: 0 bytes/workgroup (compile time only)
; SGPRBlocks: 0
; VGPRBlocks: 0
; NumSGPRsForWavesPerEU: 4
; NumVGPRsForWavesPerEU: 1
; AccumOffset: 4
; Occupancy: 8
; WaveLimiterHint : 0
; COMPUTE_PGM_RSRC2:SCRATCH_EN: 0
; COMPUTE_PGM_RSRC2:USER_SGPR: 6
; COMPUTE_PGM_RSRC2:TRAP_HANDLER: 0
; COMPUTE_PGM_RSRC2:TGID_X_EN: 1
; COMPUTE_PGM_RSRC2:TGID_Y_EN: 0
; COMPUTE_PGM_RSRC2:TGID_Z_EN: 0
; COMPUTE_PGM_RSRC2:TIDIG_COMP_CNT: 0
; COMPUTE_PGM_RSRC3_GFX90A:ACCUM_OFFSET: 0
; COMPUTE_PGM_RSRC3_GFX90A:TG_SPLIT: 0
	.text
	.p2align	2                               ; -- Begin function _ZZZZN2at6native31launch_logcumsumexp_cuda_kernelERKNS_10TensorBaseES3_lENKUlvE_clEvENKUlvE1_clEvENKUlN3c107complexIdEES8_E_clES8_S8_
	.type	_ZZZZN2at6native31launch_logcumsumexp_cuda_kernelERKNS_10TensorBaseES3_lENKUlvE_clEvENKUlvE1_clEvENKUlN3c107complexIdEES8_E_clES8_S8_,@function
_ZZZZN2at6native31launch_logcumsumexp_cuda_kernelERKNS_10TensorBaseES3_lENKUlvE_clEvENKUlvE1_clEvENKUlN3c107complexIdEES8_E_clES8_S8_: ; @_ZZZZN2at6native31launch_logcumsumexp_cuda_kernelERKNS_10TensorBaseES3_lENKUlvE_clEvENKUlvE1_clEvENKUlN3c107complexIdEES8_E_clES8_S8_
; %bb.0:
	s_waitcnt vmcnt(0) expcnt(0) lgkmcnt(0)
	s_or_saveexec_b64 s[4:5], -1
	buffer_store_dword v40, off, s[0:3], s32 ; 4-byte Folded Spill
	s_mov_b64 exec, s[4:5]
	v_writelane_b32 v40, s34, 0
	v_writelane_b32 v40, s35, 1
	;; [unrolled: 1-line block ×5, first 2 shown]
	v_cmp_o_f64_e32 vcc, v[4:5], v[4:5]
	v_cmp_o_f64_e64 s[4:5], v[6:7], v[6:7]
	s_and_b64 s[6:7], vcc, s[4:5]
	v_pk_mov_b32 v[8:9], v[6:7], v[6:7] op_sel:[0,1]
	v_pk_mov_b32 v[10:11], v[4:5], v[4:5] op_sel:[0,1]
	s_and_saveexec_b64 s[8:9], s[6:7]
; %bb.1:
	v_cmp_u_f64_e32 vcc, v[0:1], v[0:1]
	v_cmp_u_f64_e64 s[4:5], v[2:3], v[2:3]
	s_or_b64 s[4:5], vcc, s[4:5]
	v_cmp_lt_f64_e32 vcc, v[0:1], v[4:5]
	s_or_b64 vcc, vcc, s[4:5]
	v_cndmask_b32_e32 v11, v5, v1, vcc
	v_cndmask_b32_e32 v10, v4, v0, vcc
	;; [unrolled: 1-line block ×4, first 2 shown]
; %bb.2:
	s_or_b64 exec, exec, s[8:9]
	s_and_saveexec_b64 s[8:9], s[6:7]
; %bb.3:
	v_cmp_u_f64_e32 vcc, v[0:1], v[0:1]
	v_cmp_u_f64_e64 s[4:5], v[2:3], v[2:3]
	s_or_b64 s[4:5], vcc, s[4:5]
	v_cmp_ge_f64_e32 vcc, v[0:1], v[4:5]
	s_or_b64 vcc, vcc, s[4:5]
	v_cndmask_b32_e32 v5, v5, v1, vcc
	v_cndmask_b32_e32 v4, v4, v0, vcc
	;; [unrolled: 1-line block ×4, first 2 shown]
; %bb.4:
	s_or_b64 exec, exec, s[8:9]
	s_mov_b32 s6, 0
	s_mov_b32 s7, 0x7ff80000
	v_cmp_o_f64_e32 vcc, v[10:11], v[10:11]
	v_cmp_o_f64_e64 s[4:5], v[8:9], v[8:9]
	v_pk_mov_b32 v[0:1], s[6:7], s[6:7] op_sel:[0,1]
	s_and_b64 s[4:5], vcc, s[4:5]
	v_pk_mov_b32 v[2:3], v[0:1], v[0:1] op_sel:[0,1]
	s_and_saveexec_b64 s[8:9], s[4:5]
	s_cbranch_execz .LBB177_48
; %bb.5:
	s_movk_i32 s4, 0x1f8
	v_cmp_class_f64_e64 s[4:5], v[10:11], s4
	v_cmp_neq_f64_e32 vcc, v[10:11], v[4:5]
	s_or_b64 s[4:5], s[4:5], vcc
	s_and_saveexec_b64 s[6:7], s[4:5]
	s_xor_b64 s[10:11], exec, s[6:7]
	s_cbranch_execz .LBB177_21
; %bb.6:
	s_mov_b32 s4, 0
	v_add_f64 v[0:1], v[8:9], -v[6:7]
	s_mov_b32 s5, 0x41d00000
	v_cmp_nlt_f64_e64 s[6:7], |v[0:1]|, s[4:5]
	v_trig_preop_f64 v[20:21], |v[0:1]|, 0
	v_trig_preop_f64 v[18:19], |v[0:1]|, 1
	;; [unrolled: 1-line block ×3, first 2 shown]
                                        ; implicit-def: $vgpr22
                                        ; implicit-def: $vgpr2_vgpr3
                                        ; implicit-def: $vgpr8_vgpr9
	s_and_saveexec_b64 s[4:5], s[6:7]
	s_xor_b64 s[12:13], exec, s[4:5]
	s_cbranch_execz .LBB177_8
; %bb.7:
	s_mov_b32 s4, 0
	s_mov_b32 s5, 0x7b000000
	s_movk_i32 s14, 0xff80
	v_and_b32_e32 v8, 0x7fffffff, v1
	v_ldexp_f64 v[2:3], |v[0:1]|, s14
	v_cmp_ge_f64_e64 vcc, |v[0:1]|, s[4:5]
	v_cndmask_b32_e32 v3, v8, v3, vcc
	v_cndmask_b32_e32 v2, v0, v2, vcc
	v_mul_f64 v[14:15], v[20:21], v[2:3]
	v_mul_f64 v[8:9], v[18:19], v[2:3]
	v_fma_f64 v[16:17], v[20:21], v[2:3], -v[14:15]
	v_add_f64 v[22:23], v[8:9], v[16:17]
	v_add_f64 v[24:25], v[14:15], v[22:23]
	s_mov_b32 s4, 0
	v_ldexp_f64 v[26:27], v[24:25], -2
	s_mov_b32 s5, 0x7ff00000
	v_fract_f64_e32 v[28:29], v[26:27]
	v_cmp_neq_f64_e64 vcc, |v[26:27]|, s[4:5]
	v_cndmask_b32_e32 v27, 0, v29, vcc
	v_cndmask_b32_e32 v26, 0, v28, vcc
	v_add_f64 v[28:29], v[22:23], -v[8:9]
	v_add_f64 v[16:17], v[16:17], -v[28:29]
	;; [unrolled: 1-line block ×4, first 2 shown]
	v_add_f64 v[16:17], v[16:17], v[28:29]
	v_fma_f64 v[8:9], v[18:19], v[2:3], -v[8:9]
	v_mul_f64 v[28:29], v[12:13], v[2:3]
	v_add_f64 v[32:33], v[28:29], v[8:9]
	v_add_f64 v[34:35], v[32:33], v[16:17]
	v_add_f64 v[14:15], v[24:25], -v[14:15]
	v_add_f64 v[24:25], v[34:35], -v[32:33]
	;; [unrolled: 1-line block ×5, first 2 shown]
	v_add_f64 v[16:17], v[16:17], v[24:25]
	v_add_f64 v[24:25], v[32:33], -v[28:29]
	v_add_f64 v[8:9], v[8:9], -v[24:25]
	v_add_f64 v[24:25], v[32:33], -v[24:25]
	v_add_f64 v[14:15], v[22:23], -v[14:15]
	v_add_f64 v[24:25], v[28:29], -v[24:25]
	v_add_f64 v[22:23], v[14:15], v[34:35]
	v_add_f64 v[8:9], v[8:9], v[24:25]
	v_add_f64 v[14:15], v[22:23], -v[14:15]
	v_add_f64 v[8:9], v[8:9], v[16:17]
	v_fma_f64 v[2:3], v[12:13], v[2:3], -v[28:29]
	v_add_f64 v[14:15], v[34:35], -v[14:15]
	v_add_f64 v[2:3], v[2:3], v[8:9]
	v_ldexp_f64 v[8:9], v[26:27], 2
	v_add_f64 v[2:3], v[14:15], v[2:3]
	v_add_f64 v[14:15], v[22:23], v[8:9]
	v_mov_b32_e32 v16, 0x40100000
	v_cmp_gt_f64_e32 vcc, 0, v[14:15]
	v_mov_b32_e32 v30, 0
	v_cndmask_b32_e32 v31, 0, v16, vcc
	v_add_f64 v[8:9], v[8:9], v[30:31]
	v_add_f64 v[14:15], v[22:23], v[8:9]
	v_cvt_i32_f64_e32 v16, v[14:15]
	v_cvt_f64_i32_e32 v[14:15], v16
	v_add_f64 v[8:9], v[8:9], -v[14:15]
	v_add_f64 v[14:15], v[22:23], v[8:9]
	v_add_f64 v[8:9], v[14:15], -v[8:9]
	v_add_f64 v[8:9], v[22:23], -v[8:9]
	v_add_f64 v[2:3], v[2:3], v[8:9]
	v_cmp_le_f64_e32 vcc, 0.5, v[14:15]
	v_mov_b32_e32 v8, 0x3ff00000
	v_cndmask_b32_e32 v31, 0, v8, vcc
	v_addc_co_u32_e64 v22, s[4:5], 0, v16, vcc
	v_add_f64 v[8:9], v[14:15], -v[30:31]
	v_add_f64 v[14:15], v[8:9], v[2:3]
	s_mov_b32 s4, 0x54442d18
	v_add_f64 v[8:9], v[14:15], -v[8:9]
	s_mov_b32 s5, 0x3ff921fb
	v_add_f64 v[2:3], v[2:3], -v[8:9]
	v_mul_f64 v[8:9], v[14:15], s[4:5]
	s_mov_b32 s14, 0x33145c07
	v_fma_f64 v[16:17], v[14:15], s[4:5], -v[8:9]
	s_mov_b32 s15, 0x3c91a626
	v_fmac_f64_e32 v[16:17], s[14:15], v[14:15]
	v_fmac_f64_e32 v[16:17], s[4:5], v[2:3]
	v_add_f64 v[2:3], v[8:9], v[16:17]
	v_add_f64 v[8:9], v[2:3], -v[8:9]
	v_add_f64 v[8:9], v[16:17], -v[8:9]
	s_andn2_saveexec_b64 s[4:5], s[12:13]
	s_cbranch_execz .LBB177_10
	s_branch .LBB177_9
.LBB177_8:
	s_andn2_saveexec_b64 s[4:5], s[12:13]
	s_cbranch_execz .LBB177_10
.LBB177_9:
	s_mov_b32 s12, 0x6dc9c883
	s_mov_b32 s13, 0x3fe45f30
	v_mul_f64 v[2:3], |v[0:1]|, s[12:13]
	s_mov_b32 s12, 0x54442d18
	v_rndne_f64_e32 v[14:15], v[2:3]
	s_mov_b32 s13, 0xbff921fb
	v_fma_f64 v[2:3], v[14:15], s[12:13], |v[0:1]|
	s_mov_b32 s13, 0xbc91a626
	s_mov_b32 s12, 0x33145c00
	v_mul_f64 v[16:17], v[14:15], s[12:13]
	v_add_f64 v[24:25], v[2:3], v[16:17]
	v_fma_f64 v[8:9], s[12:13], v[14:15], v[2:3]
	s_mov_b32 s13, 0x3c91a626
	v_add_f64 v[2:3], v[2:3], -v[24:25]
	v_fma_f64 v[22:23], s[12:13], v[14:15], v[16:17]
	v_add_f64 v[2:3], v[2:3], v[16:17]
	v_add_f64 v[16:17], v[24:25], -v[8:9]
	v_add_f64 v[2:3], v[16:17], v[2:3]
	s_mov_b32 s12, 0x252049c0
	v_add_f64 v[16:17], v[2:3], -v[22:23]
	s_mov_b32 s13, 0xb97b839a
	v_fmac_f64_e32 v[16:17], s[12:13], v[14:15]
	v_add_f64 v[2:3], v[8:9], v[16:17]
	v_add_f64 v[8:9], v[2:3], -v[8:9]
	v_add_f64 v[8:9], v[16:17], -v[8:9]
	v_cvt_i32_f64_e32 v22, v[14:15]
.LBB177_10:
	s_or_b64 exec, exec, s[4:5]
                                        ; implicit-def: $vgpr23
                                        ; implicit-def: $vgpr14_vgpr15
                                        ; implicit-def: $vgpr16_vgpr17
	s_and_saveexec_b64 s[4:5], s[6:7]
	s_xor_b64 s[6:7], exec, s[4:5]
	s_cbranch_execz .LBB177_12
; %bb.11:
	s_mov_b32 s4, 0
	s_mov_b32 s5, 0x7b000000
	s_movk_i32 s12, 0xff80
	v_and_b32_e32 v16, 0x7fffffff, v1
	v_ldexp_f64 v[14:15], |v[0:1]|, s12
	v_cmp_ge_f64_e64 vcc, |v[0:1]|, s[4:5]
	v_cndmask_b32_e32 v15, v16, v15, vcc
	v_cndmask_b32_e32 v14, v0, v14, vcc
	v_mul_f64 v[24:25], v[20:21], v[14:15]
	v_mul_f64 v[16:17], v[18:19], v[14:15]
	v_fma_f64 v[20:21], v[20:21], v[14:15], -v[24:25]
	v_add_f64 v[26:27], v[16:17], v[20:21]
	v_add_f64 v[28:29], v[24:25], v[26:27]
	s_mov_b32 s4, 0
	v_ldexp_f64 v[30:31], v[28:29], -2
	s_mov_b32 s5, 0x7ff00000
	v_fract_f64_e32 v[32:33], v[30:31]
	v_cmp_neq_f64_e64 vcc, |v[30:31]|, s[4:5]
	v_cndmask_b32_e32 v31, 0, v33, vcc
	v_cndmask_b32_e32 v30, 0, v32, vcc
	v_add_f64 v[32:33], v[26:27], -v[16:17]
	v_add_f64 v[20:21], v[20:21], -v[32:33]
	;; [unrolled: 1-line block ×4, first 2 shown]
	v_fma_f64 v[16:17], v[18:19], v[14:15], -v[16:17]
	v_mul_f64 v[18:19], v[12:13], v[14:15]
	v_add_f64 v[20:21], v[20:21], v[32:33]
	v_add_f64 v[32:33], v[18:19], v[16:17]
	v_add_f64 v[36:37], v[32:33], v[20:21]
	v_add_f64 v[24:25], v[28:29], -v[24:25]
	v_add_f64 v[28:29], v[36:37], -v[32:33]
	;; [unrolled: 1-line block ×5, first 2 shown]
	v_add_f64 v[20:21], v[20:21], v[28:29]
	v_add_f64 v[28:29], v[32:33], -v[18:19]
	v_add_f64 v[16:17], v[16:17], -v[28:29]
	v_add_f64 v[28:29], v[32:33], -v[28:29]
	v_add_f64 v[28:29], v[18:19], -v[28:29]
	v_add_f64 v[24:25], v[26:27], -v[24:25]
	v_add_f64 v[16:17], v[16:17], v[28:29]
	v_add_f64 v[26:27], v[24:25], v[36:37]
	;; [unrolled: 1-line block ×3, first 2 shown]
	v_fma_f64 v[12:13], v[12:13], v[14:15], -v[18:19]
	v_ldexp_f64 v[14:15], v[30:31], 2
	v_add_f64 v[12:13], v[12:13], v[16:17]
	v_add_f64 v[16:17], v[26:27], v[14:15]
	v_mov_b32_e32 v18, 0x40100000
	v_cmp_gt_f64_e32 vcc, 0, v[16:17]
	v_mov_b32_e32 v34, 0
	v_cndmask_b32_e32 v35, 0, v18, vcc
	v_add_f64 v[14:15], v[14:15], v[34:35]
	v_add_f64 v[16:17], v[26:27], v[14:15]
	v_cvt_i32_f64_e32 v18, v[16:17]
	v_cvt_f64_i32_e32 v[16:17], v18
	v_add_f64 v[14:15], v[14:15], -v[16:17]
	v_add_f64 v[24:25], v[26:27], -v[24:25]
	v_add_f64 v[16:17], v[26:27], v[14:15]
	v_add_f64 v[24:25], v[36:37], -v[24:25]
	v_add_f64 v[14:15], v[16:17], -v[14:15]
	v_add_f64 v[12:13], v[24:25], v[12:13]
	v_add_f64 v[14:15], v[26:27], -v[14:15]
	v_add_f64 v[12:13], v[12:13], v[14:15]
	v_cmp_le_f64_e32 vcc, 0.5, v[16:17]
	v_mov_b32_e32 v14, 0x3ff00000
	v_addc_co_u32_e64 v23, s[4:5], 0, v18, vcc
	v_cndmask_b32_e32 v35, 0, v14, vcc
	v_add_f64 v[14:15], v[16:17], -v[34:35]
	s_mov_b32 s4, 0x54442d18
	v_add_f64 v[16:17], v[14:15], v[12:13]
	s_mov_b32 s5, 0x3ff921fb
	v_mul_f64 v[18:19], v[16:17], s[4:5]
	s_mov_b32 s12, 0x33145c07
	v_add_f64 v[14:15], v[16:17], -v[14:15]
	v_fma_f64 v[20:21], v[16:17], s[4:5], -v[18:19]
	s_mov_b32 s13, 0x3c91a626
	v_add_f64 v[12:13], v[12:13], -v[14:15]
	v_fmac_f64_e32 v[20:21], s[12:13], v[16:17]
	v_fmac_f64_e32 v[20:21], s[4:5], v[12:13]
	v_add_f64 v[14:15], v[18:19], v[20:21]
	v_add_f64 v[12:13], v[14:15], -v[18:19]
	v_add_f64 v[16:17], v[20:21], -v[12:13]
	s_andn2_saveexec_b64 s[4:5], s[6:7]
	s_cbranch_execnz .LBB177_13
	s_branch .LBB177_14
.LBB177_12:
	s_andn2_saveexec_b64 s[4:5], s[6:7]
	s_cbranch_execz .LBB177_14
.LBB177_13:
	s_mov_b32 s6, 0x6dc9c883
	s_mov_b32 s7, 0x3fe45f30
	v_mul_f64 v[12:13], |v[0:1]|, s[6:7]
	s_mov_b32 s6, 0x54442d18
	v_rndne_f64_e32 v[12:13], v[12:13]
	s_mov_b32 s7, 0xbff921fb
	v_fma_f64 v[14:15], v[12:13], s[6:7], |v[0:1]|
	s_mov_b32 s7, 0xbc91a626
	s_mov_b32 s6, 0x33145c00
	v_mul_f64 v[18:19], v[12:13], s[6:7]
	v_add_f64 v[24:25], v[14:15], v[18:19]
	v_fma_f64 v[16:17], s[6:7], v[12:13], v[14:15]
	s_mov_b32 s7, 0x3c91a626
	v_add_f64 v[14:15], v[14:15], -v[24:25]
	v_fma_f64 v[20:21], s[6:7], v[12:13], v[18:19]
	v_add_f64 v[14:15], v[14:15], v[18:19]
	v_add_f64 v[18:19], v[24:25], -v[16:17]
	v_add_f64 v[14:15], v[18:19], v[14:15]
	s_mov_b32 s6, 0x252049c0
	v_add_f64 v[18:19], v[14:15], -v[20:21]
	s_mov_b32 s7, 0xb97b839a
	v_fmac_f64_e32 v[18:19], s[6:7], v[12:13]
	v_add_f64 v[14:15], v[16:17], v[18:19]
	v_add_f64 v[16:17], v[14:15], -v[16:17]
	v_add_f64 v[16:17], v[18:19], -v[16:17]
	v_cvt_i32_f64_e32 v23, v[12:13]
.LBB177_14:
	s_or_b64 exec, exec, s[4:5]
	s_mov_b32 s4, 0x652b82fe
	v_add_f64 v[10:11], v[10:11], -v[4:5]
	s_mov_b32 s5, 0x3ff71547
	v_mul_f64 v[12:13], v[10:11], s[4:5]
	v_rndne_f64_e32 v[12:13], v[12:13]
	s_mov_b32 s17, 0xbfe62e42
	s_mov_b32 s16, 0xfefa39ef
	v_fma_f64 v[18:19], s[16:17], v[12:13], v[10:11]
	s_mov_b32 s19, 0xbc7abc9e
	s_mov_b32 s18, 0x3b39803f
	;; [unrolled: 1-line block ×3, first 2 shown]
	v_fmac_f64_e32 v[18:19], s[18:19], v[12:13]
	v_mov_b32_e32 v20, 0xfca7ab0c
	v_mov_b32_e32 v21, 0x3e928af3
	s_mov_b32 s5, 0x3e5ade15
	v_fmac_f64_e32 v[20:21], s[4:5], v[18:19]
	v_mov_b32_e32 v24, 0x623fde64
	v_mov_b32_e32 v25, 0x3ec71dee
	v_fmac_f64_e32 v[24:25], v[18:19], v[20:21]
	v_mov_b32_e32 v20, 0x7c89e6b0
	v_mov_b32_e32 v21, 0x3efa0199
	;; [unrolled: 3-line block ×8, first 2 shown]
	v_fmac_f64_e32 v[20:21], v[18:19], v[24:25]
	s_mov_b32 s4, 0
	v_fma_f64 v[20:21], v[18:19], v[20:21], 1.0
	s_mov_b32 s5, 0x40900000
	v_fma_f64 v[18:19], v[18:19], v[20:21], 1.0
	v_cvt_i32_f64_e32 v12, v[12:13]
	v_cmp_nlt_f64_e32 vcc, s[4:5], v[10:11]
	s_mov_b32 s4, 0
	v_ldexp_f64 v[12:13], v[18:19], v12
	v_mov_b32_e32 v20, 0x7ff00000
	s_mov_b32 s5, 0xc090cc00
	v_cndmask_b32_e32 v13, v20, v13, vcc
	v_cmp_ngt_f64_e64 s[4:5], s[4:5], v[10:11]
	s_mov_b32 s12, 0x9037ab78
	v_cndmask_b32_e64 v11, 0, v13, s[4:5]
	s_and_b64 vcc, s[4:5], vcc
	s_mov_b32 s13, 0x3e21eeb6
	s_mov_b32 s4, 0x46cc5e42
	v_cndmask_b32_e32 v10, 0, v12, vcc
	v_mul_f64 v[12:13], v[2:3], v[2:3]
	s_mov_b32 s5, 0xbda907db
	v_pk_mov_b32 v[18:19], s[12:13], s[12:13] op_sel:[0,1]
	s_mov_b32 s12, 0xa17f65f6
	v_mul_f64 v[24:25], v[12:13], 0.5
	v_fma_f64 v[30:31], s[4:5], v[12:13], v[18:19]
	s_mov_b32 s13, 0xbe927e4f
	s_mov_b32 s14, 0x19f4ec90
	v_add_f64 v[26:27], -v[24:25], 1.0
	v_fma_f64 v[30:31], v[12:13], v[30:31], s[12:13]
	s_mov_b32 s15, 0x3efa01a0
	s_mov_b32 s22, 0x16c16967
	v_fma_f64 v[30:31], v[12:13], v[30:31], s[14:15]
	s_mov_b32 s23, 0xbf56c16c
	v_add_f64 v[32:33], -v[26:27], 1.0
	s_mov_b32 s21, 0x3fa55555
	v_fma_f64 v[30:31], v[12:13], v[30:31], s[22:23]
	s_mov_b32 s20, 0x55555555
	v_add_f64 v[24:25], v[32:33], -v[24:25]
	s_mov_b32 s24, 0xb42fdfa7
	v_mul_f64 v[28:29], v[12:13], v[12:13]
	v_fma_f64 v[30:31], v[12:13], v[30:31], s[20:21]
	v_fma_f64 v[24:25], v[2:3], -v[8:9], v[24:25]
	s_mov_b32 s25, 0xbe5ae600
	s_mov_b32 s26, 0xf9a43bb8
	v_fmac_f64_e32 v[24:25], v[28:29], v[30:31]
	s_mov_b32 s27, 0x3de5e0b2
	v_pk_mov_b32 v[28:29], s[24:25], s[24:25] op_sel:[0,1]
	s_mov_b32 s24, 0x796cde01
	v_fma_f64 v[30:31], s[26:27], v[12:13], v[28:29]
	s_mov_b32 s25, 0x3ec71de3
	s_mov_b32 s28, 0x19e83e5c
	;; [unrolled: 1-line block ×3, first 2 shown]
	v_fma_f64 v[30:31], v[12:13], v[30:31], s[24:25]
	s_mov_b32 s29, 0xbf2a01a0
	s_mov_b32 s7, 0x3f811111
	v_fma_f64 v[30:31], v[12:13], v[30:31], s[28:29]
	v_add_f64 v[24:25], v[26:27], v[24:25]
	v_mul_f64 v[26:27], v[2:3], -v[12:13]
	v_fma_f64 v[30:31], v[12:13], v[30:31], s[6:7]
	v_mul_f64 v[32:33], v[8:9], 0.5
	v_fmac_f64_e32 v[32:33], v[26:27], v[30:31]
	v_fma_f64 v[8:9], v[12:13], v[32:33], -v[8:9]
	s_mov_b32 s31, 0xbfc55555
	s_mov_b32 s30, s20
	v_fmac_f64_e32 v[8:9], s[30:31], v[26:27]
	v_and_b32_e32 v21, 1, v22
	v_add_f64 v[2:3], v[2:3], -v[8:9]
	v_xor_b32_e32 v3, 0x80000000, v3
	v_cmp_eq_u32_e32 vcc, 0, v21
	v_lshlrev_b32_e32 v8, 30, v22
	s_movk_i32 s17, 0x1f8
	v_cndmask_b32_e32 v3, v3, v25, vcc
	v_and_b32_e32 v8, 0x80000000, v8
	v_cndmask_b32_e32 v2, v2, v24, vcc
	v_xor_b32_e32 v3, v3, v8
	v_cmp_class_f64_e64 vcc, v[0:1], s17
	v_mov_b32_e32 v21, 0x7ff80000
	v_cndmask_b32_e32 v2, 0, v2, vcc
	v_cndmask_b32_e32 v3, v21, v3, vcc
	v_mul_f64 v[12:13], v[10:11], v[2:3]
	v_mul_f64 v[2:3], v[14:15], v[14:15]
	v_mul_f64 v[8:9], v[2:3], 0.5
	v_fmac_f64_e32 v[18:19], s[4:5], v[2:3]
	v_add_f64 v[24:25], -v[8:9], 1.0
	v_fma_f64 v[18:19], v[2:3], v[18:19], s[12:13]
	v_add_f64 v[26:27], -v[24:25], 1.0
	v_fma_f64 v[18:19], v[2:3], v[18:19], s[14:15]
	v_add_f64 v[8:9], v[26:27], -v[8:9]
	v_fma_f64 v[18:19], v[2:3], v[18:19], s[22:23]
	v_mul_f64 v[26:27], v[2:3], v[2:3]
	v_fma_f64 v[18:19], v[2:3], v[18:19], s[20:21]
	v_fma_f64 v[8:9], v[14:15], -v[16:17], v[8:9]
	v_fmac_f64_e32 v[28:29], s[26:27], v[2:3]
	v_fmac_f64_e32 v[8:9], v[26:27], v[18:19]
	v_fma_f64 v[18:19], v[2:3], v[28:29], s[24:25]
	v_fma_f64 v[18:19], v[2:3], v[18:19], s[28:29]
	v_add_f64 v[8:9], v[24:25], v[8:9]
	v_fma_f64 v[18:19], v[2:3], v[18:19], s[6:7]
	v_mul_f64 v[24:25], v[14:15], -v[2:3]
	v_mul_f64 v[26:27], v[16:17], 0.5
	v_fmac_f64_e32 v[26:27], v[24:25], v[18:19]
	v_fma_f64 v[2:3], v[2:3], v[26:27], -v[16:17]
	v_fmac_f64_e32 v[2:3], s[30:31], v[24:25]
	v_and_b32_e32 v0, 1, v23
	v_add_f64 v[2:3], v[14:15], -v[2:3]
	v_cmp_eq_u32_e64 s[4:5], 0, v0
	v_cndmask_b32_e64 v0, v8, v2, s[4:5]
	v_cndmask_b32_e64 v2, v9, v3, s[4:5]
	v_lshlrev_b32_e32 v3, 30, v23
	v_xor_b32_e32 v1, v3, v1
	v_and_b32_e32 v1, 0x80000000, v1
	v_xor_b32_e32 v1, v2, v1
	v_cndmask_b32_e32 v0, 0, v0, vcc
	v_cndmask_b32_e32 v1, v21, v1, vcc
	v_mul_f64 v[0:1], v[10:11], v[0:1]
	v_max_f64 v[2:3], |v[12:13]|, |v[12:13]|
	v_max_f64 v[8:9], |v[0:1]|, |v[0:1]|
	v_max_f64 v[2:3], v[2:3], v[8:9]
	v_frexp_exp_i32_f64_e32 v18, v[2:3]
	v_sub_u32_e32 v10, 0, v18
	v_ldexp_f64 v[2:3], |v[12:13]|, v10
	v_ldexp_f64 v[10:11], |v[0:1]|, v10
	v_mul_f64 v[10:11], v[10:11], v[10:11]
	v_fmac_f64_e32 v[10:11], v[2:3], v[2:3]
	v_rsq_f64_e32 v[2:3], v[10:11]
	v_cmp_eq_f64_e32 vcc, 0, v[10:11]
	s_movk_i32 s14, 0x204
	v_cmp_class_f64_e64 s[4:5], v[12:13], s14
	v_mul_f64 v[14:15], v[10:11], v[2:3]
	v_mul_f64 v[2:3], v[2:3], 0.5
	v_fma_f64 v[16:17], -v[2:3], v[14:15], 0.5
	v_fmac_f64_e32 v[14:15], v[14:15], v[16:17]
	v_fmac_f64_e32 v[2:3], v[2:3], v[16:17]
	v_fma_f64 v[16:17], -v[14:15], v[14:15], v[10:11]
	v_fmac_f64_e32 v[14:15], v[16:17], v[2:3]
	v_cndmask_b32_e32 v3, v15, v11, vcc
	v_cndmask_b32_e32 v2, v14, v10, vcc
	v_cmp_class_f64_e64 s[12:13], v[0:1], s14
	v_ldexp_f64 v[2:3], v[2:3], v18
	v_cmp_u_f64_e32 vcc, v[12:13], v[0:1]
	s_or_b64 s[22:23], s[4:5], s[12:13]
	v_cmp_ngt_f64_e64 s[6:7], 0.5, v[2:3]
	v_add_f64 v[2:3], v[12:13], 1.0
	s_or_b64 s[22:23], s[22:23], vcc
	v_max_f64 v[10:11], |v[2:3]|, v[8:9]
	v_cmp_o_f64_e64 s[4:5], v[2:3], v[0:1]
	v_cmp_class_f64_e64 s[14:15], v[2:3], s14
	s_or_b64 s[6:7], s[22:23], s[6:7]
	s_and_saveexec_b64 s[22:23], s[6:7]
	s_xor_b64 s[22:23], exec, s[22:23]
	s_cbranch_execz .LBB177_16
; %bb.15:
	v_frexp_exp_i32_f64_e32 v22, v[10:11]
	v_sub_u32_e32 v14, 0, v22
	v_ldexp_f64 v[12:13], |v[2:3]|, v14
	v_ldexp_f64 v[14:15], |v[0:1]|, v14
	v_mul_f64 v[14:15], v[14:15], v[14:15]
	v_fmac_f64_e32 v[14:15], v[12:13], v[12:13]
	v_rsq_f64_e32 v[12:13], v[14:15]
	v_cmp_eq_f64_e32 vcc, 0, v[14:15]
	s_mov_b32 s21, 0x3fe55555
	s_mov_b32 s17, 0x3fe62e42
	v_mul_f64 v[16:17], v[14:15], v[12:13]
	v_mul_f64 v[12:13], v[12:13], 0.5
	v_fma_f64 v[18:19], -v[12:13], v[16:17], 0.5
	v_fmac_f64_e32 v[16:17], v[16:17], v[18:19]
	v_fmac_f64_e32 v[12:13], v[12:13], v[18:19]
	v_fma_f64 v[18:19], -v[16:17], v[16:17], v[14:15]
	v_fmac_f64_e32 v[16:17], v[18:19], v[12:13]
	v_cndmask_b32_e32 v13, v17, v15, vcc
	v_cndmask_b32_e32 v12, v16, v14, vcc
	v_ldexp_f64 v[12:13], v[12:13], v22
	v_cndmask_b32_e64 v16, 0, v12, s[4:5]
	v_cndmask_b32_e64 v17, v21, v13, s[4:5]
	s_or_b64 vcc, s[14:15], s[12:13]
	v_cndmask_b32_e32 v15, v17, v20, vcc
	v_cndmask_b32_e64 v14, v16, 0, vcc
	v_frexp_mant_f64_e32 v[22:23], v[14:15]
	v_mov_b32_e32 v19, 0x3ff00000
	v_cmp_gt_f64_e64 s[6:7], s[20:21], v[22:23]
	v_mov_b32_e32 v18, 0
	v_cndmask_b32_e64 v19, v19, 2.0, s[6:7]
	v_mul_f64 v[18:19], v[22:23], v[18:19]
	v_frexp_exp_i32_f64_e32 v24, v[14:15]
	v_add_f64 v[22:23], v[18:19], 1.0
	v_subbrev_co_u32_e64 v34, s[6:7], 0, v24, s[6:7]
	v_rcp_f64_e32 v[24:25], v[22:23]
	v_add_f64 v[28:29], v[22:23], -1.0
	v_add_f64 v[26:27], v[18:19], -1.0
	v_add_f64 v[18:19], v[18:19], -v[28:29]
	v_fma_f64 v[28:29], -v[22:23], v[24:25], 1.0
	v_fmac_f64_e32 v[24:25], v[28:29], v[24:25]
	v_fma_f64 v[28:29], -v[22:23], v[24:25], 1.0
	v_fmac_f64_e32 v[24:25], v[28:29], v[24:25]
	v_mul_f64 v[28:29], v[26:27], v[24:25]
	v_mul_f64 v[30:31], v[22:23], v[28:29]
	v_fma_f64 v[22:23], v[28:29], v[22:23], -v[30:31]
	v_fmac_f64_e32 v[22:23], v[28:29], v[18:19]
	v_add_f64 v[18:19], v[30:31], v[22:23]
	v_add_f64 v[32:33], v[26:27], -v[18:19]
	v_add_f64 v[30:31], v[18:19], -v[30:31]
	v_add_f64 v[26:27], v[26:27], -v[32:33]
	v_add_f64 v[18:19], v[26:27], -v[18:19]
	v_add_f64 v[22:23], v[30:31], -v[22:23]
	v_add_f64 v[18:19], v[22:23], v[18:19]
	v_add_f64 v[18:19], v[32:33], v[18:19]
	v_mul_f64 v[18:19], v[24:25], v[18:19]
	v_add_f64 v[22:23], v[28:29], v[18:19]
	v_add_f64 v[24:25], v[22:23], -v[28:29]
	s_mov_b32 s6, 0xbf559e2b
	v_add_f64 v[18:19], v[18:19], -v[24:25]
	v_mul_f64 v[24:25], v[22:23], v[22:23]
	v_mov_b32_e32 v26, 0x6b47b09a
	v_mov_b32_e32 v27, 0x3fc38538
	s_mov_b32 s7, 0x3fc3ab76
	v_fmac_f64_e32 v[26:27], s[6:7], v[24:25]
	v_mov_b32_e32 v28, 0xd7f4df2e
	v_mov_b32_e32 v29, 0x3fc7474d
	v_fmac_f64_e32 v[28:29], v[24:25], v[26:27]
	v_mov_b32_e32 v26, 0x16291751
	v_mov_b32_e32 v27, 0x3fcc71c0
	;; [unrolled: 3-line block ×5, first 2 shown]
	v_fmac_f64_e32 v[28:29], v[24:25], v[26:27]
	v_ldexp_f64 v[26:27], v[22:23], 1
	v_mul_f64 v[22:23], v[22:23], v[24:25]
	v_mul_f64 v[22:23], v[22:23], v[28:29]
	v_add_f64 v[24:25], v[26:27], v[22:23]
	v_add_f64 v[26:27], v[24:25], -v[26:27]
	v_ldexp_f64 v[18:19], v[18:19], 1
	v_add_f64 v[22:23], v[22:23], -v[26:27]
	v_add_f64 v[18:19], v[18:19], v[22:23]
	v_add_f64 v[22:23], v[24:25], v[18:19]
	v_add_f64 v[24:25], v[22:23], -v[24:25]
	v_add_f64 v[18:19], v[18:19], -v[24:25]
	v_cvt_f64_i32_e32 v[24:25], v34
	v_mul_f64 v[26:27], v[24:25], s[16:17]
	v_fma_f64 v[28:29], v[24:25], s[16:17], -v[26:27]
	s_mov_b32 s19, 0x3c7abc9e
	v_fmac_f64_e32 v[28:29], s[18:19], v[24:25]
	v_add_f64 v[24:25], v[26:27], v[28:29]
	v_add_f64 v[26:27], v[24:25], -v[26:27]
	v_add_f64 v[26:27], v[28:29], -v[26:27]
	v_add_f64 v[28:29], v[24:25], v[22:23]
	v_add_f64 v[30:31], v[28:29], -v[24:25]
	v_add_f64 v[32:33], v[28:29], -v[30:31]
	;; [unrolled: 1-line block ×4, first 2 shown]
	v_add_f64 v[22:23], v[22:23], v[24:25]
	v_add_f64 v[24:25], v[26:27], v[18:19]
	v_add_f64 v[30:31], v[24:25], -v[26:27]
	v_add_f64 v[32:33], v[24:25], -v[30:31]
	v_add_f64 v[22:23], v[24:25], v[22:23]
	v_add_f64 v[26:27], v[26:27], -v[32:33]
	v_add_f64 v[18:19], v[18:19], -v[30:31]
	v_add_f64 v[24:25], v[28:29], v[22:23]
	v_add_f64 v[18:19], v[18:19], v[26:27]
	v_add_f64 v[26:27], v[24:25], -v[28:29]
	s_mov_b32 s6, 0
	v_add_f64 v[22:23], v[22:23], -v[26:27]
	v_and_b32_e32 v13, 0x7fffffff, v13
	s_mov_b32 s7, 0x7ff00000
	v_add_f64 v[18:19], v[18:19], v[22:23]
	v_cmp_eq_f64_e64 s[6:7], s[6:7], v[12:13]
	v_add_f64 v[18:19], v[24:25], v[18:19]
	s_and_b64 s[6:7], s[4:5], s[6:7]
	v_cndmask_b32_e64 v12, v19, v17, s[6:7]
	v_cndmask_b32_e64 v13, v18, v16, s[6:7]
	v_cndmask_b32_e64 v13, v13, 0, vcc
	v_cndmask_b32_e32 v12, v12, v20, vcc
	v_cmp_ngt_f64_e32 vcc, 0, v[14:15]
	v_cndmask_b32_e32 v16, v21, v12, vcc
	v_cmp_nge_f64_e32 vcc, 0, v[14:15]
	v_cndmask_b32_e32 v12, 0, v13, vcc
	v_mov_b32_e32 v13, 0xfff00000
	v_cmp_neq_f64_e32 vcc, 0, v[14:15]
	v_cndmask_b32_e32 v13, v13, v16, vcc
.LBB177_16:
	s_andn2_saveexec_b64 s[6:7], s[22:23]
	s_cbranch_execz .LBB177_20
; %bb.17:
	v_add_f64 v[16:17], v[12:13], 2.0
	v_mul_f64 v[14:15], v[0:1], v[0:1]
	v_fmac_f64_e32 v[14:15], v[12:13], v[16:17]
	v_cmp_neq_f64_e32 vcc, 0, v[14:15]
	s_and_saveexec_b64 s[16:17], vcc
	s_cbranch_execz .LBB177_19
; %bb.18:
	v_add_f64 v[12:13], v[14:15], 1.0
	v_add_f64 v[16:17], v[12:13], -1.0
	v_add_f64 v[18:19], v[16:17], -v[12:13]
	v_add_f64 v[18:19], v[18:19], 1.0
	v_add_f64 v[16:17], v[14:15], -v[16:17]
	s_mov_b32 s18, 0x55555555
	v_add_f64 v[16:17], v[16:17], v[18:19]
	v_frexp_mant_f64_e32 v[18:19], v[12:13]
	s_mov_b32 s19, 0x3fe55555
	v_frexp_exp_i32_f64_e32 v20, v[12:13]
	v_cmp_gt_f64_e32 vcc, s[18:19], v[18:19]
	v_subbrev_co_u32_e32 v34, vcc, 0, v20, vcc
	v_sub_u32_e32 v18, 0, v34
	v_ldexp_f64 v[12:13], v[12:13], v18
	v_ldexp_f64 v[16:17], v[16:17], v18
	v_add_f64 v[18:19], v[12:13], -1.0
	v_add_f64 v[24:25], v[12:13], 1.0
	v_add_f64 v[20:21], v[18:19], 1.0
	v_add_f64 v[26:27], v[24:25], -1.0
	v_add_f64 v[20:21], v[12:13], -v[20:21]
	v_add_f64 v[12:13], v[12:13], -v[26:27]
	v_add_f64 v[12:13], v[16:17], v[12:13]
	v_add_f64 v[20:21], v[16:17], v[20:21]
	;; [unrolled: 1-line block ×3, first 2 shown]
	v_rcp_f64_e32 v[26:27], v[16:17]
	v_add_f64 v[22:23], v[18:19], v[20:21]
	v_add_f64 v[18:19], v[22:23], -v[18:19]
	v_add_f64 v[18:19], v[20:21], -v[18:19]
	;; [unrolled: 1-line block ×4, first 2 shown]
	v_fma_f64 v[20:21], -v[16:17], v[26:27], 1.0
	v_fmac_f64_e32 v[26:27], v[20:21], v[26:27]
	v_fma_f64 v[20:21], -v[16:17], v[26:27], 1.0
	v_fmac_f64_e32 v[26:27], v[20:21], v[26:27]
	v_mul_f64 v[20:21], v[22:23], v[26:27]
	v_mul_f64 v[24:25], v[16:17], v[20:21]
	v_fma_f64 v[28:29], v[20:21], v[16:17], -v[24:25]
	v_fmac_f64_e32 v[28:29], v[20:21], v[12:13]
	v_add_f64 v[30:31], v[24:25], v[28:29]
	v_add_f64 v[32:33], v[22:23], -v[30:31]
	v_add_f64 v[22:23], v[22:23], -v[32:33]
	;; [unrolled: 1-line block ×4, first 2 shown]
	v_add_f64 v[18:19], v[18:19], v[22:23]
	v_add_f64 v[22:23], v[24:25], -v[28:29]
	v_add_f64 v[18:19], v[22:23], v[18:19]
	v_add_f64 v[22:23], v[32:33], v[18:19]
	v_add_f64 v[24:25], v[32:33], -v[22:23]
	v_add_f64 v[18:19], v[18:19], v[24:25]
	v_mul_f64 v[24:25], v[26:27], v[22:23]
	v_mul_f64 v[28:29], v[16:17], v[24:25]
	v_fma_f64 v[16:17], v[24:25], v[16:17], -v[28:29]
	v_fmac_f64_e32 v[16:17], v[24:25], v[12:13]
	v_add_f64 v[12:13], v[28:29], v[16:17]
	v_add_f64 v[30:31], v[22:23], -v[12:13]
	v_add_f64 v[22:23], v[22:23], -v[30:31]
	;; [unrolled: 1-line block ×4, first 2 shown]
	v_add_f64 v[12:13], v[18:19], v[12:13]
	v_add_f64 v[16:17], v[28:29], -v[16:17]
	v_add_f64 v[12:13], v[16:17], v[12:13]
	v_add_f64 v[16:17], v[20:21], v[24:25]
	;; [unrolled: 1-line block ×3, first 2 shown]
	v_add_f64 v[18:19], v[16:17], -v[20:21]
	v_mul_f64 v[12:13], v[26:27], v[12:13]
	v_add_f64 v[18:19], v[24:25], -v[18:19]
	v_add_f64 v[18:19], v[18:19], v[12:13]
	v_add_f64 v[12:13], v[16:17], v[18:19]
	v_add_f64 v[16:17], v[12:13], -v[16:17]
	s_mov_b32 s18, 0xbf559e2b
	v_add_f64 v[16:17], v[18:19], -v[16:17]
	v_mul_f64 v[18:19], v[12:13], v[12:13]
	v_mov_b32_e32 v20, 0x6b47b09a
	v_mov_b32_e32 v21, 0x3fc38538
	s_mov_b32 s19, 0x3fc3ab76
	v_fmac_f64_e32 v[20:21], s[18:19], v[18:19]
	v_mov_b32_e32 v22, 0xd7f4df2e
	v_mov_b32_e32 v23, 0x3fc7474d
	v_fmac_f64_e32 v[22:23], v[18:19], v[20:21]
	v_mov_b32_e32 v20, 0x16291751
	v_mov_b32_e32 v21, 0x3fcc71c0
	;; [unrolled: 3-line block ×5, first 2 shown]
	s_mov_b32 s18, 0xfefa39ef
	v_fmac_f64_e32 v[22:23], v[18:19], v[20:21]
	v_cvt_f64_i32_e32 v[20:21], v34
	s_mov_b32 s19, 0x3fe62e42
	v_mul_f64 v[24:25], v[20:21], s[18:19]
	v_fma_f64 v[26:27], v[20:21], s[18:19], -v[24:25]
	s_mov_b32 s18, 0x3b39803f
	s_mov_b32 s19, 0x3c7abc9e
	v_fmac_f64_e32 v[26:27], s[18:19], v[20:21]
	v_add_f64 v[20:21], v[24:25], v[26:27]
	v_add_f64 v[24:25], v[20:21], -v[24:25]
	v_add_f64 v[24:25], v[26:27], -v[24:25]
	v_ldexp_f64 v[26:27], v[12:13], 1
	v_mul_f64 v[12:13], v[12:13], v[18:19]
	v_mul_f64 v[12:13], v[12:13], v[22:23]
	v_add_f64 v[18:19], v[26:27], v[12:13]
	v_add_f64 v[22:23], v[18:19], -v[26:27]
	v_ldexp_f64 v[16:17], v[16:17], 1
	v_add_f64 v[12:13], v[12:13], -v[22:23]
	v_add_f64 v[12:13], v[16:17], v[12:13]
	v_add_f64 v[16:17], v[18:19], v[12:13]
	v_add_f64 v[18:19], v[16:17], -v[18:19]
	v_add_f64 v[12:13], v[12:13], -v[18:19]
	v_add_f64 v[18:19], v[20:21], v[16:17]
	v_add_f64 v[22:23], v[18:19], -v[20:21]
	v_add_f64 v[26:27], v[18:19], -v[22:23]
	;; [unrolled: 1-line block ×4, first 2 shown]
	v_add_f64 v[16:17], v[16:17], v[20:21]
	v_add_f64 v[20:21], v[24:25], v[12:13]
	v_add_f64 v[22:23], v[20:21], -v[24:25]
	v_add_f64 v[16:17], v[20:21], v[16:17]
	v_add_f64 v[26:27], v[20:21], -v[22:23]
	;; [unrolled: 2-line block ×3, first 2 shown]
	v_add_f64 v[12:13], v[12:13], -v[22:23]
	v_add_f64 v[18:19], v[20:21], -v[18:19]
	v_add_f64 v[12:13], v[12:13], v[24:25]
	v_add_f64 v[16:17], v[16:17], -v[18:19]
	s_mov_b32 s18, 0
	v_add_f64 v[12:13], v[12:13], v[16:17]
	s_mov_b32 s19, 0x7ff00000
	v_add_f64 v[12:13], v[20:21], v[12:13]
	v_cmp_eq_f64_e32 vcc, s[18:19], v[14:15]
	v_cndmask_b32_e32 v13, v13, v15, vcc
	v_cndmask_b32_e32 v12, v12, v14, vcc
	v_mul_f64 v[12:13], v[12:13], 0.5
	v_mov_b32_e32 v16, 0x7ff80000
	v_cmp_ngt_f64_e32 vcc, -1.0, v[14:15]
	v_cndmask_b32_e32 v13, v16, v13, vcc
	v_cmp_nge_f64_e32 vcc, -1.0, v[14:15]
	v_cndmask_b32_e32 v12, 0, v12, vcc
	v_mov_b32_e32 v16, 0xfff00000
	v_cmp_neq_f64_e32 vcc, -1.0, v[14:15]
	v_cndmask_b32_e32 v13, v16, v13, vcc
.LBB177_19:
	s_or_b64 exec, exec, s[16:17]
.LBB177_20:
	s_or_b64 exec, exec, s[6:7]
	v_mov_b32_e32 v14, 0x54442d18
	v_mov_b32_e32 v15, 0x7f3321d2
	v_cmp_gt_i32_e64 s[6:7], 0, v3
	v_cndmask_b32_e64 v14, v14, v15, s[6:7]
	v_mov_b32_e32 v15, 0x3fe921fb
	v_mov_b32_e32 v16, 0x4002d97c
	v_cndmask_b32_e64 v15, v15, v16, s[6:7]
	v_max_f64 v[16:17], |v[2:3]|, |v[2:3]|
	v_min_f64 v[8:9], v[16:17], v[8:9]
	v_div_scale_f64 v[18:19], s[18:19], v[10:11], v[10:11], v[8:9]
	v_rcp_f64_e32 v[20:21], v[18:19]
	v_ashrrev_i32_e32 v22, 31, v3
	v_and_b32_e32 v16, 0x400921fb, v22
	v_and_b32_e32 v17, 0x54442d18, v22
	v_fma_f64 v[22:23], -v[18:19], v[20:21], 1.0
	v_fmac_f64_e32 v[20:21], v[20:21], v[22:23]
	v_fma_f64 v[22:23], -v[18:19], v[20:21], 1.0
	v_fmac_f64_e32 v[20:21], v[20:21], v[22:23]
	v_div_scale_f64 v[22:23], vcc, v[8:9], v[10:11], v[8:9]
	v_mul_f64 v[24:25], v[22:23], v[20:21]
	v_fma_f64 v[18:19], -v[18:19], v[24:25], v[22:23]
	s_mov_b32 s18, 0xb5e68a13
	s_nop 0
	v_div_fmas_f64 v[18:19], v[18:19], v[20:21], v[24:25]
	v_div_fixup_f64 v[8:9], v[18:19], v[10:11], v[8:9]
	v_mul_f64 v[10:11], v[8:9], v[8:9]
	v_mov_b32_e32 v18, 0xbd3237f4
	v_mov_b32_e32 v19, 0xbf23e260
	s_mov_b32 s19, 0x3eeba404
	v_fmac_f64_e32 v[18:19], s[18:19], v[10:11]
	v_mov_b32_e32 v20, 0x69efb384
	v_mov_b32_e32 v21, 0x3f4b2bb0
	v_fmac_f64_e32 v[20:21], v[10:11], v[18:19]
	v_mov_b32_e32 v18, 0xaf56de9b
	v_mov_b32_e32 v19, 0xbf67952d
	;; [unrolled: 3-line block ×18, first 2 shown]
	v_fmac_f64_e32 v[18:19], v[10:11], v[20:21]
	v_mul_f64 v[10:11], v[10:11], v[18:19]
	s_mov_b32 s16, 0x54442d18
	v_fmac_f64_e32 v[8:9], v[8:9], v[10:11]
	s_mov_b32 s17, 0x3ff921fb
	s_mov_b32 s21, 0x400921fb
	v_add_f64 v[10:11], -v[8:9], s[16:17]
	v_cmp_lt_f64_e64 vcc, |v[2:3]|, |v[0:1]|
	v_cndmask_b32_e32 v3, v9, v11, vcc
	v_cndmask_b32_e32 v2, v8, v10, vcc
	s_mov_b32 s17, s21
	v_add_f64 v[8:9], -v[2:3], s[16:17]
	s_brev_b32 s20, -2
	v_cndmask_b32_e64 v3, v3, v9, s[6:7]
	v_cndmask_b32_e64 v2, v2, v8, s[6:7]
	v_cmp_eq_f64_e32 vcc, 0, v[0:1]
	v_bfi_b32 v15, s20, v15, v1
	v_cndmask_b32_e32 v0, v2, v17, vcc
	v_cndmask_b32_e32 v2, v3, v16, vcc
	s_and_b64 vcc, s[14:15], s[12:13]
	v_cndmask_b32_e32 v2, v2, v15, vcc
	v_mov_b32_e32 v3, 0x7ff80000
	v_cndmask_b32_e32 v0, v0, v14, vcc
	v_cndmask_b32_e64 v2, v3, v2, s[4:5]
	v_cndmask_b32_e64 v0, 0, v0, s[4:5]
	v_bfi_b32 v1, s20, v2, v1
	v_add_f64 v[10:11], v[4:5], v[12:13]
	v_add_f64 v[8:9], v[6:7], v[0:1]
                                        ; implicit-def: $vgpr6_vgpr7
.LBB177_21:
	s_andn2_saveexec_b64 s[10:11], s[10:11]
	s_cbranch_execz .LBB177_47
; %bb.22:
	v_cmp_ngt_f64_e32 vcc, 0, v[10:11]
	s_and_saveexec_b64 s[12:13], vcc
	s_cbranch_execz .LBB177_46
; %bb.23:
	s_mov_b32 s4, 0
	s_mov_b32 s5, 0x41d00000
	v_cmp_nlt_f64_e64 s[6:7], |v[8:9]|, s[4:5]
	v_trig_preop_f64 v[16:17], |v[8:9]|, 0
	v_trig_preop_f64 v[14:15], |v[8:9]|, 1
	;; [unrolled: 1-line block ×3, first 2 shown]
                                        ; implicit-def: $vgpr26
                                        ; implicit-def: $vgpr0_vgpr1
                                        ; implicit-def: $vgpr2_vgpr3
	s_and_saveexec_b64 s[4:5], s[6:7]
	s_xor_b64 s[14:15], exec, s[4:5]
	s_cbranch_execz .LBB177_25
; %bb.24:
	s_mov_b32 s4, 0
	s_mov_b32 s5, 0x7b000000
	s_movk_i32 s16, 0xff80
	v_and_b32_e32 v2, 0x7fffffff, v9
	v_ldexp_f64 v[0:1], |v[8:9]|, s16
	v_cmp_ge_f64_e64 vcc, |v[8:9]|, s[4:5]
	v_cndmask_b32_e32 v1, v2, v1, vcc
	v_cndmask_b32_e32 v0, v8, v0, vcc
	v_mul_f64 v[4:5], v[16:17], v[0:1]
	v_mul_f64 v[2:3], v[14:15], v[0:1]
	v_fma_f64 v[10:11], v[16:17], v[0:1], -v[4:5]
	v_add_f64 v[18:19], v[2:3], v[10:11]
	v_add_f64 v[20:21], v[4:5], v[18:19]
	s_mov_b32 s4, 0
	v_ldexp_f64 v[22:23], v[20:21], -2
	s_mov_b32 s5, 0x7ff00000
	v_fract_f64_e32 v[24:25], v[22:23]
	v_cmp_neq_f64_e64 vcc, |v[22:23]|, s[4:5]
	v_cndmask_b32_e32 v23, 0, v25, vcc
	v_cndmask_b32_e32 v22, 0, v24, vcc
	v_add_f64 v[24:25], v[18:19], -v[2:3]
	v_add_f64 v[10:11], v[10:11], -v[24:25]
	;; [unrolled: 1-line block ×4, first 2 shown]
	v_add_f64 v[10:11], v[10:11], v[24:25]
	v_fma_f64 v[2:3], v[14:15], v[0:1], -v[2:3]
	v_mul_f64 v[24:25], v[12:13], v[0:1]
	v_add_f64 v[26:27], v[24:25], v[2:3]
	v_add_f64 v[30:31], v[26:27], v[10:11]
	v_add_f64 v[4:5], v[20:21], -v[4:5]
	v_add_f64 v[20:21], v[30:31], -v[26:27]
	;; [unrolled: 1-line block ×5, first 2 shown]
	v_add_f64 v[10:11], v[10:11], v[20:21]
	v_add_f64 v[20:21], v[26:27], -v[24:25]
	v_add_f64 v[2:3], v[2:3], -v[20:21]
	;; [unrolled: 1-line block ×5, first 2 shown]
	v_add_f64 v[18:19], v[4:5], v[30:31]
	v_add_f64 v[2:3], v[2:3], v[20:21]
	v_add_f64 v[4:5], v[18:19], -v[4:5]
	v_add_f64 v[2:3], v[2:3], v[10:11]
	v_fma_f64 v[0:1], v[12:13], v[0:1], -v[24:25]
	v_add_f64 v[4:5], v[30:31], -v[4:5]
	v_add_f64 v[0:1], v[0:1], v[2:3]
	v_ldexp_f64 v[2:3], v[22:23], 2
	v_add_f64 v[0:1], v[4:5], v[0:1]
	v_add_f64 v[4:5], v[18:19], v[2:3]
	v_mov_b32_e32 v10, 0x40100000
	v_cmp_gt_f64_e32 vcc, 0, v[4:5]
	v_mov_b32_e32 v28, 0
	v_cndmask_b32_e32 v29, 0, v10, vcc
	v_add_f64 v[2:3], v[2:3], v[28:29]
	v_add_f64 v[4:5], v[18:19], v[2:3]
	v_cvt_i32_f64_e32 v10, v[4:5]
	v_cvt_f64_i32_e32 v[4:5], v10
	v_add_f64 v[2:3], v[2:3], -v[4:5]
	v_add_f64 v[4:5], v[18:19], v[2:3]
	v_add_f64 v[2:3], v[4:5], -v[2:3]
	v_add_f64 v[2:3], v[18:19], -v[2:3]
	v_add_f64 v[0:1], v[0:1], v[2:3]
	v_cmp_le_f64_e32 vcc, 0.5, v[4:5]
	v_mov_b32_e32 v2, 0x3ff00000
	v_cndmask_b32_e32 v29, 0, v2, vcc
	v_addc_co_u32_e64 v26, s[4:5], 0, v10, vcc
	v_add_f64 v[2:3], v[4:5], -v[28:29]
	v_add_f64 v[4:5], v[2:3], v[0:1]
	s_mov_b32 s4, 0x54442d18
	v_add_f64 v[2:3], v[4:5], -v[2:3]
	s_mov_b32 s5, 0x3ff921fb
	v_add_f64 v[0:1], v[0:1], -v[2:3]
	v_mul_f64 v[2:3], v[4:5], s[4:5]
	s_mov_b32 s16, 0x33145c07
	v_fma_f64 v[10:11], v[4:5], s[4:5], -v[2:3]
	s_mov_b32 s17, 0x3c91a626
	v_fmac_f64_e32 v[10:11], s[16:17], v[4:5]
	v_fmac_f64_e32 v[10:11], s[4:5], v[0:1]
	v_add_f64 v[0:1], v[2:3], v[10:11]
	v_add_f64 v[2:3], v[0:1], -v[2:3]
	v_add_f64 v[2:3], v[10:11], -v[2:3]
	s_andn2_saveexec_b64 s[4:5], s[14:15]
	s_cbranch_execz .LBB177_27
	s_branch .LBB177_26
.LBB177_25:
	s_andn2_saveexec_b64 s[4:5], s[14:15]
	s_cbranch_execz .LBB177_27
.LBB177_26:
	s_mov_b32 s14, 0x6dc9c883
	s_mov_b32 s15, 0x3fe45f30
	v_mul_f64 v[0:1], |v[8:9]|, s[14:15]
	s_mov_b32 s14, 0x54442d18
	v_rndne_f64_e32 v[4:5], v[0:1]
	s_mov_b32 s15, 0xbff921fb
	v_fma_f64 v[0:1], v[4:5], s[14:15], |v[8:9]|
	s_mov_b32 s15, 0xbc91a626
	s_mov_b32 s14, 0x33145c00
	v_mul_f64 v[10:11], v[4:5], s[14:15]
	v_add_f64 v[20:21], v[0:1], v[10:11]
	v_fma_f64 v[2:3], s[14:15], v[4:5], v[0:1]
	s_mov_b32 s15, 0x3c91a626
	v_add_f64 v[0:1], v[0:1], -v[20:21]
	v_fma_f64 v[18:19], s[14:15], v[4:5], v[10:11]
	v_add_f64 v[0:1], v[0:1], v[10:11]
	v_add_f64 v[10:11], v[20:21], -v[2:3]
	v_add_f64 v[0:1], v[10:11], v[0:1]
	s_mov_b32 s14, 0x252049c0
	v_add_f64 v[10:11], v[0:1], -v[18:19]
	s_mov_b32 s15, 0xb97b839a
	v_fmac_f64_e32 v[10:11], s[14:15], v[4:5]
	v_add_f64 v[0:1], v[2:3], v[10:11]
	v_add_f64 v[2:3], v[0:1], -v[2:3]
	v_add_f64 v[2:3], v[10:11], -v[2:3]
	v_cvt_i32_f64_e32 v26, v[4:5]
.LBB177_27:
	s_or_b64 exec, exec, s[4:5]
                                        ; implicit-def: $vgpr27
                                        ; implicit-def: $vgpr4_vgpr5
                                        ; implicit-def: $vgpr10_vgpr11
	s_and_saveexec_b64 s[4:5], s[6:7]
	s_xor_b64 s[6:7], exec, s[4:5]
	s_cbranch_execz .LBB177_29
; %bb.28:
	s_mov_b32 s4, 0
	s_mov_b32 s5, 0x7b000000
	s_movk_i32 s14, 0xff80
	v_and_b32_e32 v10, 0x7fffffff, v9
	v_ldexp_f64 v[4:5], |v[8:9]|, s14
	v_cmp_ge_f64_e64 vcc, |v[8:9]|, s[4:5]
	v_cndmask_b32_e32 v5, v10, v5, vcc
	v_cndmask_b32_e32 v4, v8, v4, vcc
	v_mul_f64 v[18:19], v[16:17], v[4:5]
	v_mul_f64 v[10:11], v[14:15], v[4:5]
	v_fma_f64 v[16:17], v[16:17], v[4:5], -v[18:19]
	v_add_f64 v[20:21], v[10:11], v[16:17]
	v_add_f64 v[22:23], v[18:19], v[20:21]
	s_mov_b32 s4, 0
	v_ldexp_f64 v[24:25], v[22:23], -2
	s_mov_b32 s5, 0x7ff00000
	v_fract_f64_e32 v[28:29], v[24:25]
	v_cmp_neq_f64_e64 vcc, |v[24:25]|, s[4:5]
	v_cndmask_b32_e32 v25, 0, v29, vcc
	v_cndmask_b32_e32 v24, 0, v28, vcc
	v_add_f64 v[28:29], v[20:21], -v[10:11]
	v_add_f64 v[16:17], v[16:17], -v[28:29]
	;; [unrolled: 1-line block ×4, first 2 shown]
	v_fma_f64 v[10:11], v[14:15], v[4:5], -v[10:11]
	v_mul_f64 v[14:15], v[12:13], v[4:5]
	v_add_f64 v[16:17], v[16:17], v[28:29]
	v_add_f64 v[28:29], v[14:15], v[10:11]
	;; [unrolled: 1-line block ×3, first 2 shown]
	v_add_f64 v[18:19], v[22:23], -v[18:19]
	v_add_f64 v[22:23], v[32:33], -v[28:29]
	;; [unrolled: 1-line block ×5, first 2 shown]
	v_add_f64 v[16:17], v[16:17], v[22:23]
	v_add_f64 v[22:23], v[28:29], -v[14:15]
	v_add_f64 v[10:11], v[10:11], -v[22:23]
	;; [unrolled: 1-line block ×4, first 2 shown]
	v_add_f64 v[10:11], v[10:11], v[22:23]
	v_add_f64 v[18:19], v[20:21], -v[18:19]
	v_add_f64 v[10:11], v[10:11], v[16:17]
	v_fma_f64 v[4:5], v[12:13], v[4:5], -v[14:15]
	v_add_f64 v[20:21], v[18:19], v[32:33]
	v_add_f64 v[4:5], v[4:5], v[10:11]
	v_ldexp_f64 v[10:11], v[24:25], 2
	v_add_f64 v[12:13], v[20:21], v[10:11]
	v_mov_b32_e32 v14, 0x40100000
	v_cmp_gt_f64_e32 vcc, 0, v[12:13]
	v_mov_b32_e32 v30, 0
	v_cndmask_b32_e32 v31, 0, v14, vcc
	v_add_f64 v[10:11], v[10:11], v[30:31]
	v_add_f64 v[12:13], v[20:21], v[10:11]
	v_cvt_i32_f64_e32 v14, v[12:13]
	v_cvt_f64_i32_e32 v[12:13], v14
	v_add_f64 v[10:11], v[10:11], -v[12:13]
	v_add_f64 v[18:19], v[20:21], -v[18:19]
	v_add_f64 v[12:13], v[20:21], v[10:11]
	v_add_f64 v[18:19], v[32:33], -v[18:19]
	v_add_f64 v[10:11], v[12:13], -v[10:11]
	v_add_f64 v[4:5], v[18:19], v[4:5]
	v_add_f64 v[10:11], v[20:21], -v[10:11]
	v_add_f64 v[4:5], v[4:5], v[10:11]
	v_cmp_le_f64_e32 vcc, 0.5, v[12:13]
	v_mov_b32_e32 v10, 0x3ff00000
	v_cndmask_b32_e32 v31, 0, v10, vcc
	v_addc_co_u32_e64 v27, s[4:5], 0, v14, vcc
	v_add_f64 v[10:11], v[12:13], -v[30:31]
	v_add_f64 v[12:13], v[10:11], v[4:5]
	s_mov_b32 s4, 0x54442d18
	v_add_f64 v[10:11], v[12:13], -v[10:11]
	s_mov_b32 s5, 0x3ff921fb
	v_add_f64 v[4:5], v[4:5], -v[10:11]
	v_mul_f64 v[10:11], v[12:13], s[4:5]
	s_mov_b32 s14, 0x33145c07
	v_fma_f64 v[14:15], v[12:13], s[4:5], -v[10:11]
	s_mov_b32 s15, 0x3c91a626
	v_fmac_f64_e32 v[14:15], s[14:15], v[12:13]
	v_fmac_f64_e32 v[14:15], s[4:5], v[4:5]
	v_add_f64 v[4:5], v[10:11], v[14:15]
	v_add_f64 v[10:11], v[4:5], -v[10:11]
	v_add_f64 v[10:11], v[14:15], -v[10:11]
	s_andn2_saveexec_b64 s[4:5], s[6:7]
	s_cbranch_execnz .LBB177_30
	s_branch .LBB177_31
.LBB177_29:
	s_andn2_saveexec_b64 s[4:5], s[6:7]
	s_cbranch_execz .LBB177_31
.LBB177_30:
	s_mov_b32 s6, 0x6dc9c883
	s_mov_b32 s7, 0x3fe45f30
	v_mul_f64 v[4:5], |v[8:9]|, s[6:7]
	s_mov_b32 s6, 0x54442d18
	v_rndne_f64_e32 v[12:13], v[4:5]
	s_mov_b32 s7, 0xbff921fb
	v_fma_f64 v[4:5], v[12:13], s[6:7], |v[8:9]|
	s_mov_b32 s7, 0xbc91a626
	s_mov_b32 s6, 0x33145c00
	v_mul_f64 v[14:15], v[12:13], s[6:7]
	v_add_f64 v[18:19], v[4:5], v[14:15]
	v_fma_f64 v[10:11], s[6:7], v[12:13], v[4:5]
	s_mov_b32 s7, 0x3c91a626
	v_add_f64 v[4:5], v[4:5], -v[18:19]
	v_fma_f64 v[16:17], s[6:7], v[12:13], v[14:15]
	v_add_f64 v[4:5], v[4:5], v[14:15]
	v_add_f64 v[14:15], v[18:19], -v[10:11]
	v_add_f64 v[4:5], v[14:15], v[4:5]
	s_mov_b32 s6, 0x252049c0
	v_add_f64 v[14:15], v[4:5], -v[16:17]
	s_mov_b32 s7, 0xb97b839a
	v_fmac_f64_e32 v[14:15], s[6:7], v[12:13]
	v_add_f64 v[4:5], v[10:11], v[14:15]
	v_add_f64 v[10:11], v[4:5], -v[10:11]
	v_add_f64 v[10:11], v[14:15], -v[10:11]
	v_cvt_i32_f64_e32 v27, v[12:13]
.LBB177_31:
	s_or_b64 exec, exec, s[4:5]
	s_mov_b32 s4, 0
	s_mov_b32 s5, 0x41d00000
	v_cmp_nlt_f64_e64 s[6:7], |v[6:7]|, s[4:5]
	v_trig_preop_f64 v[24:25], |v[6:7]|, 0
	v_trig_preop_f64 v[22:23], |v[6:7]|, 1
	;; [unrolled: 1-line block ×3, first 2 shown]
                                        ; implicit-def: $vgpr28
                                        ; implicit-def: $vgpr12_vgpr13
                                        ; implicit-def: $vgpr14_vgpr15
	s_and_saveexec_b64 s[4:5], s[6:7]
	s_xor_b64 s[14:15], exec, s[4:5]
	s_cbranch_execz .LBB177_33
; %bb.32:
	s_mov_b32 s4, 0
	s_mov_b32 s5, 0x7b000000
	s_movk_i32 s16, 0xff80
	v_and_b32_e32 v14, 0x7fffffff, v7
	v_ldexp_f64 v[12:13], |v[6:7]|, s16
	v_cmp_ge_f64_e64 vcc, |v[6:7]|, s[4:5]
	v_cndmask_b32_e32 v13, v14, v13, vcc
	v_cndmask_b32_e32 v12, v6, v12, vcc
	v_mul_f64 v[16:17], v[24:25], v[12:13]
	v_mul_f64 v[14:15], v[22:23], v[12:13]
	v_fma_f64 v[18:19], v[24:25], v[12:13], -v[16:17]
	v_add_f64 v[28:29], v[14:15], v[18:19]
	v_add_f64 v[30:31], v[16:17], v[28:29]
	s_mov_b32 s4, 0
	v_ldexp_f64 v[32:33], v[30:31], -2
	s_mov_b32 s5, 0x7ff00000
	v_fract_f64_e32 v[34:35], v[32:33]
	v_cmp_neq_f64_e64 vcc, |v[32:33]|, s[4:5]
	v_cndmask_b32_e32 v33, 0, v35, vcc
	v_cndmask_b32_e32 v32, 0, v34, vcc
	v_add_f64 v[34:35], v[28:29], -v[14:15]
	v_add_f64 v[18:19], v[18:19], -v[34:35]
	;; [unrolled: 1-line block ×4, first 2 shown]
	v_add_f64 v[18:19], v[18:19], v[34:35]
	v_fma_f64 v[14:15], v[22:23], v[12:13], -v[14:15]
	v_mul_f64 v[34:35], v[20:21], v[12:13]
	v_add_f64 v[38:39], v[34:35], v[14:15]
	v_add_f64 v[48:49], v[38:39], v[18:19]
	v_add_f64 v[16:17], v[30:31], -v[16:17]
	v_add_f64 v[30:31], v[48:49], -v[38:39]
	;; [unrolled: 1-line block ×5, first 2 shown]
	v_add_f64 v[18:19], v[18:19], v[30:31]
	v_add_f64 v[30:31], v[38:39], -v[34:35]
	v_add_f64 v[14:15], v[14:15], -v[30:31]
	v_add_f64 v[30:31], v[38:39], -v[30:31]
	v_add_f64 v[16:17], v[28:29], -v[16:17]
	v_add_f64 v[30:31], v[34:35], -v[30:31]
	v_add_f64 v[28:29], v[16:17], v[48:49]
	v_add_f64 v[14:15], v[14:15], v[30:31]
	v_add_f64 v[16:17], v[28:29], -v[16:17]
	v_add_f64 v[14:15], v[14:15], v[18:19]
	v_fma_f64 v[12:13], v[20:21], v[12:13], -v[34:35]
	v_add_f64 v[16:17], v[48:49], -v[16:17]
	v_add_f64 v[12:13], v[12:13], v[14:15]
	v_ldexp_f64 v[14:15], v[32:33], 2
	v_add_f64 v[12:13], v[16:17], v[12:13]
	v_add_f64 v[16:17], v[28:29], v[14:15]
	v_mov_b32_e32 v18, 0x40100000
	v_cmp_gt_f64_e32 vcc, 0, v[16:17]
	v_mov_b32_e32 v36, 0
	v_cndmask_b32_e32 v37, 0, v18, vcc
	v_add_f64 v[14:15], v[14:15], v[36:37]
	v_add_f64 v[16:17], v[28:29], v[14:15]
	v_cvt_i32_f64_e32 v18, v[16:17]
	v_cvt_f64_i32_e32 v[16:17], v18
	v_add_f64 v[14:15], v[14:15], -v[16:17]
	v_add_f64 v[16:17], v[28:29], v[14:15]
	v_add_f64 v[14:15], v[16:17], -v[14:15]
	v_add_f64 v[14:15], v[28:29], -v[14:15]
	v_add_f64 v[12:13], v[12:13], v[14:15]
	v_cmp_le_f64_e32 vcc, 0.5, v[16:17]
	v_mov_b32_e32 v14, 0x3ff00000
	v_cndmask_b32_e32 v37, 0, v14, vcc
	v_addc_co_u32_e64 v28, s[4:5], 0, v18, vcc
	v_add_f64 v[14:15], v[16:17], -v[36:37]
	v_add_f64 v[16:17], v[14:15], v[12:13]
	s_mov_b32 s4, 0x54442d18
	v_add_f64 v[14:15], v[16:17], -v[14:15]
	s_mov_b32 s5, 0x3ff921fb
	v_add_f64 v[12:13], v[12:13], -v[14:15]
	v_mul_f64 v[14:15], v[16:17], s[4:5]
	s_mov_b32 s16, 0x33145c07
	v_fma_f64 v[18:19], v[16:17], s[4:5], -v[14:15]
	s_mov_b32 s17, 0x3c91a626
	v_fmac_f64_e32 v[18:19], s[16:17], v[16:17]
	v_fmac_f64_e32 v[18:19], s[4:5], v[12:13]
	v_add_f64 v[12:13], v[14:15], v[18:19]
	v_add_f64 v[14:15], v[12:13], -v[14:15]
	v_add_f64 v[14:15], v[18:19], -v[14:15]
	s_andn2_saveexec_b64 s[4:5], s[14:15]
	s_cbranch_execz .LBB177_35
	s_branch .LBB177_34
.LBB177_33:
	s_andn2_saveexec_b64 s[4:5], s[14:15]
	s_cbranch_execz .LBB177_35
.LBB177_34:
	s_mov_b32 s14, 0x6dc9c883
	s_mov_b32 s15, 0x3fe45f30
	v_mul_f64 v[12:13], |v[6:7]|, s[14:15]
	s_mov_b32 s14, 0x54442d18
	v_rndne_f64_e32 v[16:17], v[12:13]
	s_mov_b32 s15, 0xbff921fb
	v_fma_f64 v[12:13], v[16:17], s[14:15], |v[6:7]|
	s_mov_b32 s15, 0xbc91a626
	s_mov_b32 s14, 0x33145c00
	v_mul_f64 v[18:19], v[16:17], s[14:15]
	v_add_f64 v[30:31], v[12:13], v[18:19]
	v_fma_f64 v[14:15], s[14:15], v[16:17], v[12:13]
	s_mov_b32 s15, 0x3c91a626
	v_add_f64 v[12:13], v[12:13], -v[30:31]
	v_fma_f64 v[28:29], s[14:15], v[16:17], v[18:19]
	v_add_f64 v[12:13], v[12:13], v[18:19]
	v_add_f64 v[18:19], v[30:31], -v[14:15]
	v_add_f64 v[12:13], v[18:19], v[12:13]
	s_mov_b32 s14, 0x252049c0
	v_add_f64 v[18:19], v[12:13], -v[28:29]
	s_mov_b32 s15, 0xb97b839a
	v_fmac_f64_e32 v[18:19], s[14:15], v[16:17]
	v_add_f64 v[12:13], v[14:15], v[18:19]
	v_add_f64 v[14:15], v[12:13], -v[14:15]
	v_add_f64 v[14:15], v[18:19], -v[14:15]
	v_cvt_i32_f64_e32 v28, v[16:17]
.LBB177_35:
	s_or_b64 exec, exec, s[4:5]
                                        ; implicit-def: $vgpr29
                                        ; implicit-def: $vgpr16_vgpr17
                                        ; implicit-def: $vgpr18_vgpr19
	s_and_saveexec_b64 s[4:5], s[6:7]
	s_xor_b64 s[6:7], exec, s[4:5]
	s_cbranch_execz .LBB177_37
; %bb.36:
	s_mov_b32 s4, 0
	s_mov_b32 s5, 0x7b000000
	s_movk_i32 s14, 0xff80
	v_and_b32_e32 v18, 0x7fffffff, v7
	v_ldexp_f64 v[16:17], |v[6:7]|, s14
	v_cmp_ge_f64_e64 vcc, |v[6:7]|, s[4:5]
	v_cndmask_b32_e32 v17, v18, v17, vcc
	v_cndmask_b32_e32 v16, v6, v16, vcc
	v_mul_f64 v[30:31], v[24:25], v[16:17]
	v_mul_f64 v[18:19], v[22:23], v[16:17]
	v_fma_f64 v[24:25], v[24:25], v[16:17], -v[30:31]
	v_add_f64 v[32:33], v[18:19], v[24:25]
	v_add_f64 v[34:35], v[30:31], v[32:33]
	s_mov_b32 s4, 0
	v_ldexp_f64 v[36:37], v[34:35], -2
	s_mov_b32 s5, 0x7ff00000
	v_fract_f64_e32 v[38:39], v[36:37]
	v_cmp_neq_f64_e64 vcc, |v[36:37]|, s[4:5]
	v_cndmask_b32_e32 v37, 0, v39, vcc
	v_cndmask_b32_e32 v36, 0, v38, vcc
	v_add_f64 v[38:39], v[32:33], -v[18:19]
	v_add_f64 v[24:25], v[24:25], -v[38:39]
	;; [unrolled: 1-line block ×4, first 2 shown]
	v_fma_f64 v[18:19], v[22:23], v[16:17], -v[18:19]
	v_mul_f64 v[22:23], v[20:21], v[16:17]
	v_add_f64 v[24:25], v[24:25], v[38:39]
	v_add_f64 v[38:39], v[22:23], v[18:19]
	;; [unrolled: 1-line block ×3, first 2 shown]
	v_add_f64 v[30:31], v[34:35], -v[30:31]
	v_add_f64 v[34:35], v[50:51], -v[38:39]
	;; [unrolled: 1-line block ×5, first 2 shown]
	v_add_f64 v[24:25], v[24:25], v[34:35]
	v_add_f64 v[34:35], v[38:39], -v[22:23]
	v_add_f64 v[18:19], v[18:19], -v[34:35]
	;; [unrolled: 1-line block ×4, first 2 shown]
	v_add_f64 v[18:19], v[18:19], v[34:35]
	v_add_f64 v[30:31], v[32:33], -v[30:31]
	v_add_f64 v[18:19], v[18:19], v[24:25]
	v_fma_f64 v[16:17], v[20:21], v[16:17], -v[22:23]
	v_add_f64 v[32:33], v[30:31], v[50:51]
	v_add_f64 v[16:17], v[16:17], v[18:19]
	v_ldexp_f64 v[18:19], v[36:37], 2
	v_add_f64 v[20:21], v[32:33], v[18:19]
	v_mov_b32_e32 v22, 0x40100000
	v_cmp_gt_f64_e32 vcc, 0, v[20:21]
	v_mov_b32_e32 v48, 0
	v_cndmask_b32_e32 v49, 0, v22, vcc
	v_add_f64 v[18:19], v[18:19], v[48:49]
	v_add_f64 v[20:21], v[32:33], v[18:19]
	v_cvt_i32_f64_e32 v22, v[20:21]
	v_cvt_f64_i32_e32 v[20:21], v22
	v_add_f64 v[18:19], v[18:19], -v[20:21]
	v_add_f64 v[30:31], v[32:33], -v[30:31]
	v_add_f64 v[20:21], v[32:33], v[18:19]
	v_add_f64 v[30:31], v[50:51], -v[30:31]
	v_add_f64 v[18:19], v[20:21], -v[18:19]
	v_add_f64 v[16:17], v[30:31], v[16:17]
	v_add_f64 v[18:19], v[32:33], -v[18:19]
	v_add_f64 v[16:17], v[16:17], v[18:19]
	v_cmp_le_f64_e32 vcc, 0.5, v[20:21]
	v_mov_b32_e32 v18, 0x3ff00000
	v_cndmask_b32_e32 v49, 0, v18, vcc
	v_addc_co_u32_e64 v29, s[4:5], 0, v22, vcc
	v_add_f64 v[18:19], v[20:21], -v[48:49]
	v_add_f64 v[20:21], v[18:19], v[16:17]
	s_mov_b32 s4, 0x54442d18
	v_add_f64 v[18:19], v[20:21], -v[18:19]
	s_mov_b32 s5, 0x3ff921fb
	v_add_f64 v[16:17], v[16:17], -v[18:19]
	v_mul_f64 v[18:19], v[20:21], s[4:5]
	s_mov_b32 s14, 0x33145c07
	v_fma_f64 v[22:23], v[20:21], s[4:5], -v[18:19]
	s_mov_b32 s15, 0x3c91a626
	v_fmac_f64_e32 v[22:23], s[14:15], v[20:21]
	v_fmac_f64_e32 v[22:23], s[4:5], v[16:17]
	v_add_f64 v[16:17], v[18:19], v[22:23]
	v_add_f64 v[18:19], v[16:17], -v[18:19]
	v_add_f64 v[18:19], v[22:23], -v[18:19]
	s_andn2_saveexec_b64 s[4:5], s[6:7]
	s_cbranch_execnz .LBB177_38
	s_branch .LBB177_39
.LBB177_37:
	s_andn2_saveexec_b64 s[4:5], s[6:7]
	s_cbranch_execz .LBB177_39
.LBB177_38:
	s_mov_b32 s6, 0x6dc9c883
	s_mov_b32 s7, 0x3fe45f30
	v_mul_f64 v[16:17], |v[6:7]|, s[6:7]
	s_mov_b32 s6, 0x54442d18
	v_rndne_f64_e32 v[20:21], v[16:17]
	s_mov_b32 s7, 0xbff921fb
	v_fma_f64 v[16:17], v[20:21], s[6:7], |v[6:7]|
	s_mov_b32 s7, 0xbc91a626
	s_mov_b32 s6, 0x33145c00
	v_mul_f64 v[22:23], v[20:21], s[6:7]
	v_add_f64 v[30:31], v[16:17], v[22:23]
	v_fma_f64 v[18:19], s[6:7], v[20:21], v[16:17]
	s_mov_b32 s7, 0x3c91a626
	v_add_f64 v[16:17], v[16:17], -v[30:31]
	v_fma_f64 v[24:25], s[6:7], v[20:21], v[22:23]
	v_add_f64 v[16:17], v[16:17], v[22:23]
	v_add_f64 v[22:23], v[30:31], -v[18:19]
	v_add_f64 v[16:17], v[22:23], v[16:17]
	s_mov_b32 s6, 0x252049c0
	v_add_f64 v[22:23], v[16:17], -v[24:25]
	s_mov_b32 s7, 0xb97b839a
	v_fmac_f64_e32 v[22:23], s[6:7], v[20:21]
	v_add_f64 v[16:17], v[18:19], v[22:23]
	v_add_f64 v[18:19], v[16:17], -v[18:19]
	v_add_f64 v[18:19], v[22:23], -v[18:19]
	v_cvt_i32_f64_e32 v29, v[20:21]
.LBB177_39:
	s_or_b64 exec, exec, s[4:5]
	s_mov_b32 s4, 0xb42fdfa7
	s_mov_b32 s5, 0xbe5ae600
	;; [unrolled: 1-line block ×3, first 2 shown]
	v_mul_f64 v[24:25], v[0:1], v[0:1]
	s_mov_b32 s7, 0x3de5e0b2
	v_pk_mov_b32 v[20:21], s[4:5], s[4:5] op_sel:[0,1]
	s_mov_b32 s14, 0x796cde01
	v_fma_f64 v[30:31], s[6:7], v[24:25], v[20:21]
	s_mov_b32 s15, 0x3ec71de3
	s_mov_b32 s16, 0x19e83e5c
	v_fma_f64 v[30:31], v[24:25], v[30:31], s[14:15]
	s_mov_b32 s17, 0xbf2a01a0
	;; [unrolled: 3-line block ×3, first 2 shown]
	v_mul_f64 v[22:23], v[0:1], -v[24:25]
	v_fma_f64 v[30:31], v[24:25], v[30:31], s[22:23]
	v_mul_f64 v[32:33], v[2:3], 0.5
	v_fmac_f64_e32 v[32:33], v[22:23], v[30:31]
	s_mov_b32 s4, 0x9037ab78
	v_fma_f64 v[30:31], v[24:25], v[32:33], -v[2:3]
	s_mov_b32 s21, 0xbfc55555
	s_mov_b32 s20, 0x55555555
	;; [unrolled: 1-line block ×4, first 2 shown]
	v_fmac_f64_e32 v[30:31], s[20:21], v[22:23]
	s_mov_b32 s25, 0xbda907db
	v_pk_mov_b32 v[22:23], s[4:5], s[4:5] op_sel:[0,1]
	s_mov_b32 s26, 0xa17f65f6
	v_fma_f64 v[38:39], s[24:25], v[24:25], v[22:23]
	s_mov_b32 s27, 0xbe927e4f
	s_mov_b32 s28, 0x19f4ec90
	v_fma_f64 v[38:39], v[24:25], v[38:39], s[26:27]
	s_mov_b32 s29, 0x3efa01a0
	s_mov_b32 s30, 0x16c16967
	v_mul_f64 v[32:33], v[24:25], 0.5
	v_fma_f64 v[38:39], v[24:25], v[38:39], s[28:29]
	s_mov_b32 s31, 0xbf56c16c
	v_add_f64 v[34:35], -v[32:33], 1.0
	v_fma_f64 v[38:39], v[24:25], v[38:39], s[30:31]
	s_mov_b32 s35, 0x3fa55555
	s_mov_b32 s34, s20
	v_mul_f64 v[36:37], v[24:25], v[24:25]
	v_fma_f64 v[24:25], v[24:25], v[38:39], s[34:35]
	v_add_f64 v[38:39], -v[34:35], 1.0
	v_add_f64 v[32:33], v[38:39], -v[32:33]
	v_add_f64 v[30:31], v[0:1], -v[30:31]
	v_fma_f64 v[0:1], v[0:1], -v[2:3], v[32:33]
	v_and_b32_e32 v48, 1, v26
	v_fmac_f64_e32 v[0:1], v[36:37], v[24:25]
	v_lshlrev_b32_e32 v2, 30, v26
	v_add_f64 v[0:1], v[34:35], v[0:1]
	v_cmp_eq_u32_e32 vcc, 0, v48
	v_xor_b32_e32 v2, v2, v9
	s_movk_i32 s36, 0x1f8
	v_cndmask_b32_e32 v1, v1, v31, vcc
	v_and_b32_e32 v2, 0x80000000, v2
	v_cndmask_b32_e32 v0, v0, v30, vcc
	v_xor_b32_e32 v1, v1, v2
	v_cmp_class_f64_e64 vcc, v[8:9], s36
	v_mov_b32_e32 v24, 0x7ff80000
	v_cndmask_b32_e32 v2, 0, v0, vcc
	v_cndmask_b32_e32 v3, v24, v1, vcc
	v_mul_f64 v[0:1], v[4:5], v[4:5]
	v_mul_f64 v[8:9], v[0:1], 0.5
	v_fma_f64 v[34:35], s[24:25], v[0:1], v[22:23]
	v_add_f64 v[30:31], -v[8:9], 1.0
	v_fma_f64 v[34:35], v[0:1], v[34:35], s[26:27]
	v_add_f64 v[32:33], -v[30:31], 1.0
	v_fma_f64 v[34:35], v[0:1], v[34:35], s[28:29]
	v_add_f64 v[8:9], v[32:33], -v[8:9]
	v_fma_f64 v[34:35], v[0:1], v[34:35], s[30:31]
	v_mul_f64 v[32:33], v[0:1], v[0:1]
	v_fma_f64 v[34:35], v[0:1], v[34:35], s[34:35]
	v_fma_f64 v[8:9], v[4:5], -v[10:11], v[8:9]
	v_fmac_f64_e32 v[8:9], v[32:33], v[34:35]
	v_add_f64 v[8:9], v[30:31], v[8:9]
	v_fma_f64 v[30:31], s[6:7], v[0:1], v[20:21]
	v_fma_f64 v[30:31], v[0:1], v[30:31], s[14:15]
	;; [unrolled: 1-line block ×4, first 2 shown]
	v_mul_f64 v[32:33], v[4:5], -v[0:1]
	v_mul_f64 v[34:35], v[10:11], 0.5
	v_fmac_f64_e32 v[34:35], v[32:33], v[30:31]
	v_fma_f64 v[0:1], v[0:1], v[34:35], -v[10:11]
	v_fmac_f64_e32 v[0:1], s[20:21], v[32:33]
	v_add_f64 v[0:1], v[4:5], -v[0:1]
	v_and_b32_e32 v4, 1, v27
	v_xor_b32_e32 v1, 0x80000000, v1
	v_cmp_eq_u32_e64 s[4:5], 0, v4
	v_lshlrev_b32_e32 v4, 30, v27
	v_cndmask_b32_e64 v1, v1, v9, s[4:5]
	v_and_b32_e32 v4, 0x80000000, v4
	v_cndmask_b32_e64 v0, v0, v8, s[4:5]
	v_xor_b32_e32 v1, v1, v4
	s_mov_b32 s18, 0
	v_cndmask_b32_e32 v0, 0, v0, vcc
	v_cndmask_b32_e32 v1, v24, v1, vcc
	s_mov_b32 s19, 0x7ff00000
	v_mul_f64 v[4:5], v[0:1], s[18:19]
	v_cmp_neq_f64_e32 vcc, 0, v[0:1]
	v_cndmask_b32_e32 v1, 0, v5, vcc
	v_cndmask_b32_e32 v0, 0, v4, vcc
	v_mul_f64 v[4:5], v[2:3], s[18:19]
	v_cmp_neq_f64_e32 vcc, 0, v[2:3]
	v_cndmask_b32_e32 v3, 0, v5, vcc
	v_cndmask_b32_e32 v2, 0, v4, vcc
	v_mul_f64 v[4:5], v[12:13], v[12:13]
	v_fma_f64 v[10:11], s[6:7], v[4:5], v[20:21]
	v_fma_f64 v[10:11], v[4:5], v[10:11], s[14:15]
	;; [unrolled: 1-line block ×3, first 2 shown]
	v_mul_f64 v[8:9], v[12:13], -v[4:5]
	v_fma_f64 v[10:11], v[4:5], v[10:11], s[22:23]
	v_mul_f64 v[26:27], v[14:15], 0.5
	v_fmac_f64_e32 v[26:27], v[8:9], v[10:11]
	v_fma_f64 v[10:11], v[4:5], v[26:27], -v[14:15]
	v_fma_f64 v[32:33], s[24:25], v[4:5], v[22:23]
	v_fmac_f64_e32 v[10:11], s[20:21], v[8:9]
	v_fma_f64 v[32:33], v[4:5], v[32:33], s[26:27]
	v_add_f64 v[8:9], v[12:13], -v[10:11]
	v_mul_f64 v[10:11], v[4:5], 0.5
	v_fma_f64 v[32:33], v[4:5], v[32:33], s[28:29]
	v_add_f64 v[26:27], -v[10:11], 1.0
	v_fma_f64 v[32:33], v[4:5], v[32:33], s[30:31]
	v_mul_f64 v[30:31], v[4:5], v[4:5]
	v_fma_f64 v[4:5], v[4:5], v[32:33], s[34:35]
	v_add_f64 v[32:33], -v[26:27], 1.0
	v_add_f64 v[10:11], v[32:33], -v[10:11]
	v_fma_f64 v[10:11], v[12:13], -v[14:15], v[10:11]
	v_and_b32_e32 v25, 1, v28
	v_fmac_f64_e32 v[10:11], v[30:31], v[4:5]
	v_add_f64 v[4:5], v[26:27], v[10:11]
	v_cmp_eq_u32_e32 vcc, 0, v25
	v_cndmask_b32_e32 v4, v4, v8, vcc
	v_lshlrev_b32_e32 v8, 30, v28
	v_xor_b32_e32 v8, v8, v7
	v_cndmask_b32_e32 v5, v5, v9, vcc
	v_and_b32_e32 v8, 0x80000000, v8
	v_cmp_class_f64_e64 vcc, v[6:7], s36
	v_mul_f64 v[6:7], v[16:17], v[16:17]
	v_xor_b32_e32 v5, v5, v8
	v_mul_f64 v[8:9], v[6:7], 0.5
	v_fmac_f64_e32 v[22:23], s[24:25], v[6:7]
	v_add_f64 v[10:11], -v[8:9], 1.0
	v_fma_f64 v[14:15], v[6:7], v[22:23], s[26:27]
	v_add_f64 v[12:13], -v[10:11], 1.0
	v_fma_f64 v[14:15], v[6:7], v[14:15], s[28:29]
	v_add_f64 v[8:9], v[12:13], -v[8:9]
	v_fma_f64 v[14:15], v[6:7], v[14:15], s[30:31]
	v_mul_f64 v[12:13], v[6:7], v[6:7]
	v_fma_f64 v[14:15], v[6:7], v[14:15], s[34:35]
	v_fma_f64 v[8:9], v[16:17], -v[18:19], v[8:9]
	v_fmac_f64_e32 v[8:9], v[12:13], v[14:15]
	v_fmac_f64_e32 v[20:21], s[6:7], v[6:7]
	v_add_f64 v[8:9], v[10:11], v[8:9]
	v_fma_f64 v[10:11], v[6:7], v[20:21], s[14:15]
	v_fma_f64 v[10:11], v[6:7], v[10:11], s[16:17]
	;; [unrolled: 1-line block ×3, first 2 shown]
	v_mul_f64 v[12:13], v[16:17], -v[6:7]
	v_mul_f64 v[14:15], v[18:19], 0.5
	v_fmac_f64_e32 v[14:15], v[12:13], v[10:11]
	v_fma_f64 v[6:7], v[6:7], v[14:15], -v[18:19]
	v_fmac_f64_e32 v[6:7], s[20:21], v[12:13]
	v_and_b32_e32 v10, 1, v29
	v_add_f64 v[6:7], v[16:17], -v[6:7]
	v_cmp_eq_u32_e64 s[4:5], 0, v10
	v_xor_b32_e32 v7, 0x80000000, v7
	v_cndmask_b32_e64 v6, v6, v8, s[4:5]
	v_lshlrev_b32_e32 v8, 30, v29
	v_cndmask_b32_e64 v7, v7, v9, s[4:5]
	v_and_b32_e32 v8, 0x80000000, v8
	v_xor_b32_e32 v7, v7, v8
	v_cndmask_b32_e32 v6, 0, v6, vcc
	v_cndmask_b32_e32 v7, v24, v7, vcc
	;; [unrolled: 1-line block ×4, first 2 shown]
	v_mul_f64 v[8:9], v[6:7], s[18:19]
	v_cmp_neq_f64_e32 vcc, 0, v[6:7]
	v_cndmask_b32_e32 v7, 0, v9, vcc
	v_cndmask_b32_e32 v6, 0, v8, vcc
	v_mul_f64 v[8:9], v[4:5], s[18:19]
	v_cmp_neq_f64_e32 vcc, 0, v[4:5]
	v_cndmask_b32_e32 v5, 0, v9, vcc
	v_cndmask_b32_e32 v4, 0, v8, vcc
	v_add_f64 v[6:7], v[0:1], v[6:7]
	v_add_f64 v[0:1], v[2:3], v[4:5]
	v_add_f64 v[10:11], v[6:7], -1.0
	v_max_f64 v[2:3], |v[10:11]|, |v[10:11]|
	v_max_f64 v[4:5], |v[0:1]|, |v[0:1]|
	v_max_f64 v[2:3], v[2:3], v[4:5]
	v_frexp_exp_i32_f64_e32 v14, v[2:3]
	v_sub_u32_e32 v6, 0, v14
	v_ldexp_f64 v[2:3], |v[10:11]|, v6
	v_ldexp_f64 v[6:7], |v[0:1]|, v6
	v_mul_f64 v[6:7], v[6:7], v[6:7]
	v_fmac_f64_e32 v[6:7], v[2:3], v[2:3]
	v_rsq_f64_e32 v[2:3], v[6:7]
	v_cmp_eq_f64_e32 vcc, 0, v[6:7]
	s_movk_i32 s16, 0x204
	v_cmp_class_f64_e64 s[4:5], v[10:11], s16
	v_mul_f64 v[8:9], v[6:7], v[2:3]
	v_mul_f64 v[2:3], v[2:3], 0.5
	v_fma_f64 v[12:13], -v[2:3], v[8:9], 0.5
	v_fmac_f64_e32 v[8:9], v[8:9], v[12:13]
	v_fmac_f64_e32 v[2:3], v[2:3], v[12:13]
	v_fma_f64 v[12:13], -v[8:9], v[8:9], v[6:7]
	v_fmac_f64_e32 v[8:9], v[12:13], v[2:3]
	v_cndmask_b32_e32 v3, v9, v7, vcc
	v_cndmask_b32_e32 v2, v8, v6, vcc
	v_cmp_class_f64_e64 s[14:15], v[0:1], s16
	v_ldexp_f64 v[2:3], v[2:3], v14
	v_cmp_u_f64_e32 vcc, v[10:11], v[0:1]
	s_or_b64 s[22:23], s[14:15], s[4:5]
	v_cmp_ngt_f64_e64 s[6:7], 0.5, v[2:3]
	v_add_f64 v[2:3], v[10:11], 1.0
	s_or_b64 s[22:23], s[22:23], vcc
	v_max_f64 v[6:7], |v[2:3]|, v[4:5]
	v_cmp_o_f64_e64 s[4:5], v[2:3], v[0:1]
	v_cmp_class_f64_e64 s[16:17], v[2:3], s16
	s_or_b64 s[6:7], s[22:23], s[6:7]
	s_and_saveexec_b64 s[22:23], s[6:7]
	s_xor_b64 s[22:23], exec, s[22:23]
	s_cbranch_execz .LBB177_41
; %bb.40:
	v_frexp_exp_i32_f64_e32 v16, v[6:7]
	v_sub_u32_e32 v10, 0, v16
	v_ldexp_f64 v[8:9], |v[2:3]|, v10
	v_ldexp_f64 v[10:11], |v[0:1]|, v10
	v_mul_f64 v[10:11], v[10:11], v[10:11]
	v_fmac_f64_e32 v[10:11], v[8:9], v[8:9]
	v_rsq_f64_e32 v[8:9], v[10:11]
	v_cmp_eq_f64_e32 vcc, 0, v[10:11]
	s_mov_b32 s21, 0x3fe55555
	v_mov_b32_e32 v17, 0x3ff00000
	v_mul_f64 v[12:13], v[10:11], v[8:9]
	v_mul_f64 v[8:9], v[8:9], 0.5
	v_fma_f64 v[14:15], -v[8:9], v[12:13], 0.5
	v_fmac_f64_e32 v[12:13], v[12:13], v[14:15]
	v_fmac_f64_e32 v[8:9], v[8:9], v[14:15]
	v_fma_f64 v[14:15], -v[12:13], v[12:13], v[10:11]
	v_fmac_f64_e32 v[12:13], v[14:15], v[8:9]
	v_cndmask_b32_e32 v9, v13, v11, vcc
	v_cndmask_b32_e32 v8, v12, v10, vcc
	v_ldexp_f64 v[10:11], v[8:9], v16
	v_cndmask_b32_e64 v12, 0, v10, s[4:5]
	v_cndmask_b32_e64 v14, v24, v11, s[4:5]
	v_mov_b32_e32 v13, 0x7ff00000
	s_or_b64 vcc, s[14:15], s[16:17]
	v_cndmask_b32_e32 v9, v14, v13, vcc
	v_cndmask_b32_e64 v8, v12, 0, vcc
	v_frexp_mant_f64_e32 v[18:19], v[8:9]
	v_cmp_gt_f64_e64 s[6:7], s[20:21], v[18:19]
	v_mov_b32_e32 v16, 0
	v_cndmask_b32_e64 v17, v17, 2.0, s[6:7]
	v_mul_f64 v[16:17], v[18:19], v[16:17]
	v_add_f64 v[18:19], v[16:17], 1.0
	v_rcp_f64_e32 v[20:21], v[18:19]
	v_add_f64 v[26:27], v[18:19], -1.0
	v_add_f64 v[22:23], v[16:17], -1.0
	v_add_f64 v[16:17], v[16:17], -v[26:27]
	v_fma_f64 v[26:27], -v[18:19], v[20:21], 1.0
	v_fmac_f64_e32 v[20:21], v[26:27], v[20:21]
	v_fma_f64 v[26:27], -v[18:19], v[20:21], 1.0
	v_fmac_f64_e32 v[20:21], v[26:27], v[20:21]
	v_mul_f64 v[26:27], v[22:23], v[20:21]
	v_mul_f64 v[28:29], v[18:19], v[26:27]
	v_fma_f64 v[18:19], v[26:27], v[18:19], -v[28:29]
	v_fmac_f64_e32 v[18:19], v[26:27], v[16:17]
	v_add_f64 v[16:17], v[28:29], v[18:19]
	v_add_f64 v[30:31], v[22:23], -v[16:17]
	v_add_f64 v[28:29], v[16:17], -v[28:29]
	;; [unrolled: 1-line block ×5, first 2 shown]
	v_add_f64 v[16:17], v[18:19], v[16:17]
	v_add_f64 v[16:17], v[30:31], v[16:17]
	v_frexp_exp_i32_f64_e32 v15, v[8:9]
	v_mul_f64 v[16:17], v[20:21], v[16:17]
	v_subbrev_co_u32_e64 v15, s[6:7], 0, v15, s[6:7]
	v_add_f64 v[18:19], v[26:27], v[16:17]
	v_add_f64 v[20:21], v[18:19], -v[26:27]
	s_mov_b32 s6, 0xbf559e2b
	v_add_f64 v[16:17], v[16:17], -v[20:21]
	v_mul_f64 v[20:21], v[18:19], v[18:19]
	v_mov_b32_e32 v22, 0x6b47b09a
	v_mov_b32_e32 v23, 0x3fc38538
	s_mov_b32 s7, 0x3fc3ab76
	v_fmac_f64_e32 v[22:23], s[6:7], v[20:21]
	v_mov_b32_e32 v26, 0xd7f4df2e
	v_mov_b32_e32 v27, 0x3fc7474d
	v_fmac_f64_e32 v[26:27], v[20:21], v[22:23]
	v_mov_b32_e32 v22, 0x16291751
	v_mov_b32_e32 v23, 0x3fcc71c0
	;; [unrolled: 3-line block ×5, first 2 shown]
	v_fmac_f64_e32 v[26:27], v[20:21], v[22:23]
	v_ldexp_f64 v[22:23], v[18:19], 1
	v_mul_f64 v[18:19], v[18:19], v[20:21]
	v_mul_f64 v[18:19], v[18:19], v[26:27]
	v_add_f64 v[20:21], v[22:23], v[18:19]
	v_add_f64 v[22:23], v[20:21], -v[22:23]
	v_ldexp_f64 v[16:17], v[16:17], 1
	v_add_f64 v[18:19], v[18:19], -v[22:23]
	v_add_f64 v[16:17], v[16:17], v[18:19]
	v_add_f64 v[18:19], v[20:21], v[16:17]
	v_add_f64 v[20:21], v[18:19], -v[20:21]
	s_mov_b32 s6, 0xfefa39ef
	v_add_f64 v[16:17], v[16:17], -v[20:21]
	v_cvt_f64_i32_e32 v[20:21], v15
	s_mov_b32 s7, 0x3fe62e42
	v_mul_f64 v[22:23], v[20:21], s[6:7]
	v_fma_f64 v[26:27], v[20:21], s[6:7], -v[22:23]
	s_mov_b32 s6, 0x3b39803f
	s_mov_b32 s7, 0x3c7abc9e
	v_fmac_f64_e32 v[26:27], s[6:7], v[20:21]
	v_add_f64 v[20:21], v[22:23], v[26:27]
	v_add_f64 v[22:23], v[20:21], -v[22:23]
	v_add_f64 v[22:23], v[26:27], -v[22:23]
	v_add_f64 v[26:27], v[20:21], v[18:19]
	v_add_f64 v[28:29], v[26:27], -v[20:21]
	v_add_f64 v[30:31], v[26:27], -v[28:29]
	;; [unrolled: 1-line block ×4, first 2 shown]
	v_add_f64 v[18:19], v[18:19], v[20:21]
	v_add_f64 v[20:21], v[22:23], v[16:17]
	v_add_f64 v[28:29], v[20:21], -v[22:23]
	v_add_f64 v[30:31], v[20:21], -v[28:29]
	v_add_f64 v[18:19], v[20:21], v[18:19]
	v_add_f64 v[22:23], v[22:23], -v[30:31]
	v_add_f64 v[16:17], v[16:17], -v[28:29]
	v_add_f64 v[20:21], v[26:27], v[18:19]
	v_add_f64 v[16:17], v[16:17], v[22:23]
	v_add_f64 v[22:23], v[20:21], -v[26:27]
	v_add_f64 v[18:19], v[18:19], -v[22:23]
	v_and_b32_e32 v11, 0x7fffffff, v11
	v_add_f64 v[16:17], v[16:17], v[18:19]
	v_cmp_eq_f64_e64 s[6:7], s[18:19], v[10:11]
	v_add_f64 v[16:17], v[20:21], v[16:17]
	s_and_b64 s[6:7], s[4:5], s[6:7]
	v_cndmask_b32_e64 v10, v17, v14, s[6:7]
	v_cndmask_b32_e64 v11, v16, v12, s[6:7]
	v_cndmask_b32_e64 v11, v11, 0, vcc
	v_cndmask_b32_e32 v10, v10, v13, vcc
	v_cmp_ngt_f64_e32 vcc, 0, v[8:9]
	v_cndmask_b32_e32 v12, v24, v10, vcc
	v_cmp_nge_f64_e32 vcc, 0, v[8:9]
	v_cndmask_b32_e32 v10, 0, v11, vcc
	v_mov_b32_e32 v11, 0xfff00000
	v_cmp_neq_f64_e32 vcc, 0, v[8:9]
	v_cndmask_b32_e32 v11, v11, v12, vcc
.LBB177_41:
	s_andn2_saveexec_b64 s[6:7], s[22:23]
	s_cbranch_execz .LBB177_45
; %bb.42:
	v_add_f64 v[8:9], v[10:11], 2.0
	v_mul_f64 v[8:9], v[10:11], v[8:9]
	v_fmac_f64_e32 v[8:9], v[0:1], v[0:1]
	v_cmp_neq_f64_e32 vcc, 0, v[8:9]
	s_and_saveexec_b64 s[18:19], vcc
	s_cbranch_execz .LBB177_44
; %bb.43:
	v_add_f64 v[10:11], v[8:9], 1.0
	v_add_f64 v[12:13], v[10:11], -1.0
	v_add_f64 v[14:15], v[12:13], -v[10:11]
	v_add_f64 v[14:15], v[14:15], 1.0
	v_add_f64 v[12:13], v[8:9], -v[12:13]
	s_mov_b32 s20, 0x55555555
	v_add_f64 v[12:13], v[12:13], v[14:15]
	v_frexp_mant_f64_e32 v[14:15], v[10:11]
	s_mov_b32 s21, 0x3fe55555
	v_frexp_exp_i32_f64_e32 v16, v[10:11]
	v_cmp_gt_f64_e32 vcc, s[20:21], v[14:15]
	v_subbrev_co_u32_e32 v30, vcc, 0, v16, vcc
	v_sub_u32_e32 v14, 0, v30
	v_ldexp_f64 v[10:11], v[10:11], v14
	v_ldexp_f64 v[12:13], v[12:13], v14
	v_add_f64 v[14:15], v[10:11], -1.0
	v_add_f64 v[20:21], v[10:11], 1.0
	v_add_f64 v[16:17], v[14:15], 1.0
	v_add_f64 v[22:23], v[20:21], -1.0
	v_add_f64 v[16:17], v[10:11], -v[16:17]
	v_add_f64 v[10:11], v[10:11], -v[22:23]
	v_add_f64 v[10:11], v[12:13], v[10:11]
	v_add_f64 v[16:17], v[12:13], v[16:17]
	;; [unrolled: 1-line block ×3, first 2 shown]
	v_rcp_f64_e32 v[22:23], v[12:13]
	v_add_f64 v[18:19], v[14:15], v[16:17]
	v_add_f64 v[14:15], v[18:19], -v[14:15]
	v_add_f64 v[14:15], v[16:17], -v[14:15]
	;; [unrolled: 1-line block ×4, first 2 shown]
	v_fma_f64 v[16:17], -v[12:13], v[22:23], 1.0
	v_fmac_f64_e32 v[22:23], v[16:17], v[22:23]
	v_fma_f64 v[16:17], -v[12:13], v[22:23], 1.0
	v_fmac_f64_e32 v[22:23], v[16:17], v[22:23]
	v_mul_f64 v[16:17], v[18:19], v[22:23]
	v_mul_f64 v[20:21], v[12:13], v[16:17]
	v_fma_f64 v[24:25], v[16:17], v[12:13], -v[20:21]
	v_fmac_f64_e32 v[24:25], v[16:17], v[10:11]
	v_add_f64 v[26:27], v[20:21], v[24:25]
	v_add_f64 v[28:29], v[18:19], -v[26:27]
	v_add_f64 v[18:19], v[18:19], -v[28:29]
	;; [unrolled: 1-line block ×4, first 2 shown]
	v_add_f64 v[14:15], v[14:15], v[18:19]
	v_add_f64 v[18:19], v[20:21], -v[24:25]
	v_add_f64 v[14:15], v[18:19], v[14:15]
	v_add_f64 v[18:19], v[28:29], v[14:15]
	v_add_f64 v[20:21], v[28:29], -v[18:19]
	v_add_f64 v[14:15], v[14:15], v[20:21]
	v_mul_f64 v[20:21], v[22:23], v[18:19]
	v_mul_f64 v[24:25], v[12:13], v[20:21]
	v_fma_f64 v[12:13], v[20:21], v[12:13], -v[24:25]
	v_fmac_f64_e32 v[12:13], v[20:21], v[10:11]
	v_add_f64 v[10:11], v[24:25], v[12:13]
	v_add_f64 v[26:27], v[18:19], -v[10:11]
	v_add_f64 v[18:19], v[18:19], -v[26:27]
	v_add_f64 v[24:25], v[10:11], -v[24:25]
	v_add_f64 v[10:11], v[18:19], -v[10:11]
	v_add_f64 v[10:11], v[14:15], v[10:11]
	v_add_f64 v[12:13], v[24:25], -v[12:13]
	v_add_f64 v[10:11], v[12:13], v[10:11]
	v_add_f64 v[12:13], v[16:17], v[20:21]
	v_add_f64 v[10:11], v[26:27], v[10:11]
	v_add_f64 v[14:15], v[12:13], -v[16:17]
	v_mul_f64 v[10:11], v[22:23], v[10:11]
	v_add_f64 v[14:15], v[20:21], -v[14:15]
	v_add_f64 v[14:15], v[14:15], v[10:11]
	v_add_f64 v[10:11], v[12:13], v[14:15]
	v_add_f64 v[12:13], v[10:11], -v[12:13]
	s_mov_b32 s20, 0xbf559e2b
	v_add_f64 v[12:13], v[14:15], -v[12:13]
	v_mul_f64 v[14:15], v[10:11], v[10:11]
	v_mov_b32_e32 v16, 0x6b47b09a
	v_mov_b32_e32 v17, 0x3fc38538
	s_mov_b32 s21, 0x3fc3ab76
	v_fmac_f64_e32 v[16:17], s[20:21], v[14:15]
	v_mov_b32_e32 v18, 0xd7f4df2e
	v_mov_b32_e32 v19, 0x3fc7474d
	v_fmac_f64_e32 v[18:19], v[14:15], v[16:17]
	v_mov_b32_e32 v16, 0x16291751
	v_mov_b32_e32 v17, 0x3fcc71c0
	;; [unrolled: 3-line block ×5, first 2 shown]
	s_mov_b32 s20, 0xfefa39ef
	v_fmac_f64_e32 v[18:19], v[14:15], v[16:17]
	v_cvt_f64_i32_e32 v[16:17], v30
	s_mov_b32 s21, 0x3fe62e42
	v_mul_f64 v[20:21], v[16:17], s[20:21]
	v_fma_f64 v[22:23], v[16:17], s[20:21], -v[20:21]
	s_mov_b32 s20, 0x3b39803f
	s_mov_b32 s21, 0x3c7abc9e
	v_fmac_f64_e32 v[22:23], s[20:21], v[16:17]
	v_add_f64 v[16:17], v[20:21], v[22:23]
	v_add_f64 v[20:21], v[16:17], -v[20:21]
	v_add_f64 v[20:21], v[22:23], -v[20:21]
	v_ldexp_f64 v[22:23], v[10:11], 1
	v_mul_f64 v[10:11], v[10:11], v[14:15]
	v_mul_f64 v[10:11], v[10:11], v[18:19]
	v_add_f64 v[14:15], v[22:23], v[10:11]
	v_add_f64 v[18:19], v[14:15], -v[22:23]
	v_ldexp_f64 v[12:13], v[12:13], 1
	v_add_f64 v[10:11], v[10:11], -v[18:19]
	v_add_f64 v[10:11], v[12:13], v[10:11]
	v_add_f64 v[12:13], v[14:15], v[10:11]
	v_add_f64 v[14:15], v[12:13], -v[14:15]
	v_add_f64 v[10:11], v[10:11], -v[14:15]
	v_add_f64 v[14:15], v[16:17], v[12:13]
	v_add_f64 v[18:19], v[14:15], -v[16:17]
	v_add_f64 v[22:23], v[14:15], -v[18:19]
	v_add_f64 v[16:17], v[16:17], -v[22:23]
	v_add_f64 v[12:13], v[12:13], -v[18:19]
	v_add_f64 v[12:13], v[12:13], v[16:17]
	v_add_f64 v[16:17], v[20:21], v[10:11]
	v_add_f64 v[18:19], v[16:17], -v[20:21]
	v_add_f64 v[12:13], v[16:17], v[12:13]
	v_add_f64 v[22:23], v[16:17], -v[18:19]
	;; [unrolled: 2-line block ×3, first 2 shown]
	v_add_f64 v[10:11], v[10:11], -v[18:19]
	v_add_f64 v[14:15], v[16:17], -v[14:15]
	v_add_f64 v[10:11], v[10:11], v[20:21]
	v_add_f64 v[12:13], v[12:13], -v[14:15]
	s_mov_b32 s20, 0
	v_add_f64 v[10:11], v[10:11], v[12:13]
	s_mov_b32 s21, 0x7ff00000
	v_add_f64 v[10:11], v[16:17], v[10:11]
	v_cmp_eq_f64_e32 vcc, s[20:21], v[8:9]
	v_cndmask_b32_e32 v11, v11, v9, vcc
	v_cndmask_b32_e32 v10, v10, v8, vcc
	v_mul_f64 v[10:11], v[10:11], 0.5
	v_mov_b32_e32 v12, 0x7ff80000
	v_cmp_ngt_f64_e32 vcc, -1.0, v[8:9]
	v_cndmask_b32_e32 v11, v12, v11, vcc
	v_cmp_nge_f64_e32 vcc, -1.0, v[8:9]
	v_cndmask_b32_e32 v10, 0, v10, vcc
	v_mov_b32_e32 v12, 0xfff00000
	v_cmp_neq_f64_e32 vcc, -1.0, v[8:9]
	v_cndmask_b32_e32 v11, v12, v11, vcc
.LBB177_44:
	s_or_b64 exec, exec, s[18:19]
.LBB177_45:
	s_or_b64 exec, exec, s[6:7]
	v_mov_b32_e32 v8, 0x54442d18
	v_mov_b32_e32 v9, 0x7f3321d2
	v_cmp_gt_i32_e64 s[6:7], 0, v3
	v_cndmask_b32_e64 v8, v8, v9, s[6:7]
	v_mov_b32_e32 v9, 0x3fe921fb
	v_mov_b32_e32 v12, 0x4002d97c
	v_cndmask_b32_e64 v9, v9, v12, s[6:7]
	v_max_f64 v[12:13], |v[2:3]|, |v[2:3]|
	v_min_f64 v[4:5], v[12:13], v[4:5]
	v_div_scale_f64 v[14:15], s[20:21], v[6:7], v[6:7], v[4:5]
	v_rcp_f64_e32 v[16:17], v[14:15]
	v_ashrrev_i32_e32 v18, 31, v3
	v_and_b32_e32 v12, 0x400921fb, v18
	v_and_b32_e32 v13, 0x54442d18, v18
	v_fma_f64 v[18:19], -v[14:15], v[16:17], 1.0
	v_fmac_f64_e32 v[16:17], v[16:17], v[18:19]
	v_fma_f64 v[18:19], -v[14:15], v[16:17], 1.0
	v_fmac_f64_e32 v[16:17], v[16:17], v[18:19]
	v_div_scale_f64 v[18:19], vcc, v[4:5], v[6:7], v[4:5]
	v_mul_f64 v[20:21], v[18:19], v[16:17]
	v_fma_f64 v[14:15], -v[14:15], v[20:21], v[18:19]
	s_mov_b32 s20, 0xb5e68a13
	s_nop 0
	v_div_fmas_f64 v[14:15], v[14:15], v[16:17], v[20:21]
	v_div_fixup_f64 v[4:5], v[14:15], v[6:7], v[4:5]
	v_mul_f64 v[6:7], v[4:5], v[4:5]
	v_mov_b32_e32 v14, 0xbd3237f4
	v_mov_b32_e32 v15, 0xbf23e260
	s_mov_b32 s21, 0x3eeba404
	v_fmac_f64_e32 v[14:15], s[20:21], v[6:7]
	v_mov_b32_e32 v16, 0x69efb384
	v_mov_b32_e32 v17, 0x3f4b2bb0
	v_fmac_f64_e32 v[16:17], v[6:7], v[14:15]
	v_mov_b32_e32 v14, 0xaf56de9b
	v_mov_b32_e32 v15, 0xbf67952d
	;; [unrolled: 3-line block ×18, first 2 shown]
	v_fmac_f64_e32 v[14:15], v[6:7], v[16:17]
	v_mul_f64 v[6:7], v[6:7], v[14:15]
	s_mov_b32 s18, 0x54442d18
	v_fmac_f64_e32 v[4:5], v[4:5], v[6:7]
	s_mov_b32 s19, 0x3ff921fb
	s_mov_b32 s23, 0x400921fb
	v_add_f64 v[6:7], -v[4:5], s[18:19]
	v_cmp_lt_f64_e64 vcc, |v[2:3]|, |v[0:1]|
	v_cndmask_b32_e32 v3, v5, v7, vcc
	v_cndmask_b32_e32 v2, v4, v6, vcc
	s_mov_b32 s19, s23
	v_add_f64 v[4:5], -v[2:3], s[18:19]
	v_cndmask_b32_e64 v3, v3, v5, s[6:7]
	v_cndmask_b32_e64 v2, v2, v4, s[6:7]
	v_cmp_eq_f64_e32 vcc, 0, v[0:1]
	s_brev_b32 s22, -2
	v_cndmask_b32_e32 v0, v2, v13, vcc
	v_cndmask_b32_e32 v2, v3, v12, vcc
	s_and_b64 vcc, s[14:15], s[16:17]
	v_bfi_b32 v9, s22, v9, v1
	v_cndmask_b32_e32 v0, v0, v8, vcc
	v_cndmask_b32_e32 v2, v2, v9, vcc
	v_cndmask_b32_e64 v8, 0, v0, s[4:5]
	v_mov_b32_e32 v0, 0x7ff80000
	v_cndmask_b32_e64 v0, v0, v2, s[4:5]
	v_bfi_b32 v9, s22, v0, v1
.LBB177_46:
	s_or_b64 exec, exec, s[12:13]
.LBB177_47:
	s_or_b64 exec, exec, s[10:11]
	v_pk_mov_b32 v[0:1], v[10:11], v[10:11] op_sel:[0,1]
	v_pk_mov_b32 v[2:3], v[8:9], v[8:9] op_sel:[0,1]
.LBB177_48:
	s_or_b64 exec, exec, s[8:9]
	v_readlane_b32 s30, v40, 3
	v_readlane_b32 s31, v40, 4
	;; [unrolled: 1-line block ×5, first 2 shown]
	s_or_saveexec_b64 s[4:5], -1
	buffer_load_dword v40, off, s[0:3], s32 ; 4-byte Folded Reload
	s_mov_b64 exec, s[4:5]
	s_waitcnt vmcnt(0)
	s_setpc_b64 s[30:31]
.Lfunc_end177:
	.size	_ZZZZN2at6native31launch_logcumsumexp_cuda_kernelERKNS_10TensorBaseES3_lENKUlvE_clEvENKUlvE1_clEvENKUlN3c107complexIdEES8_E_clES8_S8_, .Lfunc_end177-_ZZZZN2at6native31launch_logcumsumexp_cuda_kernelERKNS_10TensorBaseES3_lENKUlvE_clEvENKUlvE1_clEvENKUlN3c107complexIdEES8_E_clES8_S8_
                                        ; -- End function
	.section	.AMDGPU.csdata,"",@progbits
; Function info:
; codeLenInByte = 13712
; NumSgprs: 41
; NumVgprs: 52
; NumAgprs: 0
; TotalNumVgprs: 52
; ScratchSize: 8
; MemoryBound: 0
	.section	.text._ZN7rocprim17ROCPRIM_400000_NS6detail17trampoline_kernelINS0_14default_configENS1_20scan_config_selectorIN3c107complexIdEEEEZZNS1_9scan_implILNS1_25lookback_scan_determinismE0ELb0ELb0ES3_PKS7_PS7_S7_ZZZN2at6native31launch_logcumsumexp_cuda_kernelERKNSE_10TensorBaseESI_lENKUlvE_clEvENKUlvE1_clEvEUlS7_S7_E_S7_EEDaPvRmT3_T4_T5_mT6_P12ihipStream_tbENKUlT_T0_E_clISt17integral_constantIbLb0EESZ_EEDaSU_SV_EUlSU_E_NS1_11comp_targetILNS1_3genE4ELNS1_11target_archE910ELNS1_3gpuE8ELNS1_3repE0EEENS1_30default_config_static_selectorELNS0_4arch9wavefront6targetE1EEEvT1_,"axG",@progbits,_ZN7rocprim17ROCPRIM_400000_NS6detail17trampoline_kernelINS0_14default_configENS1_20scan_config_selectorIN3c107complexIdEEEEZZNS1_9scan_implILNS1_25lookback_scan_determinismE0ELb0ELb0ES3_PKS7_PS7_S7_ZZZN2at6native31launch_logcumsumexp_cuda_kernelERKNSE_10TensorBaseESI_lENKUlvE_clEvENKUlvE1_clEvEUlS7_S7_E_S7_EEDaPvRmT3_T4_T5_mT6_P12ihipStream_tbENKUlT_T0_E_clISt17integral_constantIbLb0EESZ_EEDaSU_SV_EUlSU_E_NS1_11comp_targetILNS1_3genE4ELNS1_11target_archE910ELNS1_3gpuE8ELNS1_3repE0EEENS1_30default_config_static_selectorELNS0_4arch9wavefront6targetE1EEEvT1_,comdat
	.globl	_ZN7rocprim17ROCPRIM_400000_NS6detail17trampoline_kernelINS0_14default_configENS1_20scan_config_selectorIN3c107complexIdEEEEZZNS1_9scan_implILNS1_25lookback_scan_determinismE0ELb0ELb0ES3_PKS7_PS7_S7_ZZZN2at6native31launch_logcumsumexp_cuda_kernelERKNSE_10TensorBaseESI_lENKUlvE_clEvENKUlvE1_clEvEUlS7_S7_E_S7_EEDaPvRmT3_T4_T5_mT6_P12ihipStream_tbENKUlT_T0_E_clISt17integral_constantIbLb0EESZ_EEDaSU_SV_EUlSU_E_NS1_11comp_targetILNS1_3genE4ELNS1_11target_archE910ELNS1_3gpuE8ELNS1_3repE0EEENS1_30default_config_static_selectorELNS0_4arch9wavefront6targetE1EEEvT1_ ; -- Begin function _ZN7rocprim17ROCPRIM_400000_NS6detail17trampoline_kernelINS0_14default_configENS1_20scan_config_selectorIN3c107complexIdEEEEZZNS1_9scan_implILNS1_25lookback_scan_determinismE0ELb0ELb0ES3_PKS7_PS7_S7_ZZZN2at6native31launch_logcumsumexp_cuda_kernelERKNSE_10TensorBaseESI_lENKUlvE_clEvENKUlvE1_clEvEUlS7_S7_E_S7_EEDaPvRmT3_T4_T5_mT6_P12ihipStream_tbENKUlT_T0_E_clISt17integral_constantIbLb0EESZ_EEDaSU_SV_EUlSU_E_NS1_11comp_targetILNS1_3genE4ELNS1_11target_archE910ELNS1_3gpuE8ELNS1_3repE0EEENS1_30default_config_static_selectorELNS0_4arch9wavefront6targetE1EEEvT1_
	.p2align	8
	.type	_ZN7rocprim17ROCPRIM_400000_NS6detail17trampoline_kernelINS0_14default_configENS1_20scan_config_selectorIN3c107complexIdEEEEZZNS1_9scan_implILNS1_25lookback_scan_determinismE0ELb0ELb0ES3_PKS7_PS7_S7_ZZZN2at6native31launch_logcumsumexp_cuda_kernelERKNSE_10TensorBaseESI_lENKUlvE_clEvENKUlvE1_clEvEUlS7_S7_E_S7_EEDaPvRmT3_T4_T5_mT6_P12ihipStream_tbENKUlT_T0_E_clISt17integral_constantIbLb0EESZ_EEDaSU_SV_EUlSU_E_NS1_11comp_targetILNS1_3genE4ELNS1_11target_archE910ELNS1_3gpuE8ELNS1_3repE0EEENS1_30default_config_static_selectorELNS0_4arch9wavefront6targetE1EEEvT1_,@function
_ZN7rocprim17ROCPRIM_400000_NS6detail17trampoline_kernelINS0_14default_configENS1_20scan_config_selectorIN3c107complexIdEEEEZZNS1_9scan_implILNS1_25lookback_scan_determinismE0ELb0ELb0ES3_PKS7_PS7_S7_ZZZN2at6native31launch_logcumsumexp_cuda_kernelERKNSE_10TensorBaseESI_lENKUlvE_clEvENKUlvE1_clEvEUlS7_S7_E_S7_EEDaPvRmT3_T4_T5_mT6_P12ihipStream_tbENKUlT_T0_E_clISt17integral_constantIbLb0EESZ_EEDaSU_SV_EUlSU_E_NS1_11comp_targetILNS1_3genE4ELNS1_11target_archE910ELNS1_3gpuE8ELNS1_3repE0EEENS1_30default_config_static_selectorELNS0_4arch9wavefront6targetE1EEEvT1_: ; @_ZN7rocprim17ROCPRIM_400000_NS6detail17trampoline_kernelINS0_14default_configENS1_20scan_config_selectorIN3c107complexIdEEEEZZNS1_9scan_implILNS1_25lookback_scan_determinismE0ELb0ELb0ES3_PKS7_PS7_S7_ZZZN2at6native31launch_logcumsumexp_cuda_kernelERKNSE_10TensorBaseESI_lENKUlvE_clEvENKUlvE1_clEvEUlS7_S7_E_S7_EEDaPvRmT3_T4_T5_mT6_P12ihipStream_tbENKUlT_T0_E_clISt17integral_constantIbLb0EESZ_EEDaSU_SV_EUlSU_E_NS1_11comp_targetILNS1_3genE4ELNS1_11target_archE910ELNS1_3gpuE8ELNS1_3repE0EEENS1_30default_config_static_selectorELNS0_4arch9wavefront6targetE1EEEvT1_
; %bb.0:
	s_add_u32 flat_scratch_lo, s6, s9
	s_addc_u32 flat_scratch_hi, s7, 0
	s_mov_b64 s[38:39], s[4:5]
	s_load_dwordx8 s[40:47], s[4:5], 0x0
	s_nop 0
	s_load_dword s4, s[4:5], 0x50
	s_nop 0
	s_load_dwordx4 s[56:59], s[38:39], 0x38
	s_load_dwordx2 s[62:63], s[38:39], 0x48
	s_add_u32 s0, s0, s9
	s_addc_u32 s1, s1, 0
	s_waitcnt lgkmcnt(0)
	s_lshl_b64 s[42:43], s[42:43], 4
	s_add_u32 s6, s40, s42
	s_mov_b32 s33, s8
	s_addc_u32 s7, s41, s43
	s_add_i32 s8, s4, -1
	s_mul_i32 s9, s8, 0x3c0
	s_sub_u32 s37, s46, s9
	s_subb_u32 s64, s47, 0
	s_mov_b32 s5, 0
	s_mul_i32 s4, s33, 0x3c0
	s_cmp_lg_u32 s33, s8
	s_cselect_b64 s[46:47], -1, 0
	s_lshl_b64 s[60:61], s[4:5], 4
	v_mov_b32_e32 v46, v0
	s_add_u32 s6, s6, s60
	s_addc_u32 s7, s7, s61
	s_mov_b64 s[4:5], -1
	s_and_b64 vcc, exec, s[46:47]
	v_lshlrev_b32_e32 v168, 4, v46
	s_mov_b32 s32, 0
	s_cbranch_vccz .LBB178_2
; %bb.1:
	v_mov_b32_e32 v0, s7
	v_add_co_u32_e32 v47, vcc, s6, v168
	v_addc_co_u32_e32 v52, vcc, 0, v0, vcc
	v_add_co_u32_e32 v32, vcc, 0x1000, v47
	v_addc_co_u32_e32 v33, vcc, 0, v52, vcc
	;; [unrolled: 2-line block ×3, first 2 shown]
	global_load_dwordx4 v[0:3], v168, s[6:7]
	global_load_dwordx4 v[4:7], v168, s[6:7] offset:1024
	global_load_dwordx4 v[8:11], v168, s[6:7] offset:2048
	;; [unrolled: 1-line block ×3, first 2 shown]
	global_load_dwordx4 v[16:19], v[32:33], off
	global_load_dwordx4 v[20:23], v[32:33], off offset:1024
	global_load_dwordx4 v[24:27], v[32:33], off offset:2048
	;; [unrolled: 1-line block ×3, first 2 shown]
	s_nop 0
	global_load_dwordx4 v[32:35], v[44:45], off
	global_load_dwordx4 v[36:39], v[44:45], off offset:1024
	global_load_dwordx4 v[40:43], v[44:45], off offset:2048
	;; [unrolled: 1-line block ×3, first 2 shown]
	v_add_co_u32_e32 v44, vcc, 0x3000, v47
	v_addc_co_u32_e32 v45, vcc, 0, v52, vcc
	global_load_dwordx4 v[52:55], v[44:45], off
	global_load_dwordx4 v[56:59], v[44:45], off offset:1024
	global_load_dwordx4 v[60:63], v[44:45], off offset:2048
	s_mov_b64 s[4:5], 0
	s_waitcnt vmcnt(14)
	ds_write_b128 v168, v[0:3]
	s_waitcnt vmcnt(13)
	ds_write_b128 v168, v[4:7] offset:1024
	s_waitcnt vmcnt(12)
	ds_write_b128 v168, v[8:11] offset:2048
	;; [unrolled: 2-line block ×14, first 2 shown]
	s_waitcnt lgkmcnt(0)
	; wave barrier
.LBB178_2:
	s_andn2_b64 vcc, exec, s[4:5]
	v_cmp_gt_u32_e64 s[4:5], s37, v46
	s_cbranch_vccnz .LBB178_34
; %bb.3:
	s_load_dwordx4 s[8:11], s[6:7], 0x0
	s_waitcnt lgkmcnt(0)
	v_pk_mov_b32 v[2:3], s[10:11], s[10:11] op_sel:[0,1]
	v_pk_mov_b32 v[0:1], s[8:9], s[8:9] op_sel:[0,1]
	s_and_saveexec_b64 s[12:13], s[4:5]
	s_cbranch_execz .LBB178_5
; %bb.4:
	global_load_dwordx4 v[0:3], v168, s[6:7]
.LBB178_5:
	s_or_b64 exec, exec, s[12:13]
	v_or_b32_e32 v4, 64, v46
	v_cmp_gt_u32_e32 vcc, s37, v4
	v_pk_mov_b32 v[6:7], s[10:11], s[10:11] op_sel:[0,1]
	v_pk_mov_b32 v[4:5], s[8:9], s[8:9] op_sel:[0,1]
	s_and_saveexec_b64 s[4:5], vcc
	s_cbranch_execz .LBB178_7
; %bb.6:
	global_load_dwordx4 v[4:7], v168, s[6:7] offset:1024
.LBB178_7:
	s_or_b64 exec, exec, s[4:5]
	v_or_b32_e32 v8, 0x80, v46
	v_cmp_gt_u32_e32 vcc, s37, v8
	v_pk_mov_b32 v[10:11], s[10:11], s[10:11] op_sel:[0,1]
	v_pk_mov_b32 v[8:9], s[8:9], s[8:9] op_sel:[0,1]
	s_and_saveexec_b64 s[4:5], vcc
	s_cbranch_execz .LBB178_9
; %bb.8:
	global_load_dwordx4 v[8:11], v168, s[6:7] offset:2048
.LBB178_9:
	;; [unrolled: 10-line block ×3, first 2 shown]
	s_or_b64 exec, exec, s[4:5]
	v_or_b32_e32 v20, 0x100, v46
	v_cmp_gt_u32_e32 vcc, s37, v20
	v_pk_mov_b32 v[18:19], s[10:11], s[10:11] op_sel:[0,1]
	v_pk_mov_b32 v[16:17], s[8:9], s[8:9] op_sel:[0,1]
	s_and_saveexec_b64 s[4:5], vcc
	s_cbranch_execz .LBB178_13
; %bb.12:
	v_lshlrev_b32_e32 v16, 4, v20
	global_load_dwordx4 v[16:19], v16, s[6:7]
.LBB178_13:
	s_or_b64 exec, exec, s[4:5]
	v_or_b32_e32 v24, 0x140, v46
	v_cmp_gt_u32_e32 vcc, s37, v24
	v_pk_mov_b32 v[22:23], s[10:11], s[10:11] op_sel:[0,1]
	v_pk_mov_b32 v[20:21], s[8:9], s[8:9] op_sel:[0,1]
	s_and_saveexec_b64 s[4:5], vcc
	s_cbranch_execz .LBB178_15
; %bb.14:
	v_lshlrev_b32_e32 v20, 4, v24
	global_load_dwordx4 v[20:23], v20, s[6:7]
.LBB178_15:
	;; [unrolled: 11-line block ×11, first 2 shown]
	s_or_b64 exec, exec, s[4:5]
	s_waitcnt vmcnt(0)
	ds_write_b128 v168, v[0:3]
	ds_write_b128 v168, v[4:7] offset:1024
	ds_write_b128 v168, v[8:11] offset:2048
	;; [unrolled: 1-line block ×14, first 2 shown]
	s_waitcnt lgkmcnt(0)
	; wave barrier
.LBB178_34:
	v_mul_u32_u24_e32 v169, 15, v46
	v_lshlrev_b32_e32 v170, 4, v169
	s_waitcnt lgkmcnt(0)
	ds_read_b128 v[42:45], v170
	ds_read_b128 v[104:107], v170 offset:16
	ds_read_b128 v[100:103], v170 offset:32
	;; [unrolled: 1-line block ×14, first 2 shown]
	s_cmp_lg_u32 s33, 0
	s_waitcnt lgkmcnt(0)
	; wave barrier
	s_waitcnt lgkmcnt(0)
	s_cbranch_scc0 .LBB178_95
; %bb.35:
	v_mov_b32_e32 v0, v42
	v_mov_b32_e32 v1, v43
	v_mov_b32_e32 v2, v44
	v_mov_b32_e32 v3, v45
	v_mov_b32_e32 v4, v104
	v_mov_b32_e32 v5, v105
	v_mov_b32_e32 v6, v106
	v_mov_b32_e32 v7, v107
	s_getpc_b64 s[40:41]
	s_add_u32 s40, s40, _ZZZZN2at6native31launch_logcumsumexp_cuda_kernelERKNS_10TensorBaseES3_lENKUlvE_clEvENKUlvE1_clEvENKUlN3c107complexIdEES8_E_clES8_S8_@rel32@lo+4
	s_addc_u32 s41, s41, _ZZZZN2at6native31launch_logcumsumexp_cuda_kernelERKNS_10TensorBaseES3_lENKUlvE_clEvENKUlvE1_clEvENKUlN3c107complexIdEES8_E_clES8_S8_@rel32@hi+12
	s_swappc_b64 s[30:31], s[40:41]
	v_mov_b32_e32 v4, v100
	v_mov_b32_e32 v5, v101
	v_mov_b32_e32 v6, v102
	v_mov_b32_e32 v7, v103
	s_swappc_b64 s[30:31], s[40:41]
	v_mov_b32_e32 v4, v96
	v_mov_b32_e32 v5, v97
	v_mov_b32_e32 v6, v98
	v_mov_b32_e32 v7, v99
	;; [unrolled: 5-line block ×13, first 2 shown]
	s_swappc_b64 s[30:31], s[40:41]
	v_mov_b32_e32 v4, v0
	v_mbcnt_lo_u32_b32 v0, -1, 0
	v_mbcnt_hi_u32_b32 v112, -1, v0
	v_mov_b32_e32 v5, v1
	v_mov_b32_e32 v6, v2
	;; [unrolled: 1-line block ×3, first 2 shown]
	v_and_b32_e32 v41, 15, v112
	v_mov_b32_dpp v0, v4 row_shr:1 row_mask:0xf bank_mask:0xf
	v_mov_b32_dpp v1, v5 row_shr:1 row_mask:0xf bank_mask:0xf
	v_mov_b32_dpp v2, v6 row_shr:1 row_mask:0xf bank_mask:0xf
	v_mov_b32_dpp v3, v7 row_shr:1 row_mask:0xf bank_mask:0xf
	v_cmp_ne_u32_e32 vcc, 0, v41
	s_and_saveexec_b64 s[48:49], vcc
	s_cbranch_execz .LBB178_37
; %bb.36:
	s_swappc_b64 s[30:31], s[40:41]
	v_mov_b32_e32 v4, v0
	v_mov_b32_e32 v5, v1
	;; [unrolled: 1-line block ×4, first 2 shown]
.LBB178_37:
	s_or_b64 exec, exec, s[48:49]
	v_mov_b32_dpp v0, v4 row_shr:2 row_mask:0xf bank_mask:0xf
	v_mov_b32_dpp v1, v5 row_shr:2 row_mask:0xf bank_mask:0xf
	v_mov_b32_dpp v2, v6 row_shr:2 row_mask:0xf bank_mask:0xf
	v_mov_b32_dpp v3, v7 row_shr:2 row_mask:0xf bank_mask:0xf
	v_cmp_lt_u32_e32 vcc, 1, v41
	s_and_saveexec_b64 s[40:41], vcc
	s_cbranch_execz .LBB178_39
; %bb.38:
	s_getpc_b64 s[4:5]
	s_add_u32 s4, s4, _ZZZZN2at6native31launch_logcumsumexp_cuda_kernelERKNS_10TensorBaseES3_lENKUlvE_clEvENKUlvE1_clEvENKUlN3c107complexIdEES8_E_clES8_S8_@rel32@lo+4
	s_addc_u32 s5, s5, _ZZZZN2at6native31launch_logcumsumexp_cuda_kernelERKNS_10TensorBaseES3_lENKUlvE_clEvENKUlvE1_clEvENKUlN3c107complexIdEES8_E_clES8_S8_@rel32@hi+12
	s_swappc_b64 s[30:31], s[4:5]
	v_mov_b32_e32 v4, v0
	v_mov_b32_e32 v5, v1
	v_mov_b32_e32 v6, v2
	v_mov_b32_e32 v7, v3
.LBB178_39:
	s_or_b64 exec, exec, s[40:41]
	v_mov_b32_dpp v0, v4 row_shr:4 row_mask:0xf bank_mask:0xf
	v_mov_b32_dpp v1, v5 row_shr:4 row_mask:0xf bank_mask:0xf
	v_mov_b32_dpp v2, v6 row_shr:4 row_mask:0xf bank_mask:0xf
	v_mov_b32_dpp v3, v7 row_shr:4 row_mask:0xf bank_mask:0xf
	v_cmp_lt_u32_e32 vcc, 3, v41
	s_and_saveexec_b64 s[40:41], vcc
	s_cbranch_execz .LBB178_41
; %bb.40:
	s_getpc_b64 s[4:5]
	s_add_u32 s4, s4, _ZZZZN2at6native31launch_logcumsumexp_cuda_kernelERKNS_10TensorBaseES3_lENKUlvE_clEvENKUlvE1_clEvENKUlN3c107complexIdEES8_E_clES8_S8_@rel32@lo+4
	s_addc_u32 s5, s5, _ZZZZN2at6native31launch_logcumsumexp_cuda_kernelERKNS_10TensorBaseES3_lENKUlvE_clEvENKUlvE1_clEvENKUlN3c107complexIdEES8_E_clES8_S8_@rel32@hi+12
	s_swappc_b64 s[30:31], s[4:5]
	v_mov_b32_e32 v4, v0
	v_mov_b32_e32 v5, v1
	v_mov_b32_e32 v6, v2
	v_mov_b32_e32 v7, v3
.LBB178_41:
	;; [unrolled: 18-line block ×3, first 2 shown]
	s_or_b64 exec, exec, s[40:41]
	v_and_b32_e32 v8, 16, v112
	v_mov_b32_dpp v0, v4 row_bcast:15 row_mask:0xf bank_mask:0xf
	v_mov_b32_dpp v1, v5 row_bcast:15 row_mask:0xf bank_mask:0xf
	;; [unrolled: 1-line block ×4, first 2 shown]
	v_cmp_ne_u32_e32 vcc, 0, v8
	s_and_saveexec_b64 s[40:41], vcc
	s_cbranch_execz .LBB178_45
; %bb.44:
	s_getpc_b64 s[4:5]
	s_add_u32 s4, s4, _ZZZZN2at6native31launch_logcumsumexp_cuda_kernelERKNS_10TensorBaseES3_lENKUlvE_clEvENKUlvE1_clEvENKUlN3c107complexIdEES8_E_clES8_S8_@rel32@lo+4
	s_addc_u32 s5, s5, _ZZZZN2at6native31launch_logcumsumexp_cuda_kernelERKNS_10TensorBaseES3_lENKUlvE_clEvENKUlvE1_clEvENKUlN3c107complexIdEES8_E_clES8_S8_@rel32@hi+12
	s_swappc_b64 s[30:31], s[4:5]
	v_mov_b32_e32 v4, v0
	v_mov_b32_e32 v5, v1
	;; [unrolled: 1-line block ×4, first 2 shown]
.LBB178_45:
	s_or_b64 exec, exec, s[40:41]
	v_mov_b32_dpp v0, v4 row_bcast:31 row_mask:0xf bank_mask:0xf
	v_mov_b32_dpp v1, v5 row_bcast:31 row_mask:0xf bank_mask:0xf
	;; [unrolled: 1-line block ×4, first 2 shown]
	v_cmp_lt_u32_e32 vcc, 31, v112
	s_and_saveexec_b64 s[40:41], vcc
	s_cbranch_execz .LBB178_47
; %bb.46:
	s_getpc_b64 s[4:5]
	s_add_u32 s4, s4, _ZZZZN2at6native31launch_logcumsumexp_cuda_kernelERKNS_10TensorBaseES3_lENKUlvE_clEvENKUlvE1_clEvENKUlN3c107complexIdEES8_E_clES8_S8_@rel32@lo+4
	s_addc_u32 s5, s5, _ZZZZN2at6native31launch_logcumsumexp_cuda_kernelERKNS_10TensorBaseES3_lENKUlvE_clEvENKUlvE1_clEvENKUlN3c107complexIdEES8_E_clES8_S8_@rel32@hi+12
	s_swappc_b64 s[30:31], s[4:5]
	v_mov_b32_e32 v4, v0
	v_mov_b32_e32 v5, v1
	;; [unrolled: 1-line block ×4, first 2 shown]
.LBB178_47:
	s_or_b64 exec, exec, s[40:41]
	v_cmp_eq_u32_e32 vcc, 63, v46
	s_and_saveexec_b64 s[4:5], vcc
	s_cbranch_execz .LBB178_49
; %bb.48:
	v_mov_b32_e32 v0, 0
	ds_write_b128 v0, v[4:7]
.LBB178_49:
	s_or_b64 exec, exec, s[4:5]
	v_add_u32_e32 v0, -1, v112
	v_and_b32_e32 v1, 64, v112
	v_cmp_lt_i32_e32 vcc, v0, v1
	v_cndmask_b32_e32 v0, v0, v112, vcc
	v_lshlrev_b32_e32 v0, 2, v0
	ds_bpermute_b32 v41, v0, v4
	ds_bpermute_b32 v47, v0, v5
	;; [unrolled: 1-line block ×4, first 2 shown]
	v_cmp_gt_u32_e32 vcc, 64, v46
	s_waitcnt lgkmcnt(0)
	; wave barrier
	s_waitcnt lgkmcnt(0)
	s_and_saveexec_b64 s[48:49], vcc
	s_cbranch_execz .LBB178_92
; %bb.50:
	v_mov_b32_e32 v1, 0
	ds_read_b128 v[108:111], v1
	s_mov_b32 s7, 0
	v_cmp_eq_u32_e64 s[40:41], 0, v112
	s_and_saveexec_b64 s[4:5], s[40:41]
	s_cbranch_execz .LBB178_52
; %bb.51:
	s_add_i32 s6, s33, 64
	s_lshl_b64 s[8:9], s[6:7], 4
	s_add_u32 s8, s56, s8
	s_addc_u32 s9, s57, s9
	v_mov_b32_e32 v0, s6
	v_mov_b32_e32 v2, 1
	s_waitcnt lgkmcnt(0)
	global_store_dwordx4 v1, v[108:111], s[8:9]
	s_waitcnt vmcnt(0)
	buffer_wbinvl1_vol
	global_store_byte v0, v2, s[62:63]
.LBB178_52:
	s_or_b64 exec, exec, s[4:5]
	v_xad_u32 v118, v112, -1, s33
	v_add_u32_e32 v0, 64, v118
	global_load_ubyte v122, v0, s[62:63] glc
	s_waitcnt vmcnt(0)
	v_cmp_eq_u16_e32 vcc, 0, v122
	s_and_saveexec_b64 s[4:5], vcc
	s_cbranch_execz .LBB178_56
; %bb.53:
	v_mov_b32_e32 v3, s63
	v_add_co_u32_e32 v2, vcc, s62, v0
	v_addc_co_u32_e32 v3, vcc, 0, v3, vcc
	s_mov_b64 s[6:7], 0
.LBB178_54:                             ; =>This Inner Loop Header: Depth=1
	global_load_ubyte v122, v[2:3], off glc
	s_waitcnt vmcnt(0)
	v_cmp_ne_u16_e32 vcc, 0, v122
	s_or_b64 s[6:7], vcc, s[6:7]
	s_andn2_b64 exec, exec, s[6:7]
	s_cbranch_execnz .LBB178_54
; %bb.55:
	s_or_b64 exec, exec, s[6:7]
.LBB178_56:
	s_or_b64 exec, exec, s[4:5]
	v_mov_b32_e32 v2, s59
	v_mov_b32_e32 v3, s57
	v_cmp_eq_u16_e32 vcc, 1, v122
	v_cndmask_b32_e32 v2, v2, v3, vcc
	v_mov_b32_e32 v3, s58
	v_mov_b32_e32 v4, s56
	v_cndmask_b32_e32 v3, v3, v4, vcc
	v_lshlrev_b64 v[0:1], 4, v[0:1]
	v_add_co_u32_e32 v0, vcc, v3, v0
	v_addc_co_u32_e32 v1, vcc, v2, v1, vcc
	s_waitcnt lgkmcnt(0)
	buffer_wbinvl1_vol
	global_load_dwordx4 v[4:7], v[0:1], off
	v_cmp_eq_u16_e32 vcc, 2, v122
	v_lshlrev_b64 v[120:121], v112, -1
	v_and_b32_e32 v123, 63, v112
	v_and_b32_e32 v0, vcc_hi, v121
	v_and_b32_e32 v8, vcc_lo, v120
	v_cmp_ne_u32_e32 vcc, 63, v123
	v_addc_co_u32_e32 v1, vcc, 0, v112, vcc
	v_or_b32_e32 v0, 0x80000000, v0
	v_lshlrev_b32_e32 v124, 2, v1
	v_ffbl_b32_e32 v9, v0
	v_add_u32_e32 v9, 32, v9
	v_ffbl_b32_e32 v8, v8
	v_min_u32_e32 v113, v8, v9
	v_cmp_lt_u32_e32 vcc, v123, v113
	s_waitcnt vmcnt(0)
	ds_bpermute_b32 v0, v124, v4
	ds_bpermute_b32 v1, v124, v5
	;; [unrolled: 1-line block ×4, first 2 shown]
	s_and_saveexec_b64 s[50:51], vcc
	s_cbranch_execz .LBB178_58
; %bb.57:
	s_getpc_b64 s[4:5]
	s_add_u32 s4, s4, _ZZZZN2at6native31launch_logcumsumexp_cuda_kernelERKNS_10TensorBaseES3_lENKUlvE_clEvENKUlvE1_clEvENKUlN3c107complexIdEES8_E_clES8_S8_@rel32@lo+4
	s_addc_u32 s5, s5, _ZZZZN2at6native31launch_logcumsumexp_cuda_kernelERKNS_10TensorBaseES3_lENKUlvE_clEvENKUlvE1_clEvENKUlN3c107complexIdEES8_E_clES8_S8_@rel32@hi+12
	s_swappc_b64 s[30:31], s[4:5]
	v_mov_b32_e32 v4, v0
	v_mov_b32_e32 v5, v1
	v_mov_b32_e32 v6, v2
	v_mov_b32_e32 v7, v3
.LBB178_58:
	s_or_b64 exec, exec, s[50:51]
	v_cmp_gt_u32_e32 vcc, 62, v123
	s_waitcnt lgkmcnt(3)
	v_cndmask_b32_e64 v0, 0, 1, vcc
	v_lshlrev_b32_e32 v0, 1, v0
	v_add_lshl_u32 v125, v0, v112, 2
	ds_bpermute_b32 v0, v125, v4
	s_waitcnt lgkmcnt(3)
	ds_bpermute_b32 v1, v125, v5
	s_waitcnt lgkmcnt(3)
	ds_bpermute_b32 v2, v125, v6
	s_waitcnt lgkmcnt(3)
	ds_bpermute_b32 v3, v125, v7
	v_add_u32_e32 v126, 2, v123
	v_cmp_le_u32_e32 vcc, v126, v113
	s_and_saveexec_b64 s[50:51], vcc
	s_cbranch_execz .LBB178_60
; %bb.59:
	s_getpc_b64 s[4:5]
	s_add_u32 s4, s4, _ZZZZN2at6native31launch_logcumsumexp_cuda_kernelERKNS_10TensorBaseES3_lENKUlvE_clEvENKUlvE1_clEvENKUlN3c107complexIdEES8_E_clES8_S8_@rel32@lo+4
	s_addc_u32 s5, s5, _ZZZZN2at6native31launch_logcumsumexp_cuda_kernelERKNS_10TensorBaseES3_lENKUlvE_clEvENKUlvE1_clEvENKUlN3c107complexIdEES8_E_clES8_S8_@rel32@hi+12
	s_swappc_b64 s[30:31], s[4:5]
	v_mov_b32_e32 v4, v0
	v_mov_b32_e32 v5, v1
	v_mov_b32_e32 v6, v2
	v_mov_b32_e32 v7, v3
.LBB178_60:
	s_or_b64 exec, exec, s[50:51]
	v_cmp_gt_u32_e32 vcc, 60, v123
	s_waitcnt lgkmcnt(3)
	v_cndmask_b32_e64 v0, 0, 1, vcc
	v_lshlrev_b32_e32 v0, 2, v0
	v_add_lshl_u32 v127, v0, v112, 2
	ds_bpermute_b32 v0, v127, v4
	s_waitcnt lgkmcnt(3)
	ds_bpermute_b32 v1, v127, v5
	s_waitcnt lgkmcnt(3)
	ds_bpermute_b32 v2, v127, v6
	s_waitcnt lgkmcnt(3)
	ds_bpermute_b32 v3, v127, v7
	v_add_u32_e32 v128, 4, v123
	v_cmp_le_u32_e32 vcc, v128, v113
	;; [unrolled: 27-line block ×5, first 2 shown]
	s_and_saveexec_b64 s[50:51], vcc
	s_cbranch_execz .LBB178_68
; %bb.67:
	s_getpc_b64 s[4:5]
	s_add_u32 s4, s4, _ZZZZN2at6native31launch_logcumsumexp_cuda_kernelERKNS_10TensorBaseES3_lENKUlvE_clEvENKUlvE1_clEvENKUlN3c107complexIdEES8_E_clES8_S8_@rel32@lo+4
	s_addc_u32 s5, s5, _ZZZZN2at6native31launch_logcumsumexp_cuda_kernelERKNS_10TensorBaseES3_lENKUlvE_clEvENKUlvE1_clEvENKUlN3c107complexIdEES8_E_clES8_S8_@rel32@hi+12
	s_swappc_b64 s[30:31], s[4:5]
	v_mov_b32_e32 v4, v0
	v_mov_b32_e32 v5, v1
	;; [unrolled: 1-line block ×4, first 2 shown]
.LBB178_68:
	s_or_b64 exec, exec, s[50:51]
	v_mov_b32_e32 v119, 0
	v_mov_b32_e32 v135, 2
	s_branch .LBB178_70
.LBB178_69:                             ;   in Loop: Header=BB178_70 Depth=1
	s_or_b64 exec, exec, s[50:51]
	s_waitcnt lgkmcnt(3)
	v_mov_b32_e32 v0, v4
	s_waitcnt lgkmcnt(2)
	v_mov_b32_e32 v1, v5
	;; [unrolled: 2-line block ×4, first 2 shown]
	v_mov_b32_e32 v4, v112
	v_mov_b32_e32 v5, v113
	;; [unrolled: 1-line block ×4, first 2 shown]
	v_subrev_u32_e32 v118, 64, v118
	s_getpc_b64 s[4:5]
	s_add_u32 s4, s4, _ZZZZN2at6native31launch_logcumsumexp_cuda_kernelERKNS_10TensorBaseES3_lENKUlvE_clEvENKUlvE1_clEvENKUlN3c107complexIdEES8_E_clES8_S8_@rel32@lo+4
	s_addc_u32 s5, s5, _ZZZZN2at6native31launch_logcumsumexp_cuda_kernelERKNS_10TensorBaseES3_lENKUlvE_clEvENKUlvE1_clEvENKUlN3c107complexIdEES8_E_clES8_S8_@rel32@hi+12
	s_swappc_b64 s[30:31], s[4:5]
	v_mov_b32_e32 v4, v0
	v_mov_b32_e32 v5, v1
	;; [unrolled: 1-line block ×4, first 2 shown]
.LBB178_70:                             ; =>This Loop Header: Depth=1
                                        ;     Child Loop BB178_73 Depth 2
	v_cmp_ne_u16_sdwa s[4:5], v122, v135 src0_sel:BYTE_0 src1_sel:DWORD
	s_waitcnt lgkmcnt(3)
	v_cndmask_b32_e64 v0, 0, 1, s[4:5]
	;;#ASMSTART
	;;#ASMEND
	v_cmp_ne_u32_e32 vcc, 0, v0
	v_pk_mov_b32 v[114:115], v[6:7], v[6:7] op_sel:[0,1]
	s_cmp_lg_u64 vcc, exec
	v_pk_mov_b32 v[112:113], v[4:5], v[4:5] op_sel:[0,1]
	s_cbranch_scc1 .LBB178_87
; %bb.71:                               ;   in Loop: Header=BB178_70 Depth=1
	global_load_ubyte v122, v118, s[62:63] glc
	s_waitcnt vmcnt(0)
	v_cmp_eq_u16_e32 vcc, 0, v122
	s_and_saveexec_b64 s[4:5], vcc
	s_cbranch_execz .LBB178_75
; %bb.72:                               ;   in Loop: Header=BB178_70 Depth=1
	s_waitcnt lgkmcnt(2)
	v_mov_b32_e32 v1, s63
	v_add_co_u32_e32 v0, vcc, s62, v118
	v_addc_co_u32_e32 v1, vcc, 0, v1, vcc
	s_mov_b64 s[6:7], 0
.LBB178_73:                             ;   Parent Loop BB178_70 Depth=1
                                        ; =>  This Inner Loop Header: Depth=2
	global_load_ubyte v122, v[0:1], off glc
	s_waitcnt vmcnt(0)
	v_cmp_ne_u16_e32 vcc, 0, v122
	s_or_b64 s[6:7], vcc, s[6:7]
	s_andn2_b64 exec, exec, s[6:7]
	s_cbranch_execnz .LBB178_73
; %bb.74:                               ;   in Loop: Header=BB178_70 Depth=1
	s_or_b64 exec, exec, s[6:7]
.LBB178_75:                             ;   in Loop: Header=BB178_70 Depth=1
	s_or_b64 exec, exec, s[4:5]
	v_mov_b32_e32 v0, s59
	s_waitcnt lgkmcnt(2)
	v_mov_b32_e32 v1, s57
	v_cmp_eq_u16_e32 vcc, 1, v122
	s_waitcnt lgkmcnt(1)
	v_cndmask_b32_e32 v2, v0, v1, vcc
	v_mov_b32_e32 v0, s58
	v_mov_b32_e32 v1, s56
	s_waitcnt lgkmcnt(0)
	v_cndmask_b32_e32 v3, v0, v1, vcc
	v_lshlrev_b64 v[0:1], 4, v[118:119]
	v_add_co_u32_e32 v0, vcc, v3, v0
	v_addc_co_u32_e32 v1, vcc, v2, v1, vcc
	buffer_wbinvl1_vol
	global_load_dwordx4 v[4:7], v[0:1], off
	v_cmp_eq_u16_e32 vcc, 2, v122
	v_and_b32_e32 v0, vcc_hi, v121
	v_or_b32_e32 v0, 0x80000000, v0
	v_ffbl_b32_e32 v9, v0
	v_and_b32_e32 v8, vcc_lo, v120
	v_add_u32_e32 v9, 32, v9
	v_ffbl_b32_e32 v8, v8
	v_min_u32_e32 v136, v8, v9
	v_cmp_lt_u32_e32 vcc, v123, v136
	s_waitcnt vmcnt(0)
	ds_bpermute_b32 v0, v124, v4
	ds_bpermute_b32 v1, v124, v5
	;; [unrolled: 1-line block ×4, first 2 shown]
	s_and_saveexec_b64 s[50:51], vcc
	s_cbranch_execz .LBB178_77
; %bb.76:                               ;   in Loop: Header=BB178_70 Depth=1
	s_getpc_b64 s[4:5]
	s_add_u32 s4, s4, _ZZZZN2at6native31launch_logcumsumexp_cuda_kernelERKNS_10TensorBaseES3_lENKUlvE_clEvENKUlvE1_clEvENKUlN3c107complexIdEES8_E_clES8_S8_@rel32@lo+4
	s_addc_u32 s5, s5, _ZZZZN2at6native31launch_logcumsumexp_cuda_kernelERKNS_10TensorBaseES3_lENKUlvE_clEvENKUlvE1_clEvENKUlN3c107complexIdEES8_E_clES8_S8_@rel32@hi+12
	s_swappc_b64 s[30:31], s[4:5]
	v_mov_b32_e32 v4, v0
	v_mov_b32_e32 v5, v1
	v_mov_b32_e32 v6, v2
	v_mov_b32_e32 v7, v3
.LBB178_77:                             ;   in Loop: Header=BB178_70 Depth=1
	s_or_b64 exec, exec, s[50:51]
	s_waitcnt lgkmcnt(3)
	ds_bpermute_b32 v0, v125, v4
	s_waitcnt lgkmcnt(3)
	ds_bpermute_b32 v1, v125, v5
	s_waitcnt lgkmcnt(3)
	ds_bpermute_b32 v2, v125, v6
	s_waitcnt lgkmcnt(3)
	ds_bpermute_b32 v3, v125, v7
	v_cmp_le_u32_e32 vcc, v126, v136
	s_and_saveexec_b64 s[50:51], vcc
	s_cbranch_execz .LBB178_79
; %bb.78:                               ;   in Loop: Header=BB178_70 Depth=1
	s_getpc_b64 s[4:5]
	s_add_u32 s4, s4, _ZZZZN2at6native31launch_logcumsumexp_cuda_kernelERKNS_10TensorBaseES3_lENKUlvE_clEvENKUlvE1_clEvENKUlN3c107complexIdEES8_E_clES8_S8_@rel32@lo+4
	s_addc_u32 s5, s5, _ZZZZN2at6native31launch_logcumsumexp_cuda_kernelERKNS_10TensorBaseES3_lENKUlvE_clEvENKUlvE1_clEvENKUlN3c107complexIdEES8_E_clES8_S8_@rel32@hi+12
	s_swappc_b64 s[30:31], s[4:5]
	v_mov_b32_e32 v4, v0
	v_mov_b32_e32 v5, v1
	v_mov_b32_e32 v6, v2
	v_mov_b32_e32 v7, v3
.LBB178_79:                             ;   in Loop: Header=BB178_70 Depth=1
	s_or_b64 exec, exec, s[50:51]
	s_waitcnt lgkmcnt(3)
	ds_bpermute_b32 v0, v127, v4
	s_waitcnt lgkmcnt(3)
	ds_bpermute_b32 v1, v127, v5
	s_waitcnt lgkmcnt(3)
	ds_bpermute_b32 v2, v127, v6
	s_waitcnt lgkmcnt(3)
	ds_bpermute_b32 v3, v127, v7
	v_cmp_le_u32_e32 vcc, v128, v136
	s_and_saveexec_b64 s[50:51], vcc
	s_cbranch_execz .LBB178_81
; %bb.80:                               ;   in Loop: Header=BB178_70 Depth=1
	s_getpc_b64 s[4:5]
	s_add_u32 s4, s4, _ZZZZN2at6native31launch_logcumsumexp_cuda_kernelERKNS_10TensorBaseES3_lENKUlvE_clEvENKUlvE1_clEvENKUlN3c107complexIdEES8_E_clES8_S8_@rel32@lo+4
	s_addc_u32 s5, s5, _ZZZZN2at6native31launch_logcumsumexp_cuda_kernelERKNS_10TensorBaseES3_lENKUlvE_clEvENKUlvE1_clEvENKUlN3c107complexIdEES8_E_clES8_S8_@rel32@hi+12
	s_swappc_b64 s[30:31], s[4:5]
	v_mov_b32_e32 v4, v0
	v_mov_b32_e32 v5, v1
	v_mov_b32_e32 v6, v2
	v_mov_b32_e32 v7, v3
.LBB178_81:                             ;   in Loop: Header=BB178_70 Depth=1
	s_or_b64 exec, exec, s[50:51]
	s_waitcnt lgkmcnt(3)
	ds_bpermute_b32 v0, v129, v4
	s_waitcnt lgkmcnt(3)
	ds_bpermute_b32 v1, v129, v5
	s_waitcnt lgkmcnt(3)
	ds_bpermute_b32 v2, v129, v6
	s_waitcnt lgkmcnt(3)
	ds_bpermute_b32 v3, v129, v7
	v_cmp_le_u32_e32 vcc, v130, v136
	s_and_saveexec_b64 s[50:51], vcc
	s_cbranch_execz .LBB178_83
; %bb.82:                               ;   in Loop: Header=BB178_70 Depth=1
	s_getpc_b64 s[4:5]
	s_add_u32 s4, s4, _ZZZZN2at6native31launch_logcumsumexp_cuda_kernelERKNS_10TensorBaseES3_lENKUlvE_clEvENKUlvE1_clEvENKUlN3c107complexIdEES8_E_clES8_S8_@rel32@lo+4
	s_addc_u32 s5, s5, _ZZZZN2at6native31launch_logcumsumexp_cuda_kernelERKNS_10TensorBaseES3_lENKUlvE_clEvENKUlvE1_clEvENKUlN3c107complexIdEES8_E_clES8_S8_@rel32@hi+12
	s_swappc_b64 s[30:31], s[4:5]
	v_mov_b32_e32 v4, v0
	v_mov_b32_e32 v5, v1
	v_mov_b32_e32 v6, v2
	v_mov_b32_e32 v7, v3
.LBB178_83:                             ;   in Loop: Header=BB178_70 Depth=1
	s_or_b64 exec, exec, s[50:51]
	s_waitcnt lgkmcnt(3)
	ds_bpermute_b32 v0, v131, v4
	s_waitcnt lgkmcnt(3)
	ds_bpermute_b32 v1, v131, v5
	s_waitcnt lgkmcnt(3)
	ds_bpermute_b32 v2, v131, v6
	s_waitcnt lgkmcnt(3)
	ds_bpermute_b32 v3, v131, v7
	v_cmp_le_u32_e32 vcc, v132, v136
	s_and_saveexec_b64 s[50:51], vcc
	s_cbranch_execz .LBB178_85
; %bb.84:                               ;   in Loop: Header=BB178_70 Depth=1
	s_getpc_b64 s[4:5]
	s_add_u32 s4, s4, _ZZZZN2at6native31launch_logcumsumexp_cuda_kernelERKNS_10TensorBaseES3_lENKUlvE_clEvENKUlvE1_clEvENKUlN3c107complexIdEES8_E_clES8_S8_@rel32@lo+4
	s_addc_u32 s5, s5, _ZZZZN2at6native31launch_logcumsumexp_cuda_kernelERKNS_10TensorBaseES3_lENKUlvE_clEvENKUlvE1_clEvENKUlN3c107complexIdEES8_E_clES8_S8_@rel32@hi+12
	s_swappc_b64 s[30:31], s[4:5]
	v_mov_b32_e32 v4, v0
	v_mov_b32_e32 v5, v1
	v_mov_b32_e32 v6, v2
	v_mov_b32_e32 v7, v3
.LBB178_85:                             ;   in Loop: Header=BB178_70 Depth=1
	s_or_b64 exec, exec, s[50:51]
	s_waitcnt lgkmcnt(3)
	ds_bpermute_b32 v0, v133, v4
	s_waitcnt lgkmcnt(3)
	ds_bpermute_b32 v1, v133, v5
	s_waitcnt lgkmcnt(3)
	ds_bpermute_b32 v2, v133, v6
	s_waitcnt lgkmcnt(3)
	ds_bpermute_b32 v3, v133, v7
	v_cmp_le_u32_e32 vcc, v134, v136
	s_and_saveexec_b64 s[50:51], vcc
	s_cbranch_execz .LBB178_69
; %bb.86:                               ;   in Loop: Header=BB178_70 Depth=1
	s_getpc_b64 s[4:5]
	s_add_u32 s4, s4, _ZZZZN2at6native31launch_logcumsumexp_cuda_kernelERKNS_10TensorBaseES3_lENKUlvE_clEvENKUlvE1_clEvENKUlN3c107complexIdEES8_E_clES8_S8_@rel32@lo+4
	s_addc_u32 s5, s5, _ZZZZN2at6native31launch_logcumsumexp_cuda_kernelERKNS_10TensorBaseES3_lENKUlvE_clEvENKUlvE1_clEvENKUlN3c107complexIdEES8_E_clES8_S8_@rel32@hi+12
	s_swappc_b64 s[30:31], s[4:5]
	v_mov_b32_e32 v4, v0
	v_mov_b32_e32 v5, v1
	v_mov_b32_e32 v6, v2
	v_mov_b32_e32 v7, v3
	s_branch .LBB178_69
.LBB178_87:                             ;   in Loop: Header=BB178_70 Depth=1
                                        ; implicit-def: $vgpr6_vgpr7
                                        ; implicit-def: $vgpr122
	s_cbranch_execz .LBB178_70
; %bb.88:
	s_and_saveexec_b64 s[50:51], s[40:41]
	s_cbranch_execz .LBB178_90
; %bb.89:
	v_mov_b32_e32 v0, v112
	s_waitcnt lgkmcnt(2)
	v_mov_b32_e32 v1, v113
	s_waitcnt lgkmcnt(1)
	;; [unrolled: 2-line block ×3, first 2 shown]
	v_mov_b32_e32 v3, v115
	v_mov_b32_e32 v4, v108
	;; [unrolled: 1-line block ×5, first 2 shown]
	s_getpc_b64 s[4:5]
	s_add_u32 s4, s4, _ZZZZN2at6native31launch_logcumsumexp_cuda_kernelERKNS_10TensorBaseES3_lENKUlvE_clEvENKUlvE1_clEvENKUlN3c107complexIdEES8_E_clES8_S8_@rel32@lo+4
	s_addc_u32 s5, s5, _ZZZZN2at6native31launch_logcumsumexp_cuda_kernelERKNS_10TensorBaseES3_lENKUlvE_clEvENKUlvE1_clEvENKUlN3c107complexIdEES8_E_clES8_S8_@rel32@hi+12
	s_swappc_b64 s[30:31], s[4:5]
	s_add_i32 s4, s33, 64
	s_mov_b32 s5, 0
	s_lshl_b64 s[6:7], s[4:5], 4
	s_add_u32 s6, s58, s6
	s_addc_u32 s7, s59, s7
	v_mov_b32_e32 v4, 0
	global_store_dwordx4 v4, v[0:3], s[6:7]
	s_waitcnt vmcnt(0)
	buffer_wbinvl1_vol
	v_mov_b32_e32 v0, s4
	v_mov_b32_e32 v1, 2
	global_store_byte v0, v1, s[62:63]
.LBB178_90:
	s_or_b64 exec, exec, s[50:51]
	v_cmp_eq_u32_e32 vcc, 0, v46
	s_and_b64 exec, exec, vcc
	s_cbranch_execz .LBB178_92
; %bb.91:
	v_mov_b32_e32 v0, 0
	ds_write_b128 v0, v[112:115]
.LBB178_92:
	s_or_b64 exec, exec, s[48:49]
	v_mov_b32_e32 v0, 0
	s_waitcnt lgkmcnt(0)
	; wave barrier
	s_waitcnt lgkmcnt(0)
	ds_read_b128 v[108:111], v0
	v_cmp_ne_u32_e32 vcc, 0, v46
	v_pk_mov_b32 v[6:7], v[44:45], v[44:45] op_sel:[0,1]
	v_pk_mov_b32 v[4:5], v[42:43], v[42:43] op_sel:[0,1]
	s_and_saveexec_b64 s[40:41], vcc
	s_cbranch_execz .LBB178_94
; %bb.93:
	v_mov_b32_e32 v0, v41
	v_mov_b32_e32 v1, v47
	;; [unrolled: 1-line block ×8, first 2 shown]
	s_getpc_b64 s[4:5]
	s_add_u32 s4, s4, _ZZZZN2at6native31launch_logcumsumexp_cuda_kernelERKNS_10TensorBaseES3_lENKUlvE_clEvENKUlvE1_clEvENKUlN3c107complexIdEES8_E_clES8_S8_@rel32@lo+4
	s_addc_u32 s5, s5, _ZZZZN2at6native31launch_logcumsumexp_cuda_kernelERKNS_10TensorBaseES3_lENKUlvE_clEvENKUlvE1_clEvENKUlN3c107complexIdEES8_E_clES8_S8_@rel32@hi+12
	s_swappc_b64 s[30:31], s[4:5]
	v_mov_b32_e32 v4, v0
	v_mov_b32_e32 v5, v1
	;; [unrolled: 1-line block ×4, first 2 shown]
.LBB178_94:
	s_or_b64 exec, exec, s[40:41]
	s_waitcnt lgkmcnt(0)
	v_mov_b32_e32 v0, v108
	v_mov_b32_e32 v1, v109
	;; [unrolled: 1-line block ×4, first 2 shown]
	s_getpc_b64 s[40:41]
	s_add_u32 s40, s40, _ZZZZN2at6native31launch_logcumsumexp_cuda_kernelERKNS_10TensorBaseES3_lENKUlvE_clEvENKUlvE1_clEvENKUlN3c107complexIdEES8_E_clES8_S8_@rel32@lo+4
	s_addc_u32 s41, s41, _ZZZZN2at6native31launch_logcumsumexp_cuda_kernelERKNS_10TensorBaseES3_lENKUlvE_clEvENKUlvE1_clEvENKUlN3c107complexIdEES8_E_clES8_S8_@rel32@hi+12
	s_swappc_b64 s[30:31], s[40:41]
	v_mov_b32_e32 v4, v104
	v_mov_b32_e32 v5, v105
	v_mov_b32_e32 v6, v106
	v_mov_b32_e32 v7, v107
	v_mov_b32_e32 v164, v0
	v_mov_b32_e32 v165, v1
	v_mov_b32_e32 v166, v2
	v_mov_b32_e32 v167, v3
	s_swappc_b64 s[30:31], s[40:41]
	v_mov_b32_e32 v4, v100
	v_mov_b32_e32 v5, v101
	v_mov_b32_e32 v6, v102
	v_mov_b32_e32 v7, v103
	v_mov_b32_e32 v108, v0
	v_mov_b32_e32 v109, v1
	v_mov_b32_e32 v110, v2
	v_mov_b32_e32 v111, v3
	;; [unrolled: 9-line block ×14, first 2 shown]
	s_swappc_b64 s[30:31], s[40:41]
	v_mov_b32_e32 v160, v0
	v_mov_b32_e32 v161, v1
	;; [unrolled: 1-line block ×4, first 2 shown]
	s_load_dwordx8 s[48:55], s[38:39], 0x58
	s_branch .LBB178_117
.LBB178_95:
                                        ; implicit-def: $vgpr164_vgpr165
                                        ; implicit-def: $vgpr108_vgpr109
                                        ; implicit-def: $vgpr112_vgpr113
                                        ; implicit-def: $vgpr116_vgpr117
                                        ; implicit-def: $vgpr120_vgpr121
                                        ; implicit-def: $vgpr124_vgpr125
                                        ; implicit-def: $vgpr128_vgpr129
                                        ; implicit-def: $vgpr132_vgpr133
                                        ; implicit-def: $vgpr136_vgpr137
                                        ; implicit-def: $vgpr140_vgpr141
                                        ; implicit-def: $vgpr144_vgpr145
                                        ; implicit-def: $vgpr148_vgpr149
                                        ; implicit-def: $vgpr152_vgpr153
                                        ; implicit-def: $vgpr156_vgpr157
                                        ; implicit-def: $vgpr160_vgpr161
	s_load_dwordx8 s[48:55], s[38:39], 0x58
	s_cbranch_execz .LBB178_117
; %bb.96:
	s_waitcnt lgkmcnt(0)
	s_cmp_lg_u64 s[52:53], 0
	s_cselect_b64 s[4:5], -1, 0
	v_cmp_eq_u32_e32 vcc, 0, v46
	v_cmp_ne_u32_e64 s[38:39], 0, v46
	s_and_b64 s[4:5], vcc, s[4:5]
	s_and_saveexec_b64 s[40:41], s[4:5]
	s_cbranch_execz .LBB178_98
; %bb.97:
	v_mov_b32_e32 v0, 0
	global_load_dwordx4 v[0:3], v0, s[48:49]
	v_mov_b32_e32 v4, v42
	v_mov_b32_e32 v5, v43
	;; [unrolled: 1-line block ×4, first 2 shown]
	s_getpc_b64 s[4:5]
	s_add_u32 s4, s4, _ZZZZN2at6native31launch_logcumsumexp_cuda_kernelERKNS_10TensorBaseES3_lENKUlvE_clEvENKUlvE1_clEvENKUlN3c107complexIdEES8_E_clES8_S8_@rel32@lo+4
	s_addc_u32 s5, s5, _ZZZZN2at6native31launch_logcumsumexp_cuda_kernelERKNS_10TensorBaseES3_lENKUlvE_clEvENKUlvE1_clEvENKUlN3c107complexIdEES8_E_clES8_S8_@rel32@hi+12
	s_swappc_b64 s[30:31], s[4:5]
	v_mov_b32_e32 v42, v0
	v_mov_b32_e32 v43, v1
	;; [unrolled: 1-line block ×4, first 2 shown]
.LBB178_98:
	s_or_b64 exec, exec, s[40:41]
	v_mov_b32_e32 v0, v42
	v_mov_b32_e32 v1, v43
	;; [unrolled: 1-line block ×8, first 2 shown]
	s_getpc_b64 s[40:41]
	s_add_u32 s40, s40, _ZZZZN2at6native31launch_logcumsumexp_cuda_kernelERKNS_10TensorBaseES3_lENKUlvE_clEvENKUlvE1_clEvENKUlN3c107complexIdEES8_E_clES8_S8_@rel32@lo+4
	s_addc_u32 s41, s41, _ZZZZN2at6native31launch_logcumsumexp_cuda_kernelERKNS_10TensorBaseES3_lENKUlvE_clEvENKUlvE1_clEvENKUlN3c107complexIdEES8_E_clES8_S8_@rel32@hi+12
	s_swappc_b64 s[30:31], s[40:41]
	v_mov_b32_e32 v4, v100
	v_mov_b32_e32 v5, v101
	v_mov_b32_e32 v6, v102
	v_mov_b32_e32 v7, v103
	v_mov_b32_e32 v108, v0
	v_mov_b32_e32 v109, v1
	v_mov_b32_e32 v110, v2
	v_mov_b32_e32 v111, v3
	s_swappc_b64 s[30:31], s[40:41]
	v_mov_b32_e32 v4, v96
	v_mov_b32_e32 v5, v97
	v_mov_b32_e32 v6, v98
	v_mov_b32_e32 v7, v99
	v_mov_b32_e32 v112, v0
	v_mov_b32_e32 v113, v1
	v_mov_b32_e32 v114, v2
	v_mov_b32_e32 v115, v3
	;; [unrolled: 9-line block ×13, first 2 shown]
	s_swappc_b64 s[30:31], s[40:41]
	v_mov_b32_e32 v160, v0
	v_mbcnt_lo_u32_b32 v0, -1, 0
	v_mbcnt_hi_u32_b32 v41, -1, v0
	v_mov_b32_e32 v161, v1
	v_mov_b32_e32 v162, v2
	;; [unrolled: 1-line block ×3, first 2 shown]
	v_and_b32_e32 v47, 15, v41
	v_mov_b32_dpp v8, v160 row_shr:1 row_mask:0xf bank_mask:0xf
	v_mov_b32_dpp v9, v161 row_shr:1 row_mask:0xf bank_mask:0xf
	;; [unrolled: 1-line block ×4, first 2 shown]
	v_cmp_ne_u32_e32 vcc, 0, v47
	v_pk_mov_b32 v[4:5], v[160:161], v[160:161] op_sel:[0,1]
	v_pk_mov_b32 v[6:7], v[162:163], v[162:163] op_sel:[0,1]
	v_mov_b32_e32 v0, v160
	s_and_saveexec_b64 s[48:49], vcc
	s_cbranch_execz .LBB178_100
; %bb.99:
	v_mov_b32_e32 v0, v8
	v_mov_b32_e32 v1, v9
	;; [unrolled: 1-line block ×8, first 2 shown]
	s_swappc_b64 s[30:31], s[40:41]
	v_mov_b32_e32 v4, v0
	v_mov_b32_e32 v5, v1
	;; [unrolled: 1-line block ×4, first 2 shown]
.LBB178_100:
	s_or_b64 exec, exec, s[48:49]
	v_mov_b32_dpp v8, v0 row_shr:2 row_mask:0xf bank_mask:0xf
	v_mov_b32_dpp v9, v1 row_shr:2 row_mask:0xf bank_mask:0xf
	v_mov_b32_dpp v10, v2 row_shr:2 row_mask:0xf bank_mask:0xf
	v_mov_b32_dpp v11, v3 row_shr:2 row_mask:0xf bank_mask:0xf
	v_cmp_lt_u32_e32 vcc, 1, v47
	s_and_saveexec_b64 s[40:41], vcc
	s_cbranch_execz .LBB178_102
; %bb.101:
	v_mov_b32_e32 v0, v8
	v_mov_b32_e32 v1, v9
	v_mov_b32_e32 v2, v10
	v_mov_b32_e32 v3, v11
	s_getpc_b64 s[4:5]
	s_add_u32 s4, s4, _ZZZZN2at6native31launch_logcumsumexp_cuda_kernelERKNS_10TensorBaseES3_lENKUlvE_clEvENKUlvE1_clEvENKUlN3c107complexIdEES8_E_clES8_S8_@rel32@lo+4
	s_addc_u32 s5, s5, _ZZZZN2at6native31launch_logcumsumexp_cuda_kernelERKNS_10TensorBaseES3_lENKUlvE_clEvENKUlvE1_clEvENKUlN3c107complexIdEES8_E_clES8_S8_@rel32@hi+12
	s_swappc_b64 s[30:31], s[4:5]
	v_pk_mov_b32 v[6:7], v[2:3], v[2:3] op_sel:[0,1]
	v_pk_mov_b32 v[4:5], v[0:1], v[0:1] op_sel:[0,1]
.LBB178_102:
	s_or_b64 exec, exec, s[40:41]
	v_mov_b32_dpp v8, v0 row_shr:4 row_mask:0xf bank_mask:0xf
	v_mov_b32_dpp v9, v1 row_shr:4 row_mask:0xf bank_mask:0xf
	v_mov_b32_dpp v10, v2 row_shr:4 row_mask:0xf bank_mask:0xf
	v_mov_b32_dpp v11, v3 row_shr:4 row_mask:0xf bank_mask:0xf
	v_cmp_lt_u32_e32 vcc, 3, v47
	s_and_saveexec_b64 s[40:41], vcc
	s_cbranch_execz .LBB178_104
; %bb.103:
	v_mov_b32_e32 v0, v8
	v_mov_b32_e32 v1, v9
	v_mov_b32_e32 v2, v10
	v_mov_b32_e32 v3, v11
	s_getpc_b64 s[4:5]
	s_add_u32 s4, s4, _ZZZZN2at6native31launch_logcumsumexp_cuda_kernelERKNS_10TensorBaseES3_lENKUlvE_clEvENKUlvE1_clEvENKUlN3c107complexIdEES8_E_clES8_S8_@rel32@lo+4
	s_addc_u32 s5, s5, _ZZZZN2at6native31launch_logcumsumexp_cuda_kernelERKNS_10TensorBaseES3_lENKUlvE_clEvENKUlvE1_clEvENKUlN3c107complexIdEES8_E_clES8_S8_@rel32@hi+12
	s_swappc_b64 s[30:31], s[4:5]
	v_pk_mov_b32 v[6:7], v[2:3], v[2:3] op_sel:[0,1]
	v_pk_mov_b32 v[4:5], v[0:1], v[0:1] op_sel:[0,1]
.LBB178_104:
	;; [unrolled: 20-line block ×3, first 2 shown]
	s_or_b64 exec, exec, s[40:41]
	v_and_b32_e32 v12, 16, v41
	v_mov_b32_dpp v8, v0 row_bcast:15 row_mask:0xf bank_mask:0xf
	v_mov_b32_dpp v9, v1 row_bcast:15 row_mask:0xf bank_mask:0xf
	v_mov_b32_dpp v10, v2 row_bcast:15 row_mask:0xf bank_mask:0xf
	v_mov_b32_dpp v11, v3 row_bcast:15 row_mask:0xf bank_mask:0xf
	v_cmp_ne_u32_e32 vcc, 0, v12
	s_and_saveexec_b64 s[40:41], vcc
	s_cbranch_execz .LBB178_108
; %bb.107:
	v_mov_b32_e32 v0, v8
	v_mov_b32_e32 v1, v9
	;; [unrolled: 1-line block ×4, first 2 shown]
	s_getpc_b64 s[4:5]
	s_add_u32 s4, s4, _ZZZZN2at6native31launch_logcumsumexp_cuda_kernelERKNS_10TensorBaseES3_lENKUlvE_clEvENKUlvE1_clEvENKUlN3c107complexIdEES8_E_clES8_S8_@rel32@lo+4
	s_addc_u32 s5, s5, _ZZZZN2at6native31launch_logcumsumexp_cuda_kernelERKNS_10TensorBaseES3_lENKUlvE_clEvENKUlvE1_clEvENKUlN3c107complexIdEES8_E_clES8_S8_@rel32@hi+12
	s_swappc_b64 s[30:31], s[4:5]
	v_mov_b32_e32 v4, v0
	v_mov_b32_e32 v5, v1
	;; [unrolled: 1-line block ×4, first 2 shown]
.LBB178_108:
	s_or_b64 exec, exec, s[40:41]
	v_mov_b32_dpp v0, v0 row_bcast:31 row_mask:0xf bank_mask:0xf
	v_mov_b32_dpp v1, v1 row_bcast:31 row_mask:0xf bank_mask:0xf
	v_mov_b32_dpp v2, v2 row_bcast:31 row_mask:0xf bank_mask:0xf
	v_mov_b32_dpp v3, v3 row_bcast:31 row_mask:0xf bank_mask:0xf
	v_cmp_lt_u32_e32 vcc, 31, v41
	s_and_saveexec_b64 s[40:41], vcc
	s_cbranch_execz .LBB178_110
; %bb.109:
	s_getpc_b64 s[4:5]
	s_add_u32 s4, s4, _ZZZZN2at6native31launch_logcumsumexp_cuda_kernelERKNS_10TensorBaseES3_lENKUlvE_clEvENKUlvE1_clEvENKUlN3c107complexIdEES8_E_clES8_S8_@rel32@lo+4
	s_addc_u32 s5, s5, _ZZZZN2at6native31launch_logcumsumexp_cuda_kernelERKNS_10TensorBaseES3_lENKUlvE_clEvENKUlvE1_clEvENKUlN3c107complexIdEES8_E_clES8_S8_@rel32@hi+12
	s_swappc_b64 s[30:31], s[4:5]
	v_mov_b32_e32 v4, v0
	v_mov_b32_e32 v5, v1
	v_mov_b32_e32 v6, v2
	v_mov_b32_e32 v7, v3
.LBB178_110:
	s_or_b64 exec, exec, s[40:41]
	v_cmp_eq_u32_e64 s[40:41], 63, v46
	s_and_saveexec_b64 s[4:5], s[40:41]
	s_cbranch_execz .LBB178_112
; %bb.111:
	v_mov_b32_e32 v0, 0
	ds_write_b128 v0, v[4:7]
.LBB178_112:
	s_or_b64 exec, exec, s[4:5]
	v_add_u32_e32 v0, -1, v41
	v_and_b32_e32 v1, 64, v41
	v_cmp_lt_i32_e32 vcc, v0, v1
	v_cndmask_b32_e32 v0, v0, v41, vcc
	v_lshlrev_b32_e32 v3, 2, v0
	ds_bpermute_b32 v0, v3, v4
	ds_bpermute_b32 v1, v3, v5
	ds_bpermute_b32 v2, v3, v6
	ds_bpermute_b32 v3, v3, v7
	s_waitcnt lgkmcnt(0)
	; wave barrier
	s_waitcnt lgkmcnt(0)
	s_and_saveexec_b64 s[48:49], s[38:39]
	s_cbranch_execz .LBB178_114
; %bb.113:
	v_mov_b32_e32 v4, v42
	v_mov_b32_e32 v5, v43
	;; [unrolled: 1-line block ×4, first 2 shown]
	s_getpc_b64 s[38:39]
	s_add_u32 s38, s38, _ZZZZN2at6native31launch_logcumsumexp_cuda_kernelERKNS_10TensorBaseES3_lENKUlvE_clEvENKUlvE1_clEvENKUlN3c107complexIdEES8_E_clES8_S8_@rel32@lo+4
	s_addc_u32 s39, s39, _ZZZZN2at6native31launch_logcumsumexp_cuda_kernelERKNS_10TensorBaseES3_lENKUlvE_clEvENKUlvE1_clEvENKUlN3c107complexIdEES8_E_clES8_S8_@rel32@hi+12
	s_swappc_b64 s[30:31], s[38:39]
	v_mov_b32_e32 v4, v104
	v_mov_b32_e32 v5, v105
	;; [unrolled: 1-line block ×8, first 2 shown]
	;;#ASMSTART
	;;#ASMEND
	s_swappc_b64 s[30:31], s[38:39]
	v_mov_b32_e32 v4, v100
	v_mov_b32_e32 v5, v101
	v_mov_b32_e32 v6, v102
	v_mov_b32_e32 v7, v103
	v_mov_b32_e32 v108, v0
	v_mov_b32_e32 v109, v1
	v_mov_b32_e32 v110, v2
	v_mov_b32_e32 v111, v3
	s_swappc_b64 s[30:31], s[38:39]
	v_mov_b32_e32 v4, v96
	v_mov_b32_e32 v5, v97
	v_mov_b32_e32 v6, v98
	v_mov_b32_e32 v7, v99
	v_mov_b32_e32 v112, v0
	v_mov_b32_e32 v113, v1
	v_mov_b32_e32 v114, v2
	v_mov_b32_e32 v115, v3
	;; [unrolled: 9-line block ×13, first 2 shown]
	s_swappc_b64 s[30:31], s[38:39]
	v_mov_b32_e32 v160, v0
	v_mov_b32_e32 v161, v1
	;; [unrolled: 1-line block ×4, first 2 shown]
.LBB178_114:
	s_or_b64 exec, exec, s[48:49]
	s_and_saveexec_b64 s[4:5], s[40:41]
	s_cbranch_execz .LBB178_116
; %bb.115:
	v_mov_b32_e32 v0, 0
	v_mov_b32_e32 v1, 2
	global_store_dwordx4 v0, v[160:163], s[58:59] offset:1024
	s_waitcnt vmcnt(0)
	buffer_wbinvl1_vol
	global_store_byte v0, v1, s[62:63] offset:64
.LBB178_116:
	s_or_b64 exec, exec, s[4:5]
	v_pk_mov_b32 v[164:165], v[42:43], v[42:43] op_sel:[0,1]
	v_pk_mov_b32 v[166:167], v[44:45], v[44:45] op_sel:[0,1]
.LBB178_117:
	s_add_u32 s4, s44, s42
	s_addc_u32 s5, s45, s43
	s_add_u32 s4, s4, s60
	s_addc_u32 s5, s5, s61
	s_mov_b64 s[6:7], -1
	s_and_b64 vcc, exec, s[46:47]
	s_waitcnt lgkmcnt(0)
	; wave barrier
	s_waitcnt lgkmcnt(0)
	s_cbranch_vccz .LBB178_119
; %bb.118:
	v_mul_u32_u24_e32 v0, 0xf0, v46
	s_movk_i32 s6, 0xf0
	ds_write_b128 v0, v[164:167]
	ds_write_b128 v0, v[108:111] offset:16
	ds_write_b128 v0, v[112:115] offset:32
	;; [unrolled: 1-line block ×14, first 2 shown]
	v_mul_i32_i24_e32 v0, 0xffffff20, v46
	v_mad_u32_u24 v44, v46, s6, v0
	s_waitcnt lgkmcnt(0)
	; wave barrier
	s_waitcnt lgkmcnt(0)
	ds_read_b128 v[0:3], v44
	ds_read_b128 v[4:7], v44 offset:1024
	ds_read_b128 v[8:11], v44 offset:2048
	;; [unrolled: 1-line block ×14, first 2 shown]
	v_mov_b32_e32 v44, s5
	v_add_co_u32_e32 v45, vcc, s4, v168
	v_addc_co_u32_e32 v44, vcc, 0, v44, vcc
	s_movk_i32 s6, 0x1000
	s_waitcnt lgkmcnt(14)
	global_store_dwordx4 v168, v[0:3], s[4:5]
	s_waitcnt lgkmcnt(13)
	global_store_dwordx4 v168, v[4:7], s[4:5] offset:1024
	s_waitcnt lgkmcnt(12)
	global_store_dwordx4 v168, v[8:11], s[4:5] offset:2048
	;; [unrolled: 2-line block ×3, first 2 shown]
	v_add_co_u32_e32 v0, vcc, s6, v45
	v_addc_co_u32_e32 v1, vcc, 0, v44, vcc
	s_waitcnt lgkmcnt(10)
	global_store_dwordx4 v[0:1], v[16:19], off
	s_waitcnt lgkmcnt(9)
	global_store_dwordx4 v[0:1], v[20:23], off offset:1024
	s_waitcnt lgkmcnt(8)
	global_store_dwordx4 v[0:1], v[24:27], off offset:2048
	;; [unrolled: 2-line block ×3, first 2 shown]
	v_add_co_u32_e32 v0, vcc, 0x2000, v45
	v_addc_co_u32_e32 v1, vcc, 0, v44, vcc
	s_waitcnt lgkmcnt(6)
	global_store_dwordx4 v[0:1], v[32:35], off
	s_waitcnt lgkmcnt(5)
	global_store_dwordx4 v[0:1], v[36:39], off offset:1024
	s_waitcnt lgkmcnt(4)
	global_store_dwordx4 v[0:1], v[40:43], off offset:2048
	;; [unrolled: 2-line block ×3, first 2 shown]
	v_add_co_u32_e32 v0, vcc, 0x3000, v45
	v_addc_co_u32_e32 v1, vcc, 0, v44, vcc
	s_waitcnt lgkmcnt(2)
	global_store_dwordx4 v[0:1], v[52:55], off
	s_waitcnt lgkmcnt(1)
	global_store_dwordx4 v[0:1], v[56:59], off offset:1024
	s_waitcnt lgkmcnt(0)
	global_store_dwordx4 v[0:1], v[60:63], off offset:2048
	s_mov_b64 s[6:7], 0
.LBB178_119:
	s_andn2_b64 vcc, exec, s[6:7]
	s_cbranch_vccnz .LBB178_205
; %bb.120:
	s_movk_i32 s6, 0xff20
	v_mad_i32_i24 v44, v46, s6, v170
	ds_write_b128 v170, v[164:167]
	ds_write_b128 v170, v[108:111] offset:16
	ds_write_b128 v170, v[112:115] offset:32
	;; [unrolled: 1-line block ×14, first 2 shown]
	s_waitcnt lgkmcnt(0)
	; wave barrier
	s_waitcnt lgkmcnt(0)
	ds_read_b128 v[8:11], v44
	ds_read_b128 v[0:3], v44 offset:1024
	ds_read_b128 v[4:7], v44 offset:2048
	;; [unrolled: 1-line block ×14, first 2 shown]
	v_mov_b32_e32 v45, s5
	v_add_co_u32_e32 v44, vcc, s4, v168
	v_addc_co_u32_e32 v45, vcc, 0, v45, vcc
	v_mov_b32_e32 v47, 0
	v_cmp_gt_u32_e32 vcc, s37, v46
	s_and_saveexec_b64 s[4:5], vcc
	s_cbranch_execz .LBB178_122
; %bb.121:
	s_waitcnt lgkmcnt(14)
	global_store_dwordx4 v[44:45], v[8:11], off
.LBB178_122:
	s_or_b64 exec, exec, s[4:5]
	v_or_b32_e32 v64, 64, v46
	v_cmp_gt_u32_e32 vcc, s37, v64
	s_and_saveexec_b64 s[4:5], vcc
	s_cbranch_execz .LBB178_124
; %bb.123:
	s_waitcnt lgkmcnt(13)
	global_store_dwordx4 v[44:45], v[0:3], off offset:1024
.LBB178_124:
	s_or_b64 exec, exec, s[4:5]
	v_or_b32_e32 v64, 0x80, v46
	v_cmp_gt_u32_e32 vcc, s37, v64
	s_and_saveexec_b64 s[4:5], vcc
	s_cbranch_execz .LBB178_126
; %bb.125:
	s_waitcnt lgkmcnt(12)
	global_store_dwordx4 v[44:45], v[4:7], off offset:2048
.LBB178_126:
	s_or_b64 exec, exec, s[4:5]
	v_or_b32_e32 v64, 0xc0, v46
	v_cmp_gt_u32_e32 vcc, s37, v64
	s_and_saveexec_b64 s[4:5], vcc
	s_cbranch_execz .LBB178_128
; %bb.127:
	s_waitcnt lgkmcnt(11)
	global_store_dwordx4 v[44:45], v[16:19], off offset:3072
.LBB178_128:
	s_or_b64 exec, exec, s[4:5]
	v_or_b32_e32 v64, 0x100, v46
	v_cmp_gt_u32_e32 vcc, s37, v64
	s_and_saveexec_b64 s[4:5], vcc
	s_cbranch_execz .LBB178_130
; %bb.129:
	v_add_co_u32_e32 v64, vcc, 0x1000, v44
	v_addc_co_u32_e32 v65, vcc, 0, v45, vcc
	s_waitcnt lgkmcnt(10)
	global_store_dwordx4 v[64:65], v[12:15], off
.LBB178_130:
	s_or_b64 exec, exec, s[4:5]
	v_or_b32_e32 v64, 0x140, v46
	v_cmp_gt_u32_e32 vcc, s37, v64
	s_and_saveexec_b64 s[4:5], vcc
	s_cbranch_execz .LBB178_132
; %bb.131:
	v_add_co_u32_e32 v64, vcc, 0x1000, v44
	v_addc_co_u32_e32 v65, vcc, 0, v45, vcc
	s_waitcnt lgkmcnt(9)
	global_store_dwordx4 v[64:65], v[20:23], off offset:1024
.LBB178_132:
	s_or_b64 exec, exec, s[4:5]
	v_or_b32_e32 v64, 0x180, v46
	v_cmp_gt_u32_e32 vcc, s37, v64
	s_and_saveexec_b64 s[4:5], vcc
	s_cbranch_execz .LBB178_134
; %bb.133:
	v_add_co_u32_e32 v64, vcc, 0x1000, v44
	v_addc_co_u32_e32 v65, vcc, 0, v45, vcc
	s_waitcnt lgkmcnt(8)
	global_store_dwordx4 v[64:65], v[24:27], off offset:2048
.LBB178_134:
	;; [unrolled: 11-line block ×3, first 2 shown]
	s_or_b64 exec, exec, s[4:5]
	v_or_b32_e32 v64, 0x200, v46
	v_cmp_gt_u32_e32 vcc, s37, v64
	s_and_saveexec_b64 s[4:5], vcc
	s_cbranch_execz .LBB178_138
; %bb.137:
	v_add_co_u32_e32 v64, vcc, 0x2000, v44
	v_addc_co_u32_e32 v65, vcc, 0, v45, vcc
	s_waitcnt lgkmcnt(6)
	global_store_dwordx4 v[64:65], v[40:43], off
.LBB178_138:
	s_or_b64 exec, exec, s[4:5]
	v_or_b32_e32 v64, 0x240, v46
	v_cmp_gt_u32_e32 vcc, s37, v64
	s_and_saveexec_b64 s[4:5], vcc
	s_cbranch_execz .LBB178_140
; %bb.139:
	v_add_co_u32_e32 v64, vcc, 0x2000, v44
	v_addc_co_u32_e32 v65, vcc, 0, v45, vcc
	s_waitcnt lgkmcnt(5)
	global_store_dwordx4 v[64:65], v[36:39], off offset:1024
.LBB178_140:
	s_or_b64 exec, exec, s[4:5]
	v_or_b32_e32 v64, 0x280, v46
	v_cmp_gt_u32_e32 vcc, s37, v64
	s_and_saveexec_b64 s[4:5], vcc
	s_cbranch_execz .LBB178_142
; %bb.141:
	v_add_co_u32_e32 v64, vcc, 0x2000, v44
	v_addc_co_u32_e32 v65, vcc, 0, v45, vcc
	s_waitcnt lgkmcnt(4)
	global_store_dwordx4 v[64:65], v[48:51], off offset:2048
.LBB178_142:
	;; [unrolled: 11-line block ×3, first 2 shown]
	s_or_b64 exec, exec, s[4:5]
	v_or_b32_e32 v64, 0x300, v46
	v_cmp_gt_u32_e32 vcc, s37, v64
	s_and_saveexec_b64 s[4:5], vcc
	s_cbranch_execz .LBB178_146
; %bb.145:
	v_add_co_u32_e32 v64, vcc, 0x3000, v44
	v_addc_co_u32_e32 v65, vcc, 0, v45, vcc
	s_waitcnt lgkmcnt(2)
	global_store_dwordx4 v[64:65], v[52:55], off
.LBB178_146:
	s_or_b64 exec, exec, s[4:5]
	v_or_b32_e32 v64, 0x340, v46
	v_cmp_gt_u32_e32 vcc, s37, v64
	s_and_saveexec_b64 s[4:5], vcc
	s_cbranch_execz .LBB178_148
; %bb.147:
	v_add_co_u32_e32 v64, vcc, 0x3000, v44
	v_addc_co_u32_e32 v65, vcc, 0, v45, vcc
	s_waitcnt lgkmcnt(1)
	global_store_dwordx4 v[64:65], v[56:59], off offset:1024
.LBB178_148:
	s_or_b64 exec, exec, s[4:5]
	v_or_b32_e32 v64, 0x380, v46
	v_cmp_gt_u32_e32 vcc, s37, v64
	s_and_saveexec_b64 s[4:5], vcc
	s_cbranch_execz .LBB178_150
; %bb.149:
	v_add_co_u32_e32 v44, vcc, 0x3000, v44
	v_addc_co_u32_e32 v45, vcc, 0, v45, vcc
	s_waitcnt lgkmcnt(0)
	global_store_dwordx4 v[44:45], v[60:63], off offset:2048
.LBB178_150:
	s_or_b64 exec, exec, s[4:5]
	v_cmp_lt_u64_e64 s[4:5], s[54:55], 2
	s_and_b64 vcc, exec, s[4:5]
	s_cbranch_vccnz .LBB178_205
; %bb.151:
	s_add_u32 s4, s37, -1
	s_addc_u32 s5, s64, -1
	s_add_u32 s6, 0, 0x11108400
	s_addc_u32 s7, 0, 49
	s_add_i32 s7, s7, 0x111110e0
	s_mul_hi_u32 s11, s6, -15
	s_sub_i32 s11, s11, s6
	s_mul_i32 s12, s7, -15
	s_mul_i32 s8, s6, -15
	s_add_i32 s11, s11, s12
	s_mul_hi_u32 s9, s7, s8
	s_mul_i32 s10, s7, s8
	s_mul_i32 s13, s6, s11
	s_mul_hi_u32 s8, s6, s8
	s_mul_hi_u32 s12, s6, s11
	s_add_u32 s8, s8, s13
	s_addc_u32 s12, 0, s12
	s_add_u32 s8, s8, s10
	s_mul_hi_u32 s13, s7, s11
	s_addc_u32 s8, s12, s9
	s_addc_u32 s9, s13, 0
	s_mul_i32 s10, s7, s11
	s_add_u32 s8, s8, s10
	v_mov_b32_e32 v44, s8
	s_addc_u32 s9, 0, s9
	v_add_co_u32_e32 v44, vcc, s6, v44
	s_cmp_lg_u64 vcc, 0
	s_addc_u32 s6, s7, s9
	v_readfirstlane_b32 s9, v44
	s_mul_i32 s8, s4, s6
	s_mul_hi_u32 s10, s4, s9
	s_mul_hi_u32 s7, s4, s6
	s_add_u32 s8, s10, s8
	s_addc_u32 s7, 0, s7
	s_mul_hi_u32 s11, s5, s9
	s_mul_i32 s9, s5, s9
	s_add_u32 s8, s8, s9
	s_mul_hi_u32 s10, s5, s6
	s_addc_u32 s7, s7, s11
	s_addc_u32 s8, s10, 0
	s_mul_i32 s6, s5, s6
	s_add_u32 s6, s7, s6
	s_addc_u32 s7, 0, s8
	s_add_u32 s8, s6, 1
	s_addc_u32 s9, s7, 0
	s_add_u32 s10, s6, 2
	s_mul_i32 s12, s7, 15
	s_mul_hi_u32 s13, s6, 15
	s_addc_u32 s11, s7, 0
	s_add_i32 s13, s13, s12
	s_mul_i32 s12, s6, 15
	v_mov_b32_e32 v44, s12
	v_sub_co_u32_e32 v44, vcc, s4, v44
	s_cmp_lg_u64 vcc, 0
	s_subb_u32 s12, s5, s13
	v_subrev_co_u32_e32 v45, vcc, 15, v44
	s_cmp_lg_u64 vcc, 0
	s_subb_u32 s13, s12, 0
	v_readfirstlane_b32 s14, v45
	s_cmp_gt_u32 s14, 14
	s_cselect_b32 s14, -1, 0
	s_cmp_eq_u32 s13, 0
	s_cselect_b32 s13, s14, -1
	s_cmp_lg_u32 s13, 0
	s_cselect_b32 s8, s10, s8
	v_readfirstlane_b32 s10, v44
	s_cselect_b32 s9, s11, s9
	s_cmp_gt_u32 s10, 14
	s_cselect_b32 s10, -1, 0
	s_cmp_eq_u32 s12, 0
	s_cselect_b32 s10, s10, -1
	s_cmp_lg_u32 s10, 0
	s_cselect_b32 s7, s9, s7
	s_cselect_b32 s6, s8, s6
	v_cmp_eq_u64_e32 vcc, s[6:7], v[46:47]
	s_and_saveexec_b64 s[6:7], vcc
	s_cbranch_execz .LBB178_205
; %bb.152:
	v_mul_hi_u32_u24_e32 v45, 15, v46
	v_mov_b32_e32 v46, s5
	v_sub_co_u32_e32 v44, vcc, s4, v169
	v_subb_co_u32_e32 v45, vcc, v46, v45, vcc
	v_cmp_lt_i64_e32 vcc, 7, v[44:45]
	s_and_saveexec_b64 s[4:5], vcc
	s_xor_b64 s[4:5], exec, s[4:5]
	s_cbranch_execz .LBB178_178
; %bb.153:
	v_cmp_lt_i64_e32 vcc, 10, v[44:45]
	s_and_saveexec_b64 s[6:7], vcc
	s_xor_b64 s[6:7], exec, s[6:7]
	s_cbranch_execz .LBB178_167
; %bb.154:
	;; [unrolled: 5-line block ×4, first 2 shown]
	s_waitcnt lgkmcnt(13)
	v_mov_b32_e32 v0, 0
	s_waitcnt lgkmcnt(0)
	global_store_dwordx4 v0, v[60:63], s[50:51]
                                        ; implicit-def: $vgpr56_vgpr57_vgpr58_vgpr59
.LBB178_157:
	s_andn2_saveexec_b64 s[10:11], s[10:11]
	s_cbranch_execz .LBB178_159
; %bb.158:
	s_waitcnt lgkmcnt(13)
	v_mov_b32_e32 v0, 0
	s_waitcnt lgkmcnt(1)
	global_store_dwordx4 v0, v[56:59], s[50:51]
.LBB178_159:
	s_or_b64 exec, exec, s[10:11]
                                        ; implicit-def: $vgpr32_vgpr33_vgpr34_vgpr35
                                        ; implicit-def: $vgpr44_vgpr45
                                        ; implicit-def: $vgpr52_vgpr53_vgpr54_vgpr55
.LBB178_160:
	s_andn2_saveexec_b64 s[8:9], s[8:9]
	s_cbranch_execz .LBB178_166
; %bb.161:
	v_cmp_lt_i64_e32 vcc, 11, v[44:45]
	s_and_saveexec_b64 s[10:11], vcc
	s_xor_b64 s[10:11], exec, s[10:11]
	s_cbranch_execz .LBB178_163
; %bb.162:
	s_waitcnt lgkmcnt(13)
	v_mov_b32_e32 v0, 0
	s_waitcnt lgkmcnt(2)
	global_store_dwordx4 v0, v[52:55], s[50:51]
                                        ; implicit-def: $vgpr32_vgpr33_vgpr34_vgpr35
.LBB178_163:
	s_andn2_saveexec_b64 s[10:11], s[10:11]
	s_cbranch_execz .LBB178_165
; %bb.164:
	s_waitcnt lgkmcnt(13)
	v_mov_b32_e32 v0, 0
	s_waitcnt lgkmcnt(3)
	global_store_dwordx4 v0, v[32:35], s[50:51]
.LBB178_165:
	s_or_b64 exec, exec, s[10:11]
.LBB178_166:
	s_or_b64 exec, exec, s[8:9]
                                        ; implicit-def: $vgpr40_vgpr41_vgpr42_vgpr43
                                        ; implicit-def: $vgpr44_vgpr45
                                        ; implicit-def: $vgpr36_vgpr37_vgpr38_vgpr39
                                        ; implicit-def: $vgpr48_vgpr49_vgpr50_vgpr51
.LBB178_167:
	s_andn2_saveexec_b64 s[6:7], s[6:7]
	s_cbranch_execz .LBB178_177
; %bb.168:
	v_cmp_lt_i64_e32 vcc, 8, v[44:45]
	s_and_saveexec_b64 s[8:9], vcc
	s_xor_b64 s[8:9], exec, s[8:9]
	s_cbranch_execz .LBB178_174
; %bb.169:
	v_cmp_lt_i64_e32 vcc, 9, v[44:45]
	s_and_saveexec_b64 s[10:11], vcc
	s_xor_b64 s[10:11], exec, s[10:11]
	s_cbranch_execz .LBB178_171
; %bb.170:
	s_waitcnt lgkmcnt(13)
	v_mov_b32_e32 v0, 0
	s_waitcnt lgkmcnt(4)
	global_store_dwordx4 v0, v[48:51], s[50:51]
                                        ; implicit-def: $vgpr36_vgpr37_vgpr38_vgpr39
.LBB178_171:
	s_andn2_saveexec_b64 s[10:11], s[10:11]
	s_cbranch_execz .LBB178_173
; %bb.172:
	s_waitcnt lgkmcnt(13)
	v_mov_b32_e32 v0, 0
	s_waitcnt lgkmcnt(5)
	global_store_dwordx4 v0, v[36:39], s[50:51]
.LBB178_173:
	s_or_b64 exec, exec, s[10:11]
                                        ; implicit-def: $vgpr40_vgpr41_vgpr42_vgpr43
.LBB178_174:
	s_andn2_saveexec_b64 s[8:9], s[8:9]
	s_cbranch_execz .LBB178_176
; %bb.175:
	s_waitcnt lgkmcnt(13)
	v_mov_b32_e32 v0, 0
	s_waitcnt lgkmcnt(6)
	global_store_dwordx4 v0, v[40:43], s[50:51]
.LBB178_176:
	s_or_b64 exec, exec, s[8:9]
.LBB178_177:
	s_or_b64 exec, exec, s[6:7]
                                        ; implicit-def: $vgpr0_vgpr1_vgpr2_vgpr3
                                        ; implicit-def: $vgpr4_vgpr5_vgpr6_vgpr7
                                        ; implicit-def: $vgpr16_vgpr17_vgpr18_vgpr19
                                        ; implicit-def: $vgpr12_vgpr13_vgpr14_vgpr15
                                        ; implicit-def: $vgpr20_vgpr21_vgpr22_vgpr23
                                        ; implicit-def: $vgpr24_vgpr25_vgpr26_vgpr27
                                        ; implicit-def: $vgpr28_vgpr29_vgpr30_vgpr31
                                        ; implicit-def: $vgpr44_vgpr45
                                        ; implicit-def: $vgpr8_vgpr9_vgpr10_vgpr11
.LBB178_178:
	s_andn2_saveexec_b64 s[4:5], s[4:5]
	s_cbranch_execz .LBB178_205
; %bb.179:
	v_cmp_lt_i64_e32 vcc, 3, v[44:45]
	s_and_saveexec_b64 s[4:5], vcc
	s_xor_b64 s[4:5], exec, s[4:5]
	s_cbranch_execz .LBB178_193
; %bb.180:
	v_cmp_lt_i64_e32 vcc, 5, v[44:45]
	s_and_saveexec_b64 s[6:7], vcc
	s_xor_b64 s[6:7], exec, s[6:7]
	s_cbranch_execz .LBB178_186
; %bb.181:
	v_cmp_lt_i64_e32 vcc, 6, v[44:45]
	s_and_saveexec_b64 s[8:9], vcc
	s_xor_b64 s[8:9], exec, s[8:9]
	s_cbranch_execz .LBB178_183
; %bb.182:
	s_waitcnt lgkmcnt(13)
	v_mov_b32_e32 v0, 0
	s_waitcnt lgkmcnt(7)
	global_store_dwordx4 v0, v[28:31], s[50:51]
                                        ; implicit-def: $vgpr24_vgpr25_vgpr26_vgpr27
.LBB178_183:
	s_andn2_saveexec_b64 s[8:9], s[8:9]
	s_cbranch_execz .LBB178_185
; %bb.184:
	s_waitcnt lgkmcnt(13)
	v_mov_b32_e32 v0, 0
	s_waitcnt lgkmcnt(8)
	global_store_dwordx4 v0, v[24:27], s[50:51]
.LBB178_185:
	s_or_b64 exec, exec, s[8:9]
                                        ; implicit-def: $vgpr12_vgpr13_vgpr14_vgpr15
                                        ; implicit-def: $vgpr44_vgpr45
                                        ; implicit-def: $vgpr20_vgpr21_vgpr22_vgpr23
.LBB178_186:
	s_andn2_saveexec_b64 s[6:7], s[6:7]
	s_cbranch_execz .LBB178_192
; %bb.187:
	v_cmp_lt_i64_e32 vcc, 4, v[44:45]
	s_and_saveexec_b64 s[8:9], vcc
	s_xor_b64 s[8:9], exec, s[8:9]
	s_cbranch_execz .LBB178_189
; %bb.188:
	s_waitcnt lgkmcnt(13)
	v_mov_b32_e32 v0, 0
	s_waitcnt lgkmcnt(9)
	global_store_dwordx4 v0, v[20:23], s[50:51]
                                        ; implicit-def: $vgpr12_vgpr13_vgpr14_vgpr15
.LBB178_189:
	s_andn2_saveexec_b64 s[8:9], s[8:9]
	s_cbranch_execz .LBB178_191
; %bb.190:
	s_waitcnt lgkmcnt(13)
	v_mov_b32_e32 v0, 0
	s_waitcnt lgkmcnt(10)
	global_store_dwordx4 v0, v[12:15], s[50:51]
.LBB178_191:
	s_or_b64 exec, exec, s[8:9]
.LBB178_192:
	s_or_b64 exec, exec, s[6:7]
                                        ; implicit-def: $vgpr44_vgpr45
                                        ; implicit-def: $vgpr0_vgpr1_vgpr2_vgpr3
                                        ; implicit-def: $vgpr4_vgpr5_vgpr6_vgpr7
                                        ; implicit-def: $vgpr8_vgpr9_vgpr10_vgpr11
                                        ; implicit-def: $vgpr16_vgpr17_vgpr18_vgpr19
.LBB178_193:
	s_andn2_saveexec_b64 s[4:5], s[4:5]
	s_cbranch_execz .LBB178_205
; %bb.194:
	v_cmp_lt_i64_e32 vcc, 1, v[44:45]
	s_and_saveexec_b64 s[4:5], vcc
	s_xor_b64 s[4:5], exec, s[4:5]
	s_cbranch_execz .LBB178_200
; %bb.195:
	v_cmp_lt_i64_e32 vcc, 2, v[44:45]
	s_and_saveexec_b64 s[6:7], vcc
	s_xor_b64 s[6:7], exec, s[6:7]
	s_cbranch_execz .LBB178_197
; %bb.196:
	s_waitcnt lgkmcnt(13)
	v_mov_b32_e32 v0, 0
	s_waitcnt lgkmcnt(11)
	global_store_dwordx4 v0, v[16:19], s[50:51]
                                        ; implicit-def: $vgpr4_vgpr5_vgpr6_vgpr7
.LBB178_197:
	s_andn2_saveexec_b64 s[6:7], s[6:7]
	s_cbranch_execz .LBB178_199
; %bb.198:
	s_waitcnt lgkmcnt(13)
	v_mov_b32_e32 v0, 0
	s_waitcnt lgkmcnt(12)
	global_store_dwordx4 v0, v[4:7], s[50:51]
.LBB178_199:
	s_or_b64 exec, exec, s[6:7]
                                        ; implicit-def: $vgpr0_vgpr1_vgpr2_vgpr3
                                        ; implicit-def: $vgpr44_vgpr45
                                        ; implicit-def: $vgpr8_vgpr9_vgpr10_vgpr11
.LBB178_200:
	s_andn2_saveexec_b64 s[4:5], s[4:5]
	s_cbranch_execz .LBB178_205
; %bb.201:
	v_cmp_ne_u64_e32 vcc, 1, v[44:45]
	s_and_saveexec_b64 s[4:5], vcc
	s_xor_b64 s[4:5], exec, s[4:5]
	s_cbranch_execz .LBB178_203
; %bb.202:
	s_waitcnt lgkmcnt(13)
	v_mov_b32_e32 v0, 0
	global_store_dwordx4 v0, v[8:11], s[50:51]
                                        ; implicit-def: $vgpr0_vgpr1_vgpr2_vgpr3
.LBB178_203:
	s_andn2_saveexec_b64 s[4:5], s[4:5]
	s_cbranch_execz .LBB178_205
; %bb.204:
	s_waitcnt lgkmcnt(12)
	v_mov_b32_e32 v4, 0
	global_store_dwordx4 v4, v[0:3], s[50:51]
.LBB178_205:
	s_endpgm
	.section	.rodata,"a",@progbits
	.p2align	6, 0x0
	.amdhsa_kernel _ZN7rocprim17ROCPRIM_400000_NS6detail17trampoline_kernelINS0_14default_configENS1_20scan_config_selectorIN3c107complexIdEEEEZZNS1_9scan_implILNS1_25lookback_scan_determinismE0ELb0ELb0ES3_PKS7_PS7_S7_ZZZN2at6native31launch_logcumsumexp_cuda_kernelERKNSE_10TensorBaseESI_lENKUlvE_clEvENKUlvE1_clEvEUlS7_S7_E_S7_EEDaPvRmT3_T4_T5_mT6_P12ihipStream_tbENKUlT_T0_E_clISt17integral_constantIbLb0EESZ_EEDaSU_SV_EUlSU_E_NS1_11comp_targetILNS1_3genE4ELNS1_11target_archE910ELNS1_3gpuE8ELNS1_3repE0EEENS1_30default_config_static_selectorELNS0_4arch9wavefront6targetE1EEEvT1_
		.amdhsa_group_segment_fixed_size 15360
		.amdhsa_private_segment_fixed_size 8
		.amdhsa_kernarg_size 128
		.amdhsa_user_sgpr_count 8
		.amdhsa_user_sgpr_private_segment_buffer 1
		.amdhsa_user_sgpr_dispatch_ptr 0
		.amdhsa_user_sgpr_queue_ptr 0
		.amdhsa_user_sgpr_kernarg_segment_ptr 1
		.amdhsa_user_sgpr_dispatch_id 0
		.amdhsa_user_sgpr_flat_scratch_init 1
		.amdhsa_user_sgpr_kernarg_preload_length 0
		.amdhsa_user_sgpr_kernarg_preload_offset 0
		.amdhsa_user_sgpr_private_segment_size 0
		.amdhsa_uses_dynamic_stack 0
		.amdhsa_system_sgpr_private_segment_wavefront_offset 1
		.amdhsa_system_sgpr_workgroup_id_x 1
		.amdhsa_system_sgpr_workgroup_id_y 0
		.amdhsa_system_sgpr_workgroup_id_z 0
		.amdhsa_system_sgpr_workgroup_info 0
		.amdhsa_system_vgpr_workitem_id 0
		.amdhsa_next_free_vgpr 171
		.amdhsa_next_free_sgpr 65
		.amdhsa_accum_offset 172
		.amdhsa_reserve_vcc 1
		.amdhsa_reserve_flat_scratch 1
		.amdhsa_float_round_mode_32 0
		.amdhsa_float_round_mode_16_64 0
		.amdhsa_float_denorm_mode_32 3
		.amdhsa_float_denorm_mode_16_64 3
		.amdhsa_dx10_clamp 1
		.amdhsa_ieee_mode 1
		.amdhsa_fp16_overflow 0
		.amdhsa_tg_split 0
		.amdhsa_exception_fp_ieee_invalid_op 0
		.amdhsa_exception_fp_denorm_src 0
		.amdhsa_exception_fp_ieee_div_zero 0
		.amdhsa_exception_fp_ieee_overflow 0
		.amdhsa_exception_fp_ieee_underflow 0
		.amdhsa_exception_fp_ieee_inexact 0
		.amdhsa_exception_int_div_zero 0
	.end_amdhsa_kernel
	.section	.text._ZN7rocprim17ROCPRIM_400000_NS6detail17trampoline_kernelINS0_14default_configENS1_20scan_config_selectorIN3c107complexIdEEEEZZNS1_9scan_implILNS1_25lookback_scan_determinismE0ELb0ELb0ES3_PKS7_PS7_S7_ZZZN2at6native31launch_logcumsumexp_cuda_kernelERKNSE_10TensorBaseESI_lENKUlvE_clEvENKUlvE1_clEvEUlS7_S7_E_S7_EEDaPvRmT3_T4_T5_mT6_P12ihipStream_tbENKUlT_T0_E_clISt17integral_constantIbLb0EESZ_EEDaSU_SV_EUlSU_E_NS1_11comp_targetILNS1_3genE4ELNS1_11target_archE910ELNS1_3gpuE8ELNS1_3repE0EEENS1_30default_config_static_selectorELNS0_4arch9wavefront6targetE1EEEvT1_,"axG",@progbits,_ZN7rocprim17ROCPRIM_400000_NS6detail17trampoline_kernelINS0_14default_configENS1_20scan_config_selectorIN3c107complexIdEEEEZZNS1_9scan_implILNS1_25lookback_scan_determinismE0ELb0ELb0ES3_PKS7_PS7_S7_ZZZN2at6native31launch_logcumsumexp_cuda_kernelERKNSE_10TensorBaseESI_lENKUlvE_clEvENKUlvE1_clEvEUlS7_S7_E_S7_EEDaPvRmT3_T4_T5_mT6_P12ihipStream_tbENKUlT_T0_E_clISt17integral_constantIbLb0EESZ_EEDaSU_SV_EUlSU_E_NS1_11comp_targetILNS1_3genE4ELNS1_11target_archE910ELNS1_3gpuE8ELNS1_3repE0EEENS1_30default_config_static_selectorELNS0_4arch9wavefront6targetE1EEEvT1_,comdat
.Lfunc_end178:
	.size	_ZN7rocprim17ROCPRIM_400000_NS6detail17trampoline_kernelINS0_14default_configENS1_20scan_config_selectorIN3c107complexIdEEEEZZNS1_9scan_implILNS1_25lookback_scan_determinismE0ELb0ELb0ES3_PKS7_PS7_S7_ZZZN2at6native31launch_logcumsumexp_cuda_kernelERKNSE_10TensorBaseESI_lENKUlvE_clEvENKUlvE1_clEvEUlS7_S7_E_S7_EEDaPvRmT3_T4_T5_mT6_P12ihipStream_tbENKUlT_T0_E_clISt17integral_constantIbLb0EESZ_EEDaSU_SV_EUlSU_E_NS1_11comp_targetILNS1_3genE4ELNS1_11target_archE910ELNS1_3gpuE8ELNS1_3repE0EEENS1_30default_config_static_selectorELNS0_4arch9wavefront6targetE1EEEvT1_, .Lfunc_end178-_ZN7rocprim17ROCPRIM_400000_NS6detail17trampoline_kernelINS0_14default_configENS1_20scan_config_selectorIN3c107complexIdEEEEZZNS1_9scan_implILNS1_25lookback_scan_determinismE0ELb0ELb0ES3_PKS7_PS7_S7_ZZZN2at6native31launch_logcumsumexp_cuda_kernelERKNSE_10TensorBaseESI_lENKUlvE_clEvENKUlvE1_clEvEUlS7_S7_E_S7_EEDaPvRmT3_T4_T5_mT6_P12ihipStream_tbENKUlT_T0_E_clISt17integral_constantIbLb0EESZ_EEDaSU_SV_EUlSU_E_NS1_11comp_targetILNS1_3genE4ELNS1_11target_archE910ELNS1_3gpuE8ELNS1_3repE0EEENS1_30default_config_static_selectorELNS0_4arch9wavefront6targetE1EEEvT1_
                                        ; -- End function
	.section	.AMDGPU.csdata,"",@progbits
; Kernel info:
; codeLenInByte = 9960
; NumSgprs: 71
; NumVgprs: 171
; NumAgprs: 0
; TotalNumVgprs: 171
; ScratchSize: 8
; MemoryBound: 1
; FloatMode: 240
; IeeeMode: 1
; LDSByteSize: 15360 bytes/workgroup (compile time only)
; SGPRBlocks: 8
; VGPRBlocks: 21
; NumSGPRsForWavesPerEU: 71
; NumVGPRsForWavesPerEU: 171
; AccumOffset: 172
; Occupancy: 1
; WaveLimiterHint : 1
; COMPUTE_PGM_RSRC2:SCRATCH_EN: 1
; COMPUTE_PGM_RSRC2:USER_SGPR: 8
; COMPUTE_PGM_RSRC2:TRAP_HANDLER: 0
; COMPUTE_PGM_RSRC2:TGID_X_EN: 1
; COMPUTE_PGM_RSRC2:TGID_Y_EN: 0
; COMPUTE_PGM_RSRC2:TGID_Z_EN: 0
; COMPUTE_PGM_RSRC2:TIDIG_COMP_CNT: 0
; COMPUTE_PGM_RSRC3_GFX90A:ACCUM_OFFSET: 42
; COMPUTE_PGM_RSRC3_GFX90A:TG_SPLIT: 0
	.section	.text._ZN7rocprim17ROCPRIM_400000_NS6detail17trampoline_kernelINS0_14default_configENS1_20scan_config_selectorIN3c107complexIdEEEEZZNS1_9scan_implILNS1_25lookback_scan_determinismE0ELb0ELb0ES3_PKS7_PS7_S7_ZZZN2at6native31launch_logcumsumexp_cuda_kernelERKNSE_10TensorBaseESI_lENKUlvE_clEvENKUlvE1_clEvEUlS7_S7_E_S7_EEDaPvRmT3_T4_T5_mT6_P12ihipStream_tbENKUlT_T0_E_clISt17integral_constantIbLb0EESZ_EEDaSU_SV_EUlSU_E_NS1_11comp_targetILNS1_3genE3ELNS1_11target_archE908ELNS1_3gpuE7ELNS1_3repE0EEENS1_30default_config_static_selectorELNS0_4arch9wavefront6targetE1EEEvT1_,"axG",@progbits,_ZN7rocprim17ROCPRIM_400000_NS6detail17trampoline_kernelINS0_14default_configENS1_20scan_config_selectorIN3c107complexIdEEEEZZNS1_9scan_implILNS1_25lookback_scan_determinismE0ELb0ELb0ES3_PKS7_PS7_S7_ZZZN2at6native31launch_logcumsumexp_cuda_kernelERKNSE_10TensorBaseESI_lENKUlvE_clEvENKUlvE1_clEvEUlS7_S7_E_S7_EEDaPvRmT3_T4_T5_mT6_P12ihipStream_tbENKUlT_T0_E_clISt17integral_constantIbLb0EESZ_EEDaSU_SV_EUlSU_E_NS1_11comp_targetILNS1_3genE3ELNS1_11target_archE908ELNS1_3gpuE7ELNS1_3repE0EEENS1_30default_config_static_selectorELNS0_4arch9wavefront6targetE1EEEvT1_,comdat
	.globl	_ZN7rocprim17ROCPRIM_400000_NS6detail17trampoline_kernelINS0_14default_configENS1_20scan_config_selectorIN3c107complexIdEEEEZZNS1_9scan_implILNS1_25lookback_scan_determinismE0ELb0ELb0ES3_PKS7_PS7_S7_ZZZN2at6native31launch_logcumsumexp_cuda_kernelERKNSE_10TensorBaseESI_lENKUlvE_clEvENKUlvE1_clEvEUlS7_S7_E_S7_EEDaPvRmT3_T4_T5_mT6_P12ihipStream_tbENKUlT_T0_E_clISt17integral_constantIbLb0EESZ_EEDaSU_SV_EUlSU_E_NS1_11comp_targetILNS1_3genE3ELNS1_11target_archE908ELNS1_3gpuE7ELNS1_3repE0EEENS1_30default_config_static_selectorELNS0_4arch9wavefront6targetE1EEEvT1_ ; -- Begin function _ZN7rocprim17ROCPRIM_400000_NS6detail17trampoline_kernelINS0_14default_configENS1_20scan_config_selectorIN3c107complexIdEEEEZZNS1_9scan_implILNS1_25lookback_scan_determinismE0ELb0ELb0ES3_PKS7_PS7_S7_ZZZN2at6native31launch_logcumsumexp_cuda_kernelERKNSE_10TensorBaseESI_lENKUlvE_clEvENKUlvE1_clEvEUlS7_S7_E_S7_EEDaPvRmT3_T4_T5_mT6_P12ihipStream_tbENKUlT_T0_E_clISt17integral_constantIbLb0EESZ_EEDaSU_SV_EUlSU_E_NS1_11comp_targetILNS1_3genE3ELNS1_11target_archE908ELNS1_3gpuE7ELNS1_3repE0EEENS1_30default_config_static_selectorELNS0_4arch9wavefront6targetE1EEEvT1_
	.p2align	8
	.type	_ZN7rocprim17ROCPRIM_400000_NS6detail17trampoline_kernelINS0_14default_configENS1_20scan_config_selectorIN3c107complexIdEEEEZZNS1_9scan_implILNS1_25lookback_scan_determinismE0ELb0ELb0ES3_PKS7_PS7_S7_ZZZN2at6native31launch_logcumsumexp_cuda_kernelERKNSE_10TensorBaseESI_lENKUlvE_clEvENKUlvE1_clEvEUlS7_S7_E_S7_EEDaPvRmT3_T4_T5_mT6_P12ihipStream_tbENKUlT_T0_E_clISt17integral_constantIbLb0EESZ_EEDaSU_SV_EUlSU_E_NS1_11comp_targetILNS1_3genE3ELNS1_11target_archE908ELNS1_3gpuE7ELNS1_3repE0EEENS1_30default_config_static_selectorELNS0_4arch9wavefront6targetE1EEEvT1_,@function
_ZN7rocprim17ROCPRIM_400000_NS6detail17trampoline_kernelINS0_14default_configENS1_20scan_config_selectorIN3c107complexIdEEEEZZNS1_9scan_implILNS1_25lookback_scan_determinismE0ELb0ELb0ES3_PKS7_PS7_S7_ZZZN2at6native31launch_logcumsumexp_cuda_kernelERKNSE_10TensorBaseESI_lENKUlvE_clEvENKUlvE1_clEvEUlS7_S7_E_S7_EEDaPvRmT3_T4_T5_mT6_P12ihipStream_tbENKUlT_T0_E_clISt17integral_constantIbLb0EESZ_EEDaSU_SV_EUlSU_E_NS1_11comp_targetILNS1_3genE3ELNS1_11target_archE908ELNS1_3gpuE7ELNS1_3repE0EEENS1_30default_config_static_selectorELNS0_4arch9wavefront6targetE1EEEvT1_: ; @_ZN7rocprim17ROCPRIM_400000_NS6detail17trampoline_kernelINS0_14default_configENS1_20scan_config_selectorIN3c107complexIdEEEEZZNS1_9scan_implILNS1_25lookback_scan_determinismE0ELb0ELb0ES3_PKS7_PS7_S7_ZZZN2at6native31launch_logcumsumexp_cuda_kernelERKNSE_10TensorBaseESI_lENKUlvE_clEvENKUlvE1_clEvEUlS7_S7_E_S7_EEDaPvRmT3_T4_T5_mT6_P12ihipStream_tbENKUlT_T0_E_clISt17integral_constantIbLb0EESZ_EEDaSU_SV_EUlSU_E_NS1_11comp_targetILNS1_3genE3ELNS1_11target_archE908ELNS1_3gpuE7ELNS1_3repE0EEENS1_30default_config_static_selectorELNS0_4arch9wavefront6targetE1EEEvT1_
; %bb.0:
	.section	.rodata,"a",@progbits
	.p2align	6, 0x0
	.amdhsa_kernel _ZN7rocprim17ROCPRIM_400000_NS6detail17trampoline_kernelINS0_14default_configENS1_20scan_config_selectorIN3c107complexIdEEEEZZNS1_9scan_implILNS1_25lookback_scan_determinismE0ELb0ELb0ES3_PKS7_PS7_S7_ZZZN2at6native31launch_logcumsumexp_cuda_kernelERKNSE_10TensorBaseESI_lENKUlvE_clEvENKUlvE1_clEvEUlS7_S7_E_S7_EEDaPvRmT3_T4_T5_mT6_P12ihipStream_tbENKUlT_T0_E_clISt17integral_constantIbLb0EESZ_EEDaSU_SV_EUlSU_E_NS1_11comp_targetILNS1_3genE3ELNS1_11target_archE908ELNS1_3gpuE7ELNS1_3repE0EEENS1_30default_config_static_selectorELNS0_4arch9wavefront6targetE1EEEvT1_
		.amdhsa_group_segment_fixed_size 0
		.amdhsa_private_segment_fixed_size 0
		.amdhsa_kernarg_size 128
		.amdhsa_user_sgpr_count 6
		.amdhsa_user_sgpr_private_segment_buffer 1
		.amdhsa_user_sgpr_dispatch_ptr 0
		.amdhsa_user_sgpr_queue_ptr 0
		.amdhsa_user_sgpr_kernarg_segment_ptr 1
		.amdhsa_user_sgpr_dispatch_id 0
		.amdhsa_user_sgpr_flat_scratch_init 0
		.amdhsa_user_sgpr_kernarg_preload_length 0
		.amdhsa_user_sgpr_kernarg_preload_offset 0
		.amdhsa_user_sgpr_private_segment_size 0
		.amdhsa_uses_dynamic_stack 0
		.amdhsa_system_sgpr_private_segment_wavefront_offset 0
		.amdhsa_system_sgpr_workgroup_id_x 1
		.amdhsa_system_sgpr_workgroup_id_y 0
		.amdhsa_system_sgpr_workgroup_id_z 0
		.amdhsa_system_sgpr_workgroup_info 0
		.amdhsa_system_vgpr_workitem_id 0
		.amdhsa_next_free_vgpr 1
		.amdhsa_next_free_sgpr 0
		.amdhsa_accum_offset 4
		.amdhsa_reserve_vcc 0
		.amdhsa_reserve_flat_scratch 0
		.amdhsa_float_round_mode_32 0
		.amdhsa_float_round_mode_16_64 0
		.amdhsa_float_denorm_mode_32 3
		.amdhsa_float_denorm_mode_16_64 3
		.amdhsa_dx10_clamp 1
		.amdhsa_ieee_mode 1
		.amdhsa_fp16_overflow 0
		.amdhsa_tg_split 0
		.amdhsa_exception_fp_ieee_invalid_op 0
		.amdhsa_exception_fp_denorm_src 0
		.amdhsa_exception_fp_ieee_div_zero 0
		.amdhsa_exception_fp_ieee_overflow 0
		.amdhsa_exception_fp_ieee_underflow 0
		.amdhsa_exception_fp_ieee_inexact 0
		.amdhsa_exception_int_div_zero 0
	.end_amdhsa_kernel
	.section	.text._ZN7rocprim17ROCPRIM_400000_NS6detail17trampoline_kernelINS0_14default_configENS1_20scan_config_selectorIN3c107complexIdEEEEZZNS1_9scan_implILNS1_25lookback_scan_determinismE0ELb0ELb0ES3_PKS7_PS7_S7_ZZZN2at6native31launch_logcumsumexp_cuda_kernelERKNSE_10TensorBaseESI_lENKUlvE_clEvENKUlvE1_clEvEUlS7_S7_E_S7_EEDaPvRmT3_T4_T5_mT6_P12ihipStream_tbENKUlT_T0_E_clISt17integral_constantIbLb0EESZ_EEDaSU_SV_EUlSU_E_NS1_11comp_targetILNS1_3genE3ELNS1_11target_archE908ELNS1_3gpuE7ELNS1_3repE0EEENS1_30default_config_static_selectorELNS0_4arch9wavefront6targetE1EEEvT1_,"axG",@progbits,_ZN7rocprim17ROCPRIM_400000_NS6detail17trampoline_kernelINS0_14default_configENS1_20scan_config_selectorIN3c107complexIdEEEEZZNS1_9scan_implILNS1_25lookback_scan_determinismE0ELb0ELb0ES3_PKS7_PS7_S7_ZZZN2at6native31launch_logcumsumexp_cuda_kernelERKNSE_10TensorBaseESI_lENKUlvE_clEvENKUlvE1_clEvEUlS7_S7_E_S7_EEDaPvRmT3_T4_T5_mT6_P12ihipStream_tbENKUlT_T0_E_clISt17integral_constantIbLb0EESZ_EEDaSU_SV_EUlSU_E_NS1_11comp_targetILNS1_3genE3ELNS1_11target_archE908ELNS1_3gpuE7ELNS1_3repE0EEENS1_30default_config_static_selectorELNS0_4arch9wavefront6targetE1EEEvT1_,comdat
.Lfunc_end179:
	.size	_ZN7rocprim17ROCPRIM_400000_NS6detail17trampoline_kernelINS0_14default_configENS1_20scan_config_selectorIN3c107complexIdEEEEZZNS1_9scan_implILNS1_25lookback_scan_determinismE0ELb0ELb0ES3_PKS7_PS7_S7_ZZZN2at6native31launch_logcumsumexp_cuda_kernelERKNSE_10TensorBaseESI_lENKUlvE_clEvENKUlvE1_clEvEUlS7_S7_E_S7_EEDaPvRmT3_T4_T5_mT6_P12ihipStream_tbENKUlT_T0_E_clISt17integral_constantIbLb0EESZ_EEDaSU_SV_EUlSU_E_NS1_11comp_targetILNS1_3genE3ELNS1_11target_archE908ELNS1_3gpuE7ELNS1_3repE0EEENS1_30default_config_static_selectorELNS0_4arch9wavefront6targetE1EEEvT1_, .Lfunc_end179-_ZN7rocprim17ROCPRIM_400000_NS6detail17trampoline_kernelINS0_14default_configENS1_20scan_config_selectorIN3c107complexIdEEEEZZNS1_9scan_implILNS1_25lookback_scan_determinismE0ELb0ELb0ES3_PKS7_PS7_S7_ZZZN2at6native31launch_logcumsumexp_cuda_kernelERKNSE_10TensorBaseESI_lENKUlvE_clEvENKUlvE1_clEvEUlS7_S7_E_S7_EEDaPvRmT3_T4_T5_mT6_P12ihipStream_tbENKUlT_T0_E_clISt17integral_constantIbLb0EESZ_EEDaSU_SV_EUlSU_E_NS1_11comp_targetILNS1_3genE3ELNS1_11target_archE908ELNS1_3gpuE7ELNS1_3repE0EEENS1_30default_config_static_selectorELNS0_4arch9wavefront6targetE1EEEvT1_
                                        ; -- End function
	.section	.AMDGPU.csdata,"",@progbits
; Kernel info:
; codeLenInByte = 0
; NumSgprs: 4
; NumVgprs: 0
; NumAgprs: 0
; TotalNumVgprs: 0
; ScratchSize: 0
; MemoryBound: 0
; FloatMode: 240
; IeeeMode: 1
; LDSByteSize: 0 bytes/workgroup (compile time only)
; SGPRBlocks: 0
; VGPRBlocks: 0
; NumSGPRsForWavesPerEU: 4
; NumVGPRsForWavesPerEU: 1
; AccumOffset: 4
; Occupancy: 8
; WaveLimiterHint : 0
; COMPUTE_PGM_RSRC2:SCRATCH_EN: 0
; COMPUTE_PGM_RSRC2:USER_SGPR: 6
; COMPUTE_PGM_RSRC2:TRAP_HANDLER: 0
; COMPUTE_PGM_RSRC2:TGID_X_EN: 1
; COMPUTE_PGM_RSRC2:TGID_Y_EN: 0
; COMPUTE_PGM_RSRC2:TGID_Z_EN: 0
; COMPUTE_PGM_RSRC2:TIDIG_COMP_CNT: 0
; COMPUTE_PGM_RSRC3_GFX90A:ACCUM_OFFSET: 0
; COMPUTE_PGM_RSRC3_GFX90A:TG_SPLIT: 0
	.section	.text._ZN7rocprim17ROCPRIM_400000_NS6detail17trampoline_kernelINS0_14default_configENS1_20scan_config_selectorIN3c107complexIdEEEEZZNS1_9scan_implILNS1_25lookback_scan_determinismE0ELb0ELb0ES3_PKS7_PS7_S7_ZZZN2at6native31launch_logcumsumexp_cuda_kernelERKNSE_10TensorBaseESI_lENKUlvE_clEvENKUlvE1_clEvEUlS7_S7_E_S7_EEDaPvRmT3_T4_T5_mT6_P12ihipStream_tbENKUlT_T0_E_clISt17integral_constantIbLb0EESZ_EEDaSU_SV_EUlSU_E_NS1_11comp_targetILNS1_3genE2ELNS1_11target_archE906ELNS1_3gpuE6ELNS1_3repE0EEENS1_30default_config_static_selectorELNS0_4arch9wavefront6targetE1EEEvT1_,"axG",@progbits,_ZN7rocprim17ROCPRIM_400000_NS6detail17trampoline_kernelINS0_14default_configENS1_20scan_config_selectorIN3c107complexIdEEEEZZNS1_9scan_implILNS1_25lookback_scan_determinismE0ELb0ELb0ES3_PKS7_PS7_S7_ZZZN2at6native31launch_logcumsumexp_cuda_kernelERKNSE_10TensorBaseESI_lENKUlvE_clEvENKUlvE1_clEvEUlS7_S7_E_S7_EEDaPvRmT3_T4_T5_mT6_P12ihipStream_tbENKUlT_T0_E_clISt17integral_constantIbLb0EESZ_EEDaSU_SV_EUlSU_E_NS1_11comp_targetILNS1_3genE2ELNS1_11target_archE906ELNS1_3gpuE6ELNS1_3repE0EEENS1_30default_config_static_selectorELNS0_4arch9wavefront6targetE1EEEvT1_,comdat
	.globl	_ZN7rocprim17ROCPRIM_400000_NS6detail17trampoline_kernelINS0_14default_configENS1_20scan_config_selectorIN3c107complexIdEEEEZZNS1_9scan_implILNS1_25lookback_scan_determinismE0ELb0ELb0ES3_PKS7_PS7_S7_ZZZN2at6native31launch_logcumsumexp_cuda_kernelERKNSE_10TensorBaseESI_lENKUlvE_clEvENKUlvE1_clEvEUlS7_S7_E_S7_EEDaPvRmT3_T4_T5_mT6_P12ihipStream_tbENKUlT_T0_E_clISt17integral_constantIbLb0EESZ_EEDaSU_SV_EUlSU_E_NS1_11comp_targetILNS1_3genE2ELNS1_11target_archE906ELNS1_3gpuE6ELNS1_3repE0EEENS1_30default_config_static_selectorELNS0_4arch9wavefront6targetE1EEEvT1_ ; -- Begin function _ZN7rocprim17ROCPRIM_400000_NS6detail17trampoline_kernelINS0_14default_configENS1_20scan_config_selectorIN3c107complexIdEEEEZZNS1_9scan_implILNS1_25lookback_scan_determinismE0ELb0ELb0ES3_PKS7_PS7_S7_ZZZN2at6native31launch_logcumsumexp_cuda_kernelERKNSE_10TensorBaseESI_lENKUlvE_clEvENKUlvE1_clEvEUlS7_S7_E_S7_EEDaPvRmT3_T4_T5_mT6_P12ihipStream_tbENKUlT_T0_E_clISt17integral_constantIbLb0EESZ_EEDaSU_SV_EUlSU_E_NS1_11comp_targetILNS1_3genE2ELNS1_11target_archE906ELNS1_3gpuE6ELNS1_3repE0EEENS1_30default_config_static_selectorELNS0_4arch9wavefront6targetE1EEEvT1_
	.p2align	8
	.type	_ZN7rocprim17ROCPRIM_400000_NS6detail17trampoline_kernelINS0_14default_configENS1_20scan_config_selectorIN3c107complexIdEEEEZZNS1_9scan_implILNS1_25lookback_scan_determinismE0ELb0ELb0ES3_PKS7_PS7_S7_ZZZN2at6native31launch_logcumsumexp_cuda_kernelERKNSE_10TensorBaseESI_lENKUlvE_clEvENKUlvE1_clEvEUlS7_S7_E_S7_EEDaPvRmT3_T4_T5_mT6_P12ihipStream_tbENKUlT_T0_E_clISt17integral_constantIbLb0EESZ_EEDaSU_SV_EUlSU_E_NS1_11comp_targetILNS1_3genE2ELNS1_11target_archE906ELNS1_3gpuE6ELNS1_3repE0EEENS1_30default_config_static_selectorELNS0_4arch9wavefront6targetE1EEEvT1_,@function
_ZN7rocprim17ROCPRIM_400000_NS6detail17trampoline_kernelINS0_14default_configENS1_20scan_config_selectorIN3c107complexIdEEEEZZNS1_9scan_implILNS1_25lookback_scan_determinismE0ELb0ELb0ES3_PKS7_PS7_S7_ZZZN2at6native31launch_logcumsumexp_cuda_kernelERKNSE_10TensorBaseESI_lENKUlvE_clEvENKUlvE1_clEvEUlS7_S7_E_S7_EEDaPvRmT3_T4_T5_mT6_P12ihipStream_tbENKUlT_T0_E_clISt17integral_constantIbLb0EESZ_EEDaSU_SV_EUlSU_E_NS1_11comp_targetILNS1_3genE2ELNS1_11target_archE906ELNS1_3gpuE6ELNS1_3repE0EEENS1_30default_config_static_selectorELNS0_4arch9wavefront6targetE1EEEvT1_: ; @_ZN7rocprim17ROCPRIM_400000_NS6detail17trampoline_kernelINS0_14default_configENS1_20scan_config_selectorIN3c107complexIdEEEEZZNS1_9scan_implILNS1_25lookback_scan_determinismE0ELb0ELb0ES3_PKS7_PS7_S7_ZZZN2at6native31launch_logcumsumexp_cuda_kernelERKNSE_10TensorBaseESI_lENKUlvE_clEvENKUlvE1_clEvEUlS7_S7_E_S7_EEDaPvRmT3_T4_T5_mT6_P12ihipStream_tbENKUlT_T0_E_clISt17integral_constantIbLb0EESZ_EEDaSU_SV_EUlSU_E_NS1_11comp_targetILNS1_3genE2ELNS1_11target_archE906ELNS1_3gpuE6ELNS1_3repE0EEENS1_30default_config_static_selectorELNS0_4arch9wavefront6targetE1EEEvT1_
; %bb.0:
	.section	.rodata,"a",@progbits
	.p2align	6, 0x0
	.amdhsa_kernel _ZN7rocprim17ROCPRIM_400000_NS6detail17trampoline_kernelINS0_14default_configENS1_20scan_config_selectorIN3c107complexIdEEEEZZNS1_9scan_implILNS1_25lookback_scan_determinismE0ELb0ELb0ES3_PKS7_PS7_S7_ZZZN2at6native31launch_logcumsumexp_cuda_kernelERKNSE_10TensorBaseESI_lENKUlvE_clEvENKUlvE1_clEvEUlS7_S7_E_S7_EEDaPvRmT3_T4_T5_mT6_P12ihipStream_tbENKUlT_T0_E_clISt17integral_constantIbLb0EESZ_EEDaSU_SV_EUlSU_E_NS1_11comp_targetILNS1_3genE2ELNS1_11target_archE906ELNS1_3gpuE6ELNS1_3repE0EEENS1_30default_config_static_selectorELNS0_4arch9wavefront6targetE1EEEvT1_
		.amdhsa_group_segment_fixed_size 0
		.amdhsa_private_segment_fixed_size 0
		.amdhsa_kernarg_size 128
		.amdhsa_user_sgpr_count 6
		.amdhsa_user_sgpr_private_segment_buffer 1
		.amdhsa_user_sgpr_dispatch_ptr 0
		.amdhsa_user_sgpr_queue_ptr 0
		.amdhsa_user_sgpr_kernarg_segment_ptr 1
		.amdhsa_user_sgpr_dispatch_id 0
		.amdhsa_user_sgpr_flat_scratch_init 0
		.amdhsa_user_sgpr_kernarg_preload_length 0
		.amdhsa_user_sgpr_kernarg_preload_offset 0
		.amdhsa_user_sgpr_private_segment_size 0
		.amdhsa_uses_dynamic_stack 0
		.amdhsa_system_sgpr_private_segment_wavefront_offset 0
		.amdhsa_system_sgpr_workgroup_id_x 1
		.amdhsa_system_sgpr_workgroup_id_y 0
		.amdhsa_system_sgpr_workgroup_id_z 0
		.amdhsa_system_sgpr_workgroup_info 0
		.amdhsa_system_vgpr_workitem_id 0
		.amdhsa_next_free_vgpr 1
		.amdhsa_next_free_sgpr 0
		.amdhsa_accum_offset 4
		.amdhsa_reserve_vcc 0
		.amdhsa_reserve_flat_scratch 0
		.amdhsa_float_round_mode_32 0
		.amdhsa_float_round_mode_16_64 0
		.amdhsa_float_denorm_mode_32 3
		.amdhsa_float_denorm_mode_16_64 3
		.amdhsa_dx10_clamp 1
		.amdhsa_ieee_mode 1
		.amdhsa_fp16_overflow 0
		.amdhsa_tg_split 0
		.amdhsa_exception_fp_ieee_invalid_op 0
		.amdhsa_exception_fp_denorm_src 0
		.amdhsa_exception_fp_ieee_div_zero 0
		.amdhsa_exception_fp_ieee_overflow 0
		.amdhsa_exception_fp_ieee_underflow 0
		.amdhsa_exception_fp_ieee_inexact 0
		.amdhsa_exception_int_div_zero 0
	.end_amdhsa_kernel
	.section	.text._ZN7rocprim17ROCPRIM_400000_NS6detail17trampoline_kernelINS0_14default_configENS1_20scan_config_selectorIN3c107complexIdEEEEZZNS1_9scan_implILNS1_25lookback_scan_determinismE0ELb0ELb0ES3_PKS7_PS7_S7_ZZZN2at6native31launch_logcumsumexp_cuda_kernelERKNSE_10TensorBaseESI_lENKUlvE_clEvENKUlvE1_clEvEUlS7_S7_E_S7_EEDaPvRmT3_T4_T5_mT6_P12ihipStream_tbENKUlT_T0_E_clISt17integral_constantIbLb0EESZ_EEDaSU_SV_EUlSU_E_NS1_11comp_targetILNS1_3genE2ELNS1_11target_archE906ELNS1_3gpuE6ELNS1_3repE0EEENS1_30default_config_static_selectorELNS0_4arch9wavefront6targetE1EEEvT1_,"axG",@progbits,_ZN7rocprim17ROCPRIM_400000_NS6detail17trampoline_kernelINS0_14default_configENS1_20scan_config_selectorIN3c107complexIdEEEEZZNS1_9scan_implILNS1_25lookback_scan_determinismE0ELb0ELb0ES3_PKS7_PS7_S7_ZZZN2at6native31launch_logcumsumexp_cuda_kernelERKNSE_10TensorBaseESI_lENKUlvE_clEvENKUlvE1_clEvEUlS7_S7_E_S7_EEDaPvRmT3_T4_T5_mT6_P12ihipStream_tbENKUlT_T0_E_clISt17integral_constantIbLb0EESZ_EEDaSU_SV_EUlSU_E_NS1_11comp_targetILNS1_3genE2ELNS1_11target_archE906ELNS1_3gpuE6ELNS1_3repE0EEENS1_30default_config_static_selectorELNS0_4arch9wavefront6targetE1EEEvT1_,comdat
.Lfunc_end180:
	.size	_ZN7rocprim17ROCPRIM_400000_NS6detail17trampoline_kernelINS0_14default_configENS1_20scan_config_selectorIN3c107complexIdEEEEZZNS1_9scan_implILNS1_25lookback_scan_determinismE0ELb0ELb0ES3_PKS7_PS7_S7_ZZZN2at6native31launch_logcumsumexp_cuda_kernelERKNSE_10TensorBaseESI_lENKUlvE_clEvENKUlvE1_clEvEUlS7_S7_E_S7_EEDaPvRmT3_T4_T5_mT6_P12ihipStream_tbENKUlT_T0_E_clISt17integral_constantIbLb0EESZ_EEDaSU_SV_EUlSU_E_NS1_11comp_targetILNS1_3genE2ELNS1_11target_archE906ELNS1_3gpuE6ELNS1_3repE0EEENS1_30default_config_static_selectorELNS0_4arch9wavefront6targetE1EEEvT1_, .Lfunc_end180-_ZN7rocprim17ROCPRIM_400000_NS6detail17trampoline_kernelINS0_14default_configENS1_20scan_config_selectorIN3c107complexIdEEEEZZNS1_9scan_implILNS1_25lookback_scan_determinismE0ELb0ELb0ES3_PKS7_PS7_S7_ZZZN2at6native31launch_logcumsumexp_cuda_kernelERKNSE_10TensorBaseESI_lENKUlvE_clEvENKUlvE1_clEvEUlS7_S7_E_S7_EEDaPvRmT3_T4_T5_mT6_P12ihipStream_tbENKUlT_T0_E_clISt17integral_constantIbLb0EESZ_EEDaSU_SV_EUlSU_E_NS1_11comp_targetILNS1_3genE2ELNS1_11target_archE906ELNS1_3gpuE6ELNS1_3repE0EEENS1_30default_config_static_selectorELNS0_4arch9wavefront6targetE1EEEvT1_
                                        ; -- End function
	.section	.AMDGPU.csdata,"",@progbits
; Kernel info:
; codeLenInByte = 0
; NumSgprs: 4
; NumVgprs: 0
; NumAgprs: 0
; TotalNumVgprs: 0
; ScratchSize: 0
; MemoryBound: 0
; FloatMode: 240
; IeeeMode: 1
; LDSByteSize: 0 bytes/workgroup (compile time only)
; SGPRBlocks: 0
; VGPRBlocks: 0
; NumSGPRsForWavesPerEU: 4
; NumVGPRsForWavesPerEU: 1
; AccumOffset: 4
; Occupancy: 8
; WaveLimiterHint : 0
; COMPUTE_PGM_RSRC2:SCRATCH_EN: 0
; COMPUTE_PGM_RSRC2:USER_SGPR: 6
; COMPUTE_PGM_RSRC2:TRAP_HANDLER: 0
; COMPUTE_PGM_RSRC2:TGID_X_EN: 1
; COMPUTE_PGM_RSRC2:TGID_Y_EN: 0
; COMPUTE_PGM_RSRC2:TGID_Z_EN: 0
; COMPUTE_PGM_RSRC2:TIDIG_COMP_CNT: 0
; COMPUTE_PGM_RSRC3_GFX90A:ACCUM_OFFSET: 0
; COMPUTE_PGM_RSRC3_GFX90A:TG_SPLIT: 0
	.section	.text._ZN7rocprim17ROCPRIM_400000_NS6detail17trampoline_kernelINS0_14default_configENS1_20scan_config_selectorIN3c107complexIdEEEEZZNS1_9scan_implILNS1_25lookback_scan_determinismE0ELb0ELb0ES3_PKS7_PS7_S7_ZZZN2at6native31launch_logcumsumexp_cuda_kernelERKNSE_10TensorBaseESI_lENKUlvE_clEvENKUlvE1_clEvEUlS7_S7_E_S7_EEDaPvRmT3_T4_T5_mT6_P12ihipStream_tbENKUlT_T0_E_clISt17integral_constantIbLb0EESZ_EEDaSU_SV_EUlSU_E_NS1_11comp_targetILNS1_3genE10ELNS1_11target_archE1201ELNS1_3gpuE5ELNS1_3repE0EEENS1_30default_config_static_selectorELNS0_4arch9wavefront6targetE1EEEvT1_,"axG",@progbits,_ZN7rocprim17ROCPRIM_400000_NS6detail17trampoline_kernelINS0_14default_configENS1_20scan_config_selectorIN3c107complexIdEEEEZZNS1_9scan_implILNS1_25lookback_scan_determinismE0ELb0ELb0ES3_PKS7_PS7_S7_ZZZN2at6native31launch_logcumsumexp_cuda_kernelERKNSE_10TensorBaseESI_lENKUlvE_clEvENKUlvE1_clEvEUlS7_S7_E_S7_EEDaPvRmT3_T4_T5_mT6_P12ihipStream_tbENKUlT_T0_E_clISt17integral_constantIbLb0EESZ_EEDaSU_SV_EUlSU_E_NS1_11comp_targetILNS1_3genE10ELNS1_11target_archE1201ELNS1_3gpuE5ELNS1_3repE0EEENS1_30default_config_static_selectorELNS0_4arch9wavefront6targetE1EEEvT1_,comdat
	.globl	_ZN7rocprim17ROCPRIM_400000_NS6detail17trampoline_kernelINS0_14default_configENS1_20scan_config_selectorIN3c107complexIdEEEEZZNS1_9scan_implILNS1_25lookback_scan_determinismE0ELb0ELb0ES3_PKS7_PS7_S7_ZZZN2at6native31launch_logcumsumexp_cuda_kernelERKNSE_10TensorBaseESI_lENKUlvE_clEvENKUlvE1_clEvEUlS7_S7_E_S7_EEDaPvRmT3_T4_T5_mT6_P12ihipStream_tbENKUlT_T0_E_clISt17integral_constantIbLb0EESZ_EEDaSU_SV_EUlSU_E_NS1_11comp_targetILNS1_3genE10ELNS1_11target_archE1201ELNS1_3gpuE5ELNS1_3repE0EEENS1_30default_config_static_selectorELNS0_4arch9wavefront6targetE1EEEvT1_ ; -- Begin function _ZN7rocprim17ROCPRIM_400000_NS6detail17trampoline_kernelINS0_14default_configENS1_20scan_config_selectorIN3c107complexIdEEEEZZNS1_9scan_implILNS1_25lookback_scan_determinismE0ELb0ELb0ES3_PKS7_PS7_S7_ZZZN2at6native31launch_logcumsumexp_cuda_kernelERKNSE_10TensorBaseESI_lENKUlvE_clEvENKUlvE1_clEvEUlS7_S7_E_S7_EEDaPvRmT3_T4_T5_mT6_P12ihipStream_tbENKUlT_T0_E_clISt17integral_constantIbLb0EESZ_EEDaSU_SV_EUlSU_E_NS1_11comp_targetILNS1_3genE10ELNS1_11target_archE1201ELNS1_3gpuE5ELNS1_3repE0EEENS1_30default_config_static_selectorELNS0_4arch9wavefront6targetE1EEEvT1_
	.p2align	8
	.type	_ZN7rocprim17ROCPRIM_400000_NS6detail17trampoline_kernelINS0_14default_configENS1_20scan_config_selectorIN3c107complexIdEEEEZZNS1_9scan_implILNS1_25lookback_scan_determinismE0ELb0ELb0ES3_PKS7_PS7_S7_ZZZN2at6native31launch_logcumsumexp_cuda_kernelERKNSE_10TensorBaseESI_lENKUlvE_clEvENKUlvE1_clEvEUlS7_S7_E_S7_EEDaPvRmT3_T4_T5_mT6_P12ihipStream_tbENKUlT_T0_E_clISt17integral_constantIbLb0EESZ_EEDaSU_SV_EUlSU_E_NS1_11comp_targetILNS1_3genE10ELNS1_11target_archE1201ELNS1_3gpuE5ELNS1_3repE0EEENS1_30default_config_static_selectorELNS0_4arch9wavefront6targetE1EEEvT1_,@function
_ZN7rocprim17ROCPRIM_400000_NS6detail17trampoline_kernelINS0_14default_configENS1_20scan_config_selectorIN3c107complexIdEEEEZZNS1_9scan_implILNS1_25lookback_scan_determinismE0ELb0ELb0ES3_PKS7_PS7_S7_ZZZN2at6native31launch_logcumsumexp_cuda_kernelERKNSE_10TensorBaseESI_lENKUlvE_clEvENKUlvE1_clEvEUlS7_S7_E_S7_EEDaPvRmT3_T4_T5_mT6_P12ihipStream_tbENKUlT_T0_E_clISt17integral_constantIbLb0EESZ_EEDaSU_SV_EUlSU_E_NS1_11comp_targetILNS1_3genE10ELNS1_11target_archE1201ELNS1_3gpuE5ELNS1_3repE0EEENS1_30default_config_static_selectorELNS0_4arch9wavefront6targetE1EEEvT1_: ; @_ZN7rocprim17ROCPRIM_400000_NS6detail17trampoline_kernelINS0_14default_configENS1_20scan_config_selectorIN3c107complexIdEEEEZZNS1_9scan_implILNS1_25lookback_scan_determinismE0ELb0ELb0ES3_PKS7_PS7_S7_ZZZN2at6native31launch_logcumsumexp_cuda_kernelERKNSE_10TensorBaseESI_lENKUlvE_clEvENKUlvE1_clEvEUlS7_S7_E_S7_EEDaPvRmT3_T4_T5_mT6_P12ihipStream_tbENKUlT_T0_E_clISt17integral_constantIbLb0EESZ_EEDaSU_SV_EUlSU_E_NS1_11comp_targetILNS1_3genE10ELNS1_11target_archE1201ELNS1_3gpuE5ELNS1_3repE0EEENS1_30default_config_static_selectorELNS0_4arch9wavefront6targetE1EEEvT1_
; %bb.0:
	.section	.rodata,"a",@progbits
	.p2align	6, 0x0
	.amdhsa_kernel _ZN7rocprim17ROCPRIM_400000_NS6detail17trampoline_kernelINS0_14default_configENS1_20scan_config_selectorIN3c107complexIdEEEEZZNS1_9scan_implILNS1_25lookback_scan_determinismE0ELb0ELb0ES3_PKS7_PS7_S7_ZZZN2at6native31launch_logcumsumexp_cuda_kernelERKNSE_10TensorBaseESI_lENKUlvE_clEvENKUlvE1_clEvEUlS7_S7_E_S7_EEDaPvRmT3_T4_T5_mT6_P12ihipStream_tbENKUlT_T0_E_clISt17integral_constantIbLb0EESZ_EEDaSU_SV_EUlSU_E_NS1_11comp_targetILNS1_3genE10ELNS1_11target_archE1201ELNS1_3gpuE5ELNS1_3repE0EEENS1_30default_config_static_selectorELNS0_4arch9wavefront6targetE1EEEvT1_
		.amdhsa_group_segment_fixed_size 0
		.amdhsa_private_segment_fixed_size 0
		.amdhsa_kernarg_size 128
		.amdhsa_user_sgpr_count 6
		.amdhsa_user_sgpr_private_segment_buffer 1
		.amdhsa_user_sgpr_dispatch_ptr 0
		.amdhsa_user_sgpr_queue_ptr 0
		.amdhsa_user_sgpr_kernarg_segment_ptr 1
		.amdhsa_user_sgpr_dispatch_id 0
		.amdhsa_user_sgpr_flat_scratch_init 0
		.amdhsa_user_sgpr_kernarg_preload_length 0
		.amdhsa_user_sgpr_kernarg_preload_offset 0
		.amdhsa_user_sgpr_private_segment_size 0
		.amdhsa_uses_dynamic_stack 0
		.amdhsa_system_sgpr_private_segment_wavefront_offset 0
		.amdhsa_system_sgpr_workgroup_id_x 1
		.amdhsa_system_sgpr_workgroup_id_y 0
		.amdhsa_system_sgpr_workgroup_id_z 0
		.amdhsa_system_sgpr_workgroup_info 0
		.amdhsa_system_vgpr_workitem_id 0
		.amdhsa_next_free_vgpr 1
		.amdhsa_next_free_sgpr 0
		.amdhsa_accum_offset 4
		.amdhsa_reserve_vcc 0
		.amdhsa_reserve_flat_scratch 0
		.amdhsa_float_round_mode_32 0
		.amdhsa_float_round_mode_16_64 0
		.amdhsa_float_denorm_mode_32 3
		.amdhsa_float_denorm_mode_16_64 3
		.amdhsa_dx10_clamp 1
		.amdhsa_ieee_mode 1
		.amdhsa_fp16_overflow 0
		.amdhsa_tg_split 0
		.amdhsa_exception_fp_ieee_invalid_op 0
		.amdhsa_exception_fp_denorm_src 0
		.amdhsa_exception_fp_ieee_div_zero 0
		.amdhsa_exception_fp_ieee_overflow 0
		.amdhsa_exception_fp_ieee_underflow 0
		.amdhsa_exception_fp_ieee_inexact 0
		.amdhsa_exception_int_div_zero 0
	.end_amdhsa_kernel
	.section	.text._ZN7rocprim17ROCPRIM_400000_NS6detail17trampoline_kernelINS0_14default_configENS1_20scan_config_selectorIN3c107complexIdEEEEZZNS1_9scan_implILNS1_25lookback_scan_determinismE0ELb0ELb0ES3_PKS7_PS7_S7_ZZZN2at6native31launch_logcumsumexp_cuda_kernelERKNSE_10TensorBaseESI_lENKUlvE_clEvENKUlvE1_clEvEUlS7_S7_E_S7_EEDaPvRmT3_T4_T5_mT6_P12ihipStream_tbENKUlT_T0_E_clISt17integral_constantIbLb0EESZ_EEDaSU_SV_EUlSU_E_NS1_11comp_targetILNS1_3genE10ELNS1_11target_archE1201ELNS1_3gpuE5ELNS1_3repE0EEENS1_30default_config_static_selectorELNS0_4arch9wavefront6targetE1EEEvT1_,"axG",@progbits,_ZN7rocprim17ROCPRIM_400000_NS6detail17trampoline_kernelINS0_14default_configENS1_20scan_config_selectorIN3c107complexIdEEEEZZNS1_9scan_implILNS1_25lookback_scan_determinismE0ELb0ELb0ES3_PKS7_PS7_S7_ZZZN2at6native31launch_logcumsumexp_cuda_kernelERKNSE_10TensorBaseESI_lENKUlvE_clEvENKUlvE1_clEvEUlS7_S7_E_S7_EEDaPvRmT3_T4_T5_mT6_P12ihipStream_tbENKUlT_T0_E_clISt17integral_constantIbLb0EESZ_EEDaSU_SV_EUlSU_E_NS1_11comp_targetILNS1_3genE10ELNS1_11target_archE1201ELNS1_3gpuE5ELNS1_3repE0EEENS1_30default_config_static_selectorELNS0_4arch9wavefront6targetE1EEEvT1_,comdat
.Lfunc_end181:
	.size	_ZN7rocprim17ROCPRIM_400000_NS6detail17trampoline_kernelINS0_14default_configENS1_20scan_config_selectorIN3c107complexIdEEEEZZNS1_9scan_implILNS1_25lookback_scan_determinismE0ELb0ELb0ES3_PKS7_PS7_S7_ZZZN2at6native31launch_logcumsumexp_cuda_kernelERKNSE_10TensorBaseESI_lENKUlvE_clEvENKUlvE1_clEvEUlS7_S7_E_S7_EEDaPvRmT3_T4_T5_mT6_P12ihipStream_tbENKUlT_T0_E_clISt17integral_constantIbLb0EESZ_EEDaSU_SV_EUlSU_E_NS1_11comp_targetILNS1_3genE10ELNS1_11target_archE1201ELNS1_3gpuE5ELNS1_3repE0EEENS1_30default_config_static_selectorELNS0_4arch9wavefront6targetE1EEEvT1_, .Lfunc_end181-_ZN7rocprim17ROCPRIM_400000_NS6detail17trampoline_kernelINS0_14default_configENS1_20scan_config_selectorIN3c107complexIdEEEEZZNS1_9scan_implILNS1_25lookback_scan_determinismE0ELb0ELb0ES3_PKS7_PS7_S7_ZZZN2at6native31launch_logcumsumexp_cuda_kernelERKNSE_10TensorBaseESI_lENKUlvE_clEvENKUlvE1_clEvEUlS7_S7_E_S7_EEDaPvRmT3_T4_T5_mT6_P12ihipStream_tbENKUlT_T0_E_clISt17integral_constantIbLb0EESZ_EEDaSU_SV_EUlSU_E_NS1_11comp_targetILNS1_3genE10ELNS1_11target_archE1201ELNS1_3gpuE5ELNS1_3repE0EEENS1_30default_config_static_selectorELNS0_4arch9wavefront6targetE1EEEvT1_
                                        ; -- End function
	.section	.AMDGPU.csdata,"",@progbits
; Kernel info:
; codeLenInByte = 0
; NumSgprs: 4
; NumVgprs: 0
; NumAgprs: 0
; TotalNumVgprs: 0
; ScratchSize: 0
; MemoryBound: 0
; FloatMode: 240
; IeeeMode: 1
; LDSByteSize: 0 bytes/workgroup (compile time only)
; SGPRBlocks: 0
; VGPRBlocks: 0
; NumSGPRsForWavesPerEU: 4
; NumVGPRsForWavesPerEU: 1
; AccumOffset: 4
; Occupancy: 8
; WaveLimiterHint : 0
; COMPUTE_PGM_RSRC2:SCRATCH_EN: 0
; COMPUTE_PGM_RSRC2:USER_SGPR: 6
; COMPUTE_PGM_RSRC2:TRAP_HANDLER: 0
; COMPUTE_PGM_RSRC2:TGID_X_EN: 1
; COMPUTE_PGM_RSRC2:TGID_Y_EN: 0
; COMPUTE_PGM_RSRC2:TGID_Z_EN: 0
; COMPUTE_PGM_RSRC2:TIDIG_COMP_CNT: 0
; COMPUTE_PGM_RSRC3_GFX90A:ACCUM_OFFSET: 0
; COMPUTE_PGM_RSRC3_GFX90A:TG_SPLIT: 0
	.section	.text._ZN7rocprim17ROCPRIM_400000_NS6detail17trampoline_kernelINS0_14default_configENS1_20scan_config_selectorIN3c107complexIdEEEEZZNS1_9scan_implILNS1_25lookback_scan_determinismE0ELb0ELb0ES3_PKS7_PS7_S7_ZZZN2at6native31launch_logcumsumexp_cuda_kernelERKNSE_10TensorBaseESI_lENKUlvE_clEvENKUlvE1_clEvEUlS7_S7_E_S7_EEDaPvRmT3_T4_T5_mT6_P12ihipStream_tbENKUlT_T0_E_clISt17integral_constantIbLb0EESZ_EEDaSU_SV_EUlSU_E_NS1_11comp_targetILNS1_3genE10ELNS1_11target_archE1200ELNS1_3gpuE4ELNS1_3repE0EEENS1_30default_config_static_selectorELNS0_4arch9wavefront6targetE1EEEvT1_,"axG",@progbits,_ZN7rocprim17ROCPRIM_400000_NS6detail17trampoline_kernelINS0_14default_configENS1_20scan_config_selectorIN3c107complexIdEEEEZZNS1_9scan_implILNS1_25lookback_scan_determinismE0ELb0ELb0ES3_PKS7_PS7_S7_ZZZN2at6native31launch_logcumsumexp_cuda_kernelERKNSE_10TensorBaseESI_lENKUlvE_clEvENKUlvE1_clEvEUlS7_S7_E_S7_EEDaPvRmT3_T4_T5_mT6_P12ihipStream_tbENKUlT_T0_E_clISt17integral_constantIbLb0EESZ_EEDaSU_SV_EUlSU_E_NS1_11comp_targetILNS1_3genE10ELNS1_11target_archE1200ELNS1_3gpuE4ELNS1_3repE0EEENS1_30default_config_static_selectorELNS0_4arch9wavefront6targetE1EEEvT1_,comdat
	.globl	_ZN7rocprim17ROCPRIM_400000_NS6detail17trampoline_kernelINS0_14default_configENS1_20scan_config_selectorIN3c107complexIdEEEEZZNS1_9scan_implILNS1_25lookback_scan_determinismE0ELb0ELb0ES3_PKS7_PS7_S7_ZZZN2at6native31launch_logcumsumexp_cuda_kernelERKNSE_10TensorBaseESI_lENKUlvE_clEvENKUlvE1_clEvEUlS7_S7_E_S7_EEDaPvRmT3_T4_T5_mT6_P12ihipStream_tbENKUlT_T0_E_clISt17integral_constantIbLb0EESZ_EEDaSU_SV_EUlSU_E_NS1_11comp_targetILNS1_3genE10ELNS1_11target_archE1200ELNS1_3gpuE4ELNS1_3repE0EEENS1_30default_config_static_selectorELNS0_4arch9wavefront6targetE1EEEvT1_ ; -- Begin function _ZN7rocprim17ROCPRIM_400000_NS6detail17trampoline_kernelINS0_14default_configENS1_20scan_config_selectorIN3c107complexIdEEEEZZNS1_9scan_implILNS1_25lookback_scan_determinismE0ELb0ELb0ES3_PKS7_PS7_S7_ZZZN2at6native31launch_logcumsumexp_cuda_kernelERKNSE_10TensorBaseESI_lENKUlvE_clEvENKUlvE1_clEvEUlS7_S7_E_S7_EEDaPvRmT3_T4_T5_mT6_P12ihipStream_tbENKUlT_T0_E_clISt17integral_constantIbLb0EESZ_EEDaSU_SV_EUlSU_E_NS1_11comp_targetILNS1_3genE10ELNS1_11target_archE1200ELNS1_3gpuE4ELNS1_3repE0EEENS1_30default_config_static_selectorELNS0_4arch9wavefront6targetE1EEEvT1_
	.p2align	8
	.type	_ZN7rocprim17ROCPRIM_400000_NS6detail17trampoline_kernelINS0_14default_configENS1_20scan_config_selectorIN3c107complexIdEEEEZZNS1_9scan_implILNS1_25lookback_scan_determinismE0ELb0ELb0ES3_PKS7_PS7_S7_ZZZN2at6native31launch_logcumsumexp_cuda_kernelERKNSE_10TensorBaseESI_lENKUlvE_clEvENKUlvE1_clEvEUlS7_S7_E_S7_EEDaPvRmT3_T4_T5_mT6_P12ihipStream_tbENKUlT_T0_E_clISt17integral_constantIbLb0EESZ_EEDaSU_SV_EUlSU_E_NS1_11comp_targetILNS1_3genE10ELNS1_11target_archE1200ELNS1_3gpuE4ELNS1_3repE0EEENS1_30default_config_static_selectorELNS0_4arch9wavefront6targetE1EEEvT1_,@function
_ZN7rocprim17ROCPRIM_400000_NS6detail17trampoline_kernelINS0_14default_configENS1_20scan_config_selectorIN3c107complexIdEEEEZZNS1_9scan_implILNS1_25lookback_scan_determinismE0ELb0ELb0ES3_PKS7_PS7_S7_ZZZN2at6native31launch_logcumsumexp_cuda_kernelERKNSE_10TensorBaseESI_lENKUlvE_clEvENKUlvE1_clEvEUlS7_S7_E_S7_EEDaPvRmT3_T4_T5_mT6_P12ihipStream_tbENKUlT_T0_E_clISt17integral_constantIbLb0EESZ_EEDaSU_SV_EUlSU_E_NS1_11comp_targetILNS1_3genE10ELNS1_11target_archE1200ELNS1_3gpuE4ELNS1_3repE0EEENS1_30default_config_static_selectorELNS0_4arch9wavefront6targetE1EEEvT1_: ; @_ZN7rocprim17ROCPRIM_400000_NS6detail17trampoline_kernelINS0_14default_configENS1_20scan_config_selectorIN3c107complexIdEEEEZZNS1_9scan_implILNS1_25lookback_scan_determinismE0ELb0ELb0ES3_PKS7_PS7_S7_ZZZN2at6native31launch_logcumsumexp_cuda_kernelERKNSE_10TensorBaseESI_lENKUlvE_clEvENKUlvE1_clEvEUlS7_S7_E_S7_EEDaPvRmT3_T4_T5_mT6_P12ihipStream_tbENKUlT_T0_E_clISt17integral_constantIbLb0EESZ_EEDaSU_SV_EUlSU_E_NS1_11comp_targetILNS1_3genE10ELNS1_11target_archE1200ELNS1_3gpuE4ELNS1_3repE0EEENS1_30default_config_static_selectorELNS0_4arch9wavefront6targetE1EEEvT1_
; %bb.0:
	.section	.rodata,"a",@progbits
	.p2align	6, 0x0
	.amdhsa_kernel _ZN7rocprim17ROCPRIM_400000_NS6detail17trampoline_kernelINS0_14default_configENS1_20scan_config_selectorIN3c107complexIdEEEEZZNS1_9scan_implILNS1_25lookback_scan_determinismE0ELb0ELb0ES3_PKS7_PS7_S7_ZZZN2at6native31launch_logcumsumexp_cuda_kernelERKNSE_10TensorBaseESI_lENKUlvE_clEvENKUlvE1_clEvEUlS7_S7_E_S7_EEDaPvRmT3_T4_T5_mT6_P12ihipStream_tbENKUlT_T0_E_clISt17integral_constantIbLb0EESZ_EEDaSU_SV_EUlSU_E_NS1_11comp_targetILNS1_3genE10ELNS1_11target_archE1200ELNS1_3gpuE4ELNS1_3repE0EEENS1_30default_config_static_selectorELNS0_4arch9wavefront6targetE1EEEvT1_
		.amdhsa_group_segment_fixed_size 0
		.amdhsa_private_segment_fixed_size 0
		.amdhsa_kernarg_size 128
		.amdhsa_user_sgpr_count 6
		.amdhsa_user_sgpr_private_segment_buffer 1
		.amdhsa_user_sgpr_dispatch_ptr 0
		.amdhsa_user_sgpr_queue_ptr 0
		.amdhsa_user_sgpr_kernarg_segment_ptr 1
		.amdhsa_user_sgpr_dispatch_id 0
		.amdhsa_user_sgpr_flat_scratch_init 0
		.amdhsa_user_sgpr_kernarg_preload_length 0
		.amdhsa_user_sgpr_kernarg_preload_offset 0
		.amdhsa_user_sgpr_private_segment_size 0
		.amdhsa_uses_dynamic_stack 0
		.amdhsa_system_sgpr_private_segment_wavefront_offset 0
		.amdhsa_system_sgpr_workgroup_id_x 1
		.amdhsa_system_sgpr_workgroup_id_y 0
		.amdhsa_system_sgpr_workgroup_id_z 0
		.amdhsa_system_sgpr_workgroup_info 0
		.amdhsa_system_vgpr_workitem_id 0
		.amdhsa_next_free_vgpr 1
		.amdhsa_next_free_sgpr 0
		.amdhsa_accum_offset 4
		.amdhsa_reserve_vcc 0
		.amdhsa_reserve_flat_scratch 0
		.amdhsa_float_round_mode_32 0
		.amdhsa_float_round_mode_16_64 0
		.amdhsa_float_denorm_mode_32 3
		.amdhsa_float_denorm_mode_16_64 3
		.amdhsa_dx10_clamp 1
		.amdhsa_ieee_mode 1
		.amdhsa_fp16_overflow 0
		.amdhsa_tg_split 0
		.amdhsa_exception_fp_ieee_invalid_op 0
		.amdhsa_exception_fp_denorm_src 0
		.amdhsa_exception_fp_ieee_div_zero 0
		.amdhsa_exception_fp_ieee_overflow 0
		.amdhsa_exception_fp_ieee_underflow 0
		.amdhsa_exception_fp_ieee_inexact 0
		.amdhsa_exception_int_div_zero 0
	.end_amdhsa_kernel
	.section	.text._ZN7rocprim17ROCPRIM_400000_NS6detail17trampoline_kernelINS0_14default_configENS1_20scan_config_selectorIN3c107complexIdEEEEZZNS1_9scan_implILNS1_25lookback_scan_determinismE0ELb0ELb0ES3_PKS7_PS7_S7_ZZZN2at6native31launch_logcumsumexp_cuda_kernelERKNSE_10TensorBaseESI_lENKUlvE_clEvENKUlvE1_clEvEUlS7_S7_E_S7_EEDaPvRmT3_T4_T5_mT6_P12ihipStream_tbENKUlT_T0_E_clISt17integral_constantIbLb0EESZ_EEDaSU_SV_EUlSU_E_NS1_11comp_targetILNS1_3genE10ELNS1_11target_archE1200ELNS1_3gpuE4ELNS1_3repE0EEENS1_30default_config_static_selectorELNS0_4arch9wavefront6targetE1EEEvT1_,"axG",@progbits,_ZN7rocprim17ROCPRIM_400000_NS6detail17trampoline_kernelINS0_14default_configENS1_20scan_config_selectorIN3c107complexIdEEEEZZNS1_9scan_implILNS1_25lookback_scan_determinismE0ELb0ELb0ES3_PKS7_PS7_S7_ZZZN2at6native31launch_logcumsumexp_cuda_kernelERKNSE_10TensorBaseESI_lENKUlvE_clEvENKUlvE1_clEvEUlS7_S7_E_S7_EEDaPvRmT3_T4_T5_mT6_P12ihipStream_tbENKUlT_T0_E_clISt17integral_constantIbLb0EESZ_EEDaSU_SV_EUlSU_E_NS1_11comp_targetILNS1_3genE10ELNS1_11target_archE1200ELNS1_3gpuE4ELNS1_3repE0EEENS1_30default_config_static_selectorELNS0_4arch9wavefront6targetE1EEEvT1_,comdat
.Lfunc_end182:
	.size	_ZN7rocprim17ROCPRIM_400000_NS6detail17trampoline_kernelINS0_14default_configENS1_20scan_config_selectorIN3c107complexIdEEEEZZNS1_9scan_implILNS1_25lookback_scan_determinismE0ELb0ELb0ES3_PKS7_PS7_S7_ZZZN2at6native31launch_logcumsumexp_cuda_kernelERKNSE_10TensorBaseESI_lENKUlvE_clEvENKUlvE1_clEvEUlS7_S7_E_S7_EEDaPvRmT3_T4_T5_mT6_P12ihipStream_tbENKUlT_T0_E_clISt17integral_constantIbLb0EESZ_EEDaSU_SV_EUlSU_E_NS1_11comp_targetILNS1_3genE10ELNS1_11target_archE1200ELNS1_3gpuE4ELNS1_3repE0EEENS1_30default_config_static_selectorELNS0_4arch9wavefront6targetE1EEEvT1_, .Lfunc_end182-_ZN7rocprim17ROCPRIM_400000_NS6detail17trampoline_kernelINS0_14default_configENS1_20scan_config_selectorIN3c107complexIdEEEEZZNS1_9scan_implILNS1_25lookback_scan_determinismE0ELb0ELb0ES3_PKS7_PS7_S7_ZZZN2at6native31launch_logcumsumexp_cuda_kernelERKNSE_10TensorBaseESI_lENKUlvE_clEvENKUlvE1_clEvEUlS7_S7_E_S7_EEDaPvRmT3_T4_T5_mT6_P12ihipStream_tbENKUlT_T0_E_clISt17integral_constantIbLb0EESZ_EEDaSU_SV_EUlSU_E_NS1_11comp_targetILNS1_3genE10ELNS1_11target_archE1200ELNS1_3gpuE4ELNS1_3repE0EEENS1_30default_config_static_selectorELNS0_4arch9wavefront6targetE1EEEvT1_
                                        ; -- End function
	.section	.AMDGPU.csdata,"",@progbits
; Kernel info:
; codeLenInByte = 0
; NumSgprs: 4
; NumVgprs: 0
; NumAgprs: 0
; TotalNumVgprs: 0
; ScratchSize: 0
; MemoryBound: 0
; FloatMode: 240
; IeeeMode: 1
; LDSByteSize: 0 bytes/workgroup (compile time only)
; SGPRBlocks: 0
; VGPRBlocks: 0
; NumSGPRsForWavesPerEU: 4
; NumVGPRsForWavesPerEU: 1
; AccumOffset: 4
; Occupancy: 8
; WaveLimiterHint : 0
; COMPUTE_PGM_RSRC2:SCRATCH_EN: 0
; COMPUTE_PGM_RSRC2:USER_SGPR: 6
; COMPUTE_PGM_RSRC2:TRAP_HANDLER: 0
; COMPUTE_PGM_RSRC2:TGID_X_EN: 1
; COMPUTE_PGM_RSRC2:TGID_Y_EN: 0
; COMPUTE_PGM_RSRC2:TGID_Z_EN: 0
; COMPUTE_PGM_RSRC2:TIDIG_COMP_CNT: 0
; COMPUTE_PGM_RSRC3_GFX90A:ACCUM_OFFSET: 0
; COMPUTE_PGM_RSRC3_GFX90A:TG_SPLIT: 0
	.section	.text._ZN7rocprim17ROCPRIM_400000_NS6detail17trampoline_kernelINS0_14default_configENS1_20scan_config_selectorIN3c107complexIdEEEEZZNS1_9scan_implILNS1_25lookback_scan_determinismE0ELb0ELb0ES3_PKS7_PS7_S7_ZZZN2at6native31launch_logcumsumexp_cuda_kernelERKNSE_10TensorBaseESI_lENKUlvE_clEvENKUlvE1_clEvEUlS7_S7_E_S7_EEDaPvRmT3_T4_T5_mT6_P12ihipStream_tbENKUlT_T0_E_clISt17integral_constantIbLb0EESZ_EEDaSU_SV_EUlSU_E_NS1_11comp_targetILNS1_3genE9ELNS1_11target_archE1100ELNS1_3gpuE3ELNS1_3repE0EEENS1_30default_config_static_selectorELNS0_4arch9wavefront6targetE1EEEvT1_,"axG",@progbits,_ZN7rocprim17ROCPRIM_400000_NS6detail17trampoline_kernelINS0_14default_configENS1_20scan_config_selectorIN3c107complexIdEEEEZZNS1_9scan_implILNS1_25lookback_scan_determinismE0ELb0ELb0ES3_PKS7_PS7_S7_ZZZN2at6native31launch_logcumsumexp_cuda_kernelERKNSE_10TensorBaseESI_lENKUlvE_clEvENKUlvE1_clEvEUlS7_S7_E_S7_EEDaPvRmT3_T4_T5_mT6_P12ihipStream_tbENKUlT_T0_E_clISt17integral_constantIbLb0EESZ_EEDaSU_SV_EUlSU_E_NS1_11comp_targetILNS1_3genE9ELNS1_11target_archE1100ELNS1_3gpuE3ELNS1_3repE0EEENS1_30default_config_static_selectorELNS0_4arch9wavefront6targetE1EEEvT1_,comdat
	.globl	_ZN7rocprim17ROCPRIM_400000_NS6detail17trampoline_kernelINS0_14default_configENS1_20scan_config_selectorIN3c107complexIdEEEEZZNS1_9scan_implILNS1_25lookback_scan_determinismE0ELb0ELb0ES3_PKS7_PS7_S7_ZZZN2at6native31launch_logcumsumexp_cuda_kernelERKNSE_10TensorBaseESI_lENKUlvE_clEvENKUlvE1_clEvEUlS7_S7_E_S7_EEDaPvRmT3_T4_T5_mT6_P12ihipStream_tbENKUlT_T0_E_clISt17integral_constantIbLb0EESZ_EEDaSU_SV_EUlSU_E_NS1_11comp_targetILNS1_3genE9ELNS1_11target_archE1100ELNS1_3gpuE3ELNS1_3repE0EEENS1_30default_config_static_selectorELNS0_4arch9wavefront6targetE1EEEvT1_ ; -- Begin function _ZN7rocprim17ROCPRIM_400000_NS6detail17trampoline_kernelINS0_14default_configENS1_20scan_config_selectorIN3c107complexIdEEEEZZNS1_9scan_implILNS1_25lookback_scan_determinismE0ELb0ELb0ES3_PKS7_PS7_S7_ZZZN2at6native31launch_logcumsumexp_cuda_kernelERKNSE_10TensorBaseESI_lENKUlvE_clEvENKUlvE1_clEvEUlS7_S7_E_S7_EEDaPvRmT3_T4_T5_mT6_P12ihipStream_tbENKUlT_T0_E_clISt17integral_constantIbLb0EESZ_EEDaSU_SV_EUlSU_E_NS1_11comp_targetILNS1_3genE9ELNS1_11target_archE1100ELNS1_3gpuE3ELNS1_3repE0EEENS1_30default_config_static_selectorELNS0_4arch9wavefront6targetE1EEEvT1_
	.p2align	8
	.type	_ZN7rocprim17ROCPRIM_400000_NS6detail17trampoline_kernelINS0_14default_configENS1_20scan_config_selectorIN3c107complexIdEEEEZZNS1_9scan_implILNS1_25lookback_scan_determinismE0ELb0ELb0ES3_PKS7_PS7_S7_ZZZN2at6native31launch_logcumsumexp_cuda_kernelERKNSE_10TensorBaseESI_lENKUlvE_clEvENKUlvE1_clEvEUlS7_S7_E_S7_EEDaPvRmT3_T4_T5_mT6_P12ihipStream_tbENKUlT_T0_E_clISt17integral_constantIbLb0EESZ_EEDaSU_SV_EUlSU_E_NS1_11comp_targetILNS1_3genE9ELNS1_11target_archE1100ELNS1_3gpuE3ELNS1_3repE0EEENS1_30default_config_static_selectorELNS0_4arch9wavefront6targetE1EEEvT1_,@function
_ZN7rocprim17ROCPRIM_400000_NS6detail17trampoline_kernelINS0_14default_configENS1_20scan_config_selectorIN3c107complexIdEEEEZZNS1_9scan_implILNS1_25lookback_scan_determinismE0ELb0ELb0ES3_PKS7_PS7_S7_ZZZN2at6native31launch_logcumsumexp_cuda_kernelERKNSE_10TensorBaseESI_lENKUlvE_clEvENKUlvE1_clEvEUlS7_S7_E_S7_EEDaPvRmT3_T4_T5_mT6_P12ihipStream_tbENKUlT_T0_E_clISt17integral_constantIbLb0EESZ_EEDaSU_SV_EUlSU_E_NS1_11comp_targetILNS1_3genE9ELNS1_11target_archE1100ELNS1_3gpuE3ELNS1_3repE0EEENS1_30default_config_static_selectorELNS0_4arch9wavefront6targetE1EEEvT1_: ; @_ZN7rocprim17ROCPRIM_400000_NS6detail17trampoline_kernelINS0_14default_configENS1_20scan_config_selectorIN3c107complexIdEEEEZZNS1_9scan_implILNS1_25lookback_scan_determinismE0ELb0ELb0ES3_PKS7_PS7_S7_ZZZN2at6native31launch_logcumsumexp_cuda_kernelERKNSE_10TensorBaseESI_lENKUlvE_clEvENKUlvE1_clEvEUlS7_S7_E_S7_EEDaPvRmT3_T4_T5_mT6_P12ihipStream_tbENKUlT_T0_E_clISt17integral_constantIbLb0EESZ_EEDaSU_SV_EUlSU_E_NS1_11comp_targetILNS1_3genE9ELNS1_11target_archE1100ELNS1_3gpuE3ELNS1_3repE0EEENS1_30default_config_static_selectorELNS0_4arch9wavefront6targetE1EEEvT1_
; %bb.0:
	.section	.rodata,"a",@progbits
	.p2align	6, 0x0
	.amdhsa_kernel _ZN7rocprim17ROCPRIM_400000_NS6detail17trampoline_kernelINS0_14default_configENS1_20scan_config_selectorIN3c107complexIdEEEEZZNS1_9scan_implILNS1_25lookback_scan_determinismE0ELb0ELb0ES3_PKS7_PS7_S7_ZZZN2at6native31launch_logcumsumexp_cuda_kernelERKNSE_10TensorBaseESI_lENKUlvE_clEvENKUlvE1_clEvEUlS7_S7_E_S7_EEDaPvRmT3_T4_T5_mT6_P12ihipStream_tbENKUlT_T0_E_clISt17integral_constantIbLb0EESZ_EEDaSU_SV_EUlSU_E_NS1_11comp_targetILNS1_3genE9ELNS1_11target_archE1100ELNS1_3gpuE3ELNS1_3repE0EEENS1_30default_config_static_selectorELNS0_4arch9wavefront6targetE1EEEvT1_
		.amdhsa_group_segment_fixed_size 0
		.amdhsa_private_segment_fixed_size 0
		.amdhsa_kernarg_size 128
		.amdhsa_user_sgpr_count 6
		.amdhsa_user_sgpr_private_segment_buffer 1
		.amdhsa_user_sgpr_dispatch_ptr 0
		.amdhsa_user_sgpr_queue_ptr 0
		.amdhsa_user_sgpr_kernarg_segment_ptr 1
		.amdhsa_user_sgpr_dispatch_id 0
		.amdhsa_user_sgpr_flat_scratch_init 0
		.amdhsa_user_sgpr_kernarg_preload_length 0
		.amdhsa_user_sgpr_kernarg_preload_offset 0
		.amdhsa_user_sgpr_private_segment_size 0
		.amdhsa_uses_dynamic_stack 0
		.amdhsa_system_sgpr_private_segment_wavefront_offset 0
		.amdhsa_system_sgpr_workgroup_id_x 1
		.amdhsa_system_sgpr_workgroup_id_y 0
		.amdhsa_system_sgpr_workgroup_id_z 0
		.amdhsa_system_sgpr_workgroup_info 0
		.amdhsa_system_vgpr_workitem_id 0
		.amdhsa_next_free_vgpr 1
		.amdhsa_next_free_sgpr 0
		.amdhsa_accum_offset 4
		.amdhsa_reserve_vcc 0
		.amdhsa_reserve_flat_scratch 0
		.amdhsa_float_round_mode_32 0
		.amdhsa_float_round_mode_16_64 0
		.amdhsa_float_denorm_mode_32 3
		.amdhsa_float_denorm_mode_16_64 3
		.amdhsa_dx10_clamp 1
		.amdhsa_ieee_mode 1
		.amdhsa_fp16_overflow 0
		.amdhsa_tg_split 0
		.amdhsa_exception_fp_ieee_invalid_op 0
		.amdhsa_exception_fp_denorm_src 0
		.amdhsa_exception_fp_ieee_div_zero 0
		.amdhsa_exception_fp_ieee_overflow 0
		.amdhsa_exception_fp_ieee_underflow 0
		.amdhsa_exception_fp_ieee_inexact 0
		.amdhsa_exception_int_div_zero 0
	.end_amdhsa_kernel
	.section	.text._ZN7rocprim17ROCPRIM_400000_NS6detail17trampoline_kernelINS0_14default_configENS1_20scan_config_selectorIN3c107complexIdEEEEZZNS1_9scan_implILNS1_25lookback_scan_determinismE0ELb0ELb0ES3_PKS7_PS7_S7_ZZZN2at6native31launch_logcumsumexp_cuda_kernelERKNSE_10TensorBaseESI_lENKUlvE_clEvENKUlvE1_clEvEUlS7_S7_E_S7_EEDaPvRmT3_T4_T5_mT6_P12ihipStream_tbENKUlT_T0_E_clISt17integral_constantIbLb0EESZ_EEDaSU_SV_EUlSU_E_NS1_11comp_targetILNS1_3genE9ELNS1_11target_archE1100ELNS1_3gpuE3ELNS1_3repE0EEENS1_30default_config_static_selectorELNS0_4arch9wavefront6targetE1EEEvT1_,"axG",@progbits,_ZN7rocprim17ROCPRIM_400000_NS6detail17trampoline_kernelINS0_14default_configENS1_20scan_config_selectorIN3c107complexIdEEEEZZNS1_9scan_implILNS1_25lookback_scan_determinismE0ELb0ELb0ES3_PKS7_PS7_S7_ZZZN2at6native31launch_logcumsumexp_cuda_kernelERKNSE_10TensorBaseESI_lENKUlvE_clEvENKUlvE1_clEvEUlS7_S7_E_S7_EEDaPvRmT3_T4_T5_mT6_P12ihipStream_tbENKUlT_T0_E_clISt17integral_constantIbLb0EESZ_EEDaSU_SV_EUlSU_E_NS1_11comp_targetILNS1_3genE9ELNS1_11target_archE1100ELNS1_3gpuE3ELNS1_3repE0EEENS1_30default_config_static_selectorELNS0_4arch9wavefront6targetE1EEEvT1_,comdat
.Lfunc_end183:
	.size	_ZN7rocprim17ROCPRIM_400000_NS6detail17trampoline_kernelINS0_14default_configENS1_20scan_config_selectorIN3c107complexIdEEEEZZNS1_9scan_implILNS1_25lookback_scan_determinismE0ELb0ELb0ES3_PKS7_PS7_S7_ZZZN2at6native31launch_logcumsumexp_cuda_kernelERKNSE_10TensorBaseESI_lENKUlvE_clEvENKUlvE1_clEvEUlS7_S7_E_S7_EEDaPvRmT3_T4_T5_mT6_P12ihipStream_tbENKUlT_T0_E_clISt17integral_constantIbLb0EESZ_EEDaSU_SV_EUlSU_E_NS1_11comp_targetILNS1_3genE9ELNS1_11target_archE1100ELNS1_3gpuE3ELNS1_3repE0EEENS1_30default_config_static_selectorELNS0_4arch9wavefront6targetE1EEEvT1_, .Lfunc_end183-_ZN7rocprim17ROCPRIM_400000_NS6detail17trampoline_kernelINS0_14default_configENS1_20scan_config_selectorIN3c107complexIdEEEEZZNS1_9scan_implILNS1_25lookback_scan_determinismE0ELb0ELb0ES3_PKS7_PS7_S7_ZZZN2at6native31launch_logcumsumexp_cuda_kernelERKNSE_10TensorBaseESI_lENKUlvE_clEvENKUlvE1_clEvEUlS7_S7_E_S7_EEDaPvRmT3_T4_T5_mT6_P12ihipStream_tbENKUlT_T0_E_clISt17integral_constantIbLb0EESZ_EEDaSU_SV_EUlSU_E_NS1_11comp_targetILNS1_3genE9ELNS1_11target_archE1100ELNS1_3gpuE3ELNS1_3repE0EEENS1_30default_config_static_selectorELNS0_4arch9wavefront6targetE1EEEvT1_
                                        ; -- End function
	.section	.AMDGPU.csdata,"",@progbits
; Kernel info:
; codeLenInByte = 0
; NumSgprs: 4
; NumVgprs: 0
; NumAgprs: 0
; TotalNumVgprs: 0
; ScratchSize: 0
; MemoryBound: 0
; FloatMode: 240
; IeeeMode: 1
; LDSByteSize: 0 bytes/workgroup (compile time only)
; SGPRBlocks: 0
; VGPRBlocks: 0
; NumSGPRsForWavesPerEU: 4
; NumVGPRsForWavesPerEU: 1
; AccumOffset: 4
; Occupancy: 8
; WaveLimiterHint : 0
; COMPUTE_PGM_RSRC2:SCRATCH_EN: 0
; COMPUTE_PGM_RSRC2:USER_SGPR: 6
; COMPUTE_PGM_RSRC2:TRAP_HANDLER: 0
; COMPUTE_PGM_RSRC2:TGID_X_EN: 1
; COMPUTE_PGM_RSRC2:TGID_Y_EN: 0
; COMPUTE_PGM_RSRC2:TGID_Z_EN: 0
; COMPUTE_PGM_RSRC2:TIDIG_COMP_CNT: 0
; COMPUTE_PGM_RSRC3_GFX90A:ACCUM_OFFSET: 0
; COMPUTE_PGM_RSRC3_GFX90A:TG_SPLIT: 0
	.section	.text._ZN7rocprim17ROCPRIM_400000_NS6detail17trampoline_kernelINS0_14default_configENS1_20scan_config_selectorIN3c107complexIdEEEEZZNS1_9scan_implILNS1_25lookback_scan_determinismE0ELb0ELb0ES3_PKS7_PS7_S7_ZZZN2at6native31launch_logcumsumexp_cuda_kernelERKNSE_10TensorBaseESI_lENKUlvE_clEvENKUlvE1_clEvEUlS7_S7_E_S7_EEDaPvRmT3_T4_T5_mT6_P12ihipStream_tbENKUlT_T0_E_clISt17integral_constantIbLb0EESZ_EEDaSU_SV_EUlSU_E_NS1_11comp_targetILNS1_3genE8ELNS1_11target_archE1030ELNS1_3gpuE2ELNS1_3repE0EEENS1_30default_config_static_selectorELNS0_4arch9wavefront6targetE1EEEvT1_,"axG",@progbits,_ZN7rocprim17ROCPRIM_400000_NS6detail17trampoline_kernelINS0_14default_configENS1_20scan_config_selectorIN3c107complexIdEEEEZZNS1_9scan_implILNS1_25lookback_scan_determinismE0ELb0ELb0ES3_PKS7_PS7_S7_ZZZN2at6native31launch_logcumsumexp_cuda_kernelERKNSE_10TensorBaseESI_lENKUlvE_clEvENKUlvE1_clEvEUlS7_S7_E_S7_EEDaPvRmT3_T4_T5_mT6_P12ihipStream_tbENKUlT_T0_E_clISt17integral_constantIbLb0EESZ_EEDaSU_SV_EUlSU_E_NS1_11comp_targetILNS1_3genE8ELNS1_11target_archE1030ELNS1_3gpuE2ELNS1_3repE0EEENS1_30default_config_static_selectorELNS0_4arch9wavefront6targetE1EEEvT1_,comdat
	.globl	_ZN7rocprim17ROCPRIM_400000_NS6detail17trampoline_kernelINS0_14default_configENS1_20scan_config_selectorIN3c107complexIdEEEEZZNS1_9scan_implILNS1_25lookback_scan_determinismE0ELb0ELb0ES3_PKS7_PS7_S7_ZZZN2at6native31launch_logcumsumexp_cuda_kernelERKNSE_10TensorBaseESI_lENKUlvE_clEvENKUlvE1_clEvEUlS7_S7_E_S7_EEDaPvRmT3_T4_T5_mT6_P12ihipStream_tbENKUlT_T0_E_clISt17integral_constantIbLb0EESZ_EEDaSU_SV_EUlSU_E_NS1_11comp_targetILNS1_3genE8ELNS1_11target_archE1030ELNS1_3gpuE2ELNS1_3repE0EEENS1_30default_config_static_selectorELNS0_4arch9wavefront6targetE1EEEvT1_ ; -- Begin function _ZN7rocprim17ROCPRIM_400000_NS6detail17trampoline_kernelINS0_14default_configENS1_20scan_config_selectorIN3c107complexIdEEEEZZNS1_9scan_implILNS1_25lookback_scan_determinismE0ELb0ELb0ES3_PKS7_PS7_S7_ZZZN2at6native31launch_logcumsumexp_cuda_kernelERKNSE_10TensorBaseESI_lENKUlvE_clEvENKUlvE1_clEvEUlS7_S7_E_S7_EEDaPvRmT3_T4_T5_mT6_P12ihipStream_tbENKUlT_T0_E_clISt17integral_constantIbLb0EESZ_EEDaSU_SV_EUlSU_E_NS1_11comp_targetILNS1_3genE8ELNS1_11target_archE1030ELNS1_3gpuE2ELNS1_3repE0EEENS1_30default_config_static_selectorELNS0_4arch9wavefront6targetE1EEEvT1_
	.p2align	8
	.type	_ZN7rocprim17ROCPRIM_400000_NS6detail17trampoline_kernelINS0_14default_configENS1_20scan_config_selectorIN3c107complexIdEEEEZZNS1_9scan_implILNS1_25lookback_scan_determinismE0ELb0ELb0ES3_PKS7_PS7_S7_ZZZN2at6native31launch_logcumsumexp_cuda_kernelERKNSE_10TensorBaseESI_lENKUlvE_clEvENKUlvE1_clEvEUlS7_S7_E_S7_EEDaPvRmT3_T4_T5_mT6_P12ihipStream_tbENKUlT_T0_E_clISt17integral_constantIbLb0EESZ_EEDaSU_SV_EUlSU_E_NS1_11comp_targetILNS1_3genE8ELNS1_11target_archE1030ELNS1_3gpuE2ELNS1_3repE0EEENS1_30default_config_static_selectorELNS0_4arch9wavefront6targetE1EEEvT1_,@function
_ZN7rocprim17ROCPRIM_400000_NS6detail17trampoline_kernelINS0_14default_configENS1_20scan_config_selectorIN3c107complexIdEEEEZZNS1_9scan_implILNS1_25lookback_scan_determinismE0ELb0ELb0ES3_PKS7_PS7_S7_ZZZN2at6native31launch_logcumsumexp_cuda_kernelERKNSE_10TensorBaseESI_lENKUlvE_clEvENKUlvE1_clEvEUlS7_S7_E_S7_EEDaPvRmT3_T4_T5_mT6_P12ihipStream_tbENKUlT_T0_E_clISt17integral_constantIbLb0EESZ_EEDaSU_SV_EUlSU_E_NS1_11comp_targetILNS1_3genE8ELNS1_11target_archE1030ELNS1_3gpuE2ELNS1_3repE0EEENS1_30default_config_static_selectorELNS0_4arch9wavefront6targetE1EEEvT1_: ; @_ZN7rocprim17ROCPRIM_400000_NS6detail17trampoline_kernelINS0_14default_configENS1_20scan_config_selectorIN3c107complexIdEEEEZZNS1_9scan_implILNS1_25lookback_scan_determinismE0ELb0ELb0ES3_PKS7_PS7_S7_ZZZN2at6native31launch_logcumsumexp_cuda_kernelERKNSE_10TensorBaseESI_lENKUlvE_clEvENKUlvE1_clEvEUlS7_S7_E_S7_EEDaPvRmT3_T4_T5_mT6_P12ihipStream_tbENKUlT_T0_E_clISt17integral_constantIbLb0EESZ_EEDaSU_SV_EUlSU_E_NS1_11comp_targetILNS1_3genE8ELNS1_11target_archE1030ELNS1_3gpuE2ELNS1_3repE0EEENS1_30default_config_static_selectorELNS0_4arch9wavefront6targetE1EEEvT1_
; %bb.0:
	.section	.rodata,"a",@progbits
	.p2align	6, 0x0
	.amdhsa_kernel _ZN7rocprim17ROCPRIM_400000_NS6detail17trampoline_kernelINS0_14default_configENS1_20scan_config_selectorIN3c107complexIdEEEEZZNS1_9scan_implILNS1_25lookback_scan_determinismE0ELb0ELb0ES3_PKS7_PS7_S7_ZZZN2at6native31launch_logcumsumexp_cuda_kernelERKNSE_10TensorBaseESI_lENKUlvE_clEvENKUlvE1_clEvEUlS7_S7_E_S7_EEDaPvRmT3_T4_T5_mT6_P12ihipStream_tbENKUlT_T0_E_clISt17integral_constantIbLb0EESZ_EEDaSU_SV_EUlSU_E_NS1_11comp_targetILNS1_3genE8ELNS1_11target_archE1030ELNS1_3gpuE2ELNS1_3repE0EEENS1_30default_config_static_selectorELNS0_4arch9wavefront6targetE1EEEvT1_
		.amdhsa_group_segment_fixed_size 0
		.amdhsa_private_segment_fixed_size 0
		.amdhsa_kernarg_size 128
		.amdhsa_user_sgpr_count 6
		.amdhsa_user_sgpr_private_segment_buffer 1
		.amdhsa_user_sgpr_dispatch_ptr 0
		.amdhsa_user_sgpr_queue_ptr 0
		.amdhsa_user_sgpr_kernarg_segment_ptr 1
		.amdhsa_user_sgpr_dispatch_id 0
		.amdhsa_user_sgpr_flat_scratch_init 0
		.amdhsa_user_sgpr_kernarg_preload_length 0
		.amdhsa_user_sgpr_kernarg_preload_offset 0
		.amdhsa_user_sgpr_private_segment_size 0
		.amdhsa_uses_dynamic_stack 0
		.amdhsa_system_sgpr_private_segment_wavefront_offset 0
		.amdhsa_system_sgpr_workgroup_id_x 1
		.amdhsa_system_sgpr_workgroup_id_y 0
		.amdhsa_system_sgpr_workgroup_id_z 0
		.amdhsa_system_sgpr_workgroup_info 0
		.amdhsa_system_vgpr_workitem_id 0
		.amdhsa_next_free_vgpr 1
		.amdhsa_next_free_sgpr 0
		.amdhsa_accum_offset 4
		.amdhsa_reserve_vcc 0
		.amdhsa_reserve_flat_scratch 0
		.amdhsa_float_round_mode_32 0
		.amdhsa_float_round_mode_16_64 0
		.amdhsa_float_denorm_mode_32 3
		.amdhsa_float_denorm_mode_16_64 3
		.amdhsa_dx10_clamp 1
		.amdhsa_ieee_mode 1
		.amdhsa_fp16_overflow 0
		.amdhsa_tg_split 0
		.amdhsa_exception_fp_ieee_invalid_op 0
		.amdhsa_exception_fp_denorm_src 0
		.amdhsa_exception_fp_ieee_div_zero 0
		.amdhsa_exception_fp_ieee_overflow 0
		.amdhsa_exception_fp_ieee_underflow 0
		.amdhsa_exception_fp_ieee_inexact 0
		.amdhsa_exception_int_div_zero 0
	.end_amdhsa_kernel
	.section	.text._ZN7rocprim17ROCPRIM_400000_NS6detail17trampoline_kernelINS0_14default_configENS1_20scan_config_selectorIN3c107complexIdEEEEZZNS1_9scan_implILNS1_25lookback_scan_determinismE0ELb0ELb0ES3_PKS7_PS7_S7_ZZZN2at6native31launch_logcumsumexp_cuda_kernelERKNSE_10TensorBaseESI_lENKUlvE_clEvENKUlvE1_clEvEUlS7_S7_E_S7_EEDaPvRmT3_T4_T5_mT6_P12ihipStream_tbENKUlT_T0_E_clISt17integral_constantIbLb0EESZ_EEDaSU_SV_EUlSU_E_NS1_11comp_targetILNS1_3genE8ELNS1_11target_archE1030ELNS1_3gpuE2ELNS1_3repE0EEENS1_30default_config_static_selectorELNS0_4arch9wavefront6targetE1EEEvT1_,"axG",@progbits,_ZN7rocprim17ROCPRIM_400000_NS6detail17trampoline_kernelINS0_14default_configENS1_20scan_config_selectorIN3c107complexIdEEEEZZNS1_9scan_implILNS1_25lookback_scan_determinismE0ELb0ELb0ES3_PKS7_PS7_S7_ZZZN2at6native31launch_logcumsumexp_cuda_kernelERKNSE_10TensorBaseESI_lENKUlvE_clEvENKUlvE1_clEvEUlS7_S7_E_S7_EEDaPvRmT3_T4_T5_mT6_P12ihipStream_tbENKUlT_T0_E_clISt17integral_constantIbLb0EESZ_EEDaSU_SV_EUlSU_E_NS1_11comp_targetILNS1_3genE8ELNS1_11target_archE1030ELNS1_3gpuE2ELNS1_3repE0EEENS1_30default_config_static_selectorELNS0_4arch9wavefront6targetE1EEEvT1_,comdat
.Lfunc_end184:
	.size	_ZN7rocprim17ROCPRIM_400000_NS6detail17trampoline_kernelINS0_14default_configENS1_20scan_config_selectorIN3c107complexIdEEEEZZNS1_9scan_implILNS1_25lookback_scan_determinismE0ELb0ELb0ES3_PKS7_PS7_S7_ZZZN2at6native31launch_logcumsumexp_cuda_kernelERKNSE_10TensorBaseESI_lENKUlvE_clEvENKUlvE1_clEvEUlS7_S7_E_S7_EEDaPvRmT3_T4_T5_mT6_P12ihipStream_tbENKUlT_T0_E_clISt17integral_constantIbLb0EESZ_EEDaSU_SV_EUlSU_E_NS1_11comp_targetILNS1_3genE8ELNS1_11target_archE1030ELNS1_3gpuE2ELNS1_3repE0EEENS1_30default_config_static_selectorELNS0_4arch9wavefront6targetE1EEEvT1_, .Lfunc_end184-_ZN7rocprim17ROCPRIM_400000_NS6detail17trampoline_kernelINS0_14default_configENS1_20scan_config_selectorIN3c107complexIdEEEEZZNS1_9scan_implILNS1_25lookback_scan_determinismE0ELb0ELb0ES3_PKS7_PS7_S7_ZZZN2at6native31launch_logcumsumexp_cuda_kernelERKNSE_10TensorBaseESI_lENKUlvE_clEvENKUlvE1_clEvEUlS7_S7_E_S7_EEDaPvRmT3_T4_T5_mT6_P12ihipStream_tbENKUlT_T0_E_clISt17integral_constantIbLb0EESZ_EEDaSU_SV_EUlSU_E_NS1_11comp_targetILNS1_3genE8ELNS1_11target_archE1030ELNS1_3gpuE2ELNS1_3repE0EEENS1_30default_config_static_selectorELNS0_4arch9wavefront6targetE1EEEvT1_
                                        ; -- End function
	.section	.AMDGPU.csdata,"",@progbits
; Kernel info:
; codeLenInByte = 0
; NumSgprs: 4
; NumVgprs: 0
; NumAgprs: 0
; TotalNumVgprs: 0
; ScratchSize: 0
; MemoryBound: 0
; FloatMode: 240
; IeeeMode: 1
; LDSByteSize: 0 bytes/workgroup (compile time only)
; SGPRBlocks: 0
; VGPRBlocks: 0
; NumSGPRsForWavesPerEU: 4
; NumVGPRsForWavesPerEU: 1
; AccumOffset: 4
; Occupancy: 8
; WaveLimiterHint : 0
; COMPUTE_PGM_RSRC2:SCRATCH_EN: 0
; COMPUTE_PGM_RSRC2:USER_SGPR: 6
; COMPUTE_PGM_RSRC2:TRAP_HANDLER: 0
; COMPUTE_PGM_RSRC2:TGID_X_EN: 1
; COMPUTE_PGM_RSRC2:TGID_Y_EN: 0
; COMPUTE_PGM_RSRC2:TGID_Z_EN: 0
; COMPUTE_PGM_RSRC2:TIDIG_COMP_CNT: 0
; COMPUTE_PGM_RSRC3_GFX90A:ACCUM_OFFSET: 0
; COMPUTE_PGM_RSRC3_GFX90A:TG_SPLIT: 0
	.section	.text._ZN7rocprim17ROCPRIM_400000_NS6detail17trampoline_kernelINS0_14default_configENS1_25transform_config_selectorIN3c107complexIdEELb1EEEZNS1_14transform_implILb1ES3_S8_PS7_SA_NS0_8identityIS7_EEEE10hipError_tT2_T3_mT4_P12ihipStream_tbEUlT_E_NS1_11comp_targetILNS1_3genE0ELNS1_11target_archE4294967295ELNS1_3gpuE0ELNS1_3repE0EEENS1_30default_config_static_selectorELNS0_4arch9wavefront6targetE1EEEvT1_,"axG",@progbits,_ZN7rocprim17ROCPRIM_400000_NS6detail17trampoline_kernelINS0_14default_configENS1_25transform_config_selectorIN3c107complexIdEELb1EEEZNS1_14transform_implILb1ES3_S8_PS7_SA_NS0_8identityIS7_EEEE10hipError_tT2_T3_mT4_P12ihipStream_tbEUlT_E_NS1_11comp_targetILNS1_3genE0ELNS1_11target_archE4294967295ELNS1_3gpuE0ELNS1_3repE0EEENS1_30default_config_static_selectorELNS0_4arch9wavefront6targetE1EEEvT1_,comdat
	.protected	_ZN7rocprim17ROCPRIM_400000_NS6detail17trampoline_kernelINS0_14default_configENS1_25transform_config_selectorIN3c107complexIdEELb1EEEZNS1_14transform_implILb1ES3_S8_PS7_SA_NS0_8identityIS7_EEEE10hipError_tT2_T3_mT4_P12ihipStream_tbEUlT_E_NS1_11comp_targetILNS1_3genE0ELNS1_11target_archE4294967295ELNS1_3gpuE0ELNS1_3repE0EEENS1_30default_config_static_selectorELNS0_4arch9wavefront6targetE1EEEvT1_ ; -- Begin function _ZN7rocprim17ROCPRIM_400000_NS6detail17trampoline_kernelINS0_14default_configENS1_25transform_config_selectorIN3c107complexIdEELb1EEEZNS1_14transform_implILb1ES3_S8_PS7_SA_NS0_8identityIS7_EEEE10hipError_tT2_T3_mT4_P12ihipStream_tbEUlT_E_NS1_11comp_targetILNS1_3genE0ELNS1_11target_archE4294967295ELNS1_3gpuE0ELNS1_3repE0EEENS1_30default_config_static_selectorELNS0_4arch9wavefront6targetE1EEEvT1_
	.globl	_ZN7rocprim17ROCPRIM_400000_NS6detail17trampoline_kernelINS0_14default_configENS1_25transform_config_selectorIN3c107complexIdEELb1EEEZNS1_14transform_implILb1ES3_S8_PS7_SA_NS0_8identityIS7_EEEE10hipError_tT2_T3_mT4_P12ihipStream_tbEUlT_E_NS1_11comp_targetILNS1_3genE0ELNS1_11target_archE4294967295ELNS1_3gpuE0ELNS1_3repE0EEENS1_30default_config_static_selectorELNS0_4arch9wavefront6targetE1EEEvT1_
	.p2align	8
	.type	_ZN7rocprim17ROCPRIM_400000_NS6detail17trampoline_kernelINS0_14default_configENS1_25transform_config_selectorIN3c107complexIdEELb1EEEZNS1_14transform_implILb1ES3_S8_PS7_SA_NS0_8identityIS7_EEEE10hipError_tT2_T3_mT4_P12ihipStream_tbEUlT_E_NS1_11comp_targetILNS1_3genE0ELNS1_11target_archE4294967295ELNS1_3gpuE0ELNS1_3repE0EEENS1_30default_config_static_selectorELNS0_4arch9wavefront6targetE1EEEvT1_,@function
_ZN7rocprim17ROCPRIM_400000_NS6detail17trampoline_kernelINS0_14default_configENS1_25transform_config_selectorIN3c107complexIdEELb1EEEZNS1_14transform_implILb1ES3_S8_PS7_SA_NS0_8identityIS7_EEEE10hipError_tT2_T3_mT4_P12ihipStream_tbEUlT_E_NS1_11comp_targetILNS1_3genE0ELNS1_11target_archE4294967295ELNS1_3gpuE0ELNS1_3repE0EEENS1_30default_config_static_selectorELNS0_4arch9wavefront6targetE1EEEvT1_: ; @_ZN7rocprim17ROCPRIM_400000_NS6detail17trampoline_kernelINS0_14default_configENS1_25transform_config_selectorIN3c107complexIdEELb1EEEZNS1_14transform_implILb1ES3_S8_PS7_SA_NS0_8identityIS7_EEEE10hipError_tT2_T3_mT4_P12ihipStream_tbEUlT_E_NS1_11comp_targetILNS1_3genE0ELNS1_11target_archE4294967295ELNS1_3gpuE0ELNS1_3repE0EEENS1_30default_config_static_selectorELNS0_4arch9wavefront6targetE1EEEvT1_
; %bb.0:
	.section	.rodata,"a",@progbits
	.p2align	6, 0x0
	.amdhsa_kernel _ZN7rocprim17ROCPRIM_400000_NS6detail17trampoline_kernelINS0_14default_configENS1_25transform_config_selectorIN3c107complexIdEELb1EEEZNS1_14transform_implILb1ES3_S8_PS7_SA_NS0_8identityIS7_EEEE10hipError_tT2_T3_mT4_P12ihipStream_tbEUlT_E_NS1_11comp_targetILNS1_3genE0ELNS1_11target_archE4294967295ELNS1_3gpuE0ELNS1_3repE0EEENS1_30default_config_static_selectorELNS0_4arch9wavefront6targetE1EEEvT1_
		.amdhsa_group_segment_fixed_size 0
		.amdhsa_private_segment_fixed_size 0
		.amdhsa_kernarg_size 40
		.amdhsa_user_sgpr_count 6
		.amdhsa_user_sgpr_private_segment_buffer 1
		.amdhsa_user_sgpr_dispatch_ptr 0
		.amdhsa_user_sgpr_queue_ptr 0
		.amdhsa_user_sgpr_kernarg_segment_ptr 1
		.amdhsa_user_sgpr_dispatch_id 0
		.amdhsa_user_sgpr_flat_scratch_init 0
		.amdhsa_user_sgpr_kernarg_preload_length 0
		.amdhsa_user_sgpr_kernarg_preload_offset 0
		.amdhsa_user_sgpr_private_segment_size 0
		.amdhsa_uses_dynamic_stack 0
		.amdhsa_system_sgpr_private_segment_wavefront_offset 0
		.amdhsa_system_sgpr_workgroup_id_x 1
		.amdhsa_system_sgpr_workgroup_id_y 0
		.amdhsa_system_sgpr_workgroup_id_z 0
		.amdhsa_system_sgpr_workgroup_info 0
		.amdhsa_system_vgpr_workitem_id 0
		.amdhsa_next_free_vgpr 1
		.amdhsa_next_free_sgpr 0
		.amdhsa_accum_offset 4
		.amdhsa_reserve_vcc 0
		.amdhsa_reserve_flat_scratch 0
		.amdhsa_float_round_mode_32 0
		.amdhsa_float_round_mode_16_64 0
		.amdhsa_float_denorm_mode_32 3
		.amdhsa_float_denorm_mode_16_64 3
		.amdhsa_dx10_clamp 1
		.amdhsa_ieee_mode 1
		.amdhsa_fp16_overflow 0
		.amdhsa_tg_split 0
		.amdhsa_exception_fp_ieee_invalid_op 0
		.amdhsa_exception_fp_denorm_src 0
		.amdhsa_exception_fp_ieee_div_zero 0
		.amdhsa_exception_fp_ieee_overflow 0
		.amdhsa_exception_fp_ieee_underflow 0
		.amdhsa_exception_fp_ieee_inexact 0
		.amdhsa_exception_int_div_zero 0
	.end_amdhsa_kernel
	.section	.text._ZN7rocprim17ROCPRIM_400000_NS6detail17trampoline_kernelINS0_14default_configENS1_25transform_config_selectorIN3c107complexIdEELb1EEEZNS1_14transform_implILb1ES3_S8_PS7_SA_NS0_8identityIS7_EEEE10hipError_tT2_T3_mT4_P12ihipStream_tbEUlT_E_NS1_11comp_targetILNS1_3genE0ELNS1_11target_archE4294967295ELNS1_3gpuE0ELNS1_3repE0EEENS1_30default_config_static_selectorELNS0_4arch9wavefront6targetE1EEEvT1_,"axG",@progbits,_ZN7rocprim17ROCPRIM_400000_NS6detail17trampoline_kernelINS0_14default_configENS1_25transform_config_selectorIN3c107complexIdEELb1EEEZNS1_14transform_implILb1ES3_S8_PS7_SA_NS0_8identityIS7_EEEE10hipError_tT2_T3_mT4_P12ihipStream_tbEUlT_E_NS1_11comp_targetILNS1_3genE0ELNS1_11target_archE4294967295ELNS1_3gpuE0ELNS1_3repE0EEENS1_30default_config_static_selectorELNS0_4arch9wavefront6targetE1EEEvT1_,comdat
.Lfunc_end185:
	.size	_ZN7rocprim17ROCPRIM_400000_NS6detail17trampoline_kernelINS0_14default_configENS1_25transform_config_selectorIN3c107complexIdEELb1EEEZNS1_14transform_implILb1ES3_S8_PS7_SA_NS0_8identityIS7_EEEE10hipError_tT2_T3_mT4_P12ihipStream_tbEUlT_E_NS1_11comp_targetILNS1_3genE0ELNS1_11target_archE4294967295ELNS1_3gpuE0ELNS1_3repE0EEENS1_30default_config_static_selectorELNS0_4arch9wavefront6targetE1EEEvT1_, .Lfunc_end185-_ZN7rocprim17ROCPRIM_400000_NS6detail17trampoline_kernelINS0_14default_configENS1_25transform_config_selectorIN3c107complexIdEELb1EEEZNS1_14transform_implILb1ES3_S8_PS7_SA_NS0_8identityIS7_EEEE10hipError_tT2_T3_mT4_P12ihipStream_tbEUlT_E_NS1_11comp_targetILNS1_3genE0ELNS1_11target_archE4294967295ELNS1_3gpuE0ELNS1_3repE0EEENS1_30default_config_static_selectorELNS0_4arch9wavefront6targetE1EEEvT1_
                                        ; -- End function
	.section	.AMDGPU.csdata,"",@progbits
; Kernel info:
; codeLenInByte = 0
; NumSgprs: 4
; NumVgprs: 0
; NumAgprs: 0
; TotalNumVgprs: 0
; ScratchSize: 0
; MemoryBound: 0
; FloatMode: 240
; IeeeMode: 1
; LDSByteSize: 0 bytes/workgroup (compile time only)
; SGPRBlocks: 0
; VGPRBlocks: 0
; NumSGPRsForWavesPerEU: 4
; NumVGPRsForWavesPerEU: 1
; AccumOffset: 4
; Occupancy: 8
; WaveLimiterHint : 0
; COMPUTE_PGM_RSRC2:SCRATCH_EN: 0
; COMPUTE_PGM_RSRC2:USER_SGPR: 6
; COMPUTE_PGM_RSRC2:TRAP_HANDLER: 0
; COMPUTE_PGM_RSRC2:TGID_X_EN: 1
; COMPUTE_PGM_RSRC2:TGID_Y_EN: 0
; COMPUTE_PGM_RSRC2:TGID_Z_EN: 0
; COMPUTE_PGM_RSRC2:TIDIG_COMP_CNT: 0
; COMPUTE_PGM_RSRC3_GFX90A:ACCUM_OFFSET: 0
; COMPUTE_PGM_RSRC3_GFX90A:TG_SPLIT: 0
	.section	.text._ZN7rocprim17ROCPRIM_400000_NS6detail17trampoline_kernelINS0_14default_configENS1_25transform_config_selectorIN3c107complexIdEELb1EEEZNS1_14transform_implILb1ES3_S8_PS7_SA_NS0_8identityIS7_EEEE10hipError_tT2_T3_mT4_P12ihipStream_tbEUlT_E_NS1_11comp_targetILNS1_3genE10ELNS1_11target_archE1201ELNS1_3gpuE5ELNS1_3repE0EEENS1_30default_config_static_selectorELNS0_4arch9wavefront6targetE1EEEvT1_,"axG",@progbits,_ZN7rocprim17ROCPRIM_400000_NS6detail17trampoline_kernelINS0_14default_configENS1_25transform_config_selectorIN3c107complexIdEELb1EEEZNS1_14transform_implILb1ES3_S8_PS7_SA_NS0_8identityIS7_EEEE10hipError_tT2_T3_mT4_P12ihipStream_tbEUlT_E_NS1_11comp_targetILNS1_3genE10ELNS1_11target_archE1201ELNS1_3gpuE5ELNS1_3repE0EEENS1_30default_config_static_selectorELNS0_4arch9wavefront6targetE1EEEvT1_,comdat
	.protected	_ZN7rocprim17ROCPRIM_400000_NS6detail17trampoline_kernelINS0_14default_configENS1_25transform_config_selectorIN3c107complexIdEELb1EEEZNS1_14transform_implILb1ES3_S8_PS7_SA_NS0_8identityIS7_EEEE10hipError_tT2_T3_mT4_P12ihipStream_tbEUlT_E_NS1_11comp_targetILNS1_3genE10ELNS1_11target_archE1201ELNS1_3gpuE5ELNS1_3repE0EEENS1_30default_config_static_selectorELNS0_4arch9wavefront6targetE1EEEvT1_ ; -- Begin function _ZN7rocprim17ROCPRIM_400000_NS6detail17trampoline_kernelINS0_14default_configENS1_25transform_config_selectorIN3c107complexIdEELb1EEEZNS1_14transform_implILb1ES3_S8_PS7_SA_NS0_8identityIS7_EEEE10hipError_tT2_T3_mT4_P12ihipStream_tbEUlT_E_NS1_11comp_targetILNS1_3genE10ELNS1_11target_archE1201ELNS1_3gpuE5ELNS1_3repE0EEENS1_30default_config_static_selectorELNS0_4arch9wavefront6targetE1EEEvT1_
	.globl	_ZN7rocprim17ROCPRIM_400000_NS6detail17trampoline_kernelINS0_14default_configENS1_25transform_config_selectorIN3c107complexIdEELb1EEEZNS1_14transform_implILb1ES3_S8_PS7_SA_NS0_8identityIS7_EEEE10hipError_tT2_T3_mT4_P12ihipStream_tbEUlT_E_NS1_11comp_targetILNS1_3genE10ELNS1_11target_archE1201ELNS1_3gpuE5ELNS1_3repE0EEENS1_30default_config_static_selectorELNS0_4arch9wavefront6targetE1EEEvT1_
	.p2align	8
	.type	_ZN7rocprim17ROCPRIM_400000_NS6detail17trampoline_kernelINS0_14default_configENS1_25transform_config_selectorIN3c107complexIdEELb1EEEZNS1_14transform_implILb1ES3_S8_PS7_SA_NS0_8identityIS7_EEEE10hipError_tT2_T3_mT4_P12ihipStream_tbEUlT_E_NS1_11comp_targetILNS1_3genE10ELNS1_11target_archE1201ELNS1_3gpuE5ELNS1_3repE0EEENS1_30default_config_static_selectorELNS0_4arch9wavefront6targetE1EEEvT1_,@function
_ZN7rocprim17ROCPRIM_400000_NS6detail17trampoline_kernelINS0_14default_configENS1_25transform_config_selectorIN3c107complexIdEELb1EEEZNS1_14transform_implILb1ES3_S8_PS7_SA_NS0_8identityIS7_EEEE10hipError_tT2_T3_mT4_P12ihipStream_tbEUlT_E_NS1_11comp_targetILNS1_3genE10ELNS1_11target_archE1201ELNS1_3gpuE5ELNS1_3repE0EEENS1_30default_config_static_selectorELNS0_4arch9wavefront6targetE1EEEvT1_: ; @_ZN7rocprim17ROCPRIM_400000_NS6detail17trampoline_kernelINS0_14default_configENS1_25transform_config_selectorIN3c107complexIdEELb1EEEZNS1_14transform_implILb1ES3_S8_PS7_SA_NS0_8identityIS7_EEEE10hipError_tT2_T3_mT4_P12ihipStream_tbEUlT_E_NS1_11comp_targetILNS1_3genE10ELNS1_11target_archE1201ELNS1_3gpuE5ELNS1_3repE0EEENS1_30default_config_static_selectorELNS0_4arch9wavefront6targetE1EEEvT1_
; %bb.0:
	.section	.rodata,"a",@progbits
	.p2align	6, 0x0
	.amdhsa_kernel _ZN7rocprim17ROCPRIM_400000_NS6detail17trampoline_kernelINS0_14default_configENS1_25transform_config_selectorIN3c107complexIdEELb1EEEZNS1_14transform_implILb1ES3_S8_PS7_SA_NS0_8identityIS7_EEEE10hipError_tT2_T3_mT4_P12ihipStream_tbEUlT_E_NS1_11comp_targetILNS1_3genE10ELNS1_11target_archE1201ELNS1_3gpuE5ELNS1_3repE0EEENS1_30default_config_static_selectorELNS0_4arch9wavefront6targetE1EEEvT1_
		.amdhsa_group_segment_fixed_size 0
		.amdhsa_private_segment_fixed_size 0
		.amdhsa_kernarg_size 40
		.amdhsa_user_sgpr_count 6
		.amdhsa_user_sgpr_private_segment_buffer 1
		.amdhsa_user_sgpr_dispatch_ptr 0
		.amdhsa_user_sgpr_queue_ptr 0
		.amdhsa_user_sgpr_kernarg_segment_ptr 1
		.amdhsa_user_sgpr_dispatch_id 0
		.amdhsa_user_sgpr_flat_scratch_init 0
		.amdhsa_user_sgpr_kernarg_preload_length 0
		.amdhsa_user_sgpr_kernarg_preload_offset 0
		.amdhsa_user_sgpr_private_segment_size 0
		.amdhsa_uses_dynamic_stack 0
		.amdhsa_system_sgpr_private_segment_wavefront_offset 0
		.amdhsa_system_sgpr_workgroup_id_x 1
		.amdhsa_system_sgpr_workgroup_id_y 0
		.amdhsa_system_sgpr_workgroup_id_z 0
		.amdhsa_system_sgpr_workgroup_info 0
		.amdhsa_system_vgpr_workitem_id 0
		.amdhsa_next_free_vgpr 1
		.amdhsa_next_free_sgpr 0
		.amdhsa_accum_offset 4
		.amdhsa_reserve_vcc 0
		.amdhsa_reserve_flat_scratch 0
		.amdhsa_float_round_mode_32 0
		.amdhsa_float_round_mode_16_64 0
		.amdhsa_float_denorm_mode_32 3
		.amdhsa_float_denorm_mode_16_64 3
		.amdhsa_dx10_clamp 1
		.amdhsa_ieee_mode 1
		.amdhsa_fp16_overflow 0
		.amdhsa_tg_split 0
		.amdhsa_exception_fp_ieee_invalid_op 0
		.amdhsa_exception_fp_denorm_src 0
		.amdhsa_exception_fp_ieee_div_zero 0
		.amdhsa_exception_fp_ieee_overflow 0
		.amdhsa_exception_fp_ieee_underflow 0
		.amdhsa_exception_fp_ieee_inexact 0
		.amdhsa_exception_int_div_zero 0
	.end_amdhsa_kernel
	.section	.text._ZN7rocprim17ROCPRIM_400000_NS6detail17trampoline_kernelINS0_14default_configENS1_25transform_config_selectorIN3c107complexIdEELb1EEEZNS1_14transform_implILb1ES3_S8_PS7_SA_NS0_8identityIS7_EEEE10hipError_tT2_T3_mT4_P12ihipStream_tbEUlT_E_NS1_11comp_targetILNS1_3genE10ELNS1_11target_archE1201ELNS1_3gpuE5ELNS1_3repE0EEENS1_30default_config_static_selectorELNS0_4arch9wavefront6targetE1EEEvT1_,"axG",@progbits,_ZN7rocprim17ROCPRIM_400000_NS6detail17trampoline_kernelINS0_14default_configENS1_25transform_config_selectorIN3c107complexIdEELb1EEEZNS1_14transform_implILb1ES3_S8_PS7_SA_NS0_8identityIS7_EEEE10hipError_tT2_T3_mT4_P12ihipStream_tbEUlT_E_NS1_11comp_targetILNS1_3genE10ELNS1_11target_archE1201ELNS1_3gpuE5ELNS1_3repE0EEENS1_30default_config_static_selectorELNS0_4arch9wavefront6targetE1EEEvT1_,comdat
.Lfunc_end186:
	.size	_ZN7rocprim17ROCPRIM_400000_NS6detail17trampoline_kernelINS0_14default_configENS1_25transform_config_selectorIN3c107complexIdEELb1EEEZNS1_14transform_implILb1ES3_S8_PS7_SA_NS0_8identityIS7_EEEE10hipError_tT2_T3_mT4_P12ihipStream_tbEUlT_E_NS1_11comp_targetILNS1_3genE10ELNS1_11target_archE1201ELNS1_3gpuE5ELNS1_3repE0EEENS1_30default_config_static_selectorELNS0_4arch9wavefront6targetE1EEEvT1_, .Lfunc_end186-_ZN7rocprim17ROCPRIM_400000_NS6detail17trampoline_kernelINS0_14default_configENS1_25transform_config_selectorIN3c107complexIdEELb1EEEZNS1_14transform_implILb1ES3_S8_PS7_SA_NS0_8identityIS7_EEEE10hipError_tT2_T3_mT4_P12ihipStream_tbEUlT_E_NS1_11comp_targetILNS1_3genE10ELNS1_11target_archE1201ELNS1_3gpuE5ELNS1_3repE0EEENS1_30default_config_static_selectorELNS0_4arch9wavefront6targetE1EEEvT1_
                                        ; -- End function
	.section	.AMDGPU.csdata,"",@progbits
; Kernel info:
; codeLenInByte = 0
; NumSgprs: 4
; NumVgprs: 0
; NumAgprs: 0
; TotalNumVgprs: 0
; ScratchSize: 0
; MemoryBound: 0
; FloatMode: 240
; IeeeMode: 1
; LDSByteSize: 0 bytes/workgroup (compile time only)
; SGPRBlocks: 0
; VGPRBlocks: 0
; NumSGPRsForWavesPerEU: 4
; NumVGPRsForWavesPerEU: 1
; AccumOffset: 4
; Occupancy: 8
; WaveLimiterHint : 0
; COMPUTE_PGM_RSRC2:SCRATCH_EN: 0
; COMPUTE_PGM_RSRC2:USER_SGPR: 6
; COMPUTE_PGM_RSRC2:TRAP_HANDLER: 0
; COMPUTE_PGM_RSRC2:TGID_X_EN: 1
; COMPUTE_PGM_RSRC2:TGID_Y_EN: 0
; COMPUTE_PGM_RSRC2:TGID_Z_EN: 0
; COMPUTE_PGM_RSRC2:TIDIG_COMP_CNT: 0
; COMPUTE_PGM_RSRC3_GFX90A:ACCUM_OFFSET: 0
; COMPUTE_PGM_RSRC3_GFX90A:TG_SPLIT: 0
	.section	.text._ZN7rocprim17ROCPRIM_400000_NS6detail17trampoline_kernelINS0_14default_configENS1_25transform_config_selectorIN3c107complexIdEELb1EEEZNS1_14transform_implILb1ES3_S8_PS7_SA_NS0_8identityIS7_EEEE10hipError_tT2_T3_mT4_P12ihipStream_tbEUlT_E_NS1_11comp_targetILNS1_3genE5ELNS1_11target_archE942ELNS1_3gpuE9ELNS1_3repE0EEENS1_30default_config_static_selectorELNS0_4arch9wavefront6targetE1EEEvT1_,"axG",@progbits,_ZN7rocprim17ROCPRIM_400000_NS6detail17trampoline_kernelINS0_14default_configENS1_25transform_config_selectorIN3c107complexIdEELb1EEEZNS1_14transform_implILb1ES3_S8_PS7_SA_NS0_8identityIS7_EEEE10hipError_tT2_T3_mT4_P12ihipStream_tbEUlT_E_NS1_11comp_targetILNS1_3genE5ELNS1_11target_archE942ELNS1_3gpuE9ELNS1_3repE0EEENS1_30default_config_static_selectorELNS0_4arch9wavefront6targetE1EEEvT1_,comdat
	.protected	_ZN7rocprim17ROCPRIM_400000_NS6detail17trampoline_kernelINS0_14default_configENS1_25transform_config_selectorIN3c107complexIdEELb1EEEZNS1_14transform_implILb1ES3_S8_PS7_SA_NS0_8identityIS7_EEEE10hipError_tT2_T3_mT4_P12ihipStream_tbEUlT_E_NS1_11comp_targetILNS1_3genE5ELNS1_11target_archE942ELNS1_3gpuE9ELNS1_3repE0EEENS1_30default_config_static_selectorELNS0_4arch9wavefront6targetE1EEEvT1_ ; -- Begin function _ZN7rocprim17ROCPRIM_400000_NS6detail17trampoline_kernelINS0_14default_configENS1_25transform_config_selectorIN3c107complexIdEELb1EEEZNS1_14transform_implILb1ES3_S8_PS7_SA_NS0_8identityIS7_EEEE10hipError_tT2_T3_mT4_P12ihipStream_tbEUlT_E_NS1_11comp_targetILNS1_3genE5ELNS1_11target_archE942ELNS1_3gpuE9ELNS1_3repE0EEENS1_30default_config_static_selectorELNS0_4arch9wavefront6targetE1EEEvT1_
	.globl	_ZN7rocprim17ROCPRIM_400000_NS6detail17trampoline_kernelINS0_14default_configENS1_25transform_config_selectorIN3c107complexIdEELb1EEEZNS1_14transform_implILb1ES3_S8_PS7_SA_NS0_8identityIS7_EEEE10hipError_tT2_T3_mT4_P12ihipStream_tbEUlT_E_NS1_11comp_targetILNS1_3genE5ELNS1_11target_archE942ELNS1_3gpuE9ELNS1_3repE0EEENS1_30default_config_static_selectorELNS0_4arch9wavefront6targetE1EEEvT1_
	.p2align	8
	.type	_ZN7rocprim17ROCPRIM_400000_NS6detail17trampoline_kernelINS0_14default_configENS1_25transform_config_selectorIN3c107complexIdEELb1EEEZNS1_14transform_implILb1ES3_S8_PS7_SA_NS0_8identityIS7_EEEE10hipError_tT2_T3_mT4_P12ihipStream_tbEUlT_E_NS1_11comp_targetILNS1_3genE5ELNS1_11target_archE942ELNS1_3gpuE9ELNS1_3repE0EEENS1_30default_config_static_selectorELNS0_4arch9wavefront6targetE1EEEvT1_,@function
_ZN7rocprim17ROCPRIM_400000_NS6detail17trampoline_kernelINS0_14default_configENS1_25transform_config_selectorIN3c107complexIdEELb1EEEZNS1_14transform_implILb1ES3_S8_PS7_SA_NS0_8identityIS7_EEEE10hipError_tT2_T3_mT4_P12ihipStream_tbEUlT_E_NS1_11comp_targetILNS1_3genE5ELNS1_11target_archE942ELNS1_3gpuE9ELNS1_3repE0EEENS1_30default_config_static_selectorELNS0_4arch9wavefront6targetE1EEEvT1_: ; @_ZN7rocprim17ROCPRIM_400000_NS6detail17trampoline_kernelINS0_14default_configENS1_25transform_config_selectorIN3c107complexIdEELb1EEEZNS1_14transform_implILb1ES3_S8_PS7_SA_NS0_8identityIS7_EEEE10hipError_tT2_T3_mT4_P12ihipStream_tbEUlT_E_NS1_11comp_targetILNS1_3genE5ELNS1_11target_archE942ELNS1_3gpuE9ELNS1_3repE0EEENS1_30default_config_static_selectorELNS0_4arch9wavefront6targetE1EEEvT1_
; %bb.0:
	.section	.rodata,"a",@progbits
	.p2align	6, 0x0
	.amdhsa_kernel _ZN7rocprim17ROCPRIM_400000_NS6detail17trampoline_kernelINS0_14default_configENS1_25transform_config_selectorIN3c107complexIdEELb1EEEZNS1_14transform_implILb1ES3_S8_PS7_SA_NS0_8identityIS7_EEEE10hipError_tT2_T3_mT4_P12ihipStream_tbEUlT_E_NS1_11comp_targetILNS1_3genE5ELNS1_11target_archE942ELNS1_3gpuE9ELNS1_3repE0EEENS1_30default_config_static_selectorELNS0_4arch9wavefront6targetE1EEEvT1_
		.amdhsa_group_segment_fixed_size 0
		.amdhsa_private_segment_fixed_size 0
		.amdhsa_kernarg_size 40
		.amdhsa_user_sgpr_count 6
		.amdhsa_user_sgpr_private_segment_buffer 1
		.amdhsa_user_sgpr_dispatch_ptr 0
		.amdhsa_user_sgpr_queue_ptr 0
		.amdhsa_user_sgpr_kernarg_segment_ptr 1
		.amdhsa_user_sgpr_dispatch_id 0
		.amdhsa_user_sgpr_flat_scratch_init 0
		.amdhsa_user_sgpr_kernarg_preload_length 0
		.amdhsa_user_sgpr_kernarg_preload_offset 0
		.amdhsa_user_sgpr_private_segment_size 0
		.amdhsa_uses_dynamic_stack 0
		.amdhsa_system_sgpr_private_segment_wavefront_offset 0
		.amdhsa_system_sgpr_workgroup_id_x 1
		.amdhsa_system_sgpr_workgroup_id_y 0
		.amdhsa_system_sgpr_workgroup_id_z 0
		.amdhsa_system_sgpr_workgroup_info 0
		.amdhsa_system_vgpr_workitem_id 0
		.amdhsa_next_free_vgpr 1
		.amdhsa_next_free_sgpr 0
		.amdhsa_accum_offset 4
		.amdhsa_reserve_vcc 0
		.amdhsa_reserve_flat_scratch 0
		.amdhsa_float_round_mode_32 0
		.amdhsa_float_round_mode_16_64 0
		.amdhsa_float_denorm_mode_32 3
		.amdhsa_float_denorm_mode_16_64 3
		.amdhsa_dx10_clamp 1
		.amdhsa_ieee_mode 1
		.amdhsa_fp16_overflow 0
		.amdhsa_tg_split 0
		.amdhsa_exception_fp_ieee_invalid_op 0
		.amdhsa_exception_fp_denorm_src 0
		.amdhsa_exception_fp_ieee_div_zero 0
		.amdhsa_exception_fp_ieee_overflow 0
		.amdhsa_exception_fp_ieee_underflow 0
		.amdhsa_exception_fp_ieee_inexact 0
		.amdhsa_exception_int_div_zero 0
	.end_amdhsa_kernel
	.section	.text._ZN7rocprim17ROCPRIM_400000_NS6detail17trampoline_kernelINS0_14default_configENS1_25transform_config_selectorIN3c107complexIdEELb1EEEZNS1_14transform_implILb1ES3_S8_PS7_SA_NS0_8identityIS7_EEEE10hipError_tT2_T3_mT4_P12ihipStream_tbEUlT_E_NS1_11comp_targetILNS1_3genE5ELNS1_11target_archE942ELNS1_3gpuE9ELNS1_3repE0EEENS1_30default_config_static_selectorELNS0_4arch9wavefront6targetE1EEEvT1_,"axG",@progbits,_ZN7rocprim17ROCPRIM_400000_NS6detail17trampoline_kernelINS0_14default_configENS1_25transform_config_selectorIN3c107complexIdEELb1EEEZNS1_14transform_implILb1ES3_S8_PS7_SA_NS0_8identityIS7_EEEE10hipError_tT2_T3_mT4_P12ihipStream_tbEUlT_E_NS1_11comp_targetILNS1_3genE5ELNS1_11target_archE942ELNS1_3gpuE9ELNS1_3repE0EEENS1_30default_config_static_selectorELNS0_4arch9wavefront6targetE1EEEvT1_,comdat
.Lfunc_end187:
	.size	_ZN7rocprim17ROCPRIM_400000_NS6detail17trampoline_kernelINS0_14default_configENS1_25transform_config_selectorIN3c107complexIdEELb1EEEZNS1_14transform_implILb1ES3_S8_PS7_SA_NS0_8identityIS7_EEEE10hipError_tT2_T3_mT4_P12ihipStream_tbEUlT_E_NS1_11comp_targetILNS1_3genE5ELNS1_11target_archE942ELNS1_3gpuE9ELNS1_3repE0EEENS1_30default_config_static_selectorELNS0_4arch9wavefront6targetE1EEEvT1_, .Lfunc_end187-_ZN7rocprim17ROCPRIM_400000_NS6detail17trampoline_kernelINS0_14default_configENS1_25transform_config_selectorIN3c107complexIdEELb1EEEZNS1_14transform_implILb1ES3_S8_PS7_SA_NS0_8identityIS7_EEEE10hipError_tT2_T3_mT4_P12ihipStream_tbEUlT_E_NS1_11comp_targetILNS1_3genE5ELNS1_11target_archE942ELNS1_3gpuE9ELNS1_3repE0EEENS1_30default_config_static_selectorELNS0_4arch9wavefront6targetE1EEEvT1_
                                        ; -- End function
	.section	.AMDGPU.csdata,"",@progbits
; Kernel info:
; codeLenInByte = 0
; NumSgprs: 4
; NumVgprs: 0
; NumAgprs: 0
; TotalNumVgprs: 0
; ScratchSize: 0
; MemoryBound: 0
; FloatMode: 240
; IeeeMode: 1
; LDSByteSize: 0 bytes/workgroup (compile time only)
; SGPRBlocks: 0
; VGPRBlocks: 0
; NumSGPRsForWavesPerEU: 4
; NumVGPRsForWavesPerEU: 1
; AccumOffset: 4
; Occupancy: 8
; WaveLimiterHint : 0
; COMPUTE_PGM_RSRC2:SCRATCH_EN: 0
; COMPUTE_PGM_RSRC2:USER_SGPR: 6
; COMPUTE_PGM_RSRC2:TRAP_HANDLER: 0
; COMPUTE_PGM_RSRC2:TGID_X_EN: 1
; COMPUTE_PGM_RSRC2:TGID_Y_EN: 0
; COMPUTE_PGM_RSRC2:TGID_Z_EN: 0
; COMPUTE_PGM_RSRC2:TIDIG_COMP_CNT: 0
; COMPUTE_PGM_RSRC3_GFX90A:ACCUM_OFFSET: 0
; COMPUTE_PGM_RSRC3_GFX90A:TG_SPLIT: 0
	.section	.text._ZN7rocprim17ROCPRIM_400000_NS6detail17trampoline_kernelINS0_14default_configENS1_25transform_config_selectorIN3c107complexIdEELb1EEEZNS1_14transform_implILb1ES3_S8_PS7_SA_NS0_8identityIS7_EEEE10hipError_tT2_T3_mT4_P12ihipStream_tbEUlT_E_NS1_11comp_targetILNS1_3genE4ELNS1_11target_archE910ELNS1_3gpuE8ELNS1_3repE0EEENS1_30default_config_static_selectorELNS0_4arch9wavefront6targetE1EEEvT1_,"axG",@progbits,_ZN7rocprim17ROCPRIM_400000_NS6detail17trampoline_kernelINS0_14default_configENS1_25transform_config_selectorIN3c107complexIdEELb1EEEZNS1_14transform_implILb1ES3_S8_PS7_SA_NS0_8identityIS7_EEEE10hipError_tT2_T3_mT4_P12ihipStream_tbEUlT_E_NS1_11comp_targetILNS1_3genE4ELNS1_11target_archE910ELNS1_3gpuE8ELNS1_3repE0EEENS1_30default_config_static_selectorELNS0_4arch9wavefront6targetE1EEEvT1_,comdat
	.protected	_ZN7rocprim17ROCPRIM_400000_NS6detail17trampoline_kernelINS0_14default_configENS1_25transform_config_selectorIN3c107complexIdEELb1EEEZNS1_14transform_implILb1ES3_S8_PS7_SA_NS0_8identityIS7_EEEE10hipError_tT2_T3_mT4_P12ihipStream_tbEUlT_E_NS1_11comp_targetILNS1_3genE4ELNS1_11target_archE910ELNS1_3gpuE8ELNS1_3repE0EEENS1_30default_config_static_selectorELNS0_4arch9wavefront6targetE1EEEvT1_ ; -- Begin function _ZN7rocprim17ROCPRIM_400000_NS6detail17trampoline_kernelINS0_14default_configENS1_25transform_config_selectorIN3c107complexIdEELb1EEEZNS1_14transform_implILb1ES3_S8_PS7_SA_NS0_8identityIS7_EEEE10hipError_tT2_T3_mT4_P12ihipStream_tbEUlT_E_NS1_11comp_targetILNS1_3genE4ELNS1_11target_archE910ELNS1_3gpuE8ELNS1_3repE0EEENS1_30default_config_static_selectorELNS0_4arch9wavefront6targetE1EEEvT1_
	.globl	_ZN7rocprim17ROCPRIM_400000_NS6detail17trampoline_kernelINS0_14default_configENS1_25transform_config_selectorIN3c107complexIdEELb1EEEZNS1_14transform_implILb1ES3_S8_PS7_SA_NS0_8identityIS7_EEEE10hipError_tT2_T3_mT4_P12ihipStream_tbEUlT_E_NS1_11comp_targetILNS1_3genE4ELNS1_11target_archE910ELNS1_3gpuE8ELNS1_3repE0EEENS1_30default_config_static_selectorELNS0_4arch9wavefront6targetE1EEEvT1_
	.p2align	8
	.type	_ZN7rocprim17ROCPRIM_400000_NS6detail17trampoline_kernelINS0_14default_configENS1_25transform_config_selectorIN3c107complexIdEELb1EEEZNS1_14transform_implILb1ES3_S8_PS7_SA_NS0_8identityIS7_EEEE10hipError_tT2_T3_mT4_P12ihipStream_tbEUlT_E_NS1_11comp_targetILNS1_3genE4ELNS1_11target_archE910ELNS1_3gpuE8ELNS1_3repE0EEENS1_30default_config_static_selectorELNS0_4arch9wavefront6targetE1EEEvT1_,@function
_ZN7rocprim17ROCPRIM_400000_NS6detail17trampoline_kernelINS0_14default_configENS1_25transform_config_selectorIN3c107complexIdEELb1EEEZNS1_14transform_implILb1ES3_S8_PS7_SA_NS0_8identityIS7_EEEE10hipError_tT2_T3_mT4_P12ihipStream_tbEUlT_E_NS1_11comp_targetILNS1_3genE4ELNS1_11target_archE910ELNS1_3gpuE8ELNS1_3repE0EEENS1_30default_config_static_selectorELNS0_4arch9wavefront6targetE1EEEvT1_: ; @_ZN7rocprim17ROCPRIM_400000_NS6detail17trampoline_kernelINS0_14default_configENS1_25transform_config_selectorIN3c107complexIdEELb1EEEZNS1_14transform_implILb1ES3_S8_PS7_SA_NS0_8identityIS7_EEEE10hipError_tT2_T3_mT4_P12ihipStream_tbEUlT_E_NS1_11comp_targetILNS1_3genE4ELNS1_11target_archE910ELNS1_3gpuE8ELNS1_3repE0EEENS1_30default_config_static_selectorELNS0_4arch9wavefront6targetE1EEEvT1_
; %bb.0:
	s_load_dword s1, s[4:5], 0x28
	s_load_dword s7, s[4:5], 0x10
	s_lshl_b32 s0, s6, 10
	s_waitcnt lgkmcnt(0)
	s_add_i32 s1, s1, -1
	s_cmp_lg_u32 s6, s1
	s_cselect_b64 s[2:3], -1, 0
	s_sub_i32 s1, s7, s0
	v_cmp_gt_u32_e32 vcc, s1, v0
	s_or_b64 s[2:3], vcc, s[2:3]
	s_and_saveexec_b64 s[6:7], s[2:3]
	s_cbranch_execz .LBB188_2
; %bb.1:
	s_load_dwordx4 s[8:11], s[4:5], 0x0
	s_load_dwordx2 s[2:3], s[4:5], 0x18
	s_mov_b32 s1, 0
	v_lshlrev_b32_e32 v4, 4, v0
	s_waitcnt lgkmcnt(0)
	s_lshl_b64 s[4:5], s[10:11], 4
	s_add_u32 s6, s8, s4
	s_addc_u32 s7, s9, s5
	s_lshl_b64 s[0:1], s[0:1], 4
	s_add_u32 s6, s6, s0
	s_addc_u32 s7, s7, s1
	global_load_dwordx4 v[0:3], v4, s[6:7]
	s_add_u32 s2, s2, s4
	s_addc_u32 s3, s3, s5
	s_add_u32 s0, s2, s0
	s_addc_u32 s1, s3, s1
	s_waitcnt vmcnt(0)
	global_store_dwordx4 v4, v[0:3], s[0:1]
.LBB188_2:
	s_endpgm
	.section	.rodata,"a",@progbits
	.p2align	6, 0x0
	.amdhsa_kernel _ZN7rocprim17ROCPRIM_400000_NS6detail17trampoline_kernelINS0_14default_configENS1_25transform_config_selectorIN3c107complexIdEELb1EEEZNS1_14transform_implILb1ES3_S8_PS7_SA_NS0_8identityIS7_EEEE10hipError_tT2_T3_mT4_P12ihipStream_tbEUlT_E_NS1_11comp_targetILNS1_3genE4ELNS1_11target_archE910ELNS1_3gpuE8ELNS1_3repE0EEENS1_30default_config_static_selectorELNS0_4arch9wavefront6targetE1EEEvT1_
		.amdhsa_group_segment_fixed_size 0
		.amdhsa_private_segment_fixed_size 0
		.amdhsa_kernarg_size 296
		.amdhsa_user_sgpr_count 6
		.amdhsa_user_sgpr_private_segment_buffer 1
		.amdhsa_user_sgpr_dispatch_ptr 0
		.amdhsa_user_sgpr_queue_ptr 0
		.amdhsa_user_sgpr_kernarg_segment_ptr 1
		.amdhsa_user_sgpr_dispatch_id 0
		.amdhsa_user_sgpr_flat_scratch_init 0
		.amdhsa_user_sgpr_kernarg_preload_length 0
		.amdhsa_user_sgpr_kernarg_preload_offset 0
		.amdhsa_user_sgpr_private_segment_size 0
		.amdhsa_uses_dynamic_stack 0
		.amdhsa_system_sgpr_private_segment_wavefront_offset 0
		.amdhsa_system_sgpr_workgroup_id_x 1
		.amdhsa_system_sgpr_workgroup_id_y 0
		.amdhsa_system_sgpr_workgroup_id_z 0
		.amdhsa_system_sgpr_workgroup_info 0
		.amdhsa_system_vgpr_workitem_id 0
		.amdhsa_next_free_vgpr 5
		.amdhsa_next_free_sgpr 12
		.amdhsa_accum_offset 8
		.amdhsa_reserve_vcc 1
		.amdhsa_reserve_flat_scratch 0
		.amdhsa_float_round_mode_32 0
		.amdhsa_float_round_mode_16_64 0
		.amdhsa_float_denorm_mode_32 3
		.amdhsa_float_denorm_mode_16_64 3
		.amdhsa_dx10_clamp 1
		.amdhsa_ieee_mode 1
		.amdhsa_fp16_overflow 0
		.amdhsa_tg_split 0
		.amdhsa_exception_fp_ieee_invalid_op 0
		.amdhsa_exception_fp_denorm_src 0
		.amdhsa_exception_fp_ieee_div_zero 0
		.amdhsa_exception_fp_ieee_overflow 0
		.amdhsa_exception_fp_ieee_underflow 0
		.amdhsa_exception_fp_ieee_inexact 0
		.amdhsa_exception_int_div_zero 0
	.end_amdhsa_kernel
	.section	.text._ZN7rocprim17ROCPRIM_400000_NS6detail17trampoline_kernelINS0_14default_configENS1_25transform_config_selectorIN3c107complexIdEELb1EEEZNS1_14transform_implILb1ES3_S8_PS7_SA_NS0_8identityIS7_EEEE10hipError_tT2_T3_mT4_P12ihipStream_tbEUlT_E_NS1_11comp_targetILNS1_3genE4ELNS1_11target_archE910ELNS1_3gpuE8ELNS1_3repE0EEENS1_30default_config_static_selectorELNS0_4arch9wavefront6targetE1EEEvT1_,"axG",@progbits,_ZN7rocprim17ROCPRIM_400000_NS6detail17trampoline_kernelINS0_14default_configENS1_25transform_config_selectorIN3c107complexIdEELb1EEEZNS1_14transform_implILb1ES3_S8_PS7_SA_NS0_8identityIS7_EEEE10hipError_tT2_T3_mT4_P12ihipStream_tbEUlT_E_NS1_11comp_targetILNS1_3genE4ELNS1_11target_archE910ELNS1_3gpuE8ELNS1_3repE0EEENS1_30default_config_static_selectorELNS0_4arch9wavefront6targetE1EEEvT1_,comdat
.Lfunc_end188:
	.size	_ZN7rocprim17ROCPRIM_400000_NS6detail17trampoline_kernelINS0_14default_configENS1_25transform_config_selectorIN3c107complexIdEELb1EEEZNS1_14transform_implILb1ES3_S8_PS7_SA_NS0_8identityIS7_EEEE10hipError_tT2_T3_mT4_P12ihipStream_tbEUlT_E_NS1_11comp_targetILNS1_3genE4ELNS1_11target_archE910ELNS1_3gpuE8ELNS1_3repE0EEENS1_30default_config_static_selectorELNS0_4arch9wavefront6targetE1EEEvT1_, .Lfunc_end188-_ZN7rocprim17ROCPRIM_400000_NS6detail17trampoline_kernelINS0_14default_configENS1_25transform_config_selectorIN3c107complexIdEELb1EEEZNS1_14transform_implILb1ES3_S8_PS7_SA_NS0_8identityIS7_EEEE10hipError_tT2_T3_mT4_P12ihipStream_tbEUlT_E_NS1_11comp_targetILNS1_3genE4ELNS1_11target_archE910ELNS1_3gpuE8ELNS1_3repE0EEENS1_30default_config_static_selectorELNS0_4arch9wavefront6targetE1EEEvT1_
                                        ; -- End function
	.section	.AMDGPU.csdata,"",@progbits
; Kernel info:
; codeLenInByte = 148
; NumSgprs: 16
; NumVgprs: 5
; NumAgprs: 0
; TotalNumVgprs: 5
; ScratchSize: 0
; MemoryBound: 0
; FloatMode: 240
; IeeeMode: 1
; LDSByteSize: 0 bytes/workgroup (compile time only)
; SGPRBlocks: 1
; VGPRBlocks: 0
; NumSGPRsForWavesPerEU: 16
; NumVGPRsForWavesPerEU: 5
; AccumOffset: 8
; Occupancy: 8
; WaveLimiterHint : 0
; COMPUTE_PGM_RSRC2:SCRATCH_EN: 0
; COMPUTE_PGM_RSRC2:USER_SGPR: 6
; COMPUTE_PGM_RSRC2:TRAP_HANDLER: 0
; COMPUTE_PGM_RSRC2:TGID_X_EN: 1
; COMPUTE_PGM_RSRC2:TGID_Y_EN: 0
; COMPUTE_PGM_RSRC2:TGID_Z_EN: 0
; COMPUTE_PGM_RSRC2:TIDIG_COMP_CNT: 0
; COMPUTE_PGM_RSRC3_GFX90A:ACCUM_OFFSET: 1
; COMPUTE_PGM_RSRC3_GFX90A:TG_SPLIT: 0
	.section	.text._ZN7rocprim17ROCPRIM_400000_NS6detail17trampoline_kernelINS0_14default_configENS1_25transform_config_selectorIN3c107complexIdEELb1EEEZNS1_14transform_implILb1ES3_S8_PS7_SA_NS0_8identityIS7_EEEE10hipError_tT2_T3_mT4_P12ihipStream_tbEUlT_E_NS1_11comp_targetILNS1_3genE3ELNS1_11target_archE908ELNS1_3gpuE7ELNS1_3repE0EEENS1_30default_config_static_selectorELNS0_4arch9wavefront6targetE1EEEvT1_,"axG",@progbits,_ZN7rocprim17ROCPRIM_400000_NS6detail17trampoline_kernelINS0_14default_configENS1_25transform_config_selectorIN3c107complexIdEELb1EEEZNS1_14transform_implILb1ES3_S8_PS7_SA_NS0_8identityIS7_EEEE10hipError_tT2_T3_mT4_P12ihipStream_tbEUlT_E_NS1_11comp_targetILNS1_3genE3ELNS1_11target_archE908ELNS1_3gpuE7ELNS1_3repE0EEENS1_30default_config_static_selectorELNS0_4arch9wavefront6targetE1EEEvT1_,comdat
	.protected	_ZN7rocprim17ROCPRIM_400000_NS6detail17trampoline_kernelINS0_14default_configENS1_25transform_config_selectorIN3c107complexIdEELb1EEEZNS1_14transform_implILb1ES3_S8_PS7_SA_NS0_8identityIS7_EEEE10hipError_tT2_T3_mT4_P12ihipStream_tbEUlT_E_NS1_11comp_targetILNS1_3genE3ELNS1_11target_archE908ELNS1_3gpuE7ELNS1_3repE0EEENS1_30default_config_static_selectorELNS0_4arch9wavefront6targetE1EEEvT1_ ; -- Begin function _ZN7rocprim17ROCPRIM_400000_NS6detail17trampoline_kernelINS0_14default_configENS1_25transform_config_selectorIN3c107complexIdEELb1EEEZNS1_14transform_implILb1ES3_S8_PS7_SA_NS0_8identityIS7_EEEE10hipError_tT2_T3_mT4_P12ihipStream_tbEUlT_E_NS1_11comp_targetILNS1_3genE3ELNS1_11target_archE908ELNS1_3gpuE7ELNS1_3repE0EEENS1_30default_config_static_selectorELNS0_4arch9wavefront6targetE1EEEvT1_
	.globl	_ZN7rocprim17ROCPRIM_400000_NS6detail17trampoline_kernelINS0_14default_configENS1_25transform_config_selectorIN3c107complexIdEELb1EEEZNS1_14transform_implILb1ES3_S8_PS7_SA_NS0_8identityIS7_EEEE10hipError_tT2_T3_mT4_P12ihipStream_tbEUlT_E_NS1_11comp_targetILNS1_3genE3ELNS1_11target_archE908ELNS1_3gpuE7ELNS1_3repE0EEENS1_30default_config_static_selectorELNS0_4arch9wavefront6targetE1EEEvT1_
	.p2align	8
	.type	_ZN7rocprim17ROCPRIM_400000_NS6detail17trampoline_kernelINS0_14default_configENS1_25transform_config_selectorIN3c107complexIdEELb1EEEZNS1_14transform_implILb1ES3_S8_PS7_SA_NS0_8identityIS7_EEEE10hipError_tT2_T3_mT4_P12ihipStream_tbEUlT_E_NS1_11comp_targetILNS1_3genE3ELNS1_11target_archE908ELNS1_3gpuE7ELNS1_3repE0EEENS1_30default_config_static_selectorELNS0_4arch9wavefront6targetE1EEEvT1_,@function
_ZN7rocprim17ROCPRIM_400000_NS6detail17trampoline_kernelINS0_14default_configENS1_25transform_config_selectorIN3c107complexIdEELb1EEEZNS1_14transform_implILb1ES3_S8_PS7_SA_NS0_8identityIS7_EEEE10hipError_tT2_T3_mT4_P12ihipStream_tbEUlT_E_NS1_11comp_targetILNS1_3genE3ELNS1_11target_archE908ELNS1_3gpuE7ELNS1_3repE0EEENS1_30default_config_static_selectorELNS0_4arch9wavefront6targetE1EEEvT1_: ; @_ZN7rocprim17ROCPRIM_400000_NS6detail17trampoline_kernelINS0_14default_configENS1_25transform_config_selectorIN3c107complexIdEELb1EEEZNS1_14transform_implILb1ES3_S8_PS7_SA_NS0_8identityIS7_EEEE10hipError_tT2_T3_mT4_P12ihipStream_tbEUlT_E_NS1_11comp_targetILNS1_3genE3ELNS1_11target_archE908ELNS1_3gpuE7ELNS1_3repE0EEENS1_30default_config_static_selectorELNS0_4arch9wavefront6targetE1EEEvT1_
; %bb.0:
	.section	.rodata,"a",@progbits
	.p2align	6, 0x0
	.amdhsa_kernel _ZN7rocprim17ROCPRIM_400000_NS6detail17trampoline_kernelINS0_14default_configENS1_25transform_config_selectorIN3c107complexIdEELb1EEEZNS1_14transform_implILb1ES3_S8_PS7_SA_NS0_8identityIS7_EEEE10hipError_tT2_T3_mT4_P12ihipStream_tbEUlT_E_NS1_11comp_targetILNS1_3genE3ELNS1_11target_archE908ELNS1_3gpuE7ELNS1_3repE0EEENS1_30default_config_static_selectorELNS0_4arch9wavefront6targetE1EEEvT1_
		.amdhsa_group_segment_fixed_size 0
		.amdhsa_private_segment_fixed_size 0
		.amdhsa_kernarg_size 40
		.amdhsa_user_sgpr_count 6
		.amdhsa_user_sgpr_private_segment_buffer 1
		.amdhsa_user_sgpr_dispatch_ptr 0
		.amdhsa_user_sgpr_queue_ptr 0
		.amdhsa_user_sgpr_kernarg_segment_ptr 1
		.amdhsa_user_sgpr_dispatch_id 0
		.amdhsa_user_sgpr_flat_scratch_init 0
		.amdhsa_user_sgpr_kernarg_preload_length 0
		.amdhsa_user_sgpr_kernarg_preload_offset 0
		.amdhsa_user_sgpr_private_segment_size 0
		.amdhsa_uses_dynamic_stack 0
		.amdhsa_system_sgpr_private_segment_wavefront_offset 0
		.amdhsa_system_sgpr_workgroup_id_x 1
		.amdhsa_system_sgpr_workgroup_id_y 0
		.amdhsa_system_sgpr_workgroup_id_z 0
		.amdhsa_system_sgpr_workgroup_info 0
		.amdhsa_system_vgpr_workitem_id 0
		.amdhsa_next_free_vgpr 1
		.amdhsa_next_free_sgpr 0
		.amdhsa_accum_offset 4
		.amdhsa_reserve_vcc 0
		.amdhsa_reserve_flat_scratch 0
		.amdhsa_float_round_mode_32 0
		.amdhsa_float_round_mode_16_64 0
		.amdhsa_float_denorm_mode_32 3
		.amdhsa_float_denorm_mode_16_64 3
		.amdhsa_dx10_clamp 1
		.amdhsa_ieee_mode 1
		.amdhsa_fp16_overflow 0
		.amdhsa_tg_split 0
		.amdhsa_exception_fp_ieee_invalid_op 0
		.amdhsa_exception_fp_denorm_src 0
		.amdhsa_exception_fp_ieee_div_zero 0
		.amdhsa_exception_fp_ieee_overflow 0
		.amdhsa_exception_fp_ieee_underflow 0
		.amdhsa_exception_fp_ieee_inexact 0
		.amdhsa_exception_int_div_zero 0
	.end_amdhsa_kernel
	.section	.text._ZN7rocprim17ROCPRIM_400000_NS6detail17trampoline_kernelINS0_14default_configENS1_25transform_config_selectorIN3c107complexIdEELb1EEEZNS1_14transform_implILb1ES3_S8_PS7_SA_NS0_8identityIS7_EEEE10hipError_tT2_T3_mT4_P12ihipStream_tbEUlT_E_NS1_11comp_targetILNS1_3genE3ELNS1_11target_archE908ELNS1_3gpuE7ELNS1_3repE0EEENS1_30default_config_static_selectorELNS0_4arch9wavefront6targetE1EEEvT1_,"axG",@progbits,_ZN7rocprim17ROCPRIM_400000_NS6detail17trampoline_kernelINS0_14default_configENS1_25transform_config_selectorIN3c107complexIdEELb1EEEZNS1_14transform_implILb1ES3_S8_PS7_SA_NS0_8identityIS7_EEEE10hipError_tT2_T3_mT4_P12ihipStream_tbEUlT_E_NS1_11comp_targetILNS1_3genE3ELNS1_11target_archE908ELNS1_3gpuE7ELNS1_3repE0EEENS1_30default_config_static_selectorELNS0_4arch9wavefront6targetE1EEEvT1_,comdat
.Lfunc_end189:
	.size	_ZN7rocprim17ROCPRIM_400000_NS6detail17trampoline_kernelINS0_14default_configENS1_25transform_config_selectorIN3c107complexIdEELb1EEEZNS1_14transform_implILb1ES3_S8_PS7_SA_NS0_8identityIS7_EEEE10hipError_tT2_T3_mT4_P12ihipStream_tbEUlT_E_NS1_11comp_targetILNS1_3genE3ELNS1_11target_archE908ELNS1_3gpuE7ELNS1_3repE0EEENS1_30default_config_static_selectorELNS0_4arch9wavefront6targetE1EEEvT1_, .Lfunc_end189-_ZN7rocprim17ROCPRIM_400000_NS6detail17trampoline_kernelINS0_14default_configENS1_25transform_config_selectorIN3c107complexIdEELb1EEEZNS1_14transform_implILb1ES3_S8_PS7_SA_NS0_8identityIS7_EEEE10hipError_tT2_T3_mT4_P12ihipStream_tbEUlT_E_NS1_11comp_targetILNS1_3genE3ELNS1_11target_archE908ELNS1_3gpuE7ELNS1_3repE0EEENS1_30default_config_static_selectorELNS0_4arch9wavefront6targetE1EEEvT1_
                                        ; -- End function
	.section	.AMDGPU.csdata,"",@progbits
; Kernel info:
; codeLenInByte = 0
; NumSgprs: 4
; NumVgprs: 0
; NumAgprs: 0
; TotalNumVgprs: 0
; ScratchSize: 0
; MemoryBound: 0
; FloatMode: 240
; IeeeMode: 1
; LDSByteSize: 0 bytes/workgroup (compile time only)
; SGPRBlocks: 0
; VGPRBlocks: 0
; NumSGPRsForWavesPerEU: 4
; NumVGPRsForWavesPerEU: 1
; AccumOffset: 4
; Occupancy: 8
; WaveLimiterHint : 0
; COMPUTE_PGM_RSRC2:SCRATCH_EN: 0
; COMPUTE_PGM_RSRC2:USER_SGPR: 6
; COMPUTE_PGM_RSRC2:TRAP_HANDLER: 0
; COMPUTE_PGM_RSRC2:TGID_X_EN: 1
; COMPUTE_PGM_RSRC2:TGID_Y_EN: 0
; COMPUTE_PGM_RSRC2:TGID_Z_EN: 0
; COMPUTE_PGM_RSRC2:TIDIG_COMP_CNT: 0
; COMPUTE_PGM_RSRC3_GFX90A:ACCUM_OFFSET: 0
; COMPUTE_PGM_RSRC3_GFX90A:TG_SPLIT: 0
	.section	.text._ZN7rocprim17ROCPRIM_400000_NS6detail17trampoline_kernelINS0_14default_configENS1_25transform_config_selectorIN3c107complexIdEELb1EEEZNS1_14transform_implILb1ES3_S8_PS7_SA_NS0_8identityIS7_EEEE10hipError_tT2_T3_mT4_P12ihipStream_tbEUlT_E_NS1_11comp_targetILNS1_3genE2ELNS1_11target_archE906ELNS1_3gpuE6ELNS1_3repE0EEENS1_30default_config_static_selectorELNS0_4arch9wavefront6targetE1EEEvT1_,"axG",@progbits,_ZN7rocprim17ROCPRIM_400000_NS6detail17trampoline_kernelINS0_14default_configENS1_25transform_config_selectorIN3c107complexIdEELb1EEEZNS1_14transform_implILb1ES3_S8_PS7_SA_NS0_8identityIS7_EEEE10hipError_tT2_T3_mT4_P12ihipStream_tbEUlT_E_NS1_11comp_targetILNS1_3genE2ELNS1_11target_archE906ELNS1_3gpuE6ELNS1_3repE0EEENS1_30default_config_static_selectorELNS0_4arch9wavefront6targetE1EEEvT1_,comdat
	.protected	_ZN7rocprim17ROCPRIM_400000_NS6detail17trampoline_kernelINS0_14default_configENS1_25transform_config_selectorIN3c107complexIdEELb1EEEZNS1_14transform_implILb1ES3_S8_PS7_SA_NS0_8identityIS7_EEEE10hipError_tT2_T3_mT4_P12ihipStream_tbEUlT_E_NS1_11comp_targetILNS1_3genE2ELNS1_11target_archE906ELNS1_3gpuE6ELNS1_3repE0EEENS1_30default_config_static_selectorELNS0_4arch9wavefront6targetE1EEEvT1_ ; -- Begin function _ZN7rocprim17ROCPRIM_400000_NS6detail17trampoline_kernelINS0_14default_configENS1_25transform_config_selectorIN3c107complexIdEELb1EEEZNS1_14transform_implILb1ES3_S8_PS7_SA_NS0_8identityIS7_EEEE10hipError_tT2_T3_mT4_P12ihipStream_tbEUlT_E_NS1_11comp_targetILNS1_3genE2ELNS1_11target_archE906ELNS1_3gpuE6ELNS1_3repE0EEENS1_30default_config_static_selectorELNS0_4arch9wavefront6targetE1EEEvT1_
	.globl	_ZN7rocprim17ROCPRIM_400000_NS6detail17trampoline_kernelINS0_14default_configENS1_25transform_config_selectorIN3c107complexIdEELb1EEEZNS1_14transform_implILb1ES3_S8_PS7_SA_NS0_8identityIS7_EEEE10hipError_tT2_T3_mT4_P12ihipStream_tbEUlT_E_NS1_11comp_targetILNS1_3genE2ELNS1_11target_archE906ELNS1_3gpuE6ELNS1_3repE0EEENS1_30default_config_static_selectorELNS0_4arch9wavefront6targetE1EEEvT1_
	.p2align	8
	.type	_ZN7rocprim17ROCPRIM_400000_NS6detail17trampoline_kernelINS0_14default_configENS1_25transform_config_selectorIN3c107complexIdEELb1EEEZNS1_14transform_implILb1ES3_S8_PS7_SA_NS0_8identityIS7_EEEE10hipError_tT2_T3_mT4_P12ihipStream_tbEUlT_E_NS1_11comp_targetILNS1_3genE2ELNS1_11target_archE906ELNS1_3gpuE6ELNS1_3repE0EEENS1_30default_config_static_selectorELNS0_4arch9wavefront6targetE1EEEvT1_,@function
_ZN7rocprim17ROCPRIM_400000_NS6detail17trampoline_kernelINS0_14default_configENS1_25transform_config_selectorIN3c107complexIdEELb1EEEZNS1_14transform_implILb1ES3_S8_PS7_SA_NS0_8identityIS7_EEEE10hipError_tT2_T3_mT4_P12ihipStream_tbEUlT_E_NS1_11comp_targetILNS1_3genE2ELNS1_11target_archE906ELNS1_3gpuE6ELNS1_3repE0EEENS1_30default_config_static_selectorELNS0_4arch9wavefront6targetE1EEEvT1_: ; @_ZN7rocprim17ROCPRIM_400000_NS6detail17trampoline_kernelINS0_14default_configENS1_25transform_config_selectorIN3c107complexIdEELb1EEEZNS1_14transform_implILb1ES3_S8_PS7_SA_NS0_8identityIS7_EEEE10hipError_tT2_T3_mT4_P12ihipStream_tbEUlT_E_NS1_11comp_targetILNS1_3genE2ELNS1_11target_archE906ELNS1_3gpuE6ELNS1_3repE0EEENS1_30default_config_static_selectorELNS0_4arch9wavefront6targetE1EEEvT1_
; %bb.0:
	.section	.rodata,"a",@progbits
	.p2align	6, 0x0
	.amdhsa_kernel _ZN7rocprim17ROCPRIM_400000_NS6detail17trampoline_kernelINS0_14default_configENS1_25transform_config_selectorIN3c107complexIdEELb1EEEZNS1_14transform_implILb1ES3_S8_PS7_SA_NS0_8identityIS7_EEEE10hipError_tT2_T3_mT4_P12ihipStream_tbEUlT_E_NS1_11comp_targetILNS1_3genE2ELNS1_11target_archE906ELNS1_3gpuE6ELNS1_3repE0EEENS1_30default_config_static_selectorELNS0_4arch9wavefront6targetE1EEEvT1_
		.amdhsa_group_segment_fixed_size 0
		.amdhsa_private_segment_fixed_size 0
		.amdhsa_kernarg_size 40
		.amdhsa_user_sgpr_count 6
		.amdhsa_user_sgpr_private_segment_buffer 1
		.amdhsa_user_sgpr_dispatch_ptr 0
		.amdhsa_user_sgpr_queue_ptr 0
		.amdhsa_user_sgpr_kernarg_segment_ptr 1
		.amdhsa_user_sgpr_dispatch_id 0
		.amdhsa_user_sgpr_flat_scratch_init 0
		.amdhsa_user_sgpr_kernarg_preload_length 0
		.amdhsa_user_sgpr_kernarg_preload_offset 0
		.amdhsa_user_sgpr_private_segment_size 0
		.amdhsa_uses_dynamic_stack 0
		.amdhsa_system_sgpr_private_segment_wavefront_offset 0
		.amdhsa_system_sgpr_workgroup_id_x 1
		.amdhsa_system_sgpr_workgroup_id_y 0
		.amdhsa_system_sgpr_workgroup_id_z 0
		.amdhsa_system_sgpr_workgroup_info 0
		.amdhsa_system_vgpr_workitem_id 0
		.amdhsa_next_free_vgpr 1
		.amdhsa_next_free_sgpr 0
		.amdhsa_accum_offset 4
		.amdhsa_reserve_vcc 0
		.amdhsa_reserve_flat_scratch 0
		.amdhsa_float_round_mode_32 0
		.amdhsa_float_round_mode_16_64 0
		.amdhsa_float_denorm_mode_32 3
		.amdhsa_float_denorm_mode_16_64 3
		.amdhsa_dx10_clamp 1
		.amdhsa_ieee_mode 1
		.amdhsa_fp16_overflow 0
		.amdhsa_tg_split 0
		.amdhsa_exception_fp_ieee_invalid_op 0
		.amdhsa_exception_fp_denorm_src 0
		.amdhsa_exception_fp_ieee_div_zero 0
		.amdhsa_exception_fp_ieee_overflow 0
		.amdhsa_exception_fp_ieee_underflow 0
		.amdhsa_exception_fp_ieee_inexact 0
		.amdhsa_exception_int_div_zero 0
	.end_amdhsa_kernel
	.section	.text._ZN7rocprim17ROCPRIM_400000_NS6detail17trampoline_kernelINS0_14default_configENS1_25transform_config_selectorIN3c107complexIdEELb1EEEZNS1_14transform_implILb1ES3_S8_PS7_SA_NS0_8identityIS7_EEEE10hipError_tT2_T3_mT4_P12ihipStream_tbEUlT_E_NS1_11comp_targetILNS1_3genE2ELNS1_11target_archE906ELNS1_3gpuE6ELNS1_3repE0EEENS1_30default_config_static_selectorELNS0_4arch9wavefront6targetE1EEEvT1_,"axG",@progbits,_ZN7rocprim17ROCPRIM_400000_NS6detail17trampoline_kernelINS0_14default_configENS1_25transform_config_selectorIN3c107complexIdEELb1EEEZNS1_14transform_implILb1ES3_S8_PS7_SA_NS0_8identityIS7_EEEE10hipError_tT2_T3_mT4_P12ihipStream_tbEUlT_E_NS1_11comp_targetILNS1_3genE2ELNS1_11target_archE906ELNS1_3gpuE6ELNS1_3repE0EEENS1_30default_config_static_selectorELNS0_4arch9wavefront6targetE1EEEvT1_,comdat
.Lfunc_end190:
	.size	_ZN7rocprim17ROCPRIM_400000_NS6detail17trampoline_kernelINS0_14default_configENS1_25transform_config_selectorIN3c107complexIdEELb1EEEZNS1_14transform_implILb1ES3_S8_PS7_SA_NS0_8identityIS7_EEEE10hipError_tT2_T3_mT4_P12ihipStream_tbEUlT_E_NS1_11comp_targetILNS1_3genE2ELNS1_11target_archE906ELNS1_3gpuE6ELNS1_3repE0EEENS1_30default_config_static_selectorELNS0_4arch9wavefront6targetE1EEEvT1_, .Lfunc_end190-_ZN7rocprim17ROCPRIM_400000_NS6detail17trampoline_kernelINS0_14default_configENS1_25transform_config_selectorIN3c107complexIdEELb1EEEZNS1_14transform_implILb1ES3_S8_PS7_SA_NS0_8identityIS7_EEEE10hipError_tT2_T3_mT4_P12ihipStream_tbEUlT_E_NS1_11comp_targetILNS1_3genE2ELNS1_11target_archE906ELNS1_3gpuE6ELNS1_3repE0EEENS1_30default_config_static_selectorELNS0_4arch9wavefront6targetE1EEEvT1_
                                        ; -- End function
	.section	.AMDGPU.csdata,"",@progbits
; Kernel info:
; codeLenInByte = 0
; NumSgprs: 4
; NumVgprs: 0
; NumAgprs: 0
; TotalNumVgprs: 0
; ScratchSize: 0
; MemoryBound: 0
; FloatMode: 240
; IeeeMode: 1
; LDSByteSize: 0 bytes/workgroup (compile time only)
; SGPRBlocks: 0
; VGPRBlocks: 0
; NumSGPRsForWavesPerEU: 4
; NumVGPRsForWavesPerEU: 1
; AccumOffset: 4
; Occupancy: 8
; WaveLimiterHint : 0
; COMPUTE_PGM_RSRC2:SCRATCH_EN: 0
; COMPUTE_PGM_RSRC2:USER_SGPR: 6
; COMPUTE_PGM_RSRC2:TRAP_HANDLER: 0
; COMPUTE_PGM_RSRC2:TGID_X_EN: 1
; COMPUTE_PGM_RSRC2:TGID_Y_EN: 0
; COMPUTE_PGM_RSRC2:TGID_Z_EN: 0
; COMPUTE_PGM_RSRC2:TIDIG_COMP_CNT: 0
; COMPUTE_PGM_RSRC3_GFX90A:ACCUM_OFFSET: 0
; COMPUTE_PGM_RSRC3_GFX90A:TG_SPLIT: 0
	.section	.text._ZN7rocprim17ROCPRIM_400000_NS6detail17trampoline_kernelINS0_14default_configENS1_25transform_config_selectorIN3c107complexIdEELb1EEEZNS1_14transform_implILb1ES3_S8_PS7_SA_NS0_8identityIS7_EEEE10hipError_tT2_T3_mT4_P12ihipStream_tbEUlT_E_NS1_11comp_targetILNS1_3genE9ELNS1_11target_archE1100ELNS1_3gpuE3ELNS1_3repE0EEENS1_30default_config_static_selectorELNS0_4arch9wavefront6targetE1EEEvT1_,"axG",@progbits,_ZN7rocprim17ROCPRIM_400000_NS6detail17trampoline_kernelINS0_14default_configENS1_25transform_config_selectorIN3c107complexIdEELb1EEEZNS1_14transform_implILb1ES3_S8_PS7_SA_NS0_8identityIS7_EEEE10hipError_tT2_T3_mT4_P12ihipStream_tbEUlT_E_NS1_11comp_targetILNS1_3genE9ELNS1_11target_archE1100ELNS1_3gpuE3ELNS1_3repE0EEENS1_30default_config_static_selectorELNS0_4arch9wavefront6targetE1EEEvT1_,comdat
	.protected	_ZN7rocprim17ROCPRIM_400000_NS6detail17trampoline_kernelINS0_14default_configENS1_25transform_config_selectorIN3c107complexIdEELb1EEEZNS1_14transform_implILb1ES3_S8_PS7_SA_NS0_8identityIS7_EEEE10hipError_tT2_T3_mT4_P12ihipStream_tbEUlT_E_NS1_11comp_targetILNS1_3genE9ELNS1_11target_archE1100ELNS1_3gpuE3ELNS1_3repE0EEENS1_30default_config_static_selectorELNS0_4arch9wavefront6targetE1EEEvT1_ ; -- Begin function _ZN7rocprim17ROCPRIM_400000_NS6detail17trampoline_kernelINS0_14default_configENS1_25transform_config_selectorIN3c107complexIdEELb1EEEZNS1_14transform_implILb1ES3_S8_PS7_SA_NS0_8identityIS7_EEEE10hipError_tT2_T3_mT4_P12ihipStream_tbEUlT_E_NS1_11comp_targetILNS1_3genE9ELNS1_11target_archE1100ELNS1_3gpuE3ELNS1_3repE0EEENS1_30default_config_static_selectorELNS0_4arch9wavefront6targetE1EEEvT1_
	.globl	_ZN7rocprim17ROCPRIM_400000_NS6detail17trampoline_kernelINS0_14default_configENS1_25transform_config_selectorIN3c107complexIdEELb1EEEZNS1_14transform_implILb1ES3_S8_PS7_SA_NS0_8identityIS7_EEEE10hipError_tT2_T3_mT4_P12ihipStream_tbEUlT_E_NS1_11comp_targetILNS1_3genE9ELNS1_11target_archE1100ELNS1_3gpuE3ELNS1_3repE0EEENS1_30default_config_static_selectorELNS0_4arch9wavefront6targetE1EEEvT1_
	.p2align	8
	.type	_ZN7rocprim17ROCPRIM_400000_NS6detail17trampoline_kernelINS0_14default_configENS1_25transform_config_selectorIN3c107complexIdEELb1EEEZNS1_14transform_implILb1ES3_S8_PS7_SA_NS0_8identityIS7_EEEE10hipError_tT2_T3_mT4_P12ihipStream_tbEUlT_E_NS1_11comp_targetILNS1_3genE9ELNS1_11target_archE1100ELNS1_3gpuE3ELNS1_3repE0EEENS1_30default_config_static_selectorELNS0_4arch9wavefront6targetE1EEEvT1_,@function
_ZN7rocprim17ROCPRIM_400000_NS6detail17trampoline_kernelINS0_14default_configENS1_25transform_config_selectorIN3c107complexIdEELb1EEEZNS1_14transform_implILb1ES3_S8_PS7_SA_NS0_8identityIS7_EEEE10hipError_tT2_T3_mT4_P12ihipStream_tbEUlT_E_NS1_11comp_targetILNS1_3genE9ELNS1_11target_archE1100ELNS1_3gpuE3ELNS1_3repE0EEENS1_30default_config_static_selectorELNS0_4arch9wavefront6targetE1EEEvT1_: ; @_ZN7rocprim17ROCPRIM_400000_NS6detail17trampoline_kernelINS0_14default_configENS1_25transform_config_selectorIN3c107complexIdEELb1EEEZNS1_14transform_implILb1ES3_S8_PS7_SA_NS0_8identityIS7_EEEE10hipError_tT2_T3_mT4_P12ihipStream_tbEUlT_E_NS1_11comp_targetILNS1_3genE9ELNS1_11target_archE1100ELNS1_3gpuE3ELNS1_3repE0EEENS1_30default_config_static_selectorELNS0_4arch9wavefront6targetE1EEEvT1_
; %bb.0:
	.section	.rodata,"a",@progbits
	.p2align	6, 0x0
	.amdhsa_kernel _ZN7rocprim17ROCPRIM_400000_NS6detail17trampoline_kernelINS0_14default_configENS1_25transform_config_selectorIN3c107complexIdEELb1EEEZNS1_14transform_implILb1ES3_S8_PS7_SA_NS0_8identityIS7_EEEE10hipError_tT2_T3_mT4_P12ihipStream_tbEUlT_E_NS1_11comp_targetILNS1_3genE9ELNS1_11target_archE1100ELNS1_3gpuE3ELNS1_3repE0EEENS1_30default_config_static_selectorELNS0_4arch9wavefront6targetE1EEEvT1_
		.amdhsa_group_segment_fixed_size 0
		.amdhsa_private_segment_fixed_size 0
		.amdhsa_kernarg_size 40
		.amdhsa_user_sgpr_count 6
		.amdhsa_user_sgpr_private_segment_buffer 1
		.amdhsa_user_sgpr_dispatch_ptr 0
		.amdhsa_user_sgpr_queue_ptr 0
		.amdhsa_user_sgpr_kernarg_segment_ptr 1
		.amdhsa_user_sgpr_dispatch_id 0
		.amdhsa_user_sgpr_flat_scratch_init 0
		.amdhsa_user_sgpr_kernarg_preload_length 0
		.amdhsa_user_sgpr_kernarg_preload_offset 0
		.amdhsa_user_sgpr_private_segment_size 0
		.amdhsa_uses_dynamic_stack 0
		.amdhsa_system_sgpr_private_segment_wavefront_offset 0
		.amdhsa_system_sgpr_workgroup_id_x 1
		.amdhsa_system_sgpr_workgroup_id_y 0
		.amdhsa_system_sgpr_workgroup_id_z 0
		.amdhsa_system_sgpr_workgroup_info 0
		.amdhsa_system_vgpr_workitem_id 0
		.amdhsa_next_free_vgpr 1
		.amdhsa_next_free_sgpr 0
		.amdhsa_accum_offset 4
		.amdhsa_reserve_vcc 0
		.amdhsa_reserve_flat_scratch 0
		.amdhsa_float_round_mode_32 0
		.amdhsa_float_round_mode_16_64 0
		.amdhsa_float_denorm_mode_32 3
		.amdhsa_float_denorm_mode_16_64 3
		.amdhsa_dx10_clamp 1
		.amdhsa_ieee_mode 1
		.amdhsa_fp16_overflow 0
		.amdhsa_tg_split 0
		.amdhsa_exception_fp_ieee_invalid_op 0
		.amdhsa_exception_fp_denorm_src 0
		.amdhsa_exception_fp_ieee_div_zero 0
		.amdhsa_exception_fp_ieee_overflow 0
		.amdhsa_exception_fp_ieee_underflow 0
		.amdhsa_exception_fp_ieee_inexact 0
		.amdhsa_exception_int_div_zero 0
	.end_amdhsa_kernel
	.section	.text._ZN7rocprim17ROCPRIM_400000_NS6detail17trampoline_kernelINS0_14default_configENS1_25transform_config_selectorIN3c107complexIdEELb1EEEZNS1_14transform_implILb1ES3_S8_PS7_SA_NS0_8identityIS7_EEEE10hipError_tT2_T3_mT4_P12ihipStream_tbEUlT_E_NS1_11comp_targetILNS1_3genE9ELNS1_11target_archE1100ELNS1_3gpuE3ELNS1_3repE0EEENS1_30default_config_static_selectorELNS0_4arch9wavefront6targetE1EEEvT1_,"axG",@progbits,_ZN7rocprim17ROCPRIM_400000_NS6detail17trampoline_kernelINS0_14default_configENS1_25transform_config_selectorIN3c107complexIdEELb1EEEZNS1_14transform_implILb1ES3_S8_PS7_SA_NS0_8identityIS7_EEEE10hipError_tT2_T3_mT4_P12ihipStream_tbEUlT_E_NS1_11comp_targetILNS1_3genE9ELNS1_11target_archE1100ELNS1_3gpuE3ELNS1_3repE0EEENS1_30default_config_static_selectorELNS0_4arch9wavefront6targetE1EEEvT1_,comdat
.Lfunc_end191:
	.size	_ZN7rocprim17ROCPRIM_400000_NS6detail17trampoline_kernelINS0_14default_configENS1_25transform_config_selectorIN3c107complexIdEELb1EEEZNS1_14transform_implILb1ES3_S8_PS7_SA_NS0_8identityIS7_EEEE10hipError_tT2_T3_mT4_P12ihipStream_tbEUlT_E_NS1_11comp_targetILNS1_3genE9ELNS1_11target_archE1100ELNS1_3gpuE3ELNS1_3repE0EEENS1_30default_config_static_selectorELNS0_4arch9wavefront6targetE1EEEvT1_, .Lfunc_end191-_ZN7rocprim17ROCPRIM_400000_NS6detail17trampoline_kernelINS0_14default_configENS1_25transform_config_selectorIN3c107complexIdEELb1EEEZNS1_14transform_implILb1ES3_S8_PS7_SA_NS0_8identityIS7_EEEE10hipError_tT2_T3_mT4_P12ihipStream_tbEUlT_E_NS1_11comp_targetILNS1_3genE9ELNS1_11target_archE1100ELNS1_3gpuE3ELNS1_3repE0EEENS1_30default_config_static_selectorELNS0_4arch9wavefront6targetE1EEEvT1_
                                        ; -- End function
	.section	.AMDGPU.csdata,"",@progbits
; Kernel info:
; codeLenInByte = 0
; NumSgprs: 4
; NumVgprs: 0
; NumAgprs: 0
; TotalNumVgprs: 0
; ScratchSize: 0
; MemoryBound: 0
; FloatMode: 240
; IeeeMode: 1
; LDSByteSize: 0 bytes/workgroup (compile time only)
; SGPRBlocks: 0
; VGPRBlocks: 0
; NumSGPRsForWavesPerEU: 4
; NumVGPRsForWavesPerEU: 1
; AccumOffset: 4
; Occupancy: 8
; WaveLimiterHint : 0
; COMPUTE_PGM_RSRC2:SCRATCH_EN: 0
; COMPUTE_PGM_RSRC2:USER_SGPR: 6
; COMPUTE_PGM_RSRC2:TRAP_HANDLER: 0
; COMPUTE_PGM_RSRC2:TGID_X_EN: 1
; COMPUTE_PGM_RSRC2:TGID_Y_EN: 0
; COMPUTE_PGM_RSRC2:TGID_Z_EN: 0
; COMPUTE_PGM_RSRC2:TIDIG_COMP_CNT: 0
; COMPUTE_PGM_RSRC3_GFX90A:ACCUM_OFFSET: 0
; COMPUTE_PGM_RSRC3_GFX90A:TG_SPLIT: 0
	.section	.text._ZN7rocprim17ROCPRIM_400000_NS6detail17trampoline_kernelINS0_14default_configENS1_25transform_config_selectorIN3c107complexIdEELb1EEEZNS1_14transform_implILb1ES3_S8_PS7_SA_NS0_8identityIS7_EEEE10hipError_tT2_T3_mT4_P12ihipStream_tbEUlT_E_NS1_11comp_targetILNS1_3genE8ELNS1_11target_archE1030ELNS1_3gpuE2ELNS1_3repE0EEENS1_30default_config_static_selectorELNS0_4arch9wavefront6targetE1EEEvT1_,"axG",@progbits,_ZN7rocprim17ROCPRIM_400000_NS6detail17trampoline_kernelINS0_14default_configENS1_25transform_config_selectorIN3c107complexIdEELb1EEEZNS1_14transform_implILb1ES3_S8_PS7_SA_NS0_8identityIS7_EEEE10hipError_tT2_T3_mT4_P12ihipStream_tbEUlT_E_NS1_11comp_targetILNS1_3genE8ELNS1_11target_archE1030ELNS1_3gpuE2ELNS1_3repE0EEENS1_30default_config_static_selectorELNS0_4arch9wavefront6targetE1EEEvT1_,comdat
	.protected	_ZN7rocprim17ROCPRIM_400000_NS6detail17trampoline_kernelINS0_14default_configENS1_25transform_config_selectorIN3c107complexIdEELb1EEEZNS1_14transform_implILb1ES3_S8_PS7_SA_NS0_8identityIS7_EEEE10hipError_tT2_T3_mT4_P12ihipStream_tbEUlT_E_NS1_11comp_targetILNS1_3genE8ELNS1_11target_archE1030ELNS1_3gpuE2ELNS1_3repE0EEENS1_30default_config_static_selectorELNS0_4arch9wavefront6targetE1EEEvT1_ ; -- Begin function _ZN7rocprim17ROCPRIM_400000_NS6detail17trampoline_kernelINS0_14default_configENS1_25transform_config_selectorIN3c107complexIdEELb1EEEZNS1_14transform_implILb1ES3_S8_PS7_SA_NS0_8identityIS7_EEEE10hipError_tT2_T3_mT4_P12ihipStream_tbEUlT_E_NS1_11comp_targetILNS1_3genE8ELNS1_11target_archE1030ELNS1_3gpuE2ELNS1_3repE0EEENS1_30default_config_static_selectorELNS0_4arch9wavefront6targetE1EEEvT1_
	.globl	_ZN7rocprim17ROCPRIM_400000_NS6detail17trampoline_kernelINS0_14default_configENS1_25transform_config_selectorIN3c107complexIdEELb1EEEZNS1_14transform_implILb1ES3_S8_PS7_SA_NS0_8identityIS7_EEEE10hipError_tT2_T3_mT4_P12ihipStream_tbEUlT_E_NS1_11comp_targetILNS1_3genE8ELNS1_11target_archE1030ELNS1_3gpuE2ELNS1_3repE0EEENS1_30default_config_static_selectorELNS0_4arch9wavefront6targetE1EEEvT1_
	.p2align	8
	.type	_ZN7rocprim17ROCPRIM_400000_NS6detail17trampoline_kernelINS0_14default_configENS1_25transform_config_selectorIN3c107complexIdEELb1EEEZNS1_14transform_implILb1ES3_S8_PS7_SA_NS0_8identityIS7_EEEE10hipError_tT2_T3_mT4_P12ihipStream_tbEUlT_E_NS1_11comp_targetILNS1_3genE8ELNS1_11target_archE1030ELNS1_3gpuE2ELNS1_3repE0EEENS1_30default_config_static_selectorELNS0_4arch9wavefront6targetE1EEEvT1_,@function
_ZN7rocprim17ROCPRIM_400000_NS6detail17trampoline_kernelINS0_14default_configENS1_25transform_config_selectorIN3c107complexIdEELb1EEEZNS1_14transform_implILb1ES3_S8_PS7_SA_NS0_8identityIS7_EEEE10hipError_tT2_T3_mT4_P12ihipStream_tbEUlT_E_NS1_11comp_targetILNS1_3genE8ELNS1_11target_archE1030ELNS1_3gpuE2ELNS1_3repE0EEENS1_30default_config_static_selectorELNS0_4arch9wavefront6targetE1EEEvT1_: ; @_ZN7rocprim17ROCPRIM_400000_NS6detail17trampoline_kernelINS0_14default_configENS1_25transform_config_selectorIN3c107complexIdEELb1EEEZNS1_14transform_implILb1ES3_S8_PS7_SA_NS0_8identityIS7_EEEE10hipError_tT2_T3_mT4_P12ihipStream_tbEUlT_E_NS1_11comp_targetILNS1_3genE8ELNS1_11target_archE1030ELNS1_3gpuE2ELNS1_3repE0EEENS1_30default_config_static_selectorELNS0_4arch9wavefront6targetE1EEEvT1_
; %bb.0:
	.section	.rodata,"a",@progbits
	.p2align	6, 0x0
	.amdhsa_kernel _ZN7rocprim17ROCPRIM_400000_NS6detail17trampoline_kernelINS0_14default_configENS1_25transform_config_selectorIN3c107complexIdEELb1EEEZNS1_14transform_implILb1ES3_S8_PS7_SA_NS0_8identityIS7_EEEE10hipError_tT2_T3_mT4_P12ihipStream_tbEUlT_E_NS1_11comp_targetILNS1_3genE8ELNS1_11target_archE1030ELNS1_3gpuE2ELNS1_3repE0EEENS1_30default_config_static_selectorELNS0_4arch9wavefront6targetE1EEEvT1_
		.amdhsa_group_segment_fixed_size 0
		.amdhsa_private_segment_fixed_size 0
		.amdhsa_kernarg_size 40
		.amdhsa_user_sgpr_count 6
		.amdhsa_user_sgpr_private_segment_buffer 1
		.amdhsa_user_sgpr_dispatch_ptr 0
		.amdhsa_user_sgpr_queue_ptr 0
		.amdhsa_user_sgpr_kernarg_segment_ptr 1
		.amdhsa_user_sgpr_dispatch_id 0
		.amdhsa_user_sgpr_flat_scratch_init 0
		.amdhsa_user_sgpr_kernarg_preload_length 0
		.amdhsa_user_sgpr_kernarg_preload_offset 0
		.amdhsa_user_sgpr_private_segment_size 0
		.amdhsa_uses_dynamic_stack 0
		.amdhsa_system_sgpr_private_segment_wavefront_offset 0
		.amdhsa_system_sgpr_workgroup_id_x 1
		.amdhsa_system_sgpr_workgroup_id_y 0
		.amdhsa_system_sgpr_workgroup_id_z 0
		.amdhsa_system_sgpr_workgroup_info 0
		.amdhsa_system_vgpr_workitem_id 0
		.amdhsa_next_free_vgpr 1
		.amdhsa_next_free_sgpr 0
		.amdhsa_accum_offset 4
		.amdhsa_reserve_vcc 0
		.amdhsa_reserve_flat_scratch 0
		.amdhsa_float_round_mode_32 0
		.amdhsa_float_round_mode_16_64 0
		.amdhsa_float_denorm_mode_32 3
		.amdhsa_float_denorm_mode_16_64 3
		.amdhsa_dx10_clamp 1
		.amdhsa_ieee_mode 1
		.amdhsa_fp16_overflow 0
		.amdhsa_tg_split 0
		.amdhsa_exception_fp_ieee_invalid_op 0
		.amdhsa_exception_fp_denorm_src 0
		.amdhsa_exception_fp_ieee_div_zero 0
		.amdhsa_exception_fp_ieee_overflow 0
		.amdhsa_exception_fp_ieee_underflow 0
		.amdhsa_exception_fp_ieee_inexact 0
		.amdhsa_exception_int_div_zero 0
	.end_amdhsa_kernel
	.section	.text._ZN7rocprim17ROCPRIM_400000_NS6detail17trampoline_kernelINS0_14default_configENS1_25transform_config_selectorIN3c107complexIdEELb1EEEZNS1_14transform_implILb1ES3_S8_PS7_SA_NS0_8identityIS7_EEEE10hipError_tT2_T3_mT4_P12ihipStream_tbEUlT_E_NS1_11comp_targetILNS1_3genE8ELNS1_11target_archE1030ELNS1_3gpuE2ELNS1_3repE0EEENS1_30default_config_static_selectorELNS0_4arch9wavefront6targetE1EEEvT1_,"axG",@progbits,_ZN7rocprim17ROCPRIM_400000_NS6detail17trampoline_kernelINS0_14default_configENS1_25transform_config_selectorIN3c107complexIdEELb1EEEZNS1_14transform_implILb1ES3_S8_PS7_SA_NS0_8identityIS7_EEEE10hipError_tT2_T3_mT4_P12ihipStream_tbEUlT_E_NS1_11comp_targetILNS1_3genE8ELNS1_11target_archE1030ELNS1_3gpuE2ELNS1_3repE0EEENS1_30default_config_static_selectorELNS0_4arch9wavefront6targetE1EEEvT1_,comdat
.Lfunc_end192:
	.size	_ZN7rocprim17ROCPRIM_400000_NS6detail17trampoline_kernelINS0_14default_configENS1_25transform_config_selectorIN3c107complexIdEELb1EEEZNS1_14transform_implILb1ES3_S8_PS7_SA_NS0_8identityIS7_EEEE10hipError_tT2_T3_mT4_P12ihipStream_tbEUlT_E_NS1_11comp_targetILNS1_3genE8ELNS1_11target_archE1030ELNS1_3gpuE2ELNS1_3repE0EEENS1_30default_config_static_selectorELNS0_4arch9wavefront6targetE1EEEvT1_, .Lfunc_end192-_ZN7rocprim17ROCPRIM_400000_NS6detail17trampoline_kernelINS0_14default_configENS1_25transform_config_selectorIN3c107complexIdEELb1EEEZNS1_14transform_implILb1ES3_S8_PS7_SA_NS0_8identityIS7_EEEE10hipError_tT2_T3_mT4_P12ihipStream_tbEUlT_E_NS1_11comp_targetILNS1_3genE8ELNS1_11target_archE1030ELNS1_3gpuE2ELNS1_3repE0EEENS1_30default_config_static_selectorELNS0_4arch9wavefront6targetE1EEEvT1_
                                        ; -- End function
	.section	.AMDGPU.csdata,"",@progbits
; Kernel info:
; codeLenInByte = 0
; NumSgprs: 4
; NumVgprs: 0
; NumAgprs: 0
; TotalNumVgprs: 0
; ScratchSize: 0
; MemoryBound: 0
; FloatMode: 240
; IeeeMode: 1
; LDSByteSize: 0 bytes/workgroup (compile time only)
; SGPRBlocks: 0
; VGPRBlocks: 0
; NumSGPRsForWavesPerEU: 4
; NumVGPRsForWavesPerEU: 1
; AccumOffset: 4
; Occupancy: 8
; WaveLimiterHint : 0
; COMPUTE_PGM_RSRC2:SCRATCH_EN: 0
; COMPUTE_PGM_RSRC2:USER_SGPR: 6
; COMPUTE_PGM_RSRC2:TRAP_HANDLER: 0
; COMPUTE_PGM_RSRC2:TGID_X_EN: 1
; COMPUTE_PGM_RSRC2:TGID_Y_EN: 0
; COMPUTE_PGM_RSRC2:TGID_Z_EN: 0
; COMPUTE_PGM_RSRC2:TIDIG_COMP_CNT: 0
; COMPUTE_PGM_RSRC3_GFX90A:ACCUM_OFFSET: 0
; COMPUTE_PGM_RSRC3_GFX90A:TG_SPLIT: 0
	.section	.text._ZN7rocprim17ROCPRIM_400000_NS6detail17trampoline_kernelINS0_14default_configENS1_20scan_config_selectorIN3c107complexIdEEEEZZNS1_9scan_implILNS1_25lookback_scan_determinismE0ELb0ELb0ES3_PKS7_PS7_S7_ZZZN2at6native31launch_logcumsumexp_cuda_kernelERKNSE_10TensorBaseESI_lENKUlvE_clEvENKUlvE1_clEvEUlS7_S7_E_S7_EEDaPvRmT3_T4_T5_mT6_P12ihipStream_tbENKUlT_T0_E_clISt17integral_constantIbLb0EESZ_EEDaSU_SV_EUlSU_E0_NS1_11comp_targetILNS1_3genE0ELNS1_11target_archE4294967295ELNS1_3gpuE0ELNS1_3repE0EEENS1_30default_config_static_selectorELNS0_4arch9wavefront6targetE1EEEvT1_,"axG",@progbits,_ZN7rocprim17ROCPRIM_400000_NS6detail17trampoline_kernelINS0_14default_configENS1_20scan_config_selectorIN3c107complexIdEEEEZZNS1_9scan_implILNS1_25lookback_scan_determinismE0ELb0ELb0ES3_PKS7_PS7_S7_ZZZN2at6native31launch_logcumsumexp_cuda_kernelERKNSE_10TensorBaseESI_lENKUlvE_clEvENKUlvE1_clEvEUlS7_S7_E_S7_EEDaPvRmT3_T4_T5_mT6_P12ihipStream_tbENKUlT_T0_E_clISt17integral_constantIbLb0EESZ_EEDaSU_SV_EUlSU_E0_NS1_11comp_targetILNS1_3genE0ELNS1_11target_archE4294967295ELNS1_3gpuE0ELNS1_3repE0EEENS1_30default_config_static_selectorELNS0_4arch9wavefront6targetE1EEEvT1_,comdat
	.globl	_ZN7rocprim17ROCPRIM_400000_NS6detail17trampoline_kernelINS0_14default_configENS1_20scan_config_selectorIN3c107complexIdEEEEZZNS1_9scan_implILNS1_25lookback_scan_determinismE0ELb0ELb0ES3_PKS7_PS7_S7_ZZZN2at6native31launch_logcumsumexp_cuda_kernelERKNSE_10TensorBaseESI_lENKUlvE_clEvENKUlvE1_clEvEUlS7_S7_E_S7_EEDaPvRmT3_T4_T5_mT6_P12ihipStream_tbENKUlT_T0_E_clISt17integral_constantIbLb0EESZ_EEDaSU_SV_EUlSU_E0_NS1_11comp_targetILNS1_3genE0ELNS1_11target_archE4294967295ELNS1_3gpuE0ELNS1_3repE0EEENS1_30default_config_static_selectorELNS0_4arch9wavefront6targetE1EEEvT1_ ; -- Begin function _ZN7rocprim17ROCPRIM_400000_NS6detail17trampoline_kernelINS0_14default_configENS1_20scan_config_selectorIN3c107complexIdEEEEZZNS1_9scan_implILNS1_25lookback_scan_determinismE0ELb0ELb0ES3_PKS7_PS7_S7_ZZZN2at6native31launch_logcumsumexp_cuda_kernelERKNSE_10TensorBaseESI_lENKUlvE_clEvENKUlvE1_clEvEUlS7_S7_E_S7_EEDaPvRmT3_T4_T5_mT6_P12ihipStream_tbENKUlT_T0_E_clISt17integral_constantIbLb0EESZ_EEDaSU_SV_EUlSU_E0_NS1_11comp_targetILNS1_3genE0ELNS1_11target_archE4294967295ELNS1_3gpuE0ELNS1_3repE0EEENS1_30default_config_static_selectorELNS0_4arch9wavefront6targetE1EEEvT1_
	.p2align	8
	.type	_ZN7rocprim17ROCPRIM_400000_NS6detail17trampoline_kernelINS0_14default_configENS1_20scan_config_selectorIN3c107complexIdEEEEZZNS1_9scan_implILNS1_25lookback_scan_determinismE0ELb0ELb0ES3_PKS7_PS7_S7_ZZZN2at6native31launch_logcumsumexp_cuda_kernelERKNSE_10TensorBaseESI_lENKUlvE_clEvENKUlvE1_clEvEUlS7_S7_E_S7_EEDaPvRmT3_T4_T5_mT6_P12ihipStream_tbENKUlT_T0_E_clISt17integral_constantIbLb0EESZ_EEDaSU_SV_EUlSU_E0_NS1_11comp_targetILNS1_3genE0ELNS1_11target_archE4294967295ELNS1_3gpuE0ELNS1_3repE0EEENS1_30default_config_static_selectorELNS0_4arch9wavefront6targetE1EEEvT1_,@function
_ZN7rocprim17ROCPRIM_400000_NS6detail17trampoline_kernelINS0_14default_configENS1_20scan_config_selectorIN3c107complexIdEEEEZZNS1_9scan_implILNS1_25lookback_scan_determinismE0ELb0ELb0ES3_PKS7_PS7_S7_ZZZN2at6native31launch_logcumsumexp_cuda_kernelERKNSE_10TensorBaseESI_lENKUlvE_clEvENKUlvE1_clEvEUlS7_S7_E_S7_EEDaPvRmT3_T4_T5_mT6_P12ihipStream_tbENKUlT_T0_E_clISt17integral_constantIbLb0EESZ_EEDaSU_SV_EUlSU_E0_NS1_11comp_targetILNS1_3genE0ELNS1_11target_archE4294967295ELNS1_3gpuE0ELNS1_3repE0EEENS1_30default_config_static_selectorELNS0_4arch9wavefront6targetE1EEEvT1_: ; @_ZN7rocprim17ROCPRIM_400000_NS6detail17trampoline_kernelINS0_14default_configENS1_20scan_config_selectorIN3c107complexIdEEEEZZNS1_9scan_implILNS1_25lookback_scan_determinismE0ELb0ELb0ES3_PKS7_PS7_S7_ZZZN2at6native31launch_logcumsumexp_cuda_kernelERKNSE_10TensorBaseESI_lENKUlvE_clEvENKUlvE1_clEvEUlS7_S7_E_S7_EEDaPvRmT3_T4_T5_mT6_P12ihipStream_tbENKUlT_T0_E_clISt17integral_constantIbLb0EESZ_EEDaSU_SV_EUlSU_E0_NS1_11comp_targetILNS1_3genE0ELNS1_11target_archE4294967295ELNS1_3gpuE0ELNS1_3repE0EEENS1_30default_config_static_selectorELNS0_4arch9wavefront6targetE1EEEvT1_
; %bb.0:
	.section	.rodata,"a",@progbits
	.p2align	6, 0x0
	.amdhsa_kernel _ZN7rocprim17ROCPRIM_400000_NS6detail17trampoline_kernelINS0_14default_configENS1_20scan_config_selectorIN3c107complexIdEEEEZZNS1_9scan_implILNS1_25lookback_scan_determinismE0ELb0ELb0ES3_PKS7_PS7_S7_ZZZN2at6native31launch_logcumsumexp_cuda_kernelERKNSE_10TensorBaseESI_lENKUlvE_clEvENKUlvE1_clEvEUlS7_S7_E_S7_EEDaPvRmT3_T4_T5_mT6_P12ihipStream_tbENKUlT_T0_E_clISt17integral_constantIbLb0EESZ_EEDaSU_SV_EUlSU_E0_NS1_11comp_targetILNS1_3genE0ELNS1_11target_archE4294967295ELNS1_3gpuE0ELNS1_3repE0EEENS1_30default_config_static_selectorELNS0_4arch9wavefront6targetE1EEEvT1_
		.amdhsa_group_segment_fixed_size 0
		.amdhsa_private_segment_fixed_size 0
		.amdhsa_kernarg_size 48
		.amdhsa_user_sgpr_count 6
		.amdhsa_user_sgpr_private_segment_buffer 1
		.amdhsa_user_sgpr_dispatch_ptr 0
		.amdhsa_user_sgpr_queue_ptr 0
		.amdhsa_user_sgpr_kernarg_segment_ptr 1
		.amdhsa_user_sgpr_dispatch_id 0
		.amdhsa_user_sgpr_flat_scratch_init 0
		.amdhsa_user_sgpr_kernarg_preload_length 0
		.amdhsa_user_sgpr_kernarg_preload_offset 0
		.amdhsa_user_sgpr_private_segment_size 0
		.amdhsa_uses_dynamic_stack 0
		.amdhsa_system_sgpr_private_segment_wavefront_offset 0
		.amdhsa_system_sgpr_workgroup_id_x 1
		.amdhsa_system_sgpr_workgroup_id_y 0
		.amdhsa_system_sgpr_workgroup_id_z 0
		.amdhsa_system_sgpr_workgroup_info 0
		.amdhsa_system_vgpr_workitem_id 0
		.amdhsa_next_free_vgpr 1
		.amdhsa_next_free_sgpr 0
		.amdhsa_accum_offset 4
		.amdhsa_reserve_vcc 0
		.amdhsa_reserve_flat_scratch 0
		.amdhsa_float_round_mode_32 0
		.amdhsa_float_round_mode_16_64 0
		.amdhsa_float_denorm_mode_32 3
		.amdhsa_float_denorm_mode_16_64 3
		.amdhsa_dx10_clamp 1
		.amdhsa_ieee_mode 1
		.amdhsa_fp16_overflow 0
		.amdhsa_tg_split 0
		.amdhsa_exception_fp_ieee_invalid_op 0
		.amdhsa_exception_fp_denorm_src 0
		.amdhsa_exception_fp_ieee_div_zero 0
		.amdhsa_exception_fp_ieee_overflow 0
		.amdhsa_exception_fp_ieee_underflow 0
		.amdhsa_exception_fp_ieee_inexact 0
		.amdhsa_exception_int_div_zero 0
	.end_amdhsa_kernel
	.section	.text._ZN7rocprim17ROCPRIM_400000_NS6detail17trampoline_kernelINS0_14default_configENS1_20scan_config_selectorIN3c107complexIdEEEEZZNS1_9scan_implILNS1_25lookback_scan_determinismE0ELb0ELb0ES3_PKS7_PS7_S7_ZZZN2at6native31launch_logcumsumexp_cuda_kernelERKNSE_10TensorBaseESI_lENKUlvE_clEvENKUlvE1_clEvEUlS7_S7_E_S7_EEDaPvRmT3_T4_T5_mT6_P12ihipStream_tbENKUlT_T0_E_clISt17integral_constantIbLb0EESZ_EEDaSU_SV_EUlSU_E0_NS1_11comp_targetILNS1_3genE0ELNS1_11target_archE4294967295ELNS1_3gpuE0ELNS1_3repE0EEENS1_30default_config_static_selectorELNS0_4arch9wavefront6targetE1EEEvT1_,"axG",@progbits,_ZN7rocprim17ROCPRIM_400000_NS6detail17trampoline_kernelINS0_14default_configENS1_20scan_config_selectorIN3c107complexIdEEEEZZNS1_9scan_implILNS1_25lookback_scan_determinismE0ELb0ELb0ES3_PKS7_PS7_S7_ZZZN2at6native31launch_logcumsumexp_cuda_kernelERKNSE_10TensorBaseESI_lENKUlvE_clEvENKUlvE1_clEvEUlS7_S7_E_S7_EEDaPvRmT3_T4_T5_mT6_P12ihipStream_tbENKUlT_T0_E_clISt17integral_constantIbLb0EESZ_EEDaSU_SV_EUlSU_E0_NS1_11comp_targetILNS1_3genE0ELNS1_11target_archE4294967295ELNS1_3gpuE0ELNS1_3repE0EEENS1_30default_config_static_selectorELNS0_4arch9wavefront6targetE1EEEvT1_,comdat
.Lfunc_end193:
	.size	_ZN7rocprim17ROCPRIM_400000_NS6detail17trampoline_kernelINS0_14default_configENS1_20scan_config_selectorIN3c107complexIdEEEEZZNS1_9scan_implILNS1_25lookback_scan_determinismE0ELb0ELb0ES3_PKS7_PS7_S7_ZZZN2at6native31launch_logcumsumexp_cuda_kernelERKNSE_10TensorBaseESI_lENKUlvE_clEvENKUlvE1_clEvEUlS7_S7_E_S7_EEDaPvRmT3_T4_T5_mT6_P12ihipStream_tbENKUlT_T0_E_clISt17integral_constantIbLb0EESZ_EEDaSU_SV_EUlSU_E0_NS1_11comp_targetILNS1_3genE0ELNS1_11target_archE4294967295ELNS1_3gpuE0ELNS1_3repE0EEENS1_30default_config_static_selectorELNS0_4arch9wavefront6targetE1EEEvT1_, .Lfunc_end193-_ZN7rocprim17ROCPRIM_400000_NS6detail17trampoline_kernelINS0_14default_configENS1_20scan_config_selectorIN3c107complexIdEEEEZZNS1_9scan_implILNS1_25lookback_scan_determinismE0ELb0ELb0ES3_PKS7_PS7_S7_ZZZN2at6native31launch_logcumsumexp_cuda_kernelERKNSE_10TensorBaseESI_lENKUlvE_clEvENKUlvE1_clEvEUlS7_S7_E_S7_EEDaPvRmT3_T4_T5_mT6_P12ihipStream_tbENKUlT_T0_E_clISt17integral_constantIbLb0EESZ_EEDaSU_SV_EUlSU_E0_NS1_11comp_targetILNS1_3genE0ELNS1_11target_archE4294967295ELNS1_3gpuE0ELNS1_3repE0EEENS1_30default_config_static_selectorELNS0_4arch9wavefront6targetE1EEEvT1_
                                        ; -- End function
	.section	.AMDGPU.csdata,"",@progbits
; Kernel info:
; codeLenInByte = 0
; NumSgprs: 4
; NumVgprs: 0
; NumAgprs: 0
; TotalNumVgprs: 0
; ScratchSize: 0
; MemoryBound: 0
; FloatMode: 240
; IeeeMode: 1
; LDSByteSize: 0 bytes/workgroup (compile time only)
; SGPRBlocks: 0
; VGPRBlocks: 0
; NumSGPRsForWavesPerEU: 4
; NumVGPRsForWavesPerEU: 1
; AccumOffset: 4
; Occupancy: 8
; WaveLimiterHint : 0
; COMPUTE_PGM_RSRC2:SCRATCH_EN: 0
; COMPUTE_PGM_RSRC2:USER_SGPR: 6
; COMPUTE_PGM_RSRC2:TRAP_HANDLER: 0
; COMPUTE_PGM_RSRC2:TGID_X_EN: 1
; COMPUTE_PGM_RSRC2:TGID_Y_EN: 0
; COMPUTE_PGM_RSRC2:TGID_Z_EN: 0
; COMPUTE_PGM_RSRC2:TIDIG_COMP_CNT: 0
; COMPUTE_PGM_RSRC3_GFX90A:ACCUM_OFFSET: 0
; COMPUTE_PGM_RSRC3_GFX90A:TG_SPLIT: 0
	.section	.text._ZN7rocprim17ROCPRIM_400000_NS6detail17trampoline_kernelINS0_14default_configENS1_20scan_config_selectorIN3c107complexIdEEEEZZNS1_9scan_implILNS1_25lookback_scan_determinismE0ELb0ELb0ES3_PKS7_PS7_S7_ZZZN2at6native31launch_logcumsumexp_cuda_kernelERKNSE_10TensorBaseESI_lENKUlvE_clEvENKUlvE1_clEvEUlS7_S7_E_S7_EEDaPvRmT3_T4_T5_mT6_P12ihipStream_tbENKUlT_T0_E_clISt17integral_constantIbLb0EESZ_EEDaSU_SV_EUlSU_E0_NS1_11comp_targetILNS1_3genE5ELNS1_11target_archE942ELNS1_3gpuE9ELNS1_3repE0EEENS1_30default_config_static_selectorELNS0_4arch9wavefront6targetE1EEEvT1_,"axG",@progbits,_ZN7rocprim17ROCPRIM_400000_NS6detail17trampoline_kernelINS0_14default_configENS1_20scan_config_selectorIN3c107complexIdEEEEZZNS1_9scan_implILNS1_25lookback_scan_determinismE0ELb0ELb0ES3_PKS7_PS7_S7_ZZZN2at6native31launch_logcumsumexp_cuda_kernelERKNSE_10TensorBaseESI_lENKUlvE_clEvENKUlvE1_clEvEUlS7_S7_E_S7_EEDaPvRmT3_T4_T5_mT6_P12ihipStream_tbENKUlT_T0_E_clISt17integral_constantIbLb0EESZ_EEDaSU_SV_EUlSU_E0_NS1_11comp_targetILNS1_3genE5ELNS1_11target_archE942ELNS1_3gpuE9ELNS1_3repE0EEENS1_30default_config_static_selectorELNS0_4arch9wavefront6targetE1EEEvT1_,comdat
	.globl	_ZN7rocprim17ROCPRIM_400000_NS6detail17trampoline_kernelINS0_14default_configENS1_20scan_config_selectorIN3c107complexIdEEEEZZNS1_9scan_implILNS1_25lookback_scan_determinismE0ELb0ELb0ES3_PKS7_PS7_S7_ZZZN2at6native31launch_logcumsumexp_cuda_kernelERKNSE_10TensorBaseESI_lENKUlvE_clEvENKUlvE1_clEvEUlS7_S7_E_S7_EEDaPvRmT3_T4_T5_mT6_P12ihipStream_tbENKUlT_T0_E_clISt17integral_constantIbLb0EESZ_EEDaSU_SV_EUlSU_E0_NS1_11comp_targetILNS1_3genE5ELNS1_11target_archE942ELNS1_3gpuE9ELNS1_3repE0EEENS1_30default_config_static_selectorELNS0_4arch9wavefront6targetE1EEEvT1_ ; -- Begin function _ZN7rocprim17ROCPRIM_400000_NS6detail17trampoline_kernelINS0_14default_configENS1_20scan_config_selectorIN3c107complexIdEEEEZZNS1_9scan_implILNS1_25lookback_scan_determinismE0ELb0ELb0ES3_PKS7_PS7_S7_ZZZN2at6native31launch_logcumsumexp_cuda_kernelERKNSE_10TensorBaseESI_lENKUlvE_clEvENKUlvE1_clEvEUlS7_S7_E_S7_EEDaPvRmT3_T4_T5_mT6_P12ihipStream_tbENKUlT_T0_E_clISt17integral_constantIbLb0EESZ_EEDaSU_SV_EUlSU_E0_NS1_11comp_targetILNS1_3genE5ELNS1_11target_archE942ELNS1_3gpuE9ELNS1_3repE0EEENS1_30default_config_static_selectorELNS0_4arch9wavefront6targetE1EEEvT1_
	.p2align	8
	.type	_ZN7rocprim17ROCPRIM_400000_NS6detail17trampoline_kernelINS0_14default_configENS1_20scan_config_selectorIN3c107complexIdEEEEZZNS1_9scan_implILNS1_25lookback_scan_determinismE0ELb0ELb0ES3_PKS7_PS7_S7_ZZZN2at6native31launch_logcumsumexp_cuda_kernelERKNSE_10TensorBaseESI_lENKUlvE_clEvENKUlvE1_clEvEUlS7_S7_E_S7_EEDaPvRmT3_T4_T5_mT6_P12ihipStream_tbENKUlT_T0_E_clISt17integral_constantIbLb0EESZ_EEDaSU_SV_EUlSU_E0_NS1_11comp_targetILNS1_3genE5ELNS1_11target_archE942ELNS1_3gpuE9ELNS1_3repE0EEENS1_30default_config_static_selectorELNS0_4arch9wavefront6targetE1EEEvT1_,@function
_ZN7rocprim17ROCPRIM_400000_NS6detail17trampoline_kernelINS0_14default_configENS1_20scan_config_selectorIN3c107complexIdEEEEZZNS1_9scan_implILNS1_25lookback_scan_determinismE0ELb0ELb0ES3_PKS7_PS7_S7_ZZZN2at6native31launch_logcumsumexp_cuda_kernelERKNSE_10TensorBaseESI_lENKUlvE_clEvENKUlvE1_clEvEUlS7_S7_E_S7_EEDaPvRmT3_T4_T5_mT6_P12ihipStream_tbENKUlT_T0_E_clISt17integral_constantIbLb0EESZ_EEDaSU_SV_EUlSU_E0_NS1_11comp_targetILNS1_3genE5ELNS1_11target_archE942ELNS1_3gpuE9ELNS1_3repE0EEENS1_30default_config_static_selectorELNS0_4arch9wavefront6targetE1EEEvT1_: ; @_ZN7rocprim17ROCPRIM_400000_NS6detail17trampoline_kernelINS0_14default_configENS1_20scan_config_selectorIN3c107complexIdEEEEZZNS1_9scan_implILNS1_25lookback_scan_determinismE0ELb0ELb0ES3_PKS7_PS7_S7_ZZZN2at6native31launch_logcumsumexp_cuda_kernelERKNSE_10TensorBaseESI_lENKUlvE_clEvENKUlvE1_clEvEUlS7_S7_E_S7_EEDaPvRmT3_T4_T5_mT6_P12ihipStream_tbENKUlT_T0_E_clISt17integral_constantIbLb0EESZ_EEDaSU_SV_EUlSU_E0_NS1_11comp_targetILNS1_3genE5ELNS1_11target_archE942ELNS1_3gpuE9ELNS1_3repE0EEENS1_30default_config_static_selectorELNS0_4arch9wavefront6targetE1EEEvT1_
; %bb.0:
	.section	.rodata,"a",@progbits
	.p2align	6, 0x0
	.amdhsa_kernel _ZN7rocprim17ROCPRIM_400000_NS6detail17trampoline_kernelINS0_14default_configENS1_20scan_config_selectorIN3c107complexIdEEEEZZNS1_9scan_implILNS1_25lookback_scan_determinismE0ELb0ELb0ES3_PKS7_PS7_S7_ZZZN2at6native31launch_logcumsumexp_cuda_kernelERKNSE_10TensorBaseESI_lENKUlvE_clEvENKUlvE1_clEvEUlS7_S7_E_S7_EEDaPvRmT3_T4_T5_mT6_P12ihipStream_tbENKUlT_T0_E_clISt17integral_constantIbLb0EESZ_EEDaSU_SV_EUlSU_E0_NS1_11comp_targetILNS1_3genE5ELNS1_11target_archE942ELNS1_3gpuE9ELNS1_3repE0EEENS1_30default_config_static_selectorELNS0_4arch9wavefront6targetE1EEEvT1_
		.amdhsa_group_segment_fixed_size 0
		.amdhsa_private_segment_fixed_size 0
		.amdhsa_kernarg_size 48
		.amdhsa_user_sgpr_count 6
		.amdhsa_user_sgpr_private_segment_buffer 1
		.amdhsa_user_sgpr_dispatch_ptr 0
		.amdhsa_user_sgpr_queue_ptr 0
		.amdhsa_user_sgpr_kernarg_segment_ptr 1
		.amdhsa_user_sgpr_dispatch_id 0
		.amdhsa_user_sgpr_flat_scratch_init 0
		.amdhsa_user_sgpr_kernarg_preload_length 0
		.amdhsa_user_sgpr_kernarg_preload_offset 0
		.amdhsa_user_sgpr_private_segment_size 0
		.amdhsa_uses_dynamic_stack 0
		.amdhsa_system_sgpr_private_segment_wavefront_offset 0
		.amdhsa_system_sgpr_workgroup_id_x 1
		.amdhsa_system_sgpr_workgroup_id_y 0
		.amdhsa_system_sgpr_workgroup_id_z 0
		.amdhsa_system_sgpr_workgroup_info 0
		.amdhsa_system_vgpr_workitem_id 0
		.amdhsa_next_free_vgpr 1
		.amdhsa_next_free_sgpr 0
		.amdhsa_accum_offset 4
		.amdhsa_reserve_vcc 0
		.amdhsa_reserve_flat_scratch 0
		.amdhsa_float_round_mode_32 0
		.amdhsa_float_round_mode_16_64 0
		.amdhsa_float_denorm_mode_32 3
		.amdhsa_float_denorm_mode_16_64 3
		.amdhsa_dx10_clamp 1
		.amdhsa_ieee_mode 1
		.amdhsa_fp16_overflow 0
		.amdhsa_tg_split 0
		.amdhsa_exception_fp_ieee_invalid_op 0
		.amdhsa_exception_fp_denorm_src 0
		.amdhsa_exception_fp_ieee_div_zero 0
		.amdhsa_exception_fp_ieee_overflow 0
		.amdhsa_exception_fp_ieee_underflow 0
		.amdhsa_exception_fp_ieee_inexact 0
		.amdhsa_exception_int_div_zero 0
	.end_amdhsa_kernel
	.section	.text._ZN7rocprim17ROCPRIM_400000_NS6detail17trampoline_kernelINS0_14default_configENS1_20scan_config_selectorIN3c107complexIdEEEEZZNS1_9scan_implILNS1_25lookback_scan_determinismE0ELb0ELb0ES3_PKS7_PS7_S7_ZZZN2at6native31launch_logcumsumexp_cuda_kernelERKNSE_10TensorBaseESI_lENKUlvE_clEvENKUlvE1_clEvEUlS7_S7_E_S7_EEDaPvRmT3_T4_T5_mT6_P12ihipStream_tbENKUlT_T0_E_clISt17integral_constantIbLb0EESZ_EEDaSU_SV_EUlSU_E0_NS1_11comp_targetILNS1_3genE5ELNS1_11target_archE942ELNS1_3gpuE9ELNS1_3repE0EEENS1_30default_config_static_selectorELNS0_4arch9wavefront6targetE1EEEvT1_,"axG",@progbits,_ZN7rocprim17ROCPRIM_400000_NS6detail17trampoline_kernelINS0_14default_configENS1_20scan_config_selectorIN3c107complexIdEEEEZZNS1_9scan_implILNS1_25lookback_scan_determinismE0ELb0ELb0ES3_PKS7_PS7_S7_ZZZN2at6native31launch_logcumsumexp_cuda_kernelERKNSE_10TensorBaseESI_lENKUlvE_clEvENKUlvE1_clEvEUlS7_S7_E_S7_EEDaPvRmT3_T4_T5_mT6_P12ihipStream_tbENKUlT_T0_E_clISt17integral_constantIbLb0EESZ_EEDaSU_SV_EUlSU_E0_NS1_11comp_targetILNS1_3genE5ELNS1_11target_archE942ELNS1_3gpuE9ELNS1_3repE0EEENS1_30default_config_static_selectorELNS0_4arch9wavefront6targetE1EEEvT1_,comdat
.Lfunc_end194:
	.size	_ZN7rocprim17ROCPRIM_400000_NS6detail17trampoline_kernelINS0_14default_configENS1_20scan_config_selectorIN3c107complexIdEEEEZZNS1_9scan_implILNS1_25lookback_scan_determinismE0ELb0ELb0ES3_PKS7_PS7_S7_ZZZN2at6native31launch_logcumsumexp_cuda_kernelERKNSE_10TensorBaseESI_lENKUlvE_clEvENKUlvE1_clEvEUlS7_S7_E_S7_EEDaPvRmT3_T4_T5_mT6_P12ihipStream_tbENKUlT_T0_E_clISt17integral_constantIbLb0EESZ_EEDaSU_SV_EUlSU_E0_NS1_11comp_targetILNS1_3genE5ELNS1_11target_archE942ELNS1_3gpuE9ELNS1_3repE0EEENS1_30default_config_static_selectorELNS0_4arch9wavefront6targetE1EEEvT1_, .Lfunc_end194-_ZN7rocprim17ROCPRIM_400000_NS6detail17trampoline_kernelINS0_14default_configENS1_20scan_config_selectorIN3c107complexIdEEEEZZNS1_9scan_implILNS1_25lookback_scan_determinismE0ELb0ELb0ES3_PKS7_PS7_S7_ZZZN2at6native31launch_logcumsumexp_cuda_kernelERKNSE_10TensorBaseESI_lENKUlvE_clEvENKUlvE1_clEvEUlS7_S7_E_S7_EEDaPvRmT3_T4_T5_mT6_P12ihipStream_tbENKUlT_T0_E_clISt17integral_constantIbLb0EESZ_EEDaSU_SV_EUlSU_E0_NS1_11comp_targetILNS1_3genE5ELNS1_11target_archE942ELNS1_3gpuE9ELNS1_3repE0EEENS1_30default_config_static_selectorELNS0_4arch9wavefront6targetE1EEEvT1_
                                        ; -- End function
	.section	.AMDGPU.csdata,"",@progbits
; Kernel info:
; codeLenInByte = 0
; NumSgprs: 4
; NumVgprs: 0
; NumAgprs: 0
; TotalNumVgprs: 0
; ScratchSize: 0
; MemoryBound: 0
; FloatMode: 240
; IeeeMode: 1
; LDSByteSize: 0 bytes/workgroup (compile time only)
; SGPRBlocks: 0
; VGPRBlocks: 0
; NumSGPRsForWavesPerEU: 4
; NumVGPRsForWavesPerEU: 1
; AccumOffset: 4
; Occupancy: 8
; WaveLimiterHint : 0
; COMPUTE_PGM_RSRC2:SCRATCH_EN: 0
; COMPUTE_PGM_RSRC2:USER_SGPR: 6
; COMPUTE_PGM_RSRC2:TRAP_HANDLER: 0
; COMPUTE_PGM_RSRC2:TGID_X_EN: 1
; COMPUTE_PGM_RSRC2:TGID_Y_EN: 0
; COMPUTE_PGM_RSRC2:TGID_Z_EN: 0
; COMPUTE_PGM_RSRC2:TIDIG_COMP_CNT: 0
; COMPUTE_PGM_RSRC3_GFX90A:ACCUM_OFFSET: 0
; COMPUTE_PGM_RSRC3_GFX90A:TG_SPLIT: 0
	.section	.text._ZN7rocprim17ROCPRIM_400000_NS6detail17trampoline_kernelINS0_14default_configENS1_20scan_config_selectorIN3c107complexIdEEEEZZNS1_9scan_implILNS1_25lookback_scan_determinismE0ELb0ELb0ES3_PKS7_PS7_S7_ZZZN2at6native31launch_logcumsumexp_cuda_kernelERKNSE_10TensorBaseESI_lENKUlvE_clEvENKUlvE1_clEvEUlS7_S7_E_S7_EEDaPvRmT3_T4_T5_mT6_P12ihipStream_tbENKUlT_T0_E_clISt17integral_constantIbLb0EESZ_EEDaSU_SV_EUlSU_E0_NS1_11comp_targetILNS1_3genE4ELNS1_11target_archE910ELNS1_3gpuE8ELNS1_3repE0EEENS1_30default_config_static_selectorELNS0_4arch9wavefront6targetE1EEEvT1_,"axG",@progbits,_ZN7rocprim17ROCPRIM_400000_NS6detail17trampoline_kernelINS0_14default_configENS1_20scan_config_selectorIN3c107complexIdEEEEZZNS1_9scan_implILNS1_25lookback_scan_determinismE0ELb0ELb0ES3_PKS7_PS7_S7_ZZZN2at6native31launch_logcumsumexp_cuda_kernelERKNSE_10TensorBaseESI_lENKUlvE_clEvENKUlvE1_clEvEUlS7_S7_E_S7_EEDaPvRmT3_T4_T5_mT6_P12ihipStream_tbENKUlT_T0_E_clISt17integral_constantIbLb0EESZ_EEDaSU_SV_EUlSU_E0_NS1_11comp_targetILNS1_3genE4ELNS1_11target_archE910ELNS1_3gpuE8ELNS1_3repE0EEENS1_30default_config_static_selectorELNS0_4arch9wavefront6targetE1EEEvT1_,comdat
	.globl	_ZN7rocprim17ROCPRIM_400000_NS6detail17trampoline_kernelINS0_14default_configENS1_20scan_config_selectorIN3c107complexIdEEEEZZNS1_9scan_implILNS1_25lookback_scan_determinismE0ELb0ELb0ES3_PKS7_PS7_S7_ZZZN2at6native31launch_logcumsumexp_cuda_kernelERKNSE_10TensorBaseESI_lENKUlvE_clEvENKUlvE1_clEvEUlS7_S7_E_S7_EEDaPvRmT3_T4_T5_mT6_P12ihipStream_tbENKUlT_T0_E_clISt17integral_constantIbLb0EESZ_EEDaSU_SV_EUlSU_E0_NS1_11comp_targetILNS1_3genE4ELNS1_11target_archE910ELNS1_3gpuE8ELNS1_3repE0EEENS1_30default_config_static_selectorELNS0_4arch9wavefront6targetE1EEEvT1_ ; -- Begin function _ZN7rocprim17ROCPRIM_400000_NS6detail17trampoline_kernelINS0_14default_configENS1_20scan_config_selectorIN3c107complexIdEEEEZZNS1_9scan_implILNS1_25lookback_scan_determinismE0ELb0ELb0ES3_PKS7_PS7_S7_ZZZN2at6native31launch_logcumsumexp_cuda_kernelERKNSE_10TensorBaseESI_lENKUlvE_clEvENKUlvE1_clEvEUlS7_S7_E_S7_EEDaPvRmT3_T4_T5_mT6_P12ihipStream_tbENKUlT_T0_E_clISt17integral_constantIbLb0EESZ_EEDaSU_SV_EUlSU_E0_NS1_11comp_targetILNS1_3genE4ELNS1_11target_archE910ELNS1_3gpuE8ELNS1_3repE0EEENS1_30default_config_static_selectorELNS0_4arch9wavefront6targetE1EEEvT1_
	.p2align	8
	.type	_ZN7rocprim17ROCPRIM_400000_NS6detail17trampoline_kernelINS0_14default_configENS1_20scan_config_selectorIN3c107complexIdEEEEZZNS1_9scan_implILNS1_25lookback_scan_determinismE0ELb0ELb0ES3_PKS7_PS7_S7_ZZZN2at6native31launch_logcumsumexp_cuda_kernelERKNSE_10TensorBaseESI_lENKUlvE_clEvENKUlvE1_clEvEUlS7_S7_E_S7_EEDaPvRmT3_T4_T5_mT6_P12ihipStream_tbENKUlT_T0_E_clISt17integral_constantIbLb0EESZ_EEDaSU_SV_EUlSU_E0_NS1_11comp_targetILNS1_3genE4ELNS1_11target_archE910ELNS1_3gpuE8ELNS1_3repE0EEENS1_30default_config_static_selectorELNS0_4arch9wavefront6targetE1EEEvT1_,@function
_ZN7rocprim17ROCPRIM_400000_NS6detail17trampoline_kernelINS0_14default_configENS1_20scan_config_selectorIN3c107complexIdEEEEZZNS1_9scan_implILNS1_25lookback_scan_determinismE0ELb0ELb0ES3_PKS7_PS7_S7_ZZZN2at6native31launch_logcumsumexp_cuda_kernelERKNSE_10TensorBaseESI_lENKUlvE_clEvENKUlvE1_clEvEUlS7_S7_E_S7_EEDaPvRmT3_T4_T5_mT6_P12ihipStream_tbENKUlT_T0_E_clISt17integral_constantIbLb0EESZ_EEDaSU_SV_EUlSU_E0_NS1_11comp_targetILNS1_3genE4ELNS1_11target_archE910ELNS1_3gpuE8ELNS1_3repE0EEENS1_30default_config_static_selectorELNS0_4arch9wavefront6targetE1EEEvT1_: ; @_ZN7rocprim17ROCPRIM_400000_NS6detail17trampoline_kernelINS0_14default_configENS1_20scan_config_selectorIN3c107complexIdEEEEZZNS1_9scan_implILNS1_25lookback_scan_determinismE0ELb0ELb0ES3_PKS7_PS7_S7_ZZZN2at6native31launch_logcumsumexp_cuda_kernelERKNSE_10TensorBaseESI_lENKUlvE_clEvENKUlvE1_clEvEUlS7_S7_E_S7_EEDaPvRmT3_T4_T5_mT6_P12ihipStream_tbENKUlT_T0_E_clISt17integral_constantIbLb0EESZ_EEDaSU_SV_EUlSU_E0_NS1_11comp_targetILNS1_3genE4ELNS1_11target_archE910ELNS1_3gpuE8ELNS1_3repE0EEENS1_30default_config_static_selectorELNS0_4arch9wavefront6targetE1EEEvT1_
; %bb.0:
	s_add_u32 flat_scratch_lo, s6, s9
	s_addc_u32 flat_scratch_hi, s7, 0
	s_mov_b64 s[68:69], s[4:5]
	s_load_dwordx4 s[4:7], s[4:5], 0x0
	s_add_u32 s0, s0, s9
	v_mov_b32_e32 v41, v0
	s_addc_u32 s1, s1, 0
	v_lshlrev_b32_e32 v164, 4, v41
	s_waitcnt lgkmcnt(0)
	s_load_dwordx4 s[8:11], s[4:5], 0x0
	v_cmp_gt_u32_e64 s[38:39], s6, v41
	s_mov_b32 s32, 0
	s_waitcnt lgkmcnt(0)
	v_pk_mov_b32 v[2:3], s[10:11], s[10:11] op_sel:[0,1]
	v_pk_mov_b32 v[0:1], s[8:9], s[8:9] op_sel:[0,1]
	s_and_saveexec_b64 s[12:13], s[38:39]
	s_cbranch_execz .LBB195_2
; %bb.1:
	global_load_dwordx4 v[0:3], v164, s[4:5]
.LBB195_2:
	s_or_b64 exec, exec, s[12:13]
	v_or_b32_e32 v4, 64, v41
	v_cmp_gt_u32_e64 s[40:41], s6, v4
	v_pk_mov_b32 v[6:7], s[10:11], s[10:11] op_sel:[0,1]
	v_pk_mov_b32 v[4:5], s[8:9], s[8:9] op_sel:[0,1]
	s_and_saveexec_b64 s[12:13], s[40:41]
	s_cbranch_execz .LBB195_4
; %bb.3:
	global_load_dwordx4 v[4:7], v164, s[4:5] offset:1024
.LBB195_4:
	s_or_b64 exec, exec, s[12:13]
	v_or_b32_e32 v8, 0x80, v41
	v_cmp_gt_u32_e64 s[42:43], s6, v8
	v_pk_mov_b32 v[10:11], s[10:11], s[10:11] op_sel:[0,1]
	v_pk_mov_b32 v[8:9], s[8:9], s[8:9] op_sel:[0,1]
	s_and_saveexec_b64 s[12:13], s[42:43]
	s_cbranch_execz .LBB195_6
; %bb.5:
	global_load_dwordx4 v[8:11], v164, s[4:5] offset:2048
.LBB195_6:
	;; [unrolled: 10-line block ×3, first 2 shown]
	s_or_b64 exec, exec, s[12:13]
	v_or_b32_e32 v20, 0x100, v41
	v_cmp_gt_u32_e64 s[46:47], s6, v20
	v_pk_mov_b32 v[18:19], s[10:11], s[10:11] op_sel:[0,1]
	v_pk_mov_b32 v[16:17], s[8:9], s[8:9] op_sel:[0,1]
	s_and_saveexec_b64 s[12:13], s[46:47]
	s_cbranch_execz .LBB195_10
; %bb.9:
	v_lshlrev_b32_e32 v16, 4, v20
	global_load_dwordx4 v[16:19], v16, s[4:5]
.LBB195_10:
	s_or_b64 exec, exec, s[12:13]
	v_or_b32_e32 v24, 0x140, v41
	v_cmp_gt_u32_e64 s[48:49], s6, v24
	v_pk_mov_b32 v[22:23], s[10:11], s[10:11] op_sel:[0,1]
	v_pk_mov_b32 v[20:21], s[8:9], s[8:9] op_sel:[0,1]
	s_and_saveexec_b64 s[12:13], s[48:49]
	s_cbranch_execz .LBB195_12
; %bb.11:
	v_lshlrev_b32_e32 v20, 4, v24
	global_load_dwordx4 v[20:23], v20, s[4:5]
.LBB195_12:
	;; [unrolled: 11-line block ×11, first 2 shown]
	s_or_b64 exec, exec, s[6:7]
	s_movk_i32 s4, 0xe0
	s_waitcnt vmcnt(0)
	ds_write_b128 v164, v[0:3]
	ds_write_b128 v164, v[4:7] offset:1024
	ds_write_b128 v164, v[8:11] offset:2048
	;; [unrolled: 1-line block ×14, first 2 shown]
	v_mad_u32_u24 v46, v41, s4, v164
	s_waitcnt lgkmcnt(0)
	; wave barrier
	s_waitcnt lgkmcnt(0)
	ds_read_b128 v[42:45], v46
	ds_read_b128 v[136:139], v46 offset:16
	ds_read_b128 v[132:135], v46 offset:32
	;; [unrolled: 1-line block ×14, first 2 shown]
	s_waitcnt lgkmcnt(14)
	v_mov_b32_e32 v0, v42
	v_mov_b32_e32 v1, v43
	;; [unrolled: 1-line block ×4, first 2 shown]
	s_waitcnt lgkmcnt(13)
	v_mov_b32_e32 v4, v136
	v_mov_b32_e32 v5, v137
	;; [unrolled: 1-line block ×4, first 2 shown]
	s_waitcnt lgkmcnt(0)
	; wave barrier
	s_waitcnt lgkmcnt(0)
	s_getpc_b64 s[70:71]
	s_add_u32 s70, s70, _ZZZZN2at6native31launch_logcumsumexp_cuda_kernelERKNS_10TensorBaseES3_lENKUlvE_clEvENKUlvE1_clEvENKUlN3c107complexIdEES8_E_clES8_S8_@rel32@lo+4
	s_addc_u32 s71, s71, _ZZZZN2at6native31launch_logcumsumexp_cuda_kernelERKNS_10TensorBaseES3_lENKUlvE_clEvENKUlvE1_clEvENKUlN3c107complexIdEES8_E_clES8_S8_@rel32@hi+12
	s_swappc_b64 s[30:31], s[70:71]
	v_mov_b32_e32 v4, v132
	v_mov_b32_e32 v5, v133
	v_mov_b32_e32 v6, v134
	v_mov_b32_e32 v7, v135
	v_mov_b32_e32 v52, v0
	v_mov_b32_e32 v53, v1
	v_mov_b32_e32 v54, v2
	v_mov_b32_e32 v55, v3
	s_swappc_b64 s[30:31], s[70:71]
	v_mov_b32_e32 v4, v124
	v_mov_b32_e32 v5, v125
	v_mov_b32_e32 v6, v126
	v_mov_b32_e32 v7, v127
	v_mov_b32_e32 v60, v0
	v_mov_b32_e32 v61, v1
	v_mov_b32_e32 v62, v2
	v_mov_b32_e32 v63, v3
	;; [unrolled: 9-line block ×13, first 2 shown]
	s_swappc_b64 s[30:31], s[70:71]
	v_mov_b32_e32 v160, v0
	v_mbcnt_lo_u32_b32 v0, -1, 0
	v_mbcnt_hi_u32_b32 v47, -1, v0
	v_mov_b32_e32 v161, v1
	v_mov_b32_e32 v162, v2
	;; [unrolled: 1-line block ×3, first 2 shown]
	v_and_b32_e32 v165, 15, v47
	v_mov_b32_dpp v8, v160 row_shr:1 row_mask:0xf bank_mask:0xf
	v_mov_b32_dpp v9, v161 row_shr:1 row_mask:0xf bank_mask:0xf
	;; [unrolled: 1-line block ×4, first 2 shown]
	v_cmp_ne_u32_e32 vcc, 0, v165
	v_pk_mov_b32 v[4:5], v[160:161], v[160:161] op_sel:[0,1]
	v_pk_mov_b32 v[6:7], v[162:163], v[162:163] op_sel:[0,1]
	v_mov_b32_e32 v0, v160
	s_and_saveexec_b64 s[72:73], vcc
	s_cbranch_execz .LBB195_32
; %bb.31:
	v_mov_b32_e32 v0, v8
	v_mov_b32_e32 v1, v9
	;; [unrolled: 1-line block ×8, first 2 shown]
	s_swappc_b64 s[30:31], s[70:71]
	v_mov_b32_e32 v4, v0
	v_mov_b32_e32 v5, v1
	;; [unrolled: 1-line block ×4, first 2 shown]
.LBB195_32:
	s_or_b64 exec, exec, s[72:73]
	v_mov_b32_dpp v8, v0 row_shr:2 row_mask:0xf bank_mask:0xf
	v_mov_b32_dpp v9, v1 row_shr:2 row_mask:0xf bank_mask:0xf
	v_mov_b32_dpp v10, v2 row_shr:2 row_mask:0xf bank_mask:0xf
	v_mov_b32_dpp v11, v3 row_shr:2 row_mask:0xf bank_mask:0xf
	v_cmp_lt_u32_e32 vcc, 1, v165
	s_and_saveexec_b64 s[70:71], vcc
	s_cbranch_execz .LBB195_34
; %bb.33:
	v_mov_b32_e32 v0, v8
	v_mov_b32_e32 v1, v9
	v_mov_b32_e32 v2, v10
	v_mov_b32_e32 v3, v11
	s_getpc_b64 s[4:5]
	s_add_u32 s4, s4, _ZZZZN2at6native31launch_logcumsumexp_cuda_kernelERKNS_10TensorBaseES3_lENKUlvE_clEvENKUlvE1_clEvENKUlN3c107complexIdEES8_E_clES8_S8_@rel32@lo+4
	s_addc_u32 s5, s5, _ZZZZN2at6native31launch_logcumsumexp_cuda_kernelERKNS_10TensorBaseES3_lENKUlvE_clEvENKUlvE1_clEvENKUlN3c107complexIdEES8_E_clES8_S8_@rel32@hi+12
	s_swappc_b64 s[30:31], s[4:5]
	v_pk_mov_b32 v[6:7], v[2:3], v[2:3] op_sel:[0,1]
	v_pk_mov_b32 v[4:5], v[0:1], v[0:1] op_sel:[0,1]
.LBB195_34:
	s_or_b64 exec, exec, s[70:71]
	v_mov_b32_dpp v8, v0 row_shr:4 row_mask:0xf bank_mask:0xf
	v_mov_b32_dpp v9, v1 row_shr:4 row_mask:0xf bank_mask:0xf
	v_mov_b32_dpp v10, v2 row_shr:4 row_mask:0xf bank_mask:0xf
	v_mov_b32_dpp v11, v3 row_shr:4 row_mask:0xf bank_mask:0xf
	v_cmp_lt_u32_e32 vcc, 3, v165
	s_and_saveexec_b64 s[70:71], vcc
	s_cbranch_execz .LBB195_36
; %bb.35:
	v_mov_b32_e32 v0, v8
	v_mov_b32_e32 v1, v9
	v_mov_b32_e32 v2, v10
	v_mov_b32_e32 v3, v11
	s_getpc_b64 s[4:5]
	s_add_u32 s4, s4, _ZZZZN2at6native31launch_logcumsumexp_cuda_kernelERKNS_10TensorBaseES3_lENKUlvE_clEvENKUlvE1_clEvENKUlN3c107complexIdEES8_E_clES8_S8_@rel32@lo+4
	s_addc_u32 s5, s5, _ZZZZN2at6native31launch_logcumsumexp_cuda_kernelERKNS_10TensorBaseES3_lENKUlvE_clEvENKUlvE1_clEvENKUlN3c107complexIdEES8_E_clES8_S8_@rel32@hi+12
	s_swappc_b64 s[30:31], s[4:5]
	v_pk_mov_b32 v[6:7], v[2:3], v[2:3] op_sel:[0,1]
	v_pk_mov_b32 v[4:5], v[0:1], v[0:1] op_sel:[0,1]
.LBB195_36:
	;; [unrolled: 20-line block ×3, first 2 shown]
	s_or_b64 exec, exec, s[70:71]
	v_and_b32_e32 v12, 16, v47
	v_mov_b32_dpp v8, v0 row_bcast:15 row_mask:0xf bank_mask:0xf
	v_mov_b32_dpp v9, v1 row_bcast:15 row_mask:0xf bank_mask:0xf
	;; [unrolled: 1-line block ×4, first 2 shown]
	v_cmp_ne_u32_e32 vcc, 0, v12
	s_and_saveexec_b64 s[70:71], vcc
	s_cbranch_execz .LBB195_40
; %bb.39:
	v_mov_b32_e32 v0, v8
	v_mov_b32_e32 v1, v9
	v_mov_b32_e32 v2, v10
	v_mov_b32_e32 v3, v11
	s_getpc_b64 s[4:5]
	s_add_u32 s4, s4, _ZZZZN2at6native31launch_logcumsumexp_cuda_kernelERKNS_10TensorBaseES3_lENKUlvE_clEvENKUlvE1_clEvENKUlN3c107complexIdEES8_E_clES8_S8_@rel32@lo+4
	s_addc_u32 s5, s5, _ZZZZN2at6native31launch_logcumsumexp_cuda_kernelERKNS_10TensorBaseES3_lENKUlvE_clEvENKUlvE1_clEvENKUlN3c107complexIdEES8_E_clES8_S8_@rel32@hi+12
	s_swappc_b64 s[30:31], s[4:5]
	v_mov_b32_e32 v4, v0
	v_mov_b32_e32 v5, v1
	;; [unrolled: 1-line block ×4, first 2 shown]
.LBB195_40:
	s_or_b64 exec, exec, s[70:71]
	v_mov_b32_dpp v0, v0 row_bcast:31 row_mask:0xf bank_mask:0xf
	v_mov_b32_dpp v1, v1 row_bcast:31 row_mask:0xf bank_mask:0xf
	;; [unrolled: 1-line block ×4, first 2 shown]
	v_cmp_lt_u32_e32 vcc, 31, v47
	s_and_saveexec_b64 s[70:71], vcc
	s_cbranch_execz .LBB195_42
; %bb.41:
	s_getpc_b64 s[4:5]
	s_add_u32 s4, s4, _ZZZZN2at6native31launch_logcumsumexp_cuda_kernelERKNS_10TensorBaseES3_lENKUlvE_clEvENKUlvE1_clEvENKUlN3c107complexIdEES8_E_clES8_S8_@rel32@lo+4
	s_addc_u32 s5, s5, _ZZZZN2at6native31launch_logcumsumexp_cuda_kernelERKNS_10TensorBaseES3_lENKUlvE_clEvENKUlvE1_clEvENKUlN3c107complexIdEES8_E_clES8_S8_@rel32@hi+12
	s_swappc_b64 s[30:31], s[4:5]
	v_mov_b32_e32 v4, v0
	v_mov_b32_e32 v5, v1
	;; [unrolled: 1-line block ×4, first 2 shown]
.LBB195_42:
	s_or_b64 exec, exec, s[70:71]
	s_load_dwordx2 s[68:69], s[68:69], 0x28
	v_cmp_eq_u32_e32 vcc, 63, v41
	s_and_saveexec_b64 s[4:5], vcc
	s_cbranch_execz .LBB195_44
; %bb.43:
	v_mov_b32_e32 v0, 0
	ds_write_b128 v0, v[4:7]
.LBB195_44:
	s_or_b64 exec, exec, s[4:5]
	v_add_u32_e32 v0, -1, v47
	v_and_b32_e32 v1, 64, v47
	v_cmp_lt_i32_e32 vcc, v0, v1
	v_cndmask_b32_e32 v0, v0, v47, vcc
	v_lshlrev_b32_e32 v3, 2, v0
	ds_bpermute_b32 v0, v3, v4
	ds_bpermute_b32 v1, v3, v5
	;; [unrolled: 1-line block ×4, first 2 shown]
	v_cmp_ne_u32_e32 vcc, 0, v41
	s_waitcnt lgkmcnt(0)
	; wave barrier
	s_waitcnt lgkmcnt(0)
	s_and_saveexec_b64 s[70:71], vcc
	s_cbranch_execz .LBB195_46
; %bb.45:
	v_mov_b32_e32 v4, v42
	v_mov_b32_e32 v5, v43
	;; [unrolled: 1-line block ×4, first 2 shown]
	s_getpc_b64 s[72:73]
	s_add_u32 s72, s72, _ZZZZN2at6native31launch_logcumsumexp_cuda_kernelERKNS_10TensorBaseES3_lENKUlvE_clEvENKUlvE1_clEvENKUlN3c107complexIdEES8_E_clES8_S8_@rel32@lo+4
	s_addc_u32 s73, s73, _ZZZZN2at6native31launch_logcumsumexp_cuda_kernelERKNS_10TensorBaseES3_lENKUlvE_clEvENKUlvE1_clEvENKUlN3c107complexIdEES8_E_clES8_S8_@rel32@hi+12
	s_swappc_b64 s[30:31], s[72:73]
	v_mov_b32_e32 v4, v136
	v_mov_b32_e32 v5, v137
	;; [unrolled: 1-line block ×8, first 2 shown]
	;;#ASMSTART
	;;#ASMEND
	s_swappc_b64 s[30:31], s[72:73]
	v_mov_b32_e32 v4, v132
	v_mov_b32_e32 v5, v133
	v_mov_b32_e32 v6, v134
	v_mov_b32_e32 v7, v135
	v_mov_b32_e32 v52, v0
	v_mov_b32_e32 v53, v1
	v_mov_b32_e32 v54, v2
	v_mov_b32_e32 v55, v3
	s_swappc_b64 s[30:31], s[72:73]
	v_mov_b32_e32 v4, v124
	v_mov_b32_e32 v5, v125
	v_mov_b32_e32 v6, v126
	v_mov_b32_e32 v7, v127
	v_mov_b32_e32 v60, v0
	v_mov_b32_e32 v61, v1
	v_mov_b32_e32 v62, v2
	v_mov_b32_e32 v63, v3
	;; [unrolled: 9-line block ×13, first 2 shown]
	s_swappc_b64 s[30:31], s[72:73]
	v_mov_b32_e32 v160, v0
	v_mov_b32_e32 v161, v1
	;; [unrolled: 1-line block ×4, first 2 shown]
.LBB195_46:
	s_or_b64 exec, exec, s[70:71]
	s_movk_i32 s4, 0xff20
	v_mad_i32_i24 v0, v41, s4, v46
	s_waitcnt lgkmcnt(0)
	; wave barrier
	ds_write_b128 v46, v[42:45]
	ds_write_b128 v46, v[52:55] offset:16
	ds_write_b128 v46, v[60:63] offset:32
	ds_write_b128 v46, v[72:75] offset:48
	ds_write_b128 v46, v[84:87] offset:64
	ds_write_b128 v46, v[96:99] offset:80
	ds_write_b128 v46, v[108:111] offset:96
	ds_write_b128 v46, v[116:119] offset:112
	ds_write_b128 v46, v[128:131] offset:128
	ds_write_b128 v46, v[140:143] offset:144
	ds_write_b128 v46, v[144:147] offset:160
	ds_write_b128 v46, v[148:151] offset:176
	ds_write_b128 v46, v[152:155] offset:192
	ds_write_b128 v46, v[156:159] offset:208
	ds_write_b128 v46, v[160:163] offset:224
	s_waitcnt lgkmcnt(0)
	; wave barrier
	s_waitcnt lgkmcnt(0)
	ds_read_b128 v[52:55], v0 offset:1024
	ds_read_b128 v[48:51], v0 offset:2048
	;; [unrolled: 1-line block ×14, first 2 shown]
	v_mov_b32_e32 v57, s69
	v_add_co_u32_e32 v56, vcc, s68, v164
	v_addc_co_u32_e32 v57, vcc, 0, v57, vcc
	s_and_saveexec_b64 s[4:5], s[38:39]
	s_cbranch_execnz .LBB195_62
; %bb.47:
	s_or_b64 exec, exec, s[4:5]
	s_and_saveexec_b64 s[4:5], s[40:41]
	s_cbranch_execnz .LBB195_63
.LBB195_48:
	s_or_b64 exec, exec, s[4:5]
	s_and_saveexec_b64 s[4:5], s[42:43]
	s_cbranch_execnz .LBB195_64
.LBB195_49:
	s_or_b64 exec, exec, s[4:5]
	s_and_saveexec_b64 s[4:5], s[44:45]
	s_cbranch_execnz .LBB195_65
.LBB195_50:
	s_or_b64 exec, exec, s[4:5]
	s_and_saveexec_b64 s[4:5], s[46:47]
	s_cbranch_execnz .LBB195_66
.LBB195_51:
	s_or_b64 exec, exec, s[4:5]
	s_and_saveexec_b64 s[4:5], s[48:49]
	s_cbranch_execnz .LBB195_67
.LBB195_52:
	s_or_b64 exec, exec, s[4:5]
	s_and_saveexec_b64 s[4:5], s[50:51]
	s_cbranch_execnz .LBB195_68
.LBB195_53:
	s_or_b64 exec, exec, s[4:5]
	s_and_saveexec_b64 s[4:5], s[52:53]
	s_cbranch_execnz .LBB195_69
.LBB195_54:
	s_or_b64 exec, exec, s[4:5]
	s_and_saveexec_b64 s[4:5], s[54:55]
	s_cbranch_execnz .LBB195_70
.LBB195_55:
	s_or_b64 exec, exec, s[4:5]
	s_and_saveexec_b64 s[4:5], s[56:57]
	s_cbranch_execnz .LBB195_71
.LBB195_56:
	s_or_b64 exec, exec, s[4:5]
	s_and_saveexec_b64 s[4:5], s[58:59]
	s_cbranch_execnz .LBB195_72
.LBB195_57:
	s_or_b64 exec, exec, s[4:5]
	s_and_saveexec_b64 s[4:5], s[60:61]
	s_cbranch_execnz .LBB195_73
.LBB195_58:
	s_or_b64 exec, exec, s[4:5]
	s_and_saveexec_b64 s[4:5], s[62:63]
	s_cbranch_execnz .LBB195_74
.LBB195_59:
	s_or_b64 exec, exec, s[4:5]
	s_and_saveexec_b64 s[4:5], s[64:65]
	s_cbranch_execnz .LBB195_75
.LBB195_60:
	s_or_b64 exec, exec, s[4:5]
	s_and_saveexec_b64 s[4:5], s[66:67]
	s_cbranch_execnz .LBB195_76
.LBB195_61:
	s_endpgm
.LBB195_62:
	ds_read_b128 v[58:61], v164
	s_waitcnt lgkmcnt(0)
	global_store_dwordx4 v[56:57], v[58:61], off
	s_or_b64 exec, exec, s[4:5]
	s_and_saveexec_b64 s[4:5], s[40:41]
	s_cbranch_execz .LBB195_48
.LBB195_63:
	s_waitcnt lgkmcnt(13)
	global_store_dwordx4 v[56:57], v[52:55], off offset:1024
	s_or_b64 exec, exec, s[4:5]
	s_and_saveexec_b64 s[4:5], s[42:43]
	s_cbranch_execz .LBB195_49
.LBB195_64:
	s_waitcnt lgkmcnt(12)
	global_store_dwordx4 v[56:57], v[48:51], off offset:2048
	s_or_b64 exec, exec, s[4:5]
	s_and_saveexec_b64 s[4:5], s[44:45]
	s_cbranch_execz .LBB195_50
.LBB195_65:
	s_waitcnt lgkmcnt(11)
	global_store_dwordx4 v[56:57], v[44:47], off offset:3072
	s_or_b64 exec, exec, s[4:5]
	s_and_saveexec_b64 s[4:5], s[46:47]
	s_cbranch_execz .LBB195_51
.LBB195_66:
	s_waitcnt lgkmcnt(11)
	v_add_co_u32_e32 v44, vcc, 0x1000, v56
	v_addc_co_u32_e32 v45, vcc, 0, v57, vcc
	s_waitcnt lgkmcnt(10)
	global_store_dwordx4 v[44:45], v[40:43], off
	s_or_b64 exec, exec, s[4:5]
	s_and_saveexec_b64 s[4:5], s[48:49]
	s_cbranch_execz .LBB195_52
.LBB195_67:
	s_waitcnt lgkmcnt(10)
	v_add_co_u32_e32 v40, vcc, 0x1000, v56
	v_addc_co_u32_e32 v41, vcc, 0, v57, vcc
	s_waitcnt lgkmcnt(9)
	global_store_dwordx4 v[40:41], v[36:39], off offset:1024
	s_or_b64 exec, exec, s[4:5]
	s_and_saveexec_b64 s[4:5], s[50:51]
	s_cbranch_execz .LBB195_53
.LBB195_68:
	s_waitcnt lgkmcnt(9)
	v_add_co_u32_e32 v36, vcc, 0x1000, v56
	v_addc_co_u32_e32 v37, vcc, 0, v57, vcc
	s_waitcnt lgkmcnt(8)
	global_store_dwordx4 v[36:37], v[32:35], off offset:2048
	s_or_b64 exec, exec, s[4:5]
	s_and_saveexec_b64 s[4:5], s[52:53]
	s_cbranch_execz .LBB195_54
.LBB195_69:
	s_waitcnt lgkmcnt(8)
	v_add_co_u32_e32 v32, vcc, 0x1000, v56
	v_addc_co_u32_e32 v33, vcc, 0, v57, vcc
	s_waitcnt lgkmcnt(7)
	global_store_dwordx4 v[32:33], v[28:31], off offset:3072
	s_or_b64 exec, exec, s[4:5]
	s_and_saveexec_b64 s[4:5], s[54:55]
	s_cbranch_execz .LBB195_55
.LBB195_70:
	s_waitcnt lgkmcnt(7)
	v_add_co_u32_e32 v28, vcc, 0x2000, v56
	v_addc_co_u32_e32 v29, vcc, 0, v57, vcc
	s_waitcnt lgkmcnt(6)
	global_store_dwordx4 v[28:29], v[24:27], off
	s_or_b64 exec, exec, s[4:5]
	s_and_saveexec_b64 s[4:5], s[56:57]
	s_cbranch_execz .LBB195_56
.LBB195_71:
	s_waitcnt lgkmcnt(6)
	v_add_co_u32_e32 v24, vcc, 0x2000, v56
	v_addc_co_u32_e32 v25, vcc, 0, v57, vcc
	s_waitcnt lgkmcnt(5)
	global_store_dwordx4 v[24:25], v[20:23], off offset:1024
	s_or_b64 exec, exec, s[4:5]
	s_and_saveexec_b64 s[4:5], s[58:59]
	s_cbranch_execz .LBB195_57
.LBB195_72:
	s_waitcnt lgkmcnt(5)
	v_add_co_u32_e32 v20, vcc, 0x2000, v56
	v_addc_co_u32_e32 v21, vcc, 0, v57, vcc
	s_waitcnt lgkmcnt(4)
	global_store_dwordx4 v[20:21], v[16:19], off offset:2048
	s_or_b64 exec, exec, s[4:5]
	s_and_saveexec_b64 s[4:5], s[60:61]
	s_cbranch_execz .LBB195_58
.LBB195_73:
	s_waitcnt lgkmcnt(4)
	v_add_co_u32_e32 v16, vcc, 0x2000, v56
	v_addc_co_u32_e32 v17, vcc, 0, v57, vcc
	s_waitcnt lgkmcnt(3)
	global_store_dwordx4 v[16:17], v[12:15], off offset:3072
	s_or_b64 exec, exec, s[4:5]
	s_and_saveexec_b64 s[4:5], s[62:63]
	s_cbranch_execz .LBB195_59
.LBB195_74:
	s_waitcnt lgkmcnt(3)
	v_add_co_u32_e32 v12, vcc, 0x3000, v56
	v_addc_co_u32_e32 v13, vcc, 0, v57, vcc
	s_waitcnt lgkmcnt(2)
	global_store_dwordx4 v[12:13], v[8:11], off
	s_or_b64 exec, exec, s[4:5]
	s_and_saveexec_b64 s[4:5], s[64:65]
	s_cbranch_execz .LBB195_60
.LBB195_75:
	s_waitcnt lgkmcnt(2)
	v_add_co_u32_e32 v8, vcc, 0x3000, v56
	v_addc_co_u32_e32 v9, vcc, 0, v57, vcc
	s_waitcnt lgkmcnt(1)
	global_store_dwordx4 v[8:9], v[4:7], off offset:1024
	s_or_b64 exec, exec, s[4:5]
	s_and_saveexec_b64 s[4:5], s[66:67]
	s_cbranch_execz .LBB195_61
.LBB195_76:
	s_waitcnt lgkmcnt(1)
	v_add_co_u32_e32 v4, vcc, 0x3000, v56
	v_addc_co_u32_e32 v5, vcc, 0, v57, vcc
	s_waitcnt lgkmcnt(0)
	global_store_dwordx4 v[4:5], v[0:3], off offset:2048
	s_endpgm
	.section	.rodata,"a",@progbits
	.p2align	6, 0x0
	.amdhsa_kernel _ZN7rocprim17ROCPRIM_400000_NS6detail17trampoline_kernelINS0_14default_configENS1_20scan_config_selectorIN3c107complexIdEEEEZZNS1_9scan_implILNS1_25lookback_scan_determinismE0ELb0ELb0ES3_PKS7_PS7_S7_ZZZN2at6native31launch_logcumsumexp_cuda_kernelERKNSE_10TensorBaseESI_lENKUlvE_clEvENKUlvE1_clEvEUlS7_S7_E_S7_EEDaPvRmT3_T4_T5_mT6_P12ihipStream_tbENKUlT_T0_E_clISt17integral_constantIbLb0EESZ_EEDaSU_SV_EUlSU_E0_NS1_11comp_targetILNS1_3genE4ELNS1_11target_archE910ELNS1_3gpuE8ELNS1_3repE0EEENS1_30default_config_static_selectorELNS0_4arch9wavefront6targetE1EEEvT1_
		.amdhsa_group_segment_fixed_size 15360
		.amdhsa_private_segment_fixed_size 8
		.amdhsa_kernarg_size 48
		.amdhsa_user_sgpr_count 8
		.amdhsa_user_sgpr_private_segment_buffer 1
		.amdhsa_user_sgpr_dispatch_ptr 0
		.amdhsa_user_sgpr_queue_ptr 0
		.amdhsa_user_sgpr_kernarg_segment_ptr 1
		.amdhsa_user_sgpr_dispatch_id 0
		.amdhsa_user_sgpr_flat_scratch_init 1
		.amdhsa_user_sgpr_kernarg_preload_length 0
		.amdhsa_user_sgpr_kernarg_preload_offset 0
		.amdhsa_user_sgpr_private_segment_size 0
		.amdhsa_uses_dynamic_stack 0
		.amdhsa_system_sgpr_private_segment_wavefront_offset 1
		.amdhsa_system_sgpr_workgroup_id_x 1
		.amdhsa_system_sgpr_workgroup_id_y 0
		.amdhsa_system_sgpr_workgroup_id_z 0
		.amdhsa_system_sgpr_workgroup_info 0
		.amdhsa_system_vgpr_workitem_id 0
		.amdhsa_next_free_vgpr 166
		.amdhsa_next_free_sgpr 74
		.amdhsa_accum_offset 168
		.amdhsa_reserve_vcc 1
		.amdhsa_reserve_flat_scratch 1
		.amdhsa_float_round_mode_32 0
		.amdhsa_float_round_mode_16_64 0
		.amdhsa_float_denorm_mode_32 3
		.amdhsa_float_denorm_mode_16_64 3
		.amdhsa_dx10_clamp 1
		.amdhsa_ieee_mode 1
		.amdhsa_fp16_overflow 0
		.amdhsa_tg_split 0
		.amdhsa_exception_fp_ieee_invalid_op 0
		.amdhsa_exception_fp_denorm_src 0
		.amdhsa_exception_fp_ieee_div_zero 0
		.amdhsa_exception_fp_ieee_overflow 0
		.amdhsa_exception_fp_ieee_underflow 0
		.amdhsa_exception_fp_ieee_inexact 0
		.amdhsa_exception_int_div_zero 0
	.end_amdhsa_kernel
	.section	.text._ZN7rocprim17ROCPRIM_400000_NS6detail17trampoline_kernelINS0_14default_configENS1_20scan_config_selectorIN3c107complexIdEEEEZZNS1_9scan_implILNS1_25lookback_scan_determinismE0ELb0ELb0ES3_PKS7_PS7_S7_ZZZN2at6native31launch_logcumsumexp_cuda_kernelERKNSE_10TensorBaseESI_lENKUlvE_clEvENKUlvE1_clEvEUlS7_S7_E_S7_EEDaPvRmT3_T4_T5_mT6_P12ihipStream_tbENKUlT_T0_E_clISt17integral_constantIbLb0EESZ_EEDaSU_SV_EUlSU_E0_NS1_11comp_targetILNS1_3genE4ELNS1_11target_archE910ELNS1_3gpuE8ELNS1_3repE0EEENS1_30default_config_static_selectorELNS0_4arch9wavefront6targetE1EEEvT1_,"axG",@progbits,_ZN7rocprim17ROCPRIM_400000_NS6detail17trampoline_kernelINS0_14default_configENS1_20scan_config_selectorIN3c107complexIdEEEEZZNS1_9scan_implILNS1_25lookback_scan_determinismE0ELb0ELb0ES3_PKS7_PS7_S7_ZZZN2at6native31launch_logcumsumexp_cuda_kernelERKNSE_10TensorBaseESI_lENKUlvE_clEvENKUlvE1_clEvEUlS7_S7_E_S7_EEDaPvRmT3_T4_T5_mT6_P12ihipStream_tbENKUlT_T0_E_clISt17integral_constantIbLb0EESZ_EEDaSU_SV_EUlSU_E0_NS1_11comp_targetILNS1_3genE4ELNS1_11target_archE910ELNS1_3gpuE8ELNS1_3repE0EEENS1_30default_config_static_selectorELNS0_4arch9wavefront6targetE1EEEvT1_,comdat
.Lfunc_end195:
	.size	_ZN7rocprim17ROCPRIM_400000_NS6detail17trampoline_kernelINS0_14default_configENS1_20scan_config_selectorIN3c107complexIdEEEEZZNS1_9scan_implILNS1_25lookback_scan_determinismE0ELb0ELb0ES3_PKS7_PS7_S7_ZZZN2at6native31launch_logcumsumexp_cuda_kernelERKNSE_10TensorBaseESI_lENKUlvE_clEvENKUlvE1_clEvEUlS7_S7_E_S7_EEDaPvRmT3_T4_T5_mT6_P12ihipStream_tbENKUlT_T0_E_clISt17integral_constantIbLb0EESZ_EEDaSU_SV_EUlSU_E0_NS1_11comp_targetILNS1_3genE4ELNS1_11target_archE910ELNS1_3gpuE8ELNS1_3repE0EEENS1_30default_config_static_selectorELNS0_4arch9wavefront6targetE1EEEvT1_, .Lfunc_end195-_ZN7rocprim17ROCPRIM_400000_NS6detail17trampoline_kernelINS0_14default_configENS1_20scan_config_selectorIN3c107complexIdEEEEZZNS1_9scan_implILNS1_25lookback_scan_determinismE0ELb0ELb0ES3_PKS7_PS7_S7_ZZZN2at6native31launch_logcumsumexp_cuda_kernelERKNSE_10TensorBaseESI_lENKUlvE_clEvENKUlvE1_clEvEUlS7_S7_E_S7_EEDaPvRmT3_T4_T5_mT6_P12ihipStream_tbENKUlT_T0_E_clISt17integral_constantIbLb0EESZ_EEDaSU_SV_EUlSU_E0_NS1_11comp_targetILNS1_3genE4ELNS1_11target_archE910ELNS1_3gpuE8ELNS1_3repE0EEENS1_30default_config_static_selectorELNS0_4arch9wavefront6targetE1EEEvT1_
                                        ; -- End function
	.section	.AMDGPU.csdata,"",@progbits
; Kernel info:
; codeLenInByte = 3992
; NumSgprs: 80
; NumVgprs: 166
; NumAgprs: 0
; TotalNumVgprs: 166
; ScratchSize: 8
; MemoryBound: 1
; FloatMode: 240
; IeeeMode: 1
; LDSByteSize: 15360 bytes/workgroup (compile time only)
; SGPRBlocks: 9
; VGPRBlocks: 20
; NumSGPRsForWavesPerEU: 80
; NumVGPRsForWavesPerEU: 166
; AccumOffset: 168
; Occupancy: 1
; WaveLimiterHint : 0
; COMPUTE_PGM_RSRC2:SCRATCH_EN: 1
; COMPUTE_PGM_RSRC2:USER_SGPR: 8
; COMPUTE_PGM_RSRC2:TRAP_HANDLER: 0
; COMPUTE_PGM_RSRC2:TGID_X_EN: 1
; COMPUTE_PGM_RSRC2:TGID_Y_EN: 0
; COMPUTE_PGM_RSRC2:TGID_Z_EN: 0
; COMPUTE_PGM_RSRC2:TIDIG_COMP_CNT: 0
; COMPUTE_PGM_RSRC3_GFX90A:ACCUM_OFFSET: 41
; COMPUTE_PGM_RSRC3_GFX90A:TG_SPLIT: 0
	.section	.text._ZN7rocprim17ROCPRIM_400000_NS6detail17trampoline_kernelINS0_14default_configENS1_20scan_config_selectorIN3c107complexIdEEEEZZNS1_9scan_implILNS1_25lookback_scan_determinismE0ELb0ELb0ES3_PKS7_PS7_S7_ZZZN2at6native31launch_logcumsumexp_cuda_kernelERKNSE_10TensorBaseESI_lENKUlvE_clEvENKUlvE1_clEvEUlS7_S7_E_S7_EEDaPvRmT3_T4_T5_mT6_P12ihipStream_tbENKUlT_T0_E_clISt17integral_constantIbLb0EESZ_EEDaSU_SV_EUlSU_E0_NS1_11comp_targetILNS1_3genE3ELNS1_11target_archE908ELNS1_3gpuE7ELNS1_3repE0EEENS1_30default_config_static_selectorELNS0_4arch9wavefront6targetE1EEEvT1_,"axG",@progbits,_ZN7rocprim17ROCPRIM_400000_NS6detail17trampoline_kernelINS0_14default_configENS1_20scan_config_selectorIN3c107complexIdEEEEZZNS1_9scan_implILNS1_25lookback_scan_determinismE0ELb0ELb0ES3_PKS7_PS7_S7_ZZZN2at6native31launch_logcumsumexp_cuda_kernelERKNSE_10TensorBaseESI_lENKUlvE_clEvENKUlvE1_clEvEUlS7_S7_E_S7_EEDaPvRmT3_T4_T5_mT6_P12ihipStream_tbENKUlT_T0_E_clISt17integral_constantIbLb0EESZ_EEDaSU_SV_EUlSU_E0_NS1_11comp_targetILNS1_3genE3ELNS1_11target_archE908ELNS1_3gpuE7ELNS1_3repE0EEENS1_30default_config_static_selectorELNS0_4arch9wavefront6targetE1EEEvT1_,comdat
	.globl	_ZN7rocprim17ROCPRIM_400000_NS6detail17trampoline_kernelINS0_14default_configENS1_20scan_config_selectorIN3c107complexIdEEEEZZNS1_9scan_implILNS1_25lookback_scan_determinismE0ELb0ELb0ES3_PKS7_PS7_S7_ZZZN2at6native31launch_logcumsumexp_cuda_kernelERKNSE_10TensorBaseESI_lENKUlvE_clEvENKUlvE1_clEvEUlS7_S7_E_S7_EEDaPvRmT3_T4_T5_mT6_P12ihipStream_tbENKUlT_T0_E_clISt17integral_constantIbLb0EESZ_EEDaSU_SV_EUlSU_E0_NS1_11comp_targetILNS1_3genE3ELNS1_11target_archE908ELNS1_3gpuE7ELNS1_3repE0EEENS1_30default_config_static_selectorELNS0_4arch9wavefront6targetE1EEEvT1_ ; -- Begin function _ZN7rocprim17ROCPRIM_400000_NS6detail17trampoline_kernelINS0_14default_configENS1_20scan_config_selectorIN3c107complexIdEEEEZZNS1_9scan_implILNS1_25lookback_scan_determinismE0ELb0ELb0ES3_PKS7_PS7_S7_ZZZN2at6native31launch_logcumsumexp_cuda_kernelERKNSE_10TensorBaseESI_lENKUlvE_clEvENKUlvE1_clEvEUlS7_S7_E_S7_EEDaPvRmT3_T4_T5_mT6_P12ihipStream_tbENKUlT_T0_E_clISt17integral_constantIbLb0EESZ_EEDaSU_SV_EUlSU_E0_NS1_11comp_targetILNS1_3genE3ELNS1_11target_archE908ELNS1_3gpuE7ELNS1_3repE0EEENS1_30default_config_static_selectorELNS0_4arch9wavefront6targetE1EEEvT1_
	.p2align	8
	.type	_ZN7rocprim17ROCPRIM_400000_NS6detail17trampoline_kernelINS0_14default_configENS1_20scan_config_selectorIN3c107complexIdEEEEZZNS1_9scan_implILNS1_25lookback_scan_determinismE0ELb0ELb0ES3_PKS7_PS7_S7_ZZZN2at6native31launch_logcumsumexp_cuda_kernelERKNSE_10TensorBaseESI_lENKUlvE_clEvENKUlvE1_clEvEUlS7_S7_E_S7_EEDaPvRmT3_T4_T5_mT6_P12ihipStream_tbENKUlT_T0_E_clISt17integral_constantIbLb0EESZ_EEDaSU_SV_EUlSU_E0_NS1_11comp_targetILNS1_3genE3ELNS1_11target_archE908ELNS1_3gpuE7ELNS1_3repE0EEENS1_30default_config_static_selectorELNS0_4arch9wavefront6targetE1EEEvT1_,@function
_ZN7rocprim17ROCPRIM_400000_NS6detail17trampoline_kernelINS0_14default_configENS1_20scan_config_selectorIN3c107complexIdEEEEZZNS1_9scan_implILNS1_25lookback_scan_determinismE0ELb0ELb0ES3_PKS7_PS7_S7_ZZZN2at6native31launch_logcumsumexp_cuda_kernelERKNSE_10TensorBaseESI_lENKUlvE_clEvENKUlvE1_clEvEUlS7_S7_E_S7_EEDaPvRmT3_T4_T5_mT6_P12ihipStream_tbENKUlT_T0_E_clISt17integral_constantIbLb0EESZ_EEDaSU_SV_EUlSU_E0_NS1_11comp_targetILNS1_3genE3ELNS1_11target_archE908ELNS1_3gpuE7ELNS1_3repE0EEENS1_30default_config_static_selectorELNS0_4arch9wavefront6targetE1EEEvT1_: ; @_ZN7rocprim17ROCPRIM_400000_NS6detail17trampoline_kernelINS0_14default_configENS1_20scan_config_selectorIN3c107complexIdEEEEZZNS1_9scan_implILNS1_25lookback_scan_determinismE0ELb0ELb0ES3_PKS7_PS7_S7_ZZZN2at6native31launch_logcumsumexp_cuda_kernelERKNSE_10TensorBaseESI_lENKUlvE_clEvENKUlvE1_clEvEUlS7_S7_E_S7_EEDaPvRmT3_T4_T5_mT6_P12ihipStream_tbENKUlT_T0_E_clISt17integral_constantIbLb0EESZ_EEDaSU_SV_EUlSU_E0_NS1_11comp_targetILNS1_3genE3ELNS1_11target_archE908ELNS1_3gpuE7ELNS1_3repE0EEENS1_30default_config_static_selectorELNS0_4arch9wavefront6targetE1EEEvT1_
; %bb.0:
	.section	.rodata,"a",@progbits
	.p2align	6, 0x0
	.amdhsa_kernel _ZN7rocprim17ROCPRIM_400000_NS6detail17trampoline_kernelINS0_14default_configENS1_20scan_config_selectorIN3c107complexIdEEEEZZNS1_9scan_implILNS1_25lookback_scan_determinismE0ELb0ELb0ES3_PKS7_PS7_S7_ZZZN2at6native31launch_logcumsumexp_cuda_kernelERKNSE_10TensorBaseESI_lENKUlvE_clEvENKUlvE1_clEvEUlS7_S7_E_S7_EEDaPvRmT3_T4_T5_mT6_P12ihipStream_tbENKUlT_T0_E_clISt17integral_constantIbLb0EESZ_EEDaSU_SV_EUlSU_E0_NS1_11comp_targetILNS1_3genE3ELNS1_11target_archE908ELNS1_3gpuE7ELNS1_3repE0EEENS1_30default_config_static_selectorELNS0_4arch9wavefront6targetE1EEEvT1_
		.amdhsa_group_segment_fixed_size 0
		.amdhsa_private_segment_fixed_size 0
		.amdhsa_kernarg_size 48
		.amdhsa_user_sgpr_count 6
		.amdhsa_user_sgpr_private_segment_buffer 1
		.amdhsa_user_sgpr_dispatch_ptr 0
		.amdhsa_user_sgpr_queue_ptr 0
		.amdhsa_user_sgpr_kernarg_segment_ptr 1
		.amdhsa_user_sgpr_dispatch_id 0
		.amdhsa_user_sgpr_flat_scratch_init 0
		.amdhsa_user_sgpr_kernarg_preload_length 0
		.amdhsa_user_sgpr_kernarg_preload_offset 0
		.amdhsa_user_sgpr_private_segment_size 0
		.amdhsa_uses_dynamic_stack 0
		.amdhsa_system_sgpr_private_segment_wavefront_offset 0
		.amdhsa_system_sgpr_workgroup_id_x 1
		.amdhsa_system_sgpr_workgroup_id_y 0
		.amdhsa_system_sgpr_workgroup_id_z 0
		.amdhsa_system_sgpr_workgroup_info 0
		.amdhsa_system_vgpr_workitem_id 0
		.amdhsa_next_free_vgpr 1
		.amdhsa_next_free_sgpr 0
		.amdhsa_accum_offset 4
		.amdhsa_reserve_vcc 0
		.amdhsa_reserve_flat_scratch 0
		.amdhsa_float_round_mode_32 0
		.amdhsa_float_round_mode_16_64 0
		.amdhsa_float_denorm_mode_32 3
		.amdhsa_float_denorm_mode_16_64 3
		.amdhsa_dx10_clamp 1
		.amdhsa_ieee_mode 1
		.amdhsa_fp16_overflow 0
		.amdhsa_tg_split 0
		.amdhsa_exception_fp_ieee_invalid_op 0
		.amdhsa_exception_fp_denorm_src 0
		.amdhsa_exception_fp_ieee_div_zero 0
		.amdhsa_exception_fp_ieee_overflow 0
		.amdhsa_exception_fp_ieee_underflow 0
		.amdhsa_exception_fp_ieee_inexact 0
		.amdhsa_exception_int_div_zero 0
	.end_amdhsa_kernel
	.section	.text._ZN7rocprim17ROCPRIM_400000_NS6detail17trampoline_kernelINS0_14default_configENS1_20scan_config_selectorIN3c107complexIdEEEEZZNS1_9scan_implILNS1_25lookback_scan_determinismE0ELb0ELb0ES3_PKS7_PS7_S7_ZZZN2at6native31launch_logcumsumexp_cuda_kernelERKNSE_10TensorBaseESI_lENKUlvE_clEvENKUlvE1_clEvEUlS7_S7_E_S7_EEDaPvRmT3_T4_T5_mT6_P12ihipStream_tbENKUlT_T0_E_clISt17integral_constantIbLb0EESZ_EEDaSU_SV_EUlSU_E0_NS1_11comp_targetILNS1_3genE3ELNS1_11target_archE908ELNS1_3gpuE7ELNS1_3repE0EEENS1_30default_config_static_selectorELNS0_4arch9wavefront6targetE1EEEvT1_,"axG",@progbits,_ZN7rocprim17ROCPRIM_400000_NS6detail17trampoline_kernelINS0_14default_configENS1_20scan_config_selectorIN3c107complexIdEEEEZZNS1_9scan_implILNS1_25lookback_scan_determinismE0ELb0ELb0ES3_PKS7_PS7_S7_ZZZN2at6native31launch_logcumsumexp_cuda_kernelERKNSE_10TensorBaseESI_lENKUlvE_clEvENKUlvE1_clEvEUlS7_S7_E_S7_EEDaPvRmT3_T4_T5_mT6_P12ihipStream_tbENKUlT_T0_E_clISt17integral_constantIbLb0EESZ_EEDaSU_SV_EUlSU_E0_NS1_11comp_targetILNS1_3genE3ELNS1_11target_archE908ELNS1_3gpuE7ELNS1_3repE0EEENS1_30default_config_static_selectorELNS0_4arch9wavefront6targetE1EEEvT1_,comdat
.Lfunc_end196:
	.size	_ZN7rocprim17ROCPRIM_400000_NS6detail17trampoline_kernelINS0_14default_configENS1_20scan_config_selectorIN3c107complexIdEEEEZZNS1_9scan_implILNS1_25lookback_scan_determinismE0ELb0ELb0ES3_PKS7_PS7_S7_ZZZN2at6native31launch_logcumsumexp_cuda_kernelERKNSE_10TensorBaseESI_lENKUlvE_clEvENKUlvE1_clEvEUlS7_S7_E_S7_EEDaPvRmT3_T4_T5_mT6_P12ihipStream_tbENKUlT_T0_E_clISt17integral_constantIbLb0EESZ_EEDaSU_SV_EUlSU_E0_NS1_11comp_targetILNS1_3genE3ELNS1_11target_archE908ELNS1_3gpuE7ELNS1_3repE0EEENS1_30default_config_static_selectorELNS0_4arch9wavefront6targetE1EEEvT1_, .Lfunc_end196-_ZN7rocprim17ROCPRIM_400000_NS6detail17trampoline_kernelINS0_14default_configENS1_20scan_config_selectorIN3c107complexIdEEEEZZNS1_9scan_implILNS1_25lookback_scan_determinismE0ELb0ELb0ES3_PKS7_PS7_S7_ZZZN2at6native31launch_logcumsumexp_cuda_kernelERKNSE_10TensorBaseESI_lENKUlvE_clEvENKUlvE1_clEvEUlS7_S7_E_S7_EEDaPvRmT3_T4_T5_mT6_P12ihipStream_tbENKUlT_T0_E_clISt17integral_constantIbLb0EESZ_EEDaSU_SV_EUlSU_E0_NS1_11comp_targetILNS1_3genE3ELNS1_11target_archE908ELNS1_3gpuE7ELNS1_3repE0EEENS1_30default_config_static_selectorELNS0_4arch9wavefront6targetE1EEEvT1_
                                        ; -- End function
	.section	.AMDGPU.csdata,"",@progbits
; Kernel info:
; codeLenInByte = 0
; NumSgprs: 4
; NumVgprs: 0
; NumAgprs: 0
; TotalNumVgprs: 0
; ScratchSize: 0
; MemoryBound: 0
; FloatMode: 240
; IeeeMode: 1
; LDSByteSize: 0 bytes/workgroup (compile time only)
; SGPRBlocks: 0
; VGPRBlocks: 0
; NumSGPRsForWavesPerEU: 4
; NumVGPRsForWavesPerEU: 1
; AccumOffset: 4
; Occupancy: 8
; WaveLimiterHint : 0
; COMPUTE_PGM_RSRC2:SCRATCH_EN: 0
; COMPUTE_PGM_RSRC2:USER_SGPR: 6
; COMPUTE_PGM_RSRC2:TRAP_HANDLER: 0
; COMPUTE_PGM_RSRC2:TGID_X_EN: 1
; COMPUTE_PGM_RSRC2:TGID_Y_EN: 0
; COMPUTE_PGM_RSRC2:TGID_Z_EN: 0
; COMPUTE_PGM_RSRC2:TIDIG_COMP_CNT: 0
; COMPUTE_PGM_RSRC3_GFX90A:ACCUM_OFFSET: 0
; COMPUTE_PGM_RSRC3_GFX90A:TG_SPLIT: 0
	.section	.text._ZN7rocprim17ROCPRIM_400000_NS6detail17trampoline_kernelINS0_14default_configENS1_20scan_config_selectorIN3c107complexIdEEEEZZNS1_9scan_implILNS1_25lookback_scan_determinismE0ELb0ELb0ES3_PKS7_PS7_S7_ZZZN2at6native31launch_logcumsumexp_cuda_kernelERKNSE_10TensorBaseESI_lENKUlvE_clEvENKUlvE1_clEvEUlS7_S7_E_S7_EEDaPvRmT3_T4_T5_mT6_P12ihipStream_tbENKUlT_T0_E_clISt17integral_constantIbLb0EESZ_EEDaSU_SV_EUlSU_E0_NS1_11comp_targetILNS1_3genE2ELNS1_11target_archE906ELNS1_3gpuE6ELNS1_3repE0EEENS1_30default_config_static_selectorELNS0_4arch9wavefront6targetE1EEEvT1_,"axG",@progbits,_ZN7rocprim17ROCPRIM_400000_NS6detail17trampoline_kernelINS0_14default_configENS1_20scan_config_selectorIN3c107complexIdEEEEZZNS1_9scan_implILNS1_25lookback_scan_determinismE0ELb0ELb0ES3_PKS7_PS7_S7_ZZZN2at6native31launch_logcumsumexp_cuda_kernelERKNSE_10TensorBaseESI_lENKUlvE_clEvENKUlvE1_clEvEUlS7_S7_E_S7_EEDaPvRmT3_T4_T5_mT6_P12ihipStream_tbENKUlT_T0_E_clISt17integral_constantIbLb0EESZ_EEDaSU_SV_EUlSU_E0_NS1_11comp_targetILNS1_3genE2ELNS1_11target_archE906ELNS1_3gpuE6ELNS1_3repE0EEENS1_30default_config_static_selectorELNS0_4arch9wavefront6targetE1EEEvT1_,comdat
	.globl	_ZN7rocprim17ROCPRIM_400000_NS6detail17trampoline_kernelINS0_14default_configENS1_20scan_config_selectorIN3c107complexIdEEEEZZNS1_9scan_implILNS1_25lookback_scan_determinismE0ELb0ELb0ES3_PKS7_PS7_S7_ZZZN2at6native31launch_logcumsumexp_cuda_kernelERKNSE_10TensorBaseESI_lENKUlvE_clEvENKUlvE1_clEvEUlS7_S7_E_S7_EEDaPvRmT3_T4_T5_mT6_P12ihipStream_tbENKUlT_T0_E_clISt17integral_constantIbLb0EESZ_EEDaSU_SV_EUlSU_E0_NS1_11comp_targetILNS1_3genE2ELNS1_11target_archE906ELNS1_3gpuE6ELNS1_3repE0EEENS1_30default_config_static_selectorELNS0_4arch9wavefront6targetE1EEEvT1_ ; -- Begin function _ZN7rocprim17ROCPRIM_400000_NS6detail17trampoline_kernelINS0_14default_configENS1_20scan_config_selectorIN3c107complexIdEEEEZZNS1_9scan_implILNS1_25lookback_scan_determinismE0ELb0ELb0ES3_PKS7_PS7_S7_ZZZN2at6native31launch_logcumsumexp_cuda_kernelERKNSE_10TensorBaseESI_lENKUlvE_clEvENKUlvE1_clEvEUlS7_S7_E_S7_EEDaPvRmT3_T4_T5_mT6_P12ihipStream_tbENKUlT_T0_E_clISt17integral_constantIbLb0EESZ_EEDaSU_SV_EUlSU_E0_NS1_11comp_targetILNS1_3genE2ELNS1_11target_archE906ELNS1_3gpuE6ELNS1_3repE0EEENS1_30default_config_static_selectorELNS0_4arch9wavefront6targetE1EEEvT1_
	.p2align	8
	.type	_ZN7rocprim17ROCPRIM_400000_NS6detail17trampoline_kernelINS0_14default_configENS1_20scan_config_selectorIN3c107complexIdEEEEZZNS1_9scan_implILNS1_25lookback_scan_determinismE0ELb0ELb0ES3_PKS7_PS7_S7_ZZZN2at6native31launch_logcumsumexp_cuda_kernelERKNSE_10TensorBaseESI_lENKUlvE_clEvENKUlvE1_clEvEUlS7_S7_E_S7_EEDaPvRmT3_T4_T5_mT6_P12ihipStream_tbENKUlT_T0_E_clISt17integral_constantIbLb0EESZ_EEDaSU_SV_EUlSU_E0_NS1_11comp_targetILNS1_3genE2ELNS1_11target_archE906ELNS1_3gpuE6ELNS1_3repE0EEENS1_30default_config_static_selectorELNS0_4arch9wavefront6targetE1EEEvT1_,@function
_ZN7rocprim17ROCPRIM_400000_NS6detail17trampoline_kernelINS0_14default_configENS1_20scan_config_selectorIN3c107complexIdEEEEZZNS1_9scan_implILNS1_25lookback_scan_determinismE0ELb0ELb0ES3_PKS7_PS7_S7_ZZZN2at6native31launch_logcumsumexp_cuda_kernelERKNSE_10TensorBaseESI_lENKUlvE_clEvENKUlvE1_clEvEUlS7_S7_E_S7_EEDaPvRmT3_T4_T5_mT6_P12ihipStream_tbENKUlT_T0_E_clISt17integral_constantIbLb0EESZ_EEDaSU_SV_EUlSU_E0_NS1_11comp_targetILNS1_3genE2ELNS1_11target_archE906ELNS1_3gpuE6ELNS1_3repE0EEENS1_30default_config_static_selectorELNS0_4arch9wavefront6targetE1EEEvT1_: ; @_ZN7rocprim17ROCPRIM_400000_NS6detail17trampoline_kernelINS0_14default_configENS1_20scan_config_selectorIN3c107complexIdEEEEZZNS1_9scan_implILNS1_25lookback_scan_determinismE0ELb0ELb0ES3_PKS7_PS7_S7_ZZZN2at6native31launch_logcumsumexp_cuda_kernelERKNSE_10TensorBaseESI_lENKUlvE_clEvENKUlvE1_clEvEUlS7_S7_E_S7_EEDaPvRmT3_T4_T5_mT6_P12ihipStream_tbENKUlT_T0_E_clISt17integral_constantIbLb0EESZ_EEDaSU_SV_EUlSU_E0_NS1_11comp_targetILNS1_3genE2ELNS1_11target_archE906ELNS1_3gpuE6ELNS1_3repE0EEENS1_30default_config_static_selectorELNS0_4arch9wavefront6targetE1EEEvT1_
; %bb.0:
	.section	.rodata,"a",@progbits
	.p2align	6, 0x0
	.amdhsa_kernel _ZN7rocprim17ROCPRIM_400000_NS6detail17trampoline_kernelINS0_14default_configENS1_20scan_config_selectorIN3c107complexIdEEEEZZNS1_9scan_implILNS1_25lookback_scan_determinismE0ELb0ELb0ES3_PKS7_PS7_S7_ZZZN2at6native31launch_logcumsumexp_cuda_kernelERKNSE_10TensorBaseESI_lENKUlvE_clEvENKUlvE1_clEvEUlS7_S7_E_S7_EEDaPvRmT3_T4_T5_mT6_P12ihipStream_tbENKUlT_T0_E_clISt17integral_constantIbLb0EESZ_EEDaSU_SV_EUlSU_E0_NS1_11comp_targetILNS1_3genE2ELNS1_11target_archE906ELNS1_3gpuE6ELNS1_3repE0EEENS1_30default_config_static_selectorELNS0_4arch9wavefront6targetE1EEEvT1_
		.amdhsa_group_segment_fixed_size 0
		.amdhsa_private_segment_fixed_size 0
		.amdhsa_kernarg_size 48
		.amdhsa_user_sgpr_count 6
		.amdhsa_user_sgpr_private_segment_buffer 1
		.amdhsa_user_sgpr_dispatch_ptr 0
		.amdhsa_user_sgpr_queue_ptr 0
		.amdhsa_user_sgpr_kernarg_segment_ptr 1
		.amdhsa_user_sgpr_dispatch_id 0
		.amdhsa_user_sgpr_flat_scratch_init 0
		.amdhsa_user_sgpr_kernarg_preload_length 0
		.amdhsa_user_sgpr_kernarg_preload_offset 0
		.amdhsa_user_sgpr_private_segment_size 0
		.amdhsa_uses_dynamic_stack 0
		.amdhsa_system_sgpr_private_segment_wavefront_offset 0
		.amdhsa_system_sgpr_workgroup_id_x 1
		.amdhsa_system_sgpr_workgroup_id_y 0
		.amdhsa_system_sgpr_workgroup_id_z 0
		.amdhsa_system_sgpr_workgroup_info 0
		.amdhsa_system_vgpr_workitem_id 0
		.amdhsa_next_free_vgpr 1
		.amdhsa_next_free_sgpr 0
		.amdhsa_accum_offset 4
		.amdhsa_reserve_vcc 0
		.amdhsa_reserve_flat_scratch 0
		.amdhsa_float_round_mode_32 0
		.amdhsa_float_round_mode_16_64 0
		.amdhsa_float_denorm_mode_32 3
		.amdhsa_float_denorm_mode_16_64 3
		.amdhsa_dx10_clamp 1
		.amdhsa_ieee_mode 1
		.amdhsa_fp16_overflow 0
		.amdhsa_tg_split 0
		.amdhsa_exception_fp_ieee_invalid_op 0
		.amdhsa_exception_fp_denorm_src 0
		.amdhsa_exception_fp_ieee_div_zero 0
		.amdhsa_exception_fp_ieee_overflow 0
		.amdhsa_exception_fp_ieee_underflow 0
		.amdhsa_exception_fp_ieee_inexact 0
		.amdhsa_exception_int_div_zero 0
	.end_amdhsa_kernel
	.section	.text._ZN7rocprim17ROCPRIM_400000_NS6detail17trampoline_kernelINS0_14default_configENS1_20scan_config_selectorIN3c107complexIdEEEEZZNS1_9scan_implILNS1_25lookback_scan_determinismE0ELb0ELb0ES3_PKS7_PS7_S7_ZZZN2at6native31launch_logcumsumexp_cuda_kernelERKNSE_10TensorBaseESI_lENKUlvE_clEvENKUlvE1_clEvEUlS7_S7_E_S7_EEDaPvRmT3_T4_T5_mT6_P12ihipStream_tbENKUlT_T0_E_clISt17integral_constantIbLb0EESZ_EEDaSU_SV_EUlSU_E0_NS1_11comp_targetILNS1_3genE2ELNS1_11target_archE906ELNS1_3gpuE6ELNS1_3repE0EEENS1_30default_config_static_selectorELNS0_4arch9wavefront6targetE1EEEvT1_,"axG",@progbits,_ZN7rocprim17ROCPRIM_400000_NS6detail17trampoline_kernelINS0_14default_configENS1_20scan_config_selectorIN3c107complexIdEEEEZZNS1_9scan_implILNS1_25lookback_scan_determinismE0ELb0ELb0ES3_PKS7_PS7_S7_ZZZN2at6native31launch_logcumsumexp_cuda_kernelERKNSE_10TensorBaseESI_lENKUlvE_clEvENKUlvE1_clEvEUlS7_S7_E_S7_EEDaPvRmT3_T4_T5_mT6_P12ihipStream_tbENKUlT_T0_E_clISt17integral_constantIbLb0EESZ_EEDaSU_SV_EUlSU_E0_NS1_11comp_targetILNS1_3genE2ELNS1_11target_archE906ELNS1_3gpuE6ELNS1_3repE0EEENS1_30default_config_static_selectorELNS0_4arch9wavefront6targetE1EEEvT1_,comdat
.Lfunc_end197:
	.size	_ZN7rocprim17ROCPRIM_400000_NS6detail17trampoline_kernelINS0_14default_configENS1_20scan_config_selectorIN3c107complexIdEEEEZZNS1_9scan_implILNS1_25lookback_scan_determinismE0ELb0ELb0ES3_PKS7_PS7_S7_ZZZN2at6native31launch_logcumsumexp_cuda_kernelERKNSE_10TensorBaseESI_lENKUlvE_clEvENKUlvE1_clEvEUlS7_S7_E_S7_EEDaPvRmT3_T4_T5_mT6_P12ihipStream_tbENKUlT_T0_E_clISt17integral_constantIbLb0EESZ_EEDaSU_SV_EUlSU_E0_NS1_11comp_targetILNS1_3genE2ELNS1_11target_archE906ELNS1_3gpuE6ELNS1_3repE0EEENS1_30default_config_static_selectorELNS0_4arch9wavefront6targetE1EEEvT1_, .Lfunc_end197-_ZN7rocprim17ROCPRIM_400000_NS6detail17trampoline_kernelINS0_14default_configENS1_20scan_config_selectorIN3c107complexIdEEEEZZNS1_9scan_implILNS1_25lookback_scan_determinismE0ELb0ELb0ES3_PKS7_PS7_S7_ZZZN2at6native31launch_logcumsumexp_cuda_kernelERKNSE_10TensorBaseESI_lENKUlvE_clEvENKUlvE1_clEvEUlS7_S7_E_S7_EEDaPvRmT3_T4_T5_mT6_P12ihipStream_tbENKUlT_T0_E_clISt17integral_constantIbLb0EESZ_EEDaSU_SV_EUlSU_E0_NS1_11comp_targetILNS1_3genE2ELNS1_11target_archE906ELNS1_3gpuE6ELNS1_3repE0EEENS1_30default_config_static_selectorELNS0_4arch9wavefront6targetE1EEEvT1_
                                        ; -- End function
	.section	.AMDGPU.csdata,"",@progbits
; Kernel info:
; codeLenInByte = 0
; NumSgprs: 4
; NumVgprs: 0
; NumAgprs: 0
; TotalNumVgprs: 0
; ScratchSize: 0
; MemoryBound: 0
; FloatMode: 240
; IeeeMode: 1
; LDSByteSize: 0 bytes/workgroup (compile time only)
; SGPRBlocks: 0
; VGPRBlocks: 0
; NumSGPRsForWavesPerEU: 4
; NumVGPRsForWavesPerEU: 1
; AccumOffset: 4
; Occupancy: 8
; WaveLimiterHint : 0
; COMPUTE_PGM_RSRC2:SCRATCH_EN: 0
; COMPUTE_PGM_RSRC2:USER_SGPR: 6
; COMPUTE_PGM_RSRC2:TRAP_HANDLER: 0
; COMPUTE_PGM_RSRC2:TGID_X_EN: 1
; COMPUTE_PGM_RSRC2:TGID_Y_EN: 0
; COMPUTE_PGM_RSRC2:TGID_Z_EN: 0
; COMPUTE_PGM_RSRC2:TIDIG_COMP_CNT: 0
; COMPUTE_PGM_RSRC3_GFX90A:ACCUM_OFFSET: 0
; COMPUTE_PGM_RSRC3_GFX90A:TG_SPLIT: 0
	.section	.text._ZN7rocprim17ROCPRIM_400000_NS6detail17trampoline_kernelINS0_14default_configENS1_20scan_config_selectorIN3c107complexIdEEEEZZNS1_9scan_implILNS1_25lookback_scan_determinismE0ELb0ELb0ES3_PKS7_PS7_S7_ZZZN2at6native31launch_logcumsumexp_cuda_kernelERKNSE_10TensorBaseESI_lENKUlvE_clEvENKUlvE1_clEvEUlS7_S7_E_S7_EEDaPvRmT3_T4_T5_mT6_P12ihipStream_tbENKUlT_T0_E_clISt17integral_constantIbLb0EESZ_EEDaSU_SV_EUlSU_E0_NS1_11comp_targetILNS1_3genE10ELNS1_11target_archE1201ELNS1_3gpuE5ELNS1_3repE0EEENS1_30default_config_static_selectorELNS0_4arch9wavefront6targetE1EEEvT1_,"axG",@progbits,_ZN7rocprim17ROCPRIM_400000_NS6detail17trampoline_kernelINS0_14default_configENS1_20scan_config_selectorIN3c107complexIdEEEEZZNS1_9scan_implILNS1_25lookback_scan_determinismE0ELb0ELb0ES3_PKS7_PS7_S7_ZZZN2at6native31launch_logcumsumexp_cuda_kernelERKNSE_10TensorBaseESI_lENKUlvE_clEvENKUlvE1_clEvEUlS7_S7_E_S7_EEDaPvRmT3_T4_T5_mT6_P12ihipStream_tbENKUlT_T0_E_clISt17integral_constantIbLb0EESZ_EEDaSU_SV_EUlSU_E0_NS1_11comp_targetILNS1_3genE10ELNS1_11target_archE1201ELNS1_3gpuE5ELNS1_3repE0EEENS1_30default_config_static_selectorELNS0_4arch9wavefront6targetE1EEEvT1_,comdat
	.globl	_ZN7rocprim17ROCPRIM_400000_NS6detail17trampoline_kernelINS0_14default_configENS1_20scan_config_selectorIN3c107complexIdEEEEZZNS1_9scan_implILNS1_25lookback_scan_determinismE0ELb0ELb0ES3_PKS7_PS7_S7_ZZZN2at6native31launch_logcumsumexp_cuda_kernelERKNSE_10TensorBaseESI_lENKUlvE_clEvENKUlvE1_clEvEUlS7_S7_E_S7_EEDaPvRmT3_T4_T5_mT6_P12ihipStream_tbENKUlT_T0_E_clISt17integral_constantIbLb0EESZ_EEDaSU_SV_EUlSU_E0_NS1_11comp_targetILNS1_3genE10ELNS1_11target_archE1201ELNS1_3gpuE5ELNS1_3repE0EEENS1_30default_config_static_selectorELNS0_4arch9wavefront6targetE1EEEvT1_ ; -- Begin function _ZN7rocprim17ROCPRIM_400000_NS6detail17trampoline_kernelINS0_14default_configENS1_20scan_config_selectorIN3c107complexIdEEEEZZNS1_9scan_implILNS1_25lookback_scan_determinismE0ELb0ELb0ES3_PKS7_PS7_S7_ZZZN2at6native31launch_logcumsumexp_cuda_kernelERKNSE_10TensorBaseESI_lENKUlvE_clEvENKUlvE1_clEvEUlS7_S7_E_S7_EEDaPvRmT3_T4_T5_mT6_P12ihipStream_tbENKUlT_T0_E_clISt17integral_constantIbLb0EESZ_EEDaSU_SV_EUlSU_E0_NS1_11comp_targetILNS1_3genE10ELNS1_11target_archE1201ELNS1_3gpuE5ELNS1_3repE0EEENS1_30default_config_static_selectorELNS0_4arch9wavefront6targetE1EEEvT1_
	.p2align	8
	.type	_ZN7rocprim17ROCPRIM_400000_NS6detail17trampoline_kernelINS0_14default_configENS1_20scan_config_selectorIN3c107complexIdEEEEZZNS1_9scan_implILNS1_25lookback_scan_determinismE0ELb0ELb0ES3_PKS7_PS7_S7_ZZZN2at6native31launch_logcumsumexp_cuda_kernelERKNSE_10TensorBaseESI_lENKUlvE_clEvENKUlvE1_clEvEUlS7_S7_E_S7_EEDaPvRmT3_T4_T5_mT6_P12ihipStream_tbENKUlT_T0_E_clISt17integral_constantIbLb0EESZ_EEDaSU_SV_EUlSU_E0_NS1_11comp_targetILNS1_3genE10ELNS1_11target_archE1201ELNS1_3gpuE5ELNS1_3repE0EEENS1_30default_config_static_selectorELNS0_4arch9wavefront6targetE1EEEvT1_,@function
_ZN7rocprim17ROCPRIM_400000_NS6detail17trampoline_kernelINS0_14default_configENS1_20scan_config_selectorIN3c107complexIdEEEEZZNS1_9scan_implILNS1_25lookback_scan_determinismE0ELb0ELb0ES3_PKS7_PS7_S7_ZZZN2at6native31launch_logcumsumexp_cuda_kernelERKNSE_10TensorBaseESI_lENKUlvE_clEvENKUlvE1_clEvEUlS7_S7_E_S7_EEDaPvRmT3_T4_T5_mT6_P12ihipStream_tbENKUlT_T0_E_clISt17integral_constantIbLb0EESZ_EEDaSU_SV_EUlSU_E0_NS1_11comp_targetILNS1_3genE10ELNS1_11target_archE1201ELNS1_3gpuE5ELNS1_3repE0EEENS1_30default_config_static_selectorELNS0_4arch9wavefront6targetE1EEEvT1_: ; @_ZN7rocprim17ROCPRIM_400000_NS6detail17trampoline_kernelINS0_14default_configENS1_20scan_config_selectorIN3c107complexIdEEEEZZNS1_9scan_implILNS1_25lookback_scan_determinismE0ELb0ELb0ES3_PKS7_PS7_S7_ZZZN2at6native31launch_logcumsumexp_cuda_kernelERKNSE_10TensorBaseESI_lENKUlvE_clEvENKUlvE1_clEvEUlS7_S7_E_S7_EEDaPvRmT3_T4_T5_mT6_P12ihipStream_tbENKUlT_T0_E_clISt17integral_constantIbLb0EESZ_EEDaSU_SV_EUlSU_E0_NS1_11comp_targetILNS1_3genE10ELNS1_11target_archE1201ELNS1_3gpuE5ELNS1_3repE0EEENS1_30default_config_static_selectorELNS0_4arch9wavefront6targetE1EEEvT1_
; %bb.0:
	.section	.rodata,"a",@progbits
	.p2align	6, 0x0
	.amdhsa_kernel _ZN7rocprim17ROCPRIM_400000_NS6detail17trampoline_kernelINS0_14default_configENS1_20scan_config_selectorIN3c107complexIdEEEEZZNS1_9scan_implILNS1_25lookback_scan_determinismE0ELb0ELb0ES3_PKS7_PS7_S7_ZZZN2at6native31launch_logcumsumexp_cuda_kernelERKNSE_10TensorBaseESI_lENKUlvE_clEvENKUlvE1_clEvEUlS7_S7_E_S7_EEDaPvRmT3_T4_T5_mT6_P12ihipStream_tbENKUlT_T0_E_clISt17integral_constantIbLb0EESZ_EEDaSU_SV_EUlSU_E0_NS1_11comp_targetILNS1_3genE10ELNS1_11target_archE1201ELNS1_3gpuE5ELNS1_3repE0EEENS1_30default_config_static_selectorELNS0_4arch9wavefront6targetE1EEEvT1_
		.amdhsa_group_segment_fixed_size 0
		.amdhsa_private_segment_fixed_size 0
		.amdhsa_kernarg_size 48
		.amdhsa_user_sgpr_count 6
		.amdhsa_user_sgpr_private_segment_buffer 1
		.amdhsa_user_sgpr_dispatch_ptr 0
		.amdhsa_user_sgpr_queue_ptr 0
		.amdhsa_user_sgpr_kernarg_segment_ptr 1
		.amdhsa_user_sgpr_dispatch_id 0
		.amdhsa_user_sgpr_flat_scratch_init 0
		.amdhsa_user_sgpr_kernarg_preload_length 0
		.amdhsa_user_sgpr_kernarg_preload_offset 0
		.amdhsa_user_sgpr_private_segment_size 0
		.amdhsa_uses_dynamic_stack 0
		.amdhsa_system_sgpr_private_segment_wavefront_offset 0
		.amdhsa_system_sgpr_workgroup_id_x 1
		.amdhsa_system_sgpr_workgroup_id_y 0
		.amdhsa_system_sgpr_workgroup_id_z 0
		.amdhsa_system_sgpr_workgroup_info 0
		.amdhsa_system_vgpr_workitem_id 0
		.amdhsa_next_free_vgpr 1
		.amdhsa_next_free_sgpr 0
		.amdhsa_accum_offset 4
		.amdhsa_reserve_vcc 0
		.amdhsa_reserve_flat_scratch 0
		.amdhsa_float_round_mode_32 0
		.amdhsa_float_round_mode_16_64 0
		.amdhsa_float_denorm_mode_32 3
		.amdhsa_float_denorm_mode_16_64 3
		.amdhsa_dx10_clamp 1
		.amdhsa_ieee_mode 1
		.amdhsa_fp16_overflow 0
		.amdhsa_tg_split 0
		.amdhsa_exception_fp_ieee_invalid_op 0
		.amdhsa_exception_fp_denorm_src 0
		.amdhsa_exception_fp_ieee_div_zero 0
		.amdhsa_exception_fp_ieee_overflow 0
		.amdhsa_exception_fp_ieee_underflow 0
		.amdhsa_exception_fp_ieee_inexact 0
		.amdhsa_exception_int_div_zero 0
	.end_amdhsa_kernel
	.section	.text._ZN7rocprim17ROCPRIM_400000_NS6detail17trampoline_kernelINS0_14default_configENS1_20scan_config_selectorIN3c107complexIdEEEEZZNS1_9scan_implILNS1_25lookback_scan_determinismE0ELb0ELb0ES3_PKS7_PS7_S7_ZZZN2at6native31launch_logcumsumexp_cuda_kernelERKNSE_10TensorBaseESI_lENKUlvE_clEvENKUlvE1_clEvEUlS7_S7_E_S7_EEDaPvRmT3_T4_T5_mT6_P12ihipStream_tbENKUlT_T0_E_clISt17integral_constantIbLb0EESZ_EEDaSU_SV_EUlSU_E0_NS1_11comp_targetILNS1_3genE10ELNS1_11target_archE1201ELNS1_3gpuE5ELNS1_3repE0EEENS1_30default_config_static_selectorELNS0_4arch9wavefront6targetE1EEEvT1_,"axG",@progbits,_ZN7rocprim17ROCPRIM_400000_NS6detail17trampoline_kernelINS0_14default_configENS1_20scan_config_selectorIN3c107complexIdEEEEZZNS1_9scan_implILNS1_25lookback_scan_determinismE0ELb0ELb0ES3_PKS7_PS7_S7_ZZZN2at6native31launch_logcumsumexp_cuda_kernelERKNSE_10TensorBaseESI_lENKUlvE_clEvENKUlvE1_clEvEUlS7_S7_E_S7_EEDaPvRmT3_T4_T5_mT6_P12ihipStream_tbENKUlT_T0_E_clISt17integral_constantIbLb0EESZ_EEDaSU_SV_EUlSU_E0_NS1_11comp_targetILNS1_3genE10ELNS1_11target_archE1201ELNS1_3gpuE5ELNS1_3repE0EEENS1_30default_config_static_selectorELNS0_4arch9wavefront6targetE1EEEvT1_,comdat
.Lfunc_end198:
	.size	_ZN7rocprim17ROCPRIM_400000_NS6detail17trampoline_kernelINS0_14default_configENS1_20scan_config_selectorIN3c107complexIdEEEEZZNS1_9scan_implILNS1_25lookback_scan_determinismE0ELb0ELb0ES3_PKS7_PS7_S7_ZZZN2at6native31launch_logcumsumexp_cuda_kernelERKNSE_10TensorBaseESI_lENKUlvE_clEvENKUlvE1_clEvEUlS7_S7_E_S7_EEDaPvRmT3_T4_T5_mT6_P12ihipStream_tbENKUlT_T0_E_clISt17integral_constantIbLb0EESZ_EEDaSU_SV_EUlSU_E0_NS1_11comp_targetILNS1_3genE10ELNS1_11target_archE1201ELNS1_3gpuE5ELNS1_3repE0EEENS1_30default_config_static_selectorELNS0_4arch9wavefront6targetE1EEEvT1_, .Lfunc_end198-_ZN7rocprim17ROCPRIM_400000_NS6detail17trampoline_kernelINS0_14default_configENS1_20scan_config_selectorIN3c107complexIdEEEEZZNS1_9scan_implILNS1_25lookback_scan_determinismE0ELb0ELb0ES3_PKS7_PS7_S7_ZZZN2at6native31launch_logcumsumexp_cuda_kernelERKNSE_10TensorBaseESI_lENKUlvE_clEvENKUlvE1_clEvEUlS7_S7_E_S7_EEDaPvRmT3_T4_T5_mT6_P12ihipStream_tbENKUlT_T0_E_clISt17integral_constantIbLb0EESZ_EEDaSU_SV_EUlSU_E0_NS1_11comp_targetILNS1_3genE10ELNS1_11target_archE1201ELNS1_3gpuE5ELNS1_3repE0EEENS1_30default_config_static_selectorELNS0_4arch9wavefront6targetE1EEEvT1_
                                        ; -- End function
	.section	.AMDGPU.csdata,"",@progbits
; Kernel info:
; codeLenInByte = 0
; NumSgprs: 4
; NumVgprs: 0
; NumAgprs: 0
; TotalNumVgprs: 0
; ScratchSize: 0
; MemoryBound: 0
; FloatMode: 240
; IeeeMode: 1
; LDSByteSize: 0 bytes/workgroup (compile time only)
; SGPRBlocks: 0
; VGPRBlocks: 0
; NumSGPRsForWavesPerEU: 4
; NumVGPRsForWavesPerEU: 1
; AccumOffset: 4
; Occupancy: 8
; WaveLimiterHint : 0
; COMPUTE_PGM_RSRC2:SCRATCH_EN: 0
; COMPUTE_PGM_RSRC2:USER_SGPR: 6
; COMPUTE_PGM_RSRC2:TRAP_HANDLER: 0
; COMPUTE_PGM_RSRC2:TGID_X_EN: 1
; COMPUTE_PGM_RSRC2:TGID_Y_EN: 0
; COMPUTE_PGM_RSRC2:TGID_Z_EN: 0
; COMPUTE_PGM_RSRC2:TIDIG_COMP_CNT: 0
; COMPUTE_PGM_RSRC3_GFX90A:ACCUM_OFFSET: 0
; COMPUTE_PGM_RSRC3_GFX90A:TG_SPLIT: 0
	.section	.text._ZN7rocprim17ROCPRIM_400000_NS6detail17trampoline_kernelINS0_14default_configENS1_20scan_config_selectorIN3c107complexIdEEEEZZNS1_9scan_implILNS1_25lookback_scan_determinismE0ELb0ELb0ES3_PKS7_PS7_S7_ZZZN2at6native31launch_logcumsumexp_cuda_kernelERKNSE_10TensorBaseESI_lENKUlvE_clEvENKUlvE1_clEvEUlS7_S7_E_S7_EEDaPvRmT3_T4_T5_mT6_P12ihipStream_tbENKUlT_T0_E_clISt17integral_constantIbLb0EESZ_EEDaSU_SV_EUlSU_E0_NS1_11comp_targetILNS1_3genE10ELNS1_11target_archE1200ELNS1_3gpuE4ELNS1_3repE0EEENS1_30default_config_static_selectorELNS0_4arch9wavefront6targetE1EEEvT1_,"axG",@progbits,_ZN7rocprim17ROCPRIM_400000_NS6detail17trampoline_kernelINS0_14default_configENS1_20scan_config_selectorIN3c107complexIdEEEEZZNS1_9scan_implILNS1_25lookback_scan_determinismE0ELb0ELb0ES3_PKS7_PS7_S7_ZZZN2at6native31launch_logcumsumexp_cuda_kernelERKNSE_10TensorBaseESI_lENKUlvE_clEvENKUlvE1_clEvEUlS7_S7_E_S7_EEDaPvRmT3_T4_T5_mT6_P12ihipStream_tbENKUlT_T0_E_clISt17integral_constantIbLb0EESZ_EEDaSU_SV_EUlSU_E0_NS1_11comp_targetILNS1_3genE10ELNS1_11target_archE1200ELNS1_3gpuE4ELNS1_3repE0EEENS1_30default_config_static_selectorELNS0_4arch9wavefront6targetE1EEEvT1_,comdat
	.globl	_ZN7rocprim17ROCPRIM_400000_NS6detail17trampoline_kernelINS0_14default_configENS1_20scan_config_selectorIN3c107complexIdEEEEZZNS1_9scan_implILNS1_25lookback_scan_determinismE0ELb0ELb0ES3_PKS7_PS7_S7_ZZZN2at6native31launch_logcumsumexp_cuda_kernelERKNSE_10TensorBaseESI_lENKUlvE_clEvENKUlvE1_clEvEUlS7_S7_E_S7_EEDaPvRmT3_T4_T5_mT6_P12ihipStream_tbENKUlT_T0_E_clISt17integral_constantIbLb0EESZ_EEDaSU_SV_EUlSU_E0_NS1_11comp_targetILNS1_3genE10ELNS1_11target_archE1200ELNS1_3gpuE4ELNS1_3repE0EEENS1_30default_config_static_selectorELNS0_4arch9wavefront6targetE1EEEvT1_ ; -- Begin function _ZN7rocprim17ROCPRIM_400000_NS6detail17trampoline_kernelINS0_14default_configENS1_20scan_config_selectorIN3c107complexIdEEEEZZNS1_9scan_implILNS1_25lookback_scan_determinismE0ELb0ELb0ES3_PKS7_PS7_S7_ZZZN2at6native31launch_logcumsumexp_cuda_kernelERKNSE_10TensorBaseESI_lENKUlvE_clEvENKUlvE1_clEvEUlS7_S7_E_S7_EEDaPvRmT3_T4_T5_mT6_P12ihipStream_tbENKUlT_T0_E_clISt17integral_constantIbLb0EESZ_EEDaSU_SV_EUlSU_E0_NS1_11comp_targetILNS1_3genE10ELNS1_11target_archE1200ELNS1_3gpuE4ELNS1_3repE0EEENS1_30default_config_static_selectorELNS0_4arch9wavefront6targetE1EEEvT1_
	.p2align	8
	.type	_ZN7rocprim17ROCPRIM_400000_NS6detail17trampoline_kernelINS0_14default_configENS1_20scan_config_selectorIN3c107complexIdEEEEZZNS1_9scan_implILNS1_25lookback_scan_determinismE0ELb0ELb0ES3_PKS7_PS7_S7_ZZZN2at6native31launch_logcumsumexp_cuda_kernelERKNSE_10TensorBaseESI_lENKUlvE_clEvENKUlvE1_clEvEUlS7_S7_E_S7_EEDaPvRmT3_T4_T5_mT6_P12ihipStream_tbENKUlT_T0_E_clISt17integral_constantIbLb0EESZ_EEDaSU_SV_EUlSU_E0_NS1_11comp_targetILNS1_3genE10ELNS1_11target_archE1200ELNS1_3gpuE4ELNS1_3repE0EEENS1_30default_config_static_selectorELNS0_4arch9wavefront6targetE1EEEvT1_,@function
_ZN7rocprim17ROCPRIM_400000_NS6detail17trampoline_kernelINS0_14default_configENS1_20scan_config_selectorIN3c107complexIdEEEEZZNS1_9scan_implILNS1_25lookback_scan_determinismE0ELb0ELb0ES3_PKS7_PS7_S7_ZZZN2at6native31launch_logcumsumexp_cuda_kernelERKNSE_10TensorBaseESI_lENKUlvE_clEvENKUlvE1_clEvEUlS7_S7_E_S7_EEDaPvRmT3_T4_T5_mT6_P12ihipStream_tbENKUlT_T0_E_clISt17integral_constantIbLb0EESZ_EEDaSU_SV_EUlSU_E0_NS1_11comp_targetILNS1_3genE10ELNS1_11target_archE1200ELNS1_3gpuE4ELNS1_3repE0EEENS1_30default_config_static_selectorELNS0_4arch9wavefront6targetE1EEEvT1_: ; @_ZN7rocprim17ROCPRIM_400000_NS6detail17trampoline_kernelINS0_14default_configENS1_20scan_config_selectorIN3c107complexIdEEEEZZNS1_9scan_implILNS1_25lookback_scan_determinismE0ELb0ELb0ES3_PKS7_PS7_S7_ZZZN2at6native31launch_logcumsumexp_cuda_kernelERKNSE_10TensorBaseESI_lENKUlvE_clEvENKUlvE1_clEvEUlS7_S7_E_S7_EEDaPvRmT3_T4_T5_mT6_P12ihipStream_tbENKUlT_T0_E_clISt17integral_constantIbLb0EESZ_EEDaSU_SV_EUlSU_E0_NS1_11comp_targetILNS1_3genE10ELNS1_11target_archE1200ELNS1_3gpuE4ELNS1_3repE0EEENS1_30default_config_static_selectorELNS0_4arch9wavefront6targetE1EEEvT1_
; %bb.0:
	.section	.rodata,"a",@progbits
	.p2align	6, 0x0
	.amdhsa_kernel _ZN7rocprim17ROCPRIM_400000_NS6detail17trampoline_kernelINS0_14default_configENS1_20scan_config_selectorIN3c107complexIdEEEEZZNS1_9scan_implILNS1_25lookback_scan_determinismE0ELb0ELb0ES3_PKS7_PS7_S7_ZZZN2at6native31launch_logcumsumexp_cuda_kernelERKNSE_10TensorBaseESI_lENKUlvE_clEvENKUlvE1_clEvEUlS7_S7_E_S7_EEDaPvRmT3_T4_T5_mT6_P12ihipStream_tbENKUlT_T0_E_clISt17integral_constantIbLb0EESZ_EEDaSU_SV_EUlSU_E0_NS1_11comp_targetILNS1_3genE10ELNS1_11target_archE1200ELNS1_3gpuE4ELNS1_3repE0EEENS1_30default_config_static_selectorELNS0_4arch9wavefront6targetE1EEEvT1_
		.amdhsa_group_segment_fixed_size 0
		.amdhsa_private_segment_fixed_size 0
		.amdhsa_kernarg_size 48
		.amdhsa_user_sgpr_count 6
		.amdhsa_user_sgpr_private_segment_buffer 1
		.amdhsa_user_sgpr_dispatch_ptr 0
		.amdhsa_user_sgpr_queue_ptr 0
		.amdhsa_user_sgpr_kernarg_segment_ptr 1
		.amdhsa_user_sgpr_dispatch_id 0
		.amdhsa_user_sgpr_flat_scratch_init 0
		.amdhsa_user_sgpr_kernarg_preload_length 0
		.amdhsa_user_sgpr_kernarg_preload_offset 0
		.amdhsa_user_sgpr_private_segment_size 0
		.amdhsa_uses_dynamic_stack 0
		.amdhsa_system_sgpr_private_segment_wavefront_offset 0
		.amdhsa_system_sgpr_workgroup_id_x 1
		.amdhsa_system_sgpr_workgroup_id_y 0
		.amdhsa_system_sgpr_workgroup_id_z 0
		.amdhsa_system_sgpr_workgroup_info 0
		.amdhsa_system_vgpr_workitem_id 0
		.amdhsa_next_free_vgpr 1
		.amdhsa_next_free_sgpr 0
		.amdhsa_accum_offset 4
		.amdhsa_reserve_vcc 0
		.amdhsa_reserve_flat_scratch 0
		.amdhsa_float_round_mode_32 0
		.amdhsa_float_round_mode_16_64 0
		.amdhsa_float_denorm_mode_32 3
		.amdhsa_float_denorm_mode_16_64 3
		.amdhsa_dx10_clamp 1
		.amdhsa_ieee_mode 1
		.amdhsa_fp16_overflow 0
		.amdhsa_tg_split 0
		.amdhsa_exception_fp_ieee_invalid_op 0
		.amdhsa_exception_fp_denorm_src 0
		.amdhsa_exception_fp_ieee_div_zero 0
		.amdhsa_exception_fp_ieee_overflow 0
		.amdhsa_exception_fp_ieee_underflow 0
		.amdhsa_exception_fp_ieee_inexact 0
		.amdhsa_exception_int_div_zero 0
	.end_amdhsa_kernel
	.section	.text._ZN7rocprim17ROCPRIM_400000_NS6detail17trampoline_kernelINS0_14default_configENS1_20scan_config_selectorIN3c107complexIdEEEEZZNS1_9scan_implILNS1_25lookback_scan_determinismE0ELb0ELb0ES3_PKS7_PS7_S7_ZZZN2at6native31launch_logcumsumexp_cuda_kernelERKNSE_10TensorBaseESI_lENKUlvE_clEvENKUlvE1_clEvEUlS7_S7_E_S7_EEDaPvRmT3_T4_T5_mT6_P12ihipStream_tbENKUlT_T0_E_clISt17integral_constantIbLb0EESZ_EEDaSU_SV_EUlSU_E0_NS1_11comp_targetILNS1_3genE10ELNS1_11target_archE1200ELNS1_3gpuE4ELNS1_3repE0EEENS1_30default_config_static_selectorELNS0_4arch9wavefront6targetE1EEEvT1_,"axG",@progbits,_ZN7rocprim17ROCPRIM_400000_NS6detail17trampoline_kernelINS0_14default_configENS1_20scan_config_selectorIN3c107complexIdEEEEZZNS1_9scan_implILNS1_25lookback_scan_determinismE0ELb0ELb0ES3_PKS7_PS7_S7_ZZZN2at6native31launch_logcumsumexp_cuda_kernelERKNSE_10TensorBaseESI_lENKUlvE_clEvENKUlvE1_clEvEUlS7_S7_E_S7_EEDaPvRmT3_T4_T5_mT6_P12ihipStream_tbENKUlT_T0_E_clISt17integral_constantIbLb0EESZ_EEDaSU_SV_EUlSU_E0_NS1_11comp_targetILNS1_3genE10ELNS1_11target_archE1200ELNS1_3gpuE4ELNS1_3repE0EEENS1_30default_config_static_selectorELNS0_4arch9wavefront6targetE1EEEvT1_,comdat
.Lfunc_end199:
	.size	_ZN7rocprim17ROCPRIM_400000_NS6detail17trampoline_kernelINS0_14default_configENS1_20scan_config_selectorIN3c107complexIdEEEEZZNS1_9scan_implILNS1_25lookback_scan_determinismE0ELb0ELb0ES3_PKS7_PS7_S7_ZZZN2at6native31launch_logcumsumexp_cuda_kernelERKNSE_10TensorBaseESI_lENKUlvE_clEvENKUlvE1_clEvEUlS7_S7_E_S7_EEDaPvRmT3_T4_T5_mT6_P12ihipStream_tbENKUlT_T0_E_clISt17integral_constantIbLb0EESZ_EEDaSU_SV_EUlSU_E0_NS1_11comp_targetILNS1_3genE10ELNS1_11target_archE1200ELNS1_3gpuE4ELNS1_3repE0EEENS1_30default_config_static_selectorELNS0_4arch9wavefront6targetE1EEEvT1_, .Lfunc_end199-_ZN7rocprim17ROCPRIM_400000_NS6detail17trampoline_kernelINS0_14default_configENS1_20scan_config_selectorIN3c107complexIdEEEEZZNS1_9scan_implILNS1_25lookback_scan_determinismE0ELb0ELb0ES3_PKS7_PS7_S7_ZZZN2at6native31launch_logcumsumexp_cuda_kernelERKNSE_10TensorBaseESI_lENKUlvE_clEvENKUlvE1_clEvEUlS7_S7_E_S7_EEDaPvRmT3_T4_T5_mT6_P12ihipStream_tbENKUlT_T0_E_clISt17integral_constantIbLb0EESZ_EEDaSU_SV_EUlSU_E0_NS1_11comp_targetILNS1_3genE10ELNS1_11target_archE1200ELNS1_3gpuE4ELNS1_3repE0EEENS1_30default_config_static_selectorELNS0_4arch9wavefront6targetE1EEEvT1_
                                        ; -- End function
	.section	.AMDGPU.csdata,"",@progbits
; Kernel info:
; codeLenInByte = 0
; NumSgprs: 4
; NumVgprs: 0
; NumAgprs: 0
; TotalNumVgprs: 0
; ScratchSize: 0
; MemoryBound: 0
; FloatMode: 240
; IeeeMode: 1
; LDSByteSize: 0 bytes/workgroup (compile time only)
; SGPRBlocks: 0
; VGPRBlocks: 0
; NumSGPRsForWavesPerEU: 4
; NumVGPRsForWavesPerEU: 1
; AccumOffset: 4
; Occupancy: 8
; WaveLimiterHint : 0
; COMPUTE_PGM_RSRC2:SCRATCH_EN: 0
; COMPUTE_PGM_RSRC2:USER_SGPR: 6
; COMPUTE_PGM_RSRC2:TRAP_HANDLER: 0
; COMPUTE_PGM_RSRC2:TGID_X_EN: 1
; COMPUTE_PGM_RSRC2:TGID_Y_EN: 0
; COMPUTE_PGM_RSRC2:TGID_Z_EN: 0
; COMPUTE_PGM_RSRC2:TIDIG_COMP_CNT: 0
; COMPUTE_PGM_RSRC3_GFX90A:ACCUM_OFFSET: 0
; COMPUTE_PGM_RSRC3_GFX90A:TG_SPLIT: 0
	.section	.text._ZN7rocprim17ROCPRIM_400000_NS6detail17trampoline_kernelINS0_14default_configENS1_20scan_config_selectorIN3c107complexIdEEEEZZNS1_9scan_implILNS1_25lookback_scan_determinismE0ELb0ELb0ES3_PKS7_PS7_S7_ZZZN2at6native31launch_logcumsumexp_cuda_kernelERKNSE_10TensorBaseESI_lENKUlvE_clEvENKUlvE1_clEvEUlS7_S7_E_S7_EEDaPvRmT3_T4_T5_mT6_P12ihipStream_tbENKUlT_T0_E_clISt17integral_constantIbLb0EESZ_EEDaSU_SV_EUlSU_E0_NS1_11comp_targetILNS1_3genE9ELNS1_11target_archE1100ELNS1_3gpuE3ELNS1_3repE0EEENS1_30default_config_static_selectorELNS0_4arch9wavefront6targetE1EEEvT1_,"axG",@progbits,_ZN7rocprim17ROCPRIM_400000_NS6detail17trampoline_kernelINS0_14default_configENS1_20scan_config_selectorIN3c107complexIdEEEEZZNS1_9scan_implILNS1_25lookback_scan_determinismE0ELb0ELb0ES3_PKS7_PS7_S7_ZZZN2at6native31launch_logcumsumexp_cuda_kernelERKNSE_10TensorBaseESI_lENKUlvE_clEvENKUlvE1_clEvEUlS7_S7_E_S7_EEDaPvRmT3_T4_T5_mT6_P12ihipStream_tbENKUlT_T0_E_clISt17integral_constantIbLb0EESZ_EEDaSU_SV_EUlSU_E0_NS1_11comp_targetILNS1_3genE9ELNS1_11target_archE1100ELNS1_3gpuE3ELNS1_3repE0EEENS1_30default_config_static_selectorELNS0_4arch9wavefront6targetE1EEEvT1_,comdat
	.globl	_ZN7rocprim17ROCPRIM_400000_NS6detail17trampoline_kernelINS0_14default_configENS1_20scan_config_selectorIN3c107complexIdEEEEZZNS1_9scan_implILNS1_25lookback_scan_determinismE0ELb0ELb0ES3_PKS7_PS7_S7_ZZZN2at6native31launch_logcumsumexp_cuda_kernelERKNSE_10TensorBaseESI_lENKUlvE_clEvENKUlvE1_clEvEUlS7_S7_E_S7_EEDaPvRmT3_T4_T5_mT6_P12ihipStream_tbENKUlT_T0_E_clISt17integral_constantIbLb0EESZ_EEDaSU_SV_EUlSU_E0_NS1_11comp_targetILNS1_3genE9ELNS1_11target_archE1100ELNS1_3gpuE3ELNS1_3repE0EEENS1_30default_config_static_selectorELNS0_4arch9wavefront6targetE1EEEvT1_ ; -- Begin function _ZN7rocprim17ROCPRIM_400000_NS6detail17trampoline_kernelINS0_14default_configENS1_20scan_config_selectorIN3c107complexIdEEEEZZNS1_9scan_implILNS1_25lookback_scan_determinismE0ELb0ELb0ES3_PKS7_PS7_S7_ZZZN2at6native31launch_logcumsumexp_cuda_kernelERKNSE_10TensorBaseESI_lENKUlvE_clEvENKUlvE1_clEvEUlS7_S7_E_S7_EEDaPvRmT3_T4_T5_mT6_P12ihipStream_tbENKUlT_T0_E_clISt17integral_constantIbLb0EESZ_EEDaSU_SV_EUlSU_E0_NS1_11comp_targetILNS1_3genE9ELNS1_11target_archE1100ELNS1_3gpuE3ELNS1_3repE0EEENS1_30default_config_static_selectorELNS0_4arch9wavefront6targetE1EEEvT1_
	.p2align	8
	.type	_ZN7rocprim17ROCPRIM_400000_NS6detail17trampoline_kernelINS0_14default_configENS1_20scan_config_selectorIN3c107complexIdEEEEZZNS1_9scan_implILNS1_25lookback_scan_determinismE0ELb0ELb0ES3_PKS7_PS7_S7_ZZZN2at6native31launch_logcumsumexp_cuda_kernelERKNSE_10TensorBaseESI_lENKUlvE_clEvENKUlvE1_clEvEUlS7_S7_E_S7_EEDaPvRmT3_T4_T5_mT6_P12ihipStream_tbENKUlT_T0_E_clISt17integral_constantIbLb0EESZ_EEDaSU_SV_EUlSU_E0_NS1_11comp_targetILNS1_3genE9ELNS1_11target_archE1100ELNS1_3gpuE3ELNS1_3repE0EEENS1_30default_config_static_selectorELNS0_4arch9wavefront6targetE1EEEvT1_,@function
_ZN7rocprim17ROCPRIM_400000_NS6detail17trampoline_kernelINS0_14default_configENS1_20scan_config_selectorIN3c107complexIdEEEEZZNS1_9scan_implILNS1_25lookback_scan_determinismE0ELb0ELb0ES3_PKS7_PS7_S7_ZZZN2at6native31launch_logcumsumexp_cuda_kernelERKNSE_10TensorBaseESI_lENKUlvE_clEvENKUlvE1_clEvEUlS7_S7_E_S7_EEDaPvRmT3_T4_T5_mT6_P12ihipStream_tbENKUlT_T0_E_clISt17integral_constantIbLb0EESZ_EEDaSU_SV_EUlSU_E0_NS1_11comp_targetILNS1_3genE9ELNS1_11target_archE1100ELNS1_3gpuE3ELNS1_3repE0EEENS1_30default_config_static_selectorELNS0_4arch9wavefront6targetE1EEEvT1_: ; @_ZN7rocprim17ROCPRIM_400000_NS6detail17trampoline_kernelINS0_14default_configENS1_20scan_config_selectorIN3c107complexIdEEEEZZNS1_9scan_implILNS1_25lookback_scan_determinismE0ELb0ELb0ES3_PKS7_PS7_S7_ZZZN2at6native31launch_logcumsumexp_cuda_kernelERKNSE_10TensorBaseESI_lENKUlvE_clEvENKUlvE1_clEvEUlS7_S7_E_S7_EEDaPvRmT3_T4_T5_mT6_P12ihipStream_tbENKUlT_T0_E_clISt17integral_constantIbLb0EESZ_EEDaSU_SV_EUlSU_E0_NS1_11comp_targetILNS1_3genE9ELNS1_11target_archE1100ELNS1_3gpuE3ELNS1_3repE0EEENS1_30default_config_static_selectorELNS0_4arch9wavefront6targetE1EEEvT1_
; %bb.0:
	.section	.rodata,"a",@progbits
	.p2align	6, 0x0
	.amdhsa_kernel _ZN7rocprim17ROCPRIM_400000_NS6detail17trampoline_kernelINS0_14default_configENS1_20scan_config_selectorIN3c107complexIdEEEEZZNS1_9scan_implILNS1_25lookback_scan_determinismE0ELb0ELb0ES3_PKS7_PS7_S7_ZZZN2at6native31launch_logcumsumexp_cuda_kernelERKNSE_10TensorBaseESI_lENKUlvE_clEvENKUlvE1_clEvEUlS7_S7_E_S7_EEDaPvRmT3_T4_T5_mT6_P12ihipStream_tbENKUlT_T0_E_clISt17integral_constantIbLb0EESZ_EEDaSU_SV_EUlSU_E0_NS1_11comp_targetILNS1_3genE9ELNS1_11target_archE1100ELNS1_3gpuE3ELNS1_3repE0EEENS1_30default_config_static_selectorELNS0_4arch9wavefront6targetE1EEEvT1_
		.amdhsa_group_segment_fixed_size 0
		.amdhsa_private_segment_fixed_size 0
		.amdhsa_kernarg_size 48
		.amdhsa_user_sgpr_count 6
		.amdhsa_user_sgpr_private_segment_buffer 1
		.amdhsa_user_sgpr_dispatch_ptr 0
		.amdhsa_user_sgpr_queue_ptr 0
		.amdhsa_user_sgpr_kernarg_segment_ptr 1
		.amdhsa_user_sgpr_dispatch_id 0
		.amdhsa_user_sgpr_flat_scratch_init 0
		.amdhsa_user_sgpr_kernarg_preload_length 0
		.amdhsa_user_sgpr_kernarg_preload_offset 0
		.amdhsa_user_sgpr_private_segment_size 0
		.amdhsa_uses_dynamic_stack 0
		.amdhsa_system_sgpr_private_segment_wavefront_offset 0
		.amdhsa_system_sgpr_workgroup_id_x 1
		.amdhsa_system_sgpr_workgroup_id_y 0
		.amdhsa_system_sgpr_workgroup_id_z 0
		.amdhsa_system_sgpr_workgroup_info 0
		.amdhsa_system_vgpr_workitem_id 0
		.amdhsa_next_free_vgpr 1
		.amdhsa_next_free_sgpr 0
		.amdhsa_accum_offset 4
		.amdhsa_reserve_vcc 0
		.amdhsa_reserve_flat_scratch 0
		.amdhsa_float_round_mode_32 0
		.amdhsa_float_round_mode_16_64 0
		.amdhsa_float_denorm_mode_32 3
		.amdhsa_float_denorm_mode_16_64 3
		.amdhsa_dx10_clamp 1
		.amdhsa_ieee_mode 1
		.amdhsa_fp16_overflow 0
		.amdhsa_tg_split 0
		.amdhsa_exception_fp_ieee_invalid_op 0
		.amdhsa_exception_fp_denorm_src 0
		.amdhsa_exception_fp_ieee_div_zero 0
		.amdhsa_exception_fp_ieee_overflow 0
		.amdhsa_exception_fp_ieee_underflow 0
		.amdhsa_exception_fp_ieee_inexact 0
		.amdhsa_exception_int_div_zero 0
	.end_amdhsa_kernel
	.section	.text._ZN7rocprim17ROCPRIM_400000_NS6detail17trampoline_kernelINS0_14default_configENS1_20scan_config_selectorIN3c107complexIdEEEEZZNS1_9scan_implILNS1_25lookback_scan_determinismE0ELb0ELb0ES3_PKS7_PS7_S7_ZZZN2at6native31launch_logcumsumexp_cuda_kernelERKNSE_10TensorBaseESI_lENKUlvE_clEvENKUlvE1_clEvEUlS7_S7_E_S7_EEDaPvRmT3_T4_T5_mT6_P12ihipStream_tbENKUlT_T0_E_clISt17integral_constantIbLb0EESZ_EEDaSU_SV_EUlSU_E0_NS1_11comp_targetILNS1_3genE9ELNS1_11target_archE1100ELNS1_3gpuE3ELNS1_3repE0EEENS1_30default_config_static_selectorELNS0_4arch9wavefront6targetE1EEEvT1_,"axG",@progbits,_ZN7rocprim17ROCPRIM_400000_NS6detail17trampoline_kernelINS0_14default_configENS1_20scan_config_selectorIN3c107complexIdEEEEZZNS1_9scan_implILNS1_25lookback_scan_determinismE0ELb0ELb0ES3_PKS7_PS7_S7_ZZZN2at6native31launch_logcumsumexp_cuda_kernelERKNSE_10TensorBaseESI_lENKUlvE_clEvENKUlvE1_clEvEUlS7_S7_E_S7_EEDaPvRmT3_T4_T5_mT6_P12ihipStream_tbENKUlT_T0_E_clISt17integral_constantIbLb0EESZ_EEDaSU_SV_EUlSU_E0_NS1_11comp_targetILNS1_3genE9ELNS1_11target_archE1100ELNS1_3gpuE3ELNS1_3repE0EEENS1_30default_config_static_selectorELNS0_4arch9wavefront6targetE1EEEvT1_,comdat
.Lfunc_end200:
	.size	_ZN7rocprim17ROCPRIM_400000_NS6detail17trampoline_kernelINS0_14default_configENS1_20scan_config_selectorIN3c107complexIdEEEEZZNS1_9scan_implILNS1_25lookback_scan_determinismE0ELb0ELb0ES3_PKS7_PS7_S7_ZZZN2at6native31launch_logcumsumexp_cuda_kernelERKNSE_10TensorBaseESI_lENKUlvE_clEvENKUlvE1_clEvEUlS7_S7_E_S7_EEDaPvRmT3_T4_T5_mT6_P12ihipStream_tbENKUlT_T0_E_clISt17integral_constantIbLb0EESZ_EEDaSU_SV_EUlSU_E0_NS1_11comp_targetILNS1_3genE9ELNS1_11target_archE1100ELNS1_3gpuE3ELNS1_3repE0EEENS1_30default_config_static_selectorELNS0_4arch9wavefront6targetE1EEEvT1_, .Lfunc_end200-_ZN7rocprim17ROCPRIM_400000_NS6detail17trampoline_kernelINS0_14default_configENS1_20scan_config_selectorIN3c107complexIdEEEEZZNS1_9scan_implILNS1_25lookback_scan_determinismE0ELb0ELb0ES3_PKS7_PS7_S7_ZZZN2at6native31launch_logcumsumexp_cuda_kernelERKNSE_10TensorBaseESI_lENKUlvE_clEvENKUlvE1_clEvEUlS7_S7_E_S7_EEDaPvRmT3_T4_T5_mT6_P12ihipStream_tbENKUlT_T0_E_clISt17integral_constantIbLb0EESZ_EEDaSU_SV_EUlSU_E0_NS1_11comp_targetILNS1_3genE9ELNS1_11target_archE1100ELNS1_3gpuE3ELNS1_3repE0EEENS1_30default_config_static_selectorELNS0_4arch9wavefront6targetE1EEEvT1_
                                        ; -- End function
	.section	.AMDGPU.csdata,"",@progbits
; Kernel info:
; codeLenInByte = 0
; NumSgprs: 4
; NumVgprs: 0
; NumAgprs: 0
; TotalNumVgprs: 0
; ScratchSize: 0
; MemoryBound: 0
; FloatMode: 240
; IeeeMode: 1
; LDSByteSize: 0 bytes/workgroup (compile time only)
; SGPRBlocks: 0
; VGPRBlocks: 0
; NumSGPRsForWavesPerEU: 4
; NumVGPRsForWavesPerEU: 1
; AccumOffset: 4
; Occupancy: 8
; WaveLimiterHint : 0
; COMPUTE_PGM_RSRC2:SCRATCH_EN: 0
; COMPUTE_PGM_RSRC2:USER_SGPR: 6
; COMPUTE_PGM_RSRC2:TRAP_HANDLER: 0
; COMPUTE_PGM_RSRC2:TGID_X_EN: 1
; COMPUTE_PGM_RSRC2:TGID_Y_EN: 0
; COMPUTE_PGM_RSRC2:TGID_Z_EN: 0
; COMPUTE_PGM_RSRC2:TIDIG_COMP_CNT: 0
; COMPUTE_PGM_RSRC3_GFX90A:ACCUM_OFFSET: 0
; COMPUTE_PGM_RSRC3_GFX90A:TG_SPLIT: 0
	.section	.text._ZN7rocprim17ROCPRIM_400000_NS6detail17trampoline_kernelINS0_14default_configENS1_20scan_config_selectorIN3c107complexIdEEEEZZNS1_9scan_implILNS1_25lookback_scan_determinismE0ELb0ELb0ES3_PKS7_PS7_S7_ZZZN2at6native31launch_logcumsumexp_cuda_kernelERKNSE_10TensorBaseESI_lENKUlvE_clEvENKUlvE1_clEvEUlS7_S7_E_S7_EEDaPvRmT3_T4_T5_mT6_P12ihipStream_tbENKUlT_T0_E_clISt17integral_constantIbLb0EESZ_EEDaSU_SV_EUlSU_E0_NS1_11comp_targetILNS1_3genE8ELNS1_11target_archE1030ELNS1_3gpuE2ELNS1_3repE0EEENS1_30default_config_static_selectorELNS0_4arch9wavefront6targetE1EEEvT1_,"axG",@progbits,_ZN7rocprim17ROCPRIM_400000_NS6detail17trampoline_kernelINS0_14default_configENS1_20scan_config_selectorIN3c107complexIdEEEEZZNS1_9scan_implILNS1_25lookback_scan_determinismE0ELb0ELb0ES3_PKS7_PS7_S7_ZZZN2at6native31launch_logcumsumexp_cuda_kernelERKNSE_10TensorBaseESI_lENKUlvE_clEvENKUlvE1_clEvEUlS7_S7_E_S7_EEDaPvRmT3_T4_T5_mT6_P12ihipStream_tbENKUlT_T0_E_clISt17integral_constantIbLb0EESZ_EEDaSU_SV_EUlSU_E0_NS1_11comp_targetILNS1_3genE8ELNS1_11target_archE1030ELNS1_3gpuE2ELNS1_3repE0EEENS1_30default_config_static_selectorELNS0_4arch9wavefront6targetE1EEEvT1_,comdat
	.globl	_ZN7rocprim17ROCPRIM_400000_NS6detail17trampoline_kernelINS0_14default_configENS1_20scan_config_selectorIN3c107complexIdEEEEZZNS1_9scan_implILNS1_25lookback_scan_determinismE0ELb0ELb0ES3_PKS7_PS7_S7_ZZZN2at6native31launch_logcumsumexp_cuda_kernelERKNSE_10TensorBaseESI_lENKUlvE_clEvENKUlvE1_clEvEUlS7_S7_E_S7_EEDaPvRmT3_T4_T5_mT6_P12ihipStream_tbENKUlT_T0_E_clISt17integral_constantIbLb0EESZ_EEDaSU_SV_EUlSU_E0_NS1_11comp_targetILNS1_3genE8ELNS1_11target_archE1030ELNS1_3gpuE2ELNS1_3repE0EEENS1_30default_config_static_selectorELNS0_4arch9wavefront6targetE1EEEvT1_ ; -- Begin function _ZN7rocprim17ROCPRIM_400000_NS6detail17trampoline_kernelINS0_14default_configENS1_20scan_config_selectorIN3c107complexIdEEEEZZNS1_9scan_implILNS1_25lookback_scan_determinismE0ELb0ELb0ES3_PKS7_PS7_S7_ZZZN2at6native31launch_logcumsumexp_cuda_kernelERKNSE_10TensorBaseESI_lENKUlvE_clEvENKUlvE1_clEvEUlS7_S7_E_S7_EEDaPvRmT3_T4_T5_mT6_P12ihipStream_tbENKUlT_T0_E_clISt17integral_constantIbLb0EESZ_EEDaSU_SV_EUlSU_E0_NS1_11comp_targetILNS1_3genE8ELNS1_11target_archE1030ELNS1_3gpuE2ELNS1_3repE0EEENS1_30default_config_static_selectorELNS0_4arch9wavefront6targetE1EEEvT1_
	.p2align	8
	.type	_ZN7rocprim17ROCPRIM_400000_NS6detail17trampoline_kernelINS0_14default_configENS1_20scan_config_selectorIN3c107complexIdEEEEZZNS1_9scan_implILNS1_25lookback_scan_determinismE0ELb0ELb0ES3_PKS7_PS7_S7_ZZZN2at6native31launch_logcumsumexp_cuda_kernelERKNSE_10TensorBaseESI_lENKUlvE_clEvENKUlvE1_clEvEUlS7_S7_E_S7_EEDaPvRmT3_T4_T5_mT6_P12ihipStream_tbENKUlT_T0_E_clISt17integral_constantIbLb0EESZ_EEDaSU_SV_EUlSU_E0_NS1_11comp_targetILNS1_3genE8ELNS1_11target_archE1030ELNS1_3gpuE2ELNS1_3repE0EEENS1_30default_config_static_selectorELNS0_4arch9wavefront6targetE1EEEvT1_,@function
_ZN7rocprim17ROCPRIM_400000_NS6detail17trampoline_kernelINS0_14default_configENS1_20scan_config_selectorIN3c107complexIdEEEEZZNS1_9scan_implILNS1_25lookback_scan_determinismE0ELb0ELb0ES3_PKS7_PS7_S7_ZZZN2at6native31launch_logcumsumexp_cuda_kernelERKNSE_10TensorBaseESI_lENKUlvE_clEvENKUlvE1_clEvEUlS7_S7_E_S7_EEDaPvRmT3_T4_T5_mT6_P12ihipStream_tbENKUlT_T0_E_clISt17integral_constantIbLb0EESZ_EEDaSU_SV_EUlSU_E0_NS1_11comp_targetILNS1_3genE8ELNS1_11target_archE1030ELNS1_3gpuE2ELNS1_3repE0EEENS1_30default_config_static_selectorELNS0_4arch9wavefront6targetE1EEEvT1_: ; @_ZN7rocprim17ROCPRIM_400000_NS6detail17trampoline_kernelINS0_14default_configENS1_20scan_config_selectorIN3c107complexIdEEEEZZNS1_9scan_implILNS1_25lookback_scan_determinismE0ELb0ELb0ES3_PKS7_PS7_S7_ZZZN2at6native31launch_logcumsumexp_cuda_kernelERKNSE_10TensorBaseESI_lENKUlvE_clEvENKUlvE1_clEvEUlS7_S7_E_S7_EEDaPvRmT3_T4_T5_mT6_P12ihipStream_tbENKUlT_T0_E_clISt17integral_constantIbLb0EESZ_EEDaSU_SV_EUlSU_E0_NS1_11comp_targetILNS1_3genE8ELNS1_11target_archE1030ELNS1_3gpuE2ELNS1_3repE0EEENS1_30default_config_static_selectorELNS0_4arch9wavefront6targetE1EEEvT1_
; %bb.0:
	.section	.rodata,"a",@progbits
	.p2align	6, 0x0
	.amdhsa_kernel _ZN7rocprim17ROCPRIM_400000_NS6detail17trampoline_kernelINS0_14default_configENS1_20scan_config_selectorIN3c107complexIdEEEEZZNS1_9scan_implILNS1_25lookback_scan_determinismE0ELb0ELb0ES3_PKS7_PS7_S7_ZZZN2at6native31launch_logcumsumexp_cuda_kernelERKNSE_10TensorBaseESI_lENKUlvE_clEvENKUlvE1_clEvEUlS7_S7_E_S7_EEDaPvRmT3_T4_T5_mT6_P12ihipStream_tbENKUlT_T0_E_clISt17integral_constantIbLb0EESZ_EEDaSU_SV_EUlSU_E0_NS1_11comp_targetILNS1_3genE8ELNS1_11target_archE1030ELNS1_3gpuE2ELNS1_3repE0EEENS1_30default_config_static_selectorELNS0_4arch9wavefront6targetE1EEEvT1_
		.amdhsa_group_segment_fixed_size 0
		.amdhsa_private_segment_fixed_size 0
		.amdhsa_kernarg_size 48
		.amdhsa_user_sgpr_count 6
		.amdhsa_user_sgpr_private_segment_buffer 1
		.amdhsa_user_sgpr_dispatch_ptr 0
		.amdhsa_user_sgpr_queue_ptr 0
		.amdhsa_user_sgpr_kernarg_segment_ptr 1
		.amdhsa_user_sgpr_dispatch_id 0
		.amdhsa_user_sgpr_flat_scratch_init 0
		.amdhsa_user_sgpr_kernarg_preload_length 0
		.amdhsa_user_sgpr_kernarg_preload_offset 0
		.amdhsa_user_sgpr_private_segment_size 0
		.amdhsa_uses_dynamic_stack 0
		.amdhsa_system_sgpr_private_segment_wavefront_offset 0
		.amdhsa_system_sgpr_workgroup_id_x 1
		.amdhsa_system_sgpr_workgroup_id_y 0
		.amdhsa_system_sgpr_workgroup_id_z 0
		.amdhsa_system_sgpr_workgroup_info 0
		.amdhsa_system_vgpr_workitem_id 0
		.amdhsa_next_free_vgpr 1
		.amdhsa_next_free_sgpr 0
		.amdhsa_accum_offset 4
		.amdhsa_reserve_vcc 0
		.amdhsa_reserve_flat_scratch 0
		.amdhsa_float_round_mode_32 0
		.amdhsa_float_round_mode_16_64 0
		.amdhsa_float_denorm_mode_32 3
		.amdhsa_float_denorm_mode_16_64 3
		.amdhsa_dx10_clamp 1
		.amdhsa_ieee_mode 1
		.amdhsa_fp16_overflow 0
		.amdhsa_tg_split 0
		.amdhsa_exception_fp_ieee_invalid_op 0
		.amdhsa_exception_fp_denorm_src 0
		.amdhsa_exception_fp_ieee_div_zero 0
		.amdhsa_exception_fp_ieee_overflow 0
		.amdhsa_exception_fp_ieee_underflow 0
		.amdhsa_exception_fp_ieee_inexact 0
		.amdhsa_exception_int_div_zero 0
	.end_amdhsa_kernel
	.section	.text._ZN7rocprim17ROCPRIM_400000_NS6detail17trampoline_kernelINS0_14default_configENS1_20scan_config_selectorIN3c107complexIdEEEEZZNS1_9scan_implILNS1_25lookback_scan_determinismE0ELb0ELb0ES3_PKS7_PS7_S7_ZZZN2at6native31launch_logcumsumexp_cuda_kernelERKNSE_10TensorBaseESI_lENKUlvE_clEvENKUlvE1_clEvEUlS7_S7_E_S7_EEDaPvRmT3_T4_T5_mT6_P12ihipStream_tbENKUlT_T0_E_clISt17integral_constantIbLb0EESZ_EEDaSU_SV_EUlSU_E0_NS1_11comp_targetILNS1_3genE8ELNS1_11target_archE1030ELNS1_3gpuE2ELNS1_3repE0EEENS1_30default_config_static_selectorELNS0_4arch9wavefront6targetE1EEEvT1_,"axG",@progbits,_ZN7rocprim17ROCPRIM_400000_NS6detail17trampoline_kernelINS0_14default_configENS1_20scan_config_selectorIN3c107complexIdEEEEZZNS1_9scan_implILNS1_25lookback_scan_determinismE0ELb0ELb0ES3_PKS7_PS7_S7_ZZZN2at6native31launch_logcumsumexp_cuda_kernelERKNSE_10TensorBaseESI_lENKUlvE_clEvENKUlvE1_clEvEUlS7_S7_E_S7_EEDaPvRmT3_T4_T5_mT6_P12ihipStream_tbENKUlT_T0_E_clISt17integral_constantIbLb0EESZ_EEDaSU_SV_EUlSU_E0_NS1_11comp_targetILNS1_3genE8ELNS1_11target_archE1030ELNS1_3gpuE2ELNS1_3repE0EEENS1_30default_config_static_selectorELNS0_4arch9wavefront6targetE1EEEvT1_,comdat
.Lfunc_end201:
	.size	_ZN7rocprim17ROCPRIM_400000_NS6detail17trampoline_kernelINS0_14default_configENS1_20scan_config_selectorIN3c107complexIdEEEEZZNS1_9scan_implILNS1_25lookback_scan_determinismE0ELb0ELb0ES3_PKS7_PS7_S7_ZZZN2at6native31launch_logcumsumexp_cuda_kernelERKNSE_10TensorBaseESI_lENKUlvE_clEvENKUlvE1_clEvEUlS7_S7_E_S7_EEDaPvRmT3_T4_T5_mT6_P12ihipStream_tbENKUlT_T0_E_clISt17integral_constantIbLb0EESZ_EEDaSU_SV_EUlSU_E0_NS1_11comp_targetILNS1_3genE8ELNS1_11target_archE1030ELNS1_3gpuE2ELNS1_3repE0EEENS1_30default_config_static_selectorELNS0_4arch9wavefront6targetE1EEEvT1_, .Lfunc_end201-_ZN7rocprim17ROCPRIM_400000_NS6detail17trampoline_kernelINS0_14default_configENS1_20scan_config_selectorIN3c107complexIdEEEEZZNS1_9scan_implILNS1_25lookback_scan_determinismE0ELb0ELb0ES3_PKS7_PS7_S7_ZZZN2at6native31launch_logcumsumexp_cuda_kernelERKNSE_10TensorBaseESI_lENKUlvE_clEvENKUlvE1_clEvEUlS7_S7_E_S7_EEDaPvRmT3_T4_T5_mT6_P12ihipStream_tbENKUlT_T0_E_clISt17integral_constantIbLb0EESZ_EEDaSU_SV_EUlSU_E0_NS1_11comp_targetILNS1_3genE8ELNS1_11target_archE1030ELNS1_3gpuE2ELNS1_3repE0EEENS1_30default_config_static_selectorELNS0_4arch9wavefront6targetE1EEEvT1_
                                        ; -- End function
	.section	.AMDGPU.csdata,"",@progbits
; Kernel info:
; codeLenInByte = 0
; NumSgprs: 4
; NumVgprs: 0
; NumAgprs: 0
; TotalNumVgprs: 0
; ScratchSize: 0
; MemoryBound: 0
; FloatMode: 240
; IeeeMode: 1
; LDSByteSize: 0 bytes/workgroup (compile time only)
; SGPRBlocks: 0
; VGPRBlocks: 0
; NumSGPRsForWavesPerEU: 4
; NumVGPRsForWavesPerEU: 1
; AccumOffset: 4
; Occupancy: 8
; WaveLimiterHint : 0
; COMPUTE_PGM_RSRC2:SCRATCH_EN: 0
; COMPUTE_PGM_RSRC2:USER_SGPR: 6
; COMPUTE_PGM_RSRC2:TRAP_HANDLER: 0
; COMPUTE_PGM_RSRC2:TGID_X_EN: 1
; COMPUTE_PGM_RSRC2:TGID_Y_EN: 0
; COMPUTE_PGM_RSRC2:TGID_Z_EN: 0
; COMPUTE_PGM_RSRC2:TIDIG_COMP_CNT: 0
; COMPUTE_PGM_RSRC3_GFX90A:ACCUM_OFFSET: 0
; COMPUTE_PGM_RSRC3_GFX90A:TG_SPLIT: 0
	.section	.text._ZN7rocprim17ROCPRIM_400000_NS6detail31init_lookback_scan_state_kernelINS1_19lookback_scan_stateIN3c107complexIdEELb1ELb0EEENS1_16block_id_wrapperIjLb1EEEEEvT_jT0_jPNSA_10value_typeE,"axG",@progbits,_ZN7rocprim17ROCPRIM_400000_NS6detail31init_lookback_scan_state_kernelINS1_19lookback_scan_stateIN3c107complexIdEELb1ELb0EEENS1_16block_id_wrapperIjLb1EEEEEvT_jT0_jPNSA_10value_typeE,comdat
	.protected	_ZN7rocprim17ROCPRIM_400000_NS6detail31init_lookback_scan_state_kernelINS1_19lookback_scan_stateIN3c107complexIdEELb1ELb0EEENS1_16block_id_wrapperIjLb1EEEEEvT_jT0_jPNSA_10value_typeE ; -- Begin function _ZN7rocprim17ROCPRIM_400000_NS6detail31init_lookback_scan_state_kernelINS1_19lookback_scan_stateIN3c107complexIdEELb1ELb0EEENS1_16block_id_wrapperIjLb1EEEEEvT_jT0_jPNSA_10value_typeE
	.globl	_ZN7rocprim17ROCPRIM_400000_NS6detail31init_lookback_scan_state_kernelINS1_19lookback_scan_stateIN3c107complexIdEELb1ELb0EEENS1_16block_id_wrapperIjLb1EEEEEvT_jT0_jPNSA_10value_typeE
	.p2align	8
	.type	_ZN7rocprim17ROCPRIM_400000_NS6detail31init_lookback_scan_state_kernelINS1_19lookback_scan_stateIN3c107complexIdEELb1ELb0EEENS1_16block_id_wrapperIjLb1EEEEEvT_jT0_jPNSA_10value_typeE,@function
_ZN7rocprim17ROCPRIM_400000_NS6detail31init_lookback_scan_state_kernelINS1_19lookback_scan_stateIN3c107complexIdEELb1ELb0EEENS1_16block_id_wrapperIjLb1EEEEEvT_jT0_jPNSA_10value_typeE: ; @_ZN7rocprim17ROCPRIM_400000_NS6detail31init_lookback_scan_state_kernelINS1_19lookback_scan_stateIN3c107complexIdEELb1ELb0EEENS1_16block_id_wrapperIjLb1EEEEEvT_jT0_jPNSA_10value_typeE
; %bb.0:
	s_load_dword s0, s[4:5], 0x44
	s_load_dwordx2 s[10:11], s[4:5], 0x30
	s_load_dwordx2 s[8:9], s[4:5], 0x10
	s_load_dword s16, s[4:5], 0x18
	s_waitcnt lgkmcnt(0)
	s_and_b32 s0, s0, 0xffff
	s_mul_i32 s6, s6, s0
	s_cmp_eq_u64 s[10:11], 0
	v_add_u32_e32 v0, s6, v0
	s_cbranch_scc1 .LBB202_11
; %bb.1:
	s_load_dword s0, s[4:5], 0x28
	s_mov_b32 s13, 0
	s_waitcnt lgkmcnt(0)
	s_cmp_lt_u32 s0, s16
	s_cselect_b32 s1, s0, 0
	v_cmp_eq_u32_e32 vcc, s1, v0
	s_and_saveexec_b64 s[6:7], vcc
	s_cbranch_execz .LBB202_10
; %bb.2:
	s_add_i32 s12, s0, 64
	v_mov_b32_e32 v1, s12
	global_load_ubyte v1, v1, s[8:9] glc
	s_load_dwordx4 s[0:3], s[4:5], 0x0
	s_add_u32 s14, s8, s12
	s_addc_u32 s15, s9, 0
	s_waitcnt vmcnt(0)
	v_cmp_ne_u16_e32 vcc, 0, v1
	v_readfirstlane_b32 s17, v1
	s_cbranch_vccz .LBB202_4
; %bb.3:
	s_and_b32 s14, 0xffff, s17
	s_branch .LBB202_9
.LBB202_4:
	s_mov_b32 s17, 1
	v_mov_b32_e32 v1, 0
.LBB202_5:                              ; =>This Loop Header: Depth=1
                                        ;     Child Loop BB202_6 Depth 2
	s_max_u32 s18, s17, 1
.LBB202_6:                              ;   Parent Loop BB202_5 Depth=1
                                        ; =>  This Inner Loop Header: Depth=2
	s_add_i32 s18, s18, -1
	s_cmp_eq_u32 s18, 0
	s_sleep 1
	s_cbranch_scc0 .LBB202_6
; %bb.7:                                ;   in Loop: Header=BB202_5 Depth=1
	global_load_ubyte v2, v1, s[14:15] glc
	s_cmp_lt_u32 s17, 32
	s_cselect_b64 s[18:19], -1, 0
	s_cmp_lg_u64 s[18:19], 0
	s_addc_u32 s17, s17, 0
	s_waitcnt vmcnt(0)
	v_cmp_ne_u16_e32 vcc, 0, v2
	v_readfirstlane_b32 s18, v2
	s_cbranch_vccz .LBB202_5
; %bb.8:
	s_and_b32 s14, 0xffff, s18
.LBB202_9:
	s_cmp_eq_u32 s14, 1
	s_waitcnt lgkmcnt(0)
	s_cselect_b32 s3, s1, s3
	s_cselect_b32 s2, s0, s2
	s_lshl_b64 s[0:1], s[12:13], 4
	s_add_u32 s0, s2, s0
	s_addc_u32 s1, s3, s1
	v_mov_b32_e32 v1, 0
	buffer_wbinvl1_vol
	global_load_dwordx4 v[2:5], v1, s[0:1]
	s_waitcnt vmcnt(0)
	global_store_dwordx4 v1, v[2:5], s[10:11]
.LBB202_10:
	s_or_b64 exec, exec, s[6:7]
.LBB202_11:
	v_cmp_eq_u32_e32 vcc, 0, v0
	s_and_saveexec_b64 s[0:1], vcc
	s_cbranch_execnz .LBB202_15
; %bb.12:
	s_or_b64 exec, exec, s[0:1]
	v_cmp_gt_u32_e32 vcc, s16, v0
	s_and_saveexec_b64 s[0:1], vcc
	s_cbranch_execnz .LBB202_16
.LBB202_13:
	s_or_b64 exec, exec, s[0:1]
	v_cmp_gt_u32_e32 vcc, 64, v0
	s_and_saveexec_b64 s[0:1], vcc
	s_cbranch_execnz .LBB202_17
.LBB202_14:
	s_endpgm
.LBB202_15:
	s_load_dwordx2 s[2:3], s[4:5], 0x20
	v_mov_b32_e32 v1, 0
	s_waitcnt lgkmcnt(0)
	global_store_dword v1, v1, s[2:3]
	s_or_b64 exec, exec, s[0:1]
	v_cmp_gt_u32_e32 vcc, s16, v0
	s_and_saveexec_b64 s[0:1], vcc
	s_cbranch_execz .LBB202_13
.LBB202_16:
	v_add_u32_e32 v1, 64, v0
	v_mov_b32_e32 v2, 0
	global_store_byte v1, v2, s[8:9]
	s_or_b64 exec, exec, s[0:1]
	v_cmp_gt_u32_e32 vcc, 64, v0
	s_and_saveexec_b64 s[0:1], vcc
	s_cbranch_execz .LBB202_14
.LBB202_17:
	v_mov_b32_e32 v1, 0xff
	global_store_byte v0, v1, s[8:9]
	s_endpgm
	.section	.rodata,"a",@progbits
	.p2align	6, 0x0
	.amdhsa_kernel _ZN7rocprim17ROCPRIM_400000_NS6detail31init_lookback_scan_state_kernelINS1_19lookback_scan_stateIN3c107complexIdEELb1ELb0EEENS1_16block_id_wrapperIjLb1EEEEEvT_jT0_jPNSA_10value_typeE
		.amdhsa_group_segment_fixed_size 0
		.amdhsa_private_segment_fixed_size 0
		.amdhsa_kernarg_size 312
		.amdhsa_user_sgpr_count 6
		.amdhsa_user_sgpr_private_segment_buffer 1
		.amdhsa_user_sgpr_dispatch_ptr 0
		.amdhsa_user_sgpr_queue_ptr 0
		.amdhsa_user_sgpr_kernarg_segment_ptr 1
		.amdhsa_user_sgpr_dispatch_id 0
		.amdhsa_user_sgpr_flat_scratch_init 0
		.amdhsa_user_sgpr_kernarg_preload_length 0
		.amdhsa_user_sgpr_kernarg_preload_offset 0
		.amdhsa_user_sgpr_private_segment_size 0
		.amdhsa_uses_dynamic_stack 0
		.amdhsa_system_sgpr_private_segment_wavefront_offset 0
		.amdhsa_system_sgpr_workgroup_id_x 1
		.amdhsa_system_sgpr_workgroup_id_y 0
		.amdhsa_system_sgpr_workgroup_id_z 0
		.amdhsa_system_sgpr_workgroup_info 0
		.amdhsa_system_vgpr_workitem_id 0
		.amdhsa_next_free_vgpr 6
		.amdhsa_next_free_sgpr 20
		.amdhsa_accum_offset 8
		.amdhsa_reserve_vcc 1
		.amdhsa_reserve_flat_scratch 0
		.amdhsa_float_round_mode_32 0
		.amdhsa_float_round_mode_16_64 0
		.amdhsa_float_denorm_mode_32 3
		.amdhsa_float_denorm_mode_16_64 3
		.amdhsa_dx10_clamp 1
		.amdhsa_ieee_mode 1
		.amdhsa_fp16_overflow 0
		.amdhsa_tg_split 0
		.amdhsa_exception_fp_ieee_invalid_op 0
		.amdhsa_exception_fp_denorm_src 0
		.amdhsa_exception_fp_ieee_div_zero 0
		.amdhsa_exception_fp_ieee_overflow 0
		.amdhsa_exception_fp_ieee_underflow 0
		.amdhsa_exception_fp_ieee_inexact 0
		.amdhsa_exception_int_div_zero 0
	.end_amdhsa_kernel
	.section	.text._ZN7rocprim17ROCPRIM_400000_NS6detail31init_lookback_scan_state_kernelINS1_19lookback_scan_stateIN3c107complexIdEELb1ELb0EEENS1_16block_id_wrapperIjLb1EEEEEvT_jT0_jPNSA_10value_typeE,"axG",@progbits,_ZN7rocprim17ROCPRIM_400000_NS6detail31init_lookback_scan_state_kernelINS1_19lookback_scan_stateIN3c107complexIdEELb1ELb0EEENS1_16block_id_wrapperIjLb1EEEEEvT_jT0_jPNSA_10value_typeE,comdat
.Lfunc_end202:
	.size	_ZN7rocprim17ROCPRIM_400000_NS6detail31init_lookback_scan_state_kernelINS1_19lookback_scan_stateIN3c107complexIdEELb1ELb0EEENS1_16block_id_wrapperIjLb1EEEEEvT_jT0_jPNSA_10value_typeE, .Lfunc_end202-_ZN7rocprim17ROCPRIM_400000_NS6detail31init_lookback_scan_state_kernelINS1_19lookback_scan_stateIN3c107complexIdEELb1ELb0EEENS1_16block_id_wrapperIjLb1EEEEEvT_jT0_jPNSA_10value_typeE
                                        ; -- End function
	.section	.AMDGPU.csdata,"",@progbits
; Kernel info:
; codeLenInByte = 436
; NumSgprs: 24
; NumVgprs: 6
; NumAgprs: 0
; TotalNumVgprs: 6
; ScratchSize: 0
; MemoryBound: 0
; FloatMode: 240
; IeeeMode: 1
; LDSByteSize: 0 bytes/workgroup (compile time only)
; SGPRBlocks: 2
; VGPRBlocks: 0
; NumSGPRsForWavesPerEU: 24
; NumVGPRsForWavesPerEU: 6
; AccumOffset: 8
; Occupancy: 8
; WaveLimiterHint : 0
; COMPUTE_PGM_RSRC2:SCRATCH_EN: 0
; COMPUTE_PGM_RSRC2:USER_SGPR: 6
; COMPUTE_PGM_RSRC2:TRAP_HANDLER: 0
; COMPUTE_PGM_RSRC2:TGID_X_EN: 1
; COMPUTE_PGM_RSRC2:TGID_Y_EN: 0
; COMPUTE_PGM_RSRC2:TGID_Z_EN: 0
; COMPUTE_PGM_RSRC2:TIDIG_COMP_CNT: 0
; COMPUTE_PGM_RSRC3_GFX90A:ACCUM_OFFSET: 1
; COMPUTE_PGM_RSRC3_GFX90A:TG_SPLIT: 0
	.section	.text._ZN7rocprim17ROCPRIM_400000_NS6detail17trampoline_kernelINS0_14default_configENS1_20scan_config_selectorIN3c107complexIdEEEEZZNS1_9scan_implILNS1_25lookback_scan_determinismE0ELb0ELb0ES3_PKS7_PS7_S7_ZZZN2at6native31launch_logcumsumexp_cuda_kernelERKNSE_10TensorBaseESI_lENKUlvE_clEvENKUlvE1_clEvEUlS7_S7_E_S7_EEDaPvRmT3_T4_T5_mT6_P12ihipStream_tbENKUlT_T0_E_clISt17integral_constantIbLb1EESZ_EEDaSU_SV_EUlSU_E_NS1_11comp_targetILNS1_3genE0ELNS1_11target_archE4294967295ELNS1_3gpuE0ELNS1_3repE0EEENS1_30default_config_static_selectorELNS0_4arch9wavefront6targetE1EEEvT1_,"axG",@progbits,_ZN7rocprim17ROCPRIM_400000_NS6detail17trampoline_kernelINS0_14default_configENS1_20scan_config_selectorIN3c107complexIdEEEEZZNS1_9scan_implILNS1_25lookback_scan_determinismE0ELb0ELb0ES3_PKS7_PS7_S7_ZZZN2at6native31launch_logcumsumexp_cuda_kernelERKNSE_10TensorBaseESI_lENKUlvE_clEvENKUlvE1_clEvEUlS7_S7_E_S7_EEDaPvRmT3_T4_T5_mT6_P12ihipStream_tbENKUlT_T0_E_clISt17integral_constantIbLb1EESZ_EEDaSU_SV_EUlSU_E_NS1_11comp_targetILNS1_3genE0ELNS1_11target_archE4294967295ELNS1_3gpuE0ELNS1_3repE0EEENS1_30default_config_static_selectorELNS0_4arch9wavefront6targetE1EEEvT1_,comdat
	.globl	_ZN7rocprim17ROCPRIM_400000_NS6detail17trampoline_kernelINS0_14default_configENS1_20scan_config_selectorIN3c107complexIdEEEEZZNS1_9scan_implILNS1_25lookback_scan_determinismE0ELb0ELb0ES3_PKS7_PS7_S7_ZZZN2at6native31launch_logcumsumexp_cuda_kernelERKNSE_10TensorBaseESI_lENKUlvE_clEvENKUlvE1_clEvEUlS7_S7_E_S7_EEDaPvRmT3_T4_T5_mT6_P12ihipStream_tbENKUlT_T0_E_clISt17integral_constantIbLb1EESZ_EEDaSU_SV_EUlSU_E_NS1_11comp_targetILNS1_3genE0ELNS1_11target_archE4294967295ELNS1_3gpuE0ELNS1_3repE0EEENS1_30default_config_static_selectorELNS0_4arch9wavefront6targetE1EEEvT1_ ; -- Begin function _ZN7rocprim17ROCPRIM_400000_NS6detail17trampoline_kernelINS0_14default_configENS1_20scan_config_selectorIN3c107complexIdEEEEZZNS1_9scan_implILNS1_25lookback_scan_determinismE0ELb0ELb0ES3_PKS7_PS7_S7_ZZZN2at6native31launch_logcumsumexp_cuda_kernelERKNSE_10TensorBaseESI_lENKUlvE_clEvENKUlvE1_clEvEUlS7_S7_E_S7_EEDaPvRmT3_T4_T5_mT6_P12ihipStream_tbENKUlT_T0_E_clISt17integral_constantIbLb1EESZ_EEDaSU_SV_EUlSU_E_NS1_11comp_targetILNS1_3genE0ELNS1_11target_archE4294967295ELNS1_3gpuE0ELNS1_3repE0EEENS1_30default_config_static_selectorELNS0_4arch9wavefront6targetE1EEEvT1_
	.p2align	8
	.type	_ZN7rocprim17ROCPRIM_400000_NS6detail17trampoline_kernelINS0_14default_configENS1_20scan_config_selectorIN3c107complexIdEEEEZZNS1_9scan_implILNS1_25lookback_scan_determinismE0ELb0ELb0ES3_PKS7_PS7_S7_ZZZN2at6native31launch_logcumsumexp_cuda_kernelERKNSE_10TensorBaseESI_lENKUlvE_clEvENKUlvE1_clEvEUlS7_S7_E_S7_EEDaPvRmT3_T4_T5_mT6_P12ihipStream_tbENKUlT_T0_E_clISt17integral_constantIbLb1EESZ_EEDaSU_SV_EUlSU_E_NS1_11comp_targetILNS1_3genE0ELNS1_11target_archE4294967295ELNS1_3gpuE0ELNS1_3repE0EEENS1_30default_config_static_selectorELNS0_4arch9wavefront6targetE1EEEvT1_,@function
_ZN7rocprim17ROCPRIM_400000_NS6detail17trampoline_kernelINS0_14default_configENS1_20scan_config_selectorIN3c107complexIdEEEEZZNS1_9scan_implILNS1_25lookback_scan_determinismE0ELb0ELb0ES3_PKS7_PS7_S7_ZZZN2at6native31launch_logcumsumexp_cuda_kernelERKNSE_10TensorBaseESI_lENKUlvE_clEvENKUlvE1_clEvEUlS7_S7_E_S7_EEDaPvRmT3_T4_T5_mT6_P12ihipStream_tbENKUlT_T0_E_clISt17integral_constantIbLb1EESZ_EEDaSU_SV_EUlSU_E_NS1_11comp_targetILNS1_3genE0ELNS1_11target_archE4294967295ELNS1_3gpuE0ELNS1_3repE0EEENS1_30default_config_static_selectorELNS0_4arch9wavefront6targetE1EEEvT1_: ; @_ZN7rocprim17ROCPRIM_400000_NS6detail17trampoline_kernelINS0_14default_configENS1_20scan_config_selectorIN3c107complexIdEEEEZZNS1_9scan_implILNS1_25lookback_scan_determinismE0ELb0ELb0ES3_PKS7_PS7_S7_ZZZN2at6native31launch_logcumsumexp_cuda_kernelERKNSE_10TensorBaseESI_lENKUlvE_clEvENKUlvE1_clEvEUlS7_S7_E_S7_EEDaPvRmT3_T4_T5_mT6_P12ihipStream_tbENKUlT_T0_E_clISt17integral_constantIbLb1EESZ_EEDaSU_SV_EUlSU_E_NS1_11comp_targetILNS1_3genE0ELNS1_11target_archE4294967295ELNS1_3gpuE0ELNS1_3repE0EEENS1_30default_config_static_selectorELNS0_4arch9wavefront6targetE1EEEvT1_
; %bb.0:
	.section	.rodata,"a",@progbits
	.p2align	6, 0x0
	.amdhsa_kernel _ZN7rocprim17ROCPRIM_400000_NS6detail17trampoline_kernelINS0_14default_configENS1_20scan_config_selectorIN3c107complexIdEEEEZZNS1_9scan_implILNS1_25lookback_scan_determinismE0ELb0ELb0ES3_PKS7_PS7_S7_ZZZN2at6native31launch_logcumsumexp_cuda_kernelERKNSE_10TensorBaseESI_lENKUlvE_clEvENKUlvE1_clEvEUlS7_S7_E_S7_EEDaPvRmT3_T4_T5_mT6_P12ihipStream_tbENKUlT_T0_E_clISt17integral_constantIbLb1EESZ_EEDaSU_SV_EUlSU_E_NS1_11comp_targetILNS1_3genE0ELNS1_11target_archE4294967295ELNS1_3gpuE0ELNS1_3repE0EEENS1_30default_config_static_selectorELNS0_4arch9wavefront6targetE1EEEvT1_
		.amdhsa_group_segment_fixed_size 0
		.amdhsa_private_segment_fixed_size 0
		.amdhsa_kernarg_size 128
		.amdhsa_user_sgpr_count 6
		.amdhsa_user_sgpr_private_segment_buffer 1
		.amdhsa_user_sgpr_dispatch_ptr 0
		.amdhsa_user_sgpr_queue_ptr 0
		.amdhsa_user_sgpr_kernarg_segment_ptr 1
		.amdhsa_user_sgpr_dispatch_id 0
		.amdhsa_user_sgpr_flat_scratch_init 0
		.amdhsa_user_sgpr_kernarg_preload_length 0
		.amdhsa_user_sgpr_kernarg_preload_offset 0
		.amdhsa_user_sgpr_private_segment_size 0
		.amdhsa_uses_dynamic_stack 0
		.amdhsa_system_sgpr_private_segment_wavefront_offset 0
		.amdhsa_system_sgpr_workgroup_id_x 1
		.amdhsa_system_sgpr_workgroup_id_y 0
		.amdhsa_system_sgpr_workgroup_id_z 0
		.amdhsa_system_sgpr_workgroup_info 0
		.amdhsa_system_vgpr_workitem_id 0
		.amdhsa_next_free_vgpr 1
		.amdhsa_next_free_sgpr 0
		.amdhsa_accum_offset 4
		.amdhsa_reserve_vcc 0
		.amdhsa_reserve_flat_scratch 0
		.amdhsa_float_round_mode_32 0
		.amdhsa_float_round_mode_16_64 0
		.amdhsa_float_denorm_mode_32 3
		.amdhsa_float_denorm_mode_16_64 3
		.amdhsa_dx10_clamp 1
		.amdhsa_ieee_mode 1
		.amdhsa_fp16_overflow 0
		.amdhsa_tg_split 0
		.amdhsa_exception_fp_ieee_invalid_op 0
		.amdhsa_exception_fp_denorm_src 0
		.amdhsa_exception_fp_ieee_div_zero 0
		.amdhsa_exception_fp_ieee_overflow 0
		.amdhsa_exception_fp_ieee_underflow 0
		.amdhsa_exception_fp_ieee_inexact 0
		.amdhsa_exception_int_div_zero 0
	.end_amdhsa_kernel
	.section	.text._ZN7rocprim17ROCPRIM_400000_NS6detail17trampoline_kernelINS0_14default_configENS1_20scan_config_selectorIN3c107complexIdEEEEZZNS1_9scan_implILNS1_25lookback_scan_determinismE0ELb0ELb0ES3_PKS7_PS7_S7_ZZZN2at6native31launch_logcumsumexp_cuda_kernelERKNSE_10TensorBaseESI_lENKUlvE_clEvENKUlvE1_clEvEUlS7_S7_E_S7_EEDaPvRmT3_T4_T5_mT6_P12ihipStream_tbENKUlT_T0_E_clISt17integral_constantIbLb1EESZ_EEDaSU_SV_EUlSU_E_NS1_11comp_targetILNS1_3genE0ELNS1_11target_archE4294967295ELNS1_3gpuE0ELNS1_3repE0EEENS1_30default_config_static_selectorELNS0_4arch9wavefront6targetE1EEEvT1_,"axG",@progbits,_ZN7rocprim17ROCPRIM_400000_NS6detail17trampoline_kernelINS0_14default_configENS1_20scan_config_selectorIN3c107complexIdEEEEZZNS1_9scan_implILNS1_25lookback_scan_determinismE0ELb0ELb0ES3_PKS7_PS7_S7_ZZZN2at6native31launch_logcumsumexp_cuda_kernelERKNSE_10TensorBaseESI_lENKUlvE_clEvENKUlvE1_clEvEUlS7_S7_E_S7_EEDaPvRmT3_T4_T5_mT6_P12ihipStream_tbENKUlT_T0_E_clISt17integral_constantIbLb1EESZ_EEDaSU_SV_EUlSU_E_NS1_11comp_targetILNS1_3genE0ELNS1_11target_archE4294967295ELNS1_3gpuE0ELNS1_3repE0EEENS1_30default_config_static_selectorELNS0_4arch9wavefront6targetE1EEEvT1_,comdat
.Lfunc_end203:
	.size	_ZN7rocprim17ROCPRIM_400000_NS6detail17trampoline_kernelINS0_14default_configENS1_20scan_config_selectorIN3c107complexIdEEEEZZNS1_9scan_implILNS1_25lookback_scan_determinismE0ELb0ELb0ES3_PKS7_PS7_S7_ZZZN2at6native31launch_logcumsumexp_cuda_kernelERKNSE_10TensorBaseESI_lENKUlvE_clEvENKUlvE1_clEvEUlS7_S7_E_S7_EEDaPvRmT3_T4_T5_mT6_P12ihipStream_tbENKUlT_T0_E_clISt17integral_constantIbLb1EESZ_EEDaSU_SV_EUlSU_E_NS1_11comp_targetILNS1_3genE0ELNS1_11target_archE4294967295ELNS1_3gpuE0ELNS1_3repE0EEENS1_30default_config_static_selectorELNS0_4arch9wavefront6targetE1EEEvT1_, .Lfunc_end203-_ZN7rocprim17ROCPRIM_400000_NS6detail17trampoline_kernelINS0_14default_configENS1_20scan_config_selectorIN3c107complexIdEEEEZZNS1_9scan_implILNS1_25lookback_scan_determinismE0ELb0ELb0ES3_PKS7_PS7_S7_ZZZN2at6native31launch_logcumsumexp_cuda_kernelERKNSE_10TensorBaseESI_lENKUlvE_clEvENKUlvE1_clEvEUlS7_S7_E_S7_EEDaPvRmT3_T4_T5_mT6_P12ihipStream_tbENKUlT_T0_E_clISt17integral_constantIbLb1EESZ_EEDaSU_SV_EUlSU_E_NS1_11comp_targetILNS1_3genE0ELNS1_11target_archE4294967295ELNS1_3gpuE0ELNS1_3repE0EEENS1_30default_config_static_selectorELNS0_4arch9wavefront6targetE1EEEvT1_
                                        ; -- End function
	.section	.AMDGPU.csdata,"",@progbits
; Kernel info:
; codeLenInByte = 0
; NumSgprs: 4
; NumVgprs: 0
; NumAgprs: 0
; TotalNumVgprs: 0
; ScratchSize: 0
; MemoryBound: 0
; FloatMode: 240
; IeeeMode: 1
; LDSByteSize: 0 bytes/workgroup (compile time only)
; SGPRBlocks: 0
; VGPRBlocks: 0
; NumSGPRsForWavesPerEU: 4
; NumVGPRsForWavesPerEU: 1
; AccumOffset: 4
; Occupancy: 8
; WaveLimiterHint : 0
; COMPUTE_PGM_RSRC2:SCRATCH_EN: 0
; COMPUTE_PGM_RSRC2:USER_SGPR: 6
; COMPUTE_PGM_RSRC2:TRAP_HANDLER: 0
; COMPUTE_PGM_RSRC2:TGID_X_EN: 1
; COMPUTE_PGM_RSRC2:TGID_Y_EN: 0
; COMPUTE_PGM_RSRC2:TGID_Z_EN: 0
; COMPUTE_PGM_RSRC2:TIDIG_COMP_CNT: 0
; COMPUTE_PGM_RSRC3_GFX90A:ACCUM_OFFSET: 0
; COMPUTE_PGM_RSRC3_GFX90A:TG_SPLIT: 0
	.section	.text._ZN7rocprim17ROCPRIM_400000_NS6detail17trampoline_kernelINS0_14default_configENS1_20scan_config_selectorIN3c107complexIdEEEEZZNS1_9scan_implILNS1_25lookback_scan_determinismE0ELb0ELb0ES3_PKS7_PS7_S7_ZZZN2at6native31launch_logcumsumexp_cuda_kernelERKNSE_10TensorBaseESI_lENKUlvE_clEvENKUlvE1_clEvEUlS7_S7_E_S7_EEDaPvRmT3_T4_T5_mT6_P12ihipStream_tbENKUlT_T0_E_clISt17integral_constantIbLb1EESZ_EEDaSU_SV_EUlSU_E_NS1_11comp_targetILNS1_3genE5ELNS1_11target_archE942ELNS1_3gpuE9ELNS1_3repE0EEENS1_30default_config_static_selectorELNS0_4arch9wavefront6targetE1EEEvT1_,"axG",@progbits,_ZN7rocprim17ROCPRIM_400000_NS6detail17trampoline_kernelINS0_14default_configENS1_20scan_config_selectorIN3c107complexIdEEEEZZNS1_9scan_implILNS1_25lookback_scan_determinismE0ELb0ELb0ES3_PKS7_PS7_S7_ZZZN2at6native31launch_logcumsumexp_cuda_kernelERKNSE_10TensorBaseESI_lENKUlvE_clEvENKUlvE1_clEvEUlS7_S7_E_S7_EEDaPvRmT3_T4_T5_mT6_P12ihipStream_tbENKUlT_T0_E_clISt17integral_constantIbLb1EESZ_EEDaSU_SV_EUlSU_E_NS1_11comp_targetILNS1_3genE5ELNS1_11target_archE942ELNS1_3gpuE9ELNS1_3repE0EEENS1_30default_config_static_selectorELNS0_4arch9wavefront6targetE1EEEvT1_,comdat
	.globl	_ZN7rocprim17ROCPRIM_400000_NS6detail17trampoline_kernelINS0_14default_configENS1_20scan_config_selectorIN3c107complexIdEEEEZZNS1_9scan_implILNS1_25lookback_scan_determinismE0ELb0ELb0ES3_PKS7_PS7_S7_ZZZN2at6native31launch_logcumsumexp_cuda_kernelERKNSE_10TensorBaseESI_lENKUlvE_clEvENKUlvE1_clEvEUlS7_S7_E_S7_EEDaPvRmT3_T4_T5_mT6_P12ihipStream_tbENKUlT_T0_E_clISt17integral_constantIbLb1EESZ_EEDaSU_SV_EUlSU_E_NS1_11comp_targetILNS1_3genE5ELNS1_11target_archE942ELNS1_3gpuE9ELNS1_3repE0EEENS1_30default_config_static_selectorELNS0_4arch9wavefront6targetE1EEEvT1_ ; -- Begin function _ZN7rocprim17ROCPRIM_400000_NS6detail17trampoline_kernelINS0_14default_configENS1_20scan_config_selectorIN3c107complexIdEEEEZZNS1_9scan_implILNS1_25lookback_scan_determinismE0ELb0ELb0ES3_PKS7_PS7_S7_ZZZN2at6native31launch_logcumsumexp_cuda_kernelERKNSE_10TensorBaseESI_lENKUlvE_clEvENKUlvE1_clEvEUlS7_S7_E_S7_EEDaPvRmT3_T4_T5_mT6_P12ihipStream_tbENKUlT_T0_E_clISt17integral_constantIbLb1EESZ_EEDaSU_SV_EUlSU_E_NS1_11comp_targetILNS1_3genE5ELNS1_11target_archE942ELNS1_3gpuE9ELNS1_3repE0EEENS1_30default_config_static_selectorELNS0_4arch9wavefront6targetE1EEEvT1_
	.p2align	8
	.type	_ZN7rocprim17ROCPRIM_400000_NS6detail17trampoline_kernelINS0_14default_configENS1_20scan_config_selectorIN3c107complexIdEEEEZZNS1_9scan_implILNS1_25lookback_scan_determinismE0ELb0ELb0ES3_PKS7_PS7_S7_ZZZN2at6native31launch_logcumsumexp_cuda_kernelERKNSE_10TensorBaseESI_lENKUlvE_clEvENKUlvE1_clEvEUlS7_S7_E_S7_EEDaPvRmT3_T4_T5_mT6_P12ihipStream_tbENKUlT_T0_E_clISt17integral_constantIbLb1EESZ_EEDaSU_SV_EUlSU_E_NS1_11comp_targetILNS1_3genE5ELNS1_11target_archE942ELNS1_3gpuE9ELNS1_3repE0EEENS1_30default_config_static_selectorELNS0_4arch9wavefront6targetE1EEEvT1_,@function
_ZN7rocprim17ROCPRIM_400000_NS6detail17trampoline_kernelINS0_14default_configENS1_20scan_config_selectorIN3c107complexIdEEEEZZNS1_9scan_implILNS1_25lookback_scan_determinismE0ELb0ELb0ES3_PKS7_PS7_S7_ZZZN2at6native31launch_logcumsumexp_cuda_kernelERKNSE_10TensorBaseESI_lENKUlvE_clEvENKUlvE1_clEvEUlS7_S7_E_S7_EEDaPvRmT3_T4_T5_mT6_P12ihipStream_tbENKUlT_T0_E_clISt17integral_constantIbLb1EESZ_EEDaSU_SV_EUlSU_E_NS1_11comp_targetILNS1_3genE5ELNS1_11target_archE942ELNS1_3gpuE9ELNS1_3repE0EEENS1_30default_config_static_selectorELNS0_4arch9wavefront6targetE1EEEvT1_: ; @_ZN7rocprim17ROCPRIM_400000_NS6detail17trampoline_kernelINS0_14default_configENS1_20scan_config_selectorIN3c107complexIdEEEEZZNS1_9scan_implILNS1_25lookback_scan_determinismE0ELb0ELb0ES3_PKS7_PS7_S7_ZZZN2at6native31launch_logcumsumexp_cuda_kernelERKNSE_10TensorBaseESI_lENKUlvE_clEvENKUlvE1_clEvEUlS7_S7_E_S7_EEDaPvRmT3_T4_T5_mT6_P12ihipStream_tbENKUlT_T0_E_clISt17integral_constantIbLb1EESZ_EEDaSU_SV_EUlSU_E_NS1_11comp_targetILNS1_3genE5ELNS1_11target_archE942ELNS1_3gpuE9ELNS1_3repE0EEENS1_30default_config_static_selectorELNS0_4arch9wavefront6targetE1EEEvT1_
; %bb.0:
	.section	.rodata,"a",@progbits
	.p2align	6, 0x0
	.amdhsa_kernel _ZN7rocprim17ROCPRIM_400000_NS6detail17trampoline_kernelINS0_14default_configENS1_20scan_config_selectorIN3c107complexIdEEEEZZNS1_9scan_implILNS1_25lookback_scan_determinismE0ELb0ELb0ES3_PKS7_PS7_S7_ZZZN2at6native31launch_logcumsumexp_cuda_kernelERKNSE_10TensorBaseESI_lENKUlvE_clEvENKUlvE1_clEvEUlS7_S7_E_S7_EEDaPvRmT3_T4_T5_mT6_P12ihipStream_tbENKUlT_T0_E_clISt17integral_constantIbLb1EESZ_EEDaSU_SV_EUlSU_E_NS1_11comp_targetILNS1_3genE5ELNS1_11target_archE942ELNS1_3gpuE9ELNS1_3repE0EEENS1_30default_config_static_selectorELNS0_4arch9wavefront6targetE1EEEvT1_
		.amdhsa_group_segment_fixed_size 0
		.amdhsa_private_segment_fixed_size 0
		.amdhsa_kernarg_size 128
		.amdhsa_user_sgpr_count 6
		.amdhsa_user_sgpr_private_segment_buffer 1
		.amdhsa_user_sgpr_dispatch_ptr 0
		.amdhsa_user_sgpr_queue_ptr 0
		.amdhsa_user_sgpr_kernarg_segment_ptr 1
		.amdhsa_user_sgpr_dispatch_id 0
		.amdhsa_user_sgpr_flat_scratch_init 0
		.amdhsa_user_sgpr_kernarg_preload_length 0
		.amdhsa_user_sgpr_kernarg_preload_offset 0
		.amdhsa_user_sgpr_private_segment_size 0
		.amdhsa_uses_dynamic_stack 0
		.amdhsa_system_sgpr_private_segment_wavefront_offset 0
		.amdhsa_system_sgpr_workgroup_id_x 1
		.amdhsa_system_sgpr_workgroup_id_y 0
		.amdhsa_system_sgpr_workgroup_id_z 0
		.amdhsa_system_sgpr_workgroup_info 0
		.amdhsa_system_vgpr_workitem_id 0
		.amdhsa_next_free_vgpr 1
		.amdhsa_next_free_sgpr 0
		.amdhsa_accum_offset 4
		.amdhsa_reserve_vcc 0
		.amdhsa_reserve_flat_scratch 0
		.amdhsa_float_round_mode_32 0
		.amdhsa_float_round_mode_16_64 0
		.amdhsa_float_denorm_mode_32 3
		.amdhsa_float_denorm_mode_16_64 3
		.amdhsa_dx10_clamp 1
		.amdhsa_ieee_mode 1
		.amdhsa_fp16_overflow 0
		.amdhsa_tg_split 0
		.amdhsa_exception_fp_ieee_invalid_op 0
		.amdhsa_exception_fp_denorm_src 0
		.amdhsa_exception_fp_ieee_div_zero 0
		.amdhsa_exception_fp_ieee_overflow 0
		.amdhsa_exception_fp_ieee_underflow 0
		.amdhsa_exception_fp_ieee_inexact 0
		.amdhsa_exception_int_div_zero 0
	.end_amdhsa_kernel
	.section	.text._ZN7rocprim17ROCPRIM_400000_NS6detail17trampoline_kernelINS0_14default_configENS1_20scan_config_selectorIN3c107complexIdEEEEZZNS1_9scan_implILNS1_25lookback_scan_determinismE0ELb0ELb0ES3_PKS7_PS7_S7_ZZZN2at6native31launch_logcumsumexp_cuda_kernelERKNSE_10TensorBaseESI_lENKUlvE_clEvENKUlvE1_clEvEUlS7_S7_E_S7_EEDaPvRmT3_T4_T5_mT6_P12ihipStream_tbENKUlT_T0_E_clISt17integral_constantIbLb1EESZ_EEDaSU_SV_EUlSU_E_NS1_11comp_targetILNS1_3genE5ELNS1_11target_archE942ELNS1_3gpuE9ELNS1_3repE0EEENS1_30default_config_static_selectorELNS0_4arch9wavefront6targetE1EEEvT1_,"axG",@progbits,_ZN7rocprim17ROCPRIM_400000_NS6detail17trampoline_kernelINS0_14default_configENS1_20scan_config_selectorIN3c107complexIdEEEEZZNS1_9scan_implILNS1_25lookback_scan_determinismE0ELb0ELb0ES3_PKS7_PS7_S7_ZZZN2at6native31launch_logcumsumexp_cuda_kernelERKNSE_10TensorBaseESI_lENKUlvE_clEvENKUlvE1_clEvEUlS7_S7_E_S7_EEDaPvRmT3_T4_T5_mT6_P12ihipStream_tbENKUlT_T0_E_clISt17integral_constantIbLb1EESZ_EEDaSU_SV_EUlSU_E_NS1_11comp_targetILNS1_3genE5ELNS1_11target_archE942ELNS1_3gpuE9ELNS1_3repE0EEENS1_30default_config_static_selectorELNS0_4arch9wavefront6targetE1EEEvT1_,comdat
.Lfunc_end204:
	.size	_ZN7rocprim17ROCPRIM_400000_NS6detail17trampoline_kernelINS0_14default_configENS1_20scan_config_selectorIN3c107complexIdEEEEZZNS1_9scan_implILNS1_25lookback_scan_determinismE0ELb0ELb0ES3_PKS7_PS7_S7_ZZZN2at6native31launch_logcumsumexp_cuda_kernelERKNSE_10TensorBaseESI_lENKUlvE_clEvENKUlvE1_clEvEUlS7_S7_E_S7_EEDaPvRmT3_T4_T5_mT6_P12ihipStream_tbENKUlT_T0_E_clISt17integral_constantIbLb1EESZ_EEDaSU_SV_EUlSU_E_NS1_11comp_targetILNS1_3genE5ELNS1_11target_archE942ELNS1_3gpuE9ELNS1_3repE0EEENS1_30default_config_static_selectorELNS0_4arch9wavefront6targetE1EEEvT1_, .Lfunc_end204-_ZN7rocprim17ROCPRIM_400000_NS6detail17trampoline_kernelINS0_14default_configENS1_20scan_config_selectorIN3c107complexIdEEEEZZNS1_9scan_implILNS1_25lookback_scan_determinismE0ELb0ELb0ES3_PKS7_PS7_S7_ZZZN2at6native31launch_logcumsumexp_cuda_kernelERKNSE_10TensorBaseESI_lENKUlvE_clEvENKUlvE1_clEvEUlS7_S7_E_S7_EEDaPvRmT3_T4_T5_mT6_P12ihipStream_tbENKUlT_T0_E_clISt17integral_constantIbLb1EESZ_EEDaSU_SV_EUlSU_E_NS1_11comp_targetILNS1_3genE5ELNS1_11target_archE942ELNS1_3gpuE9ELNS1_3repE0EEENS1_30default_config_static_selectorELNS0_4arch9wavefront6targetE1EEEvT1_
                                        ; -- End function
	.section	.AMDGPU.csdata,"",@progbits
; Kernel info:
; codeLenInByte = 0
; NumSgprs: 4
; NumVgprs: 0
; NumAgprs: 0
; TotalNumVgprs: 0
; ScratchSize: 0
; MemoryBound: 0
; FloatMode: 240
; IeeeMode: 1
; LDSByteSize: 0 bytes/workgroup (compile time only)
; SGPRBlocks: 0
; VGPRBlocks: 0
; NumSGPRsForWavesPerEU: 4
; NumVGPRsForWavesPerEU: 1
; AccumOffset: 4
; Occupancy: 8
; WaveLimiterHint : 0
; COMPUTE_PGM_RSRC2:SCRATCH_EN: 0
; COMPUTE_PGM_RSRC2:USER_SGPR: 6
; COMPUTE_PGM_RSRC2:TRAP_HANDLER: 0
; COMPUTE_PGM_RSRC2:TGID_X_EN: 1
; COMPUTE_PGM_RSRC2:TGID_Y_EN: 0
; COMPUTE_PGM_RSRC2:TGID_Z_EN: 0
; COMPUTE_PGM_RSRC2:TIDIG_COMP_CNT: 0
; COMPUTE_PGM_RSRC3_GFX90A:ACCUM_OFFSET: 0
; COMPUTE_PGM_RSRC3_GFX90A:TG_SPLIT: 0
	.section	.text._ZN7rocprim17ROCPRIM_400000_NS6detail17trampoline_kernelINS0_14default_configENS1_20scan_config_selectorIN3c107complexIdEEEEZZNS1_9scan_implILNS1_25lookback_scan_determinismE0ELb0ELb0ES3_PKS7_PS7_S7_ZZZN2at6native31launch_logcumsumexp_cuda_kernelERKNSE_10TensorBaseESI_lENKUlvE_clEvENKUlvE1_clEvEUlS7_S7_E_S7_EEDaPvRmT3_T4_T5_mT6_P12ihipStream_tbENKUlT_T0_E_clISt17integral_constantIbLb1EESZ_EEDaSU_SV_EUlSU_E_NS1_11comp_targetILNS1_3genE4ELNS1_11target_archE910ELNS1_3gpuE8ELNS1_3repE0EEENS1_30default_config_static_selectorELNS0_4arch9wavefront6targetE1EEEvT1_,"axG",@progbits,_ZN7rocprim17ROCPRIM_400000_NS6detail17trampoline_kernelINS0_14default_configENS1_20scan_config_selectorIN3c107complexIdEEEEZZNS1_9scan_implILNS1_25lookback_scan_determinismE0ELb0ELb0ES3_PKS7_PS7_S7_ZZZN2at6native31launch_logcumsumexp_cuda_kernelERKNSE_10TensorBaseESI_lENKUlvE_clEvENKUlvE1_clEvEUlS7_S7_E_S7_EEDaPvRmT3_T4_T5_mT6_P12ihipStream_tbENKUlT_T0_E_clISt17integral_constantIbLb1EESZ_EEDaSU_SV_EUlSU_E_NS1_11comp_targetILNS1_3genE4ELNS1_11target_archE910ELNS1_3gpuE8ELNS1_3repE0EEENS1_30default_config_static_selectorELNS0_4arch9wavefront6targetE1EEEvT1_,comdat
	.globl	_ZN7rocprim17ROCPRIM_400000_NS6detail17trampoline_kernelINS0_14default_configENS1_20scan_config_selectorIN3c107complexIdEEEEZZNS1_9scan_implILNS1_25lookback_scan_determinismE0ELb0ELb0ES3_PKS7_PS7_S7_ZZZN2at6native31launch_logcumsumexp_cuda_kernelERKNSE_10TensorBaseESI_lENKUlvE_clEvENKUlvE1_clEvEUlS7_S7_E_S7_EEDaPvRmT3_T4_T5_mT6_P12ihipStream_tbENKUlT_T0_E_clISt17integral_constantIbLb1EESZ_EEDaSU_SV_EUlSU_E_NS1_11comp_targetILNS1_3genE4ELNS1_11target_archE910ELNS1_3gpuE8ELNS1_3repE0EEENS1_30default_config_static_selectorELNS0_4arch9wavefront6targetE1EEEvT1_ ; -- Begin function _ZN7rocprim17ROCPRIM_400000_NS6detail17trampoline_kernelINS0_14default_configENS1_20scan_config_selectorIN3c107complexIdEEEEZZNS1_9scan_implILNS1_25lookback_scan_determinismE0ELb0ELb0ES3_PKS7_PS7_S7_ZZZN2at6native31launch_logcumsumexp_cuda_kernelERKNSE_10TensorBaseESI_lENKUlvE_clEvENKUlvE1_clEvEUlS7_S7_E_S7_EEDaPvRmT3_T4_T5_mT6_P12ihipStream_tbENKUlT_T0_E_clISt17integral_constantIbLb1EESZ_EEDaSU_SV_EUlSU_E_NS1_11comp_targetILNS1_3genE4ELNS1_11target_archE910ELNS1_3gpuE8ELNS1_3repE0EEENS1_30default_config_static_selectorELNS0_4arch9wavefront6targetE1EEEvT1_
	.p2align	8
	.type	_ZN7rocprim17ROCPRIM_400000_NS6detail17trampoline_kernelINS0_14default_configENS1_20scan_config_selectorIN3c107complexIdEEEEZZNS1_9scan_implILNS1_25lookback_scan_determinismE0ELb0ELb0ES3_PKS7_PS7_S7_ZZZN2at6native31launch_logcumsumexp_cuda_kernelERKNSE_10TensorBaseESI_lENKUlvE_clEvENKUlvE1_clEvEUlS7_S7_E_S7_EEDaPvRmT3_T4_T5_mT6_P12ihipStream_tbENKUlT_T0_E_clISt17integral_constantIbLb1EESZ_EEDaSU_SV_EUlSU_E_NS1_11comp_targetILNS1_3genE4ELNS1_11target_archE910ELNS1_3gpuE8ELNS1_3repE0EEENS1_30default_config_static_selectorELNS0_4arch9wavefront6targetE1EEEvT1_,@function
_ZN7rocprim17ROCPRIM_400000_NS6detail17trampoline_kernelINS0_14default_configENS1_20scan_config_selectorIN3c107complexIdEEEEZZNS1_9scan_implILNS1_25lookback_scan_determinismE0ELb0ELb0ES3_PKS7_PS7_S7_ZZZN2at6native31launch_logcumsumexp_cuda_kernelERKNSE_10TensorBaseESI_lENKUlvE_clEvENKUlvE1_clEvEUlS7_S7_E_S7_EEDaPvRmT3_T4_T5_mT6_P12ihipStream_tbENKUlT_T0_E_clISt17integral_constantIbLb1EESZ_EEDaSU_SV_EUlSU_E_NS1_11comp_targetILNS1_3genE4ELNS1_11target_archE910ELNS1_3gpuE8ELNS1_3repE0EEENS1_30default_config_static_selectorELNS0_4arch9wavefront6targetE1EEEvT1_: ; @_ZN7rocprim17ROCPRIM_400000_NS6detail17trampoline_kernelINS0_14default_configENS1_20scan_config_selectorIN3c107complexIdEEEEZZNS1_9scan_implILNS1_25lookback_scan_determinismE0ELb0ELb0ES3_PKS7_PS7_S7_ZZZN2at6native31launch_logcumsumexp_cuda_kernelERKNSE_10TensorBaseESI_lENKUlvE_clEvENKUlvE1_clEvEUlS7_S7_E_S7_EEDaPvRmT3_T4_T5_mT6_P12ihipStream_tbENKUlT_T0_E_clISt17integral_constantIbLb1EESZ_EEDaSU_SV_EUlSU_E_NS1_11comp_targetILNS1_3genE4ELNS1_11target_archE910ELNS1_3gpuE8ELNS1_3repE0EEENS1_30default_config_static_selectorELNS0_4arch9wavefront6targetE1EEEvT1_
; %bb.0:
	s_load_dwordx4 s[60:63], s[4:5], 0x38
	s_load_dwordx2 s[64:65], s[4:5], 0x48
	s_add_u32 flat_scratch_lo, s6, s9
	s_addc_u32 flat_scratch_hi, s7, 0
	s_add_u32 s0, s0, s9
	v_mov_b32_e32 v46, v0
	s_addc_u32 s1, s1, 0
	v_cmp_ne_u32_e64 s[38:39], 0, v46
	v_cmp_eq_u32_e64 s[40:41], 0, v46
	s_mov_b32 s32, 0
	s_and_saveexec_b64 s[6:7], s[40:41]
	s_cbranch_execz .LBB205_4
; %bb.1:
	s_mov_b64 s[10:11], exec
	v_mbcnt_lo_u32_b32 v0, s10, 0
	v_mbcnt_hi_u32_b32 v0, s11, v0
	v_cmp_eq_u32_e32 vcc, 0, v0
                                        ; implicit-def: $vgpr1
	s_and_saveexec_b64 s[8:9], vcc
	s_cbranch_execz .LBB205_3
; %bb.2:
	s_load_dwordx2 s[12:13], s[4:5], 0x78
	s_bcnt1_i32_b64 s10, s[10:11]
	v_mov_b32_e32 v1, 0
	v_mov_b32_e32 v2, s10
	s_waitcnt lgkmcnt(0)
	global_atomic_add v1, v1, v2, s[12:13] glc
.LBB205_3:
	s_or_b64 exec, exec, s[8:9]
	s_waitcnt vmcnt(0)
	v_readfirstlane_b32 s8, v1
	v_add_u32_e32 v0, s8, v0
	v_mov_b32_e32 v1, 0
	ds_write_b32 v1, v0
.LBB205_4:
	s_or_b64 exec, exec, s[6:7]
	s_load_dwordx8 s[52:59], s[4:5], 0x0
	s_load_dword s6, s[4:5], 0x50
	s_load_dwordx8 s[44:51], s[4:5], 0x58
	v_mov_b32_e32 v0, 0
	s_waitcnt lgkmcnt(0)
	; wave barrier
	s_waitcnt lgkmcnt(0)
	ds_read_b32 v0, v0
	s_lshl_b64 s[54:55], s[54:55], 4
	s_add_u32 s7, s52, s54
	s_addc_u32 s8, s53, s55
	s_add_i32 s6, s6, -1
	s_mul_i32 s9, s6, 0x3c0
	s_sub_u32 s33, s58, s9
	s_waitcnt lgkmcnt(0)
	v_readfirstlane_b32 s70, v0
	s_subb_u32 s37, s59, 0
	s_mov_b32 s5, 0
	s_mul_i32 s4, s70, 0x3c0
	s_cmp_lg_u32 s70, s6
	s_cselect_b64 s[52:53], -1, 0
	s_lshl_b64 s[58:59], s[4:5], 4
	s_add_u32 s6, s7, s58
	s_addc_u32 s7, s8, s59
	s_mov_b64 s[4:5], -1
	s_and_b64 vcc, exec, s[52:53]
	v_lshlrev_b32_e32 v168, 4, v46
	s_waitcnt lgkmcnt(0)
	; wave barrier
	s_cbranch_vccz .LBB205_6
; %bb.5:
	v_mov_b32_e32 v0, s7
	v_add_co_u32_e32 v47, vcc, s6, v168
	v_addc_co_u32_e32 v52, vcc, 0, v0, vcc
	v_add_co_u32_e32 v32, vcc, 0x1000, v47
	v_addc_co_u32_e32 v33, vcc, 0, v52, vcc
	;; [unrolled: 2-line block ×3, first 2 shown]
	global_load_dwordx4 v[0:3], v168, s[6:7]
	global_load_dwordx4 v[4:7], v168, s[6:7] offset:1024
	global_load_dwordx4 v[8:11], v168, s[6:7] offset:2048
	;; [unrolled: 1-line block ×3, first 2 shown]
	global_load_dwordx4 v[16:19], v[32:33], off
	global_load_dwordx4 v[20:23], v[32:33], off offset:1024
	global_load_dwordx4 v[24:27], v[32:33], off offset:2048
	;; [unrolled: 1-line block ×3, first 2 shown]
	s_nop 0
	global_load_dwordx4 v[32:35], v[44:45], off
	global_load_dwordx4 v[36:39], v[44:45], off offset:1024
	global_load_dwordx4 v[40:43], v[44:45], off offset:2048
	;; [unrolled: 1-line block ×3, first 2 shown]
	v_add_co_u32_e32 v44, vcc, 0x3000, v47
	v_addc_co_u32_e32 v45, vcc, 0, v52, vcc
	global_load_dwordx4 v[52:55], v[44:45], off
	global_load_dwordx4 v[56:59], v[44:45], off offset:1024
	global_load_dwordx4 v[60:63], v[44:45], off offset:2048
	s_mov_b64 s[4:5], 0
	s_waitcnt vmcnt(14)
	ds_write_b128 v168, v[0:3]
	s_waitcnt vmcnt(13)
	ds_write_b128 v168, v[4:7] offset:1024
	s_waitcnt vmcnt(12)
	ds_write_b128 v168, v[8:11] offset:2048
	;; [unrolled: 2-line block ×14, first 2 shown]
	s_waitcnt lgkmcnt(0)
	; wave barrier
.LBB205_6:
	s_andn2_b64 vcc, exec, s[4:5]
	v_cmp_gt_u32_e64 s[4:5], s33, v46
	s_cbranch_vccnz .LBB205_38
; %bb.7:
	v_mov_b32_e32 v0, 0
	global_load_dwordx4 v[0:3], v0, s[6:7]
	s_waitcnt vmcnt(0)
	v_pk_mov_b32 v[6:7], v[2:3], v[2:3] op_sel:[0,1]
	v_pk_mov_b32 v[4:5], v[0:1], v[0:1] op_sel:[0,1]
	s_and_saveexec_b64 s[8:9], s[4:5]
	s_cbranch_execz .LBB205_9
; %bb.8:
	global_load_dwordx4 v[4:7], v168, s[6:7]
.LBB205_9:
	s_or_b64 exec, exec, s[8:9]
	v_or_b32_e32 v8, 64, v46
	v_cmp_gt_u32_e32 vcc, s33, v8
	v_pk_mov_b32 v[10:11], v[2:3], v[2:3] op_sel:[0,1]
	v_pk_mov_b32 v[8:9], v[0:1], v[0:1] op_sel:[0,1]
	s_and_saveexec_b64 s[4:5], vcc
	s_cbranch_execz .LBB205_11
; %bb.10:
	global_load_dwordx4 v[8:11], v168, s[6:7] offset:1024
.LBB205_11:
	s_or_b64 exec, exec, s[4:5]
	v_or_b32_e32 v12, 0x80, v46
	v_cmp_gt_u32_e32 vcc, s33, v12
	v_pk_mov_b32 v[14:15], v[2:3], v[2:3] op_sel:[0,1]
	v_pk_mov_b32 v[12:13], v[0:1], v[0:1] op_sel:[0,1]
	s_and_saveexec_b64 s[4:5], vcc
	s_cbranch_execz .LBB205_13
; %bb.12:
	global_load_dwordx4 v[12:15], v168, s[6:7] offset:2048
.LBB205_13:
	;; [unrolled: 10-line block ×3, first 2 shown]
	s_or_b64 exec, exec, s[4:5]
	v_or_b32_e32 v24, 0x100, v46
	v_cmp_gt_u32_e32 vcc, s33, v24
	v_pk_mov_b32 v[22:23], v[2:3], v[2:3] op_sel:[0,1]
	v_pk_mov_b32 v[20:21], v[0:1], v[0:1] op_sel:[0,1]
	s_and_saveexec_b64 s[4:5], vcc
	s_cbranch_execz .LBB205_17
; %bb.16:
	v_lshlrev_b32_e32 v20, 4, v24
	global_load_dwordx4 v[20:23], v20, s[6:7]
.LBB205_17:
	s_or_b64 exec, exec, s[4:5]
	v_or_b32_e32 v28, 0x140, v46
	v_cmp_gt_u32_e32 vcc, s33, v28
	v_pk_mov_b32 v[26:27], v[2:3], v[2:3] op_sel:[0,1]
	v_pk_mov_b32 v[24:25], v[0:1], v[0:1] op_sel:[0,1]
	s_and_saveexec_b64 s[4:5], vcc
	s_cbranch_execz .LBB205_19
; %bb.18:
	v_lshlrev_b32_e32 v24, 4, v28
	global_load_dwordx4 v[24:27], v24, s[6:7]
.LBB205_19:
	;; [unrolled: 11-line block ×10, first 2 shown]
	s_or_b64 exec, exec, s[4:5]
	v_or_b32_e32 v44, 0x380, v46
	v_cmp_gt_u32_e32 vcc, s33, v44
	s_and_saveexec_b64 s[4:5], vcc
	s_cbranch_execz .LBB205_37
; %bb.36:
	v_lshlrev_b32_e32 v0, 4, v44
	global_load_dwordx4 v[0:3], v0, s[6:7]
.LBB205_37:
	s_or_b64 exec, exec, s[4:5]
	s_waitcnt vmcnt(0)
	ds_write_b128 v168, v[4:7]
	ds_write_b128 v168, v[8:11] offset:1024
	ds_write_b128 v168, v[12:15] offset:2048
	;; [unrolled: 1-line block ×14, first 2 shown]
	s_waitcnt lgkmcnt(0)
	; wave barrier
.LBB205_38:
	v_mul_u32_u24_e32 v169, 15, v46
	v_lshlrev_b32_e32 v170, 4, v169
	s_waitcnt lgkmcnt(0)
	ds_read_b128 v[42:45], v170
	ds_read_b128 v[104:107], v170 offset:16
	ds_read_b128 v[100:103], v170 offset:32
	;; [unrolled: 1-line block ×14, first 2 shown]
	s_cmp_lg_u32 s70, 0
	s_waitcnt lgkmcnt(0)
	; wave barrier
	s_waitcnt lgkmcnt(0)
	s_cbranch_scc0 .LBB205_103
; %bb.39:
	v_mov_b32_e32 v0, v42
	v_mov_b32_e32 v1, v43
	;; [unrolled: 1-line block ×8, first 2 shown]
	s_getpc_b64 s[42:43]
	s_add_u32 s42, s42, _ZZZZN2at6native31launch_logcumsumexp_cuda_kernelERKNS_10TensorBaseES3_lENKUlvE_clEvENKUlvE1_clEvENKUlN3c107complexIdEES8_E_clES8_S8_@rel32@lo+4
	s_addc_u32 s43, s43, _ZZZZN2at6native31launch_logcumsumexp_cuda_kernelERKNS_10TensorBaseES3_lENKUlvE_clEvENKUlvE1_clEvENKUlN3c107complexIdEES8_E_clES8_S8_@rel32@hi+12
	s_swappc_b64 s[30:31], s[42:43]
	v_mov_b32_e32 v4, v100
	v_mov_b32_e32 v5, v101
	v_mov_b32_e32 v6, v102
	v_mov_b32_e32 v7, v103
	s_swappc_b64 s[30:31], s[42:43]
	v_mov_b32_e32 v4, v96
	v_mov_b32_e32 v5, v97
	v_mov_b32_e32 v6, v98
	v_mov_b32_e32 v7, v99
	s_swappc_b64 s[30:31], s[42:43]
	v_mov_b32_e32 v4, v92
	v_mov_b32_e32 v5, v93
	v_mov_b32_e32 v6, v94
	v_mov_b32_e32 v7, v95
	s_swappc_b64 s[30:31], s[42:43]
	v_mov_b32_e32 v4, v88
	v_mov_b32_e32 v5, v89
	v_mov_b32_e32 v6, v90
	v_mov_b32_e32 v7, v91
	s_swappc_b64 s[30:31], s[42:43]
	v_mov_b32_e32 v4, v84
	v_mov_b32_e32 v5, v85
	v_mov_b32_e32 v6, v86
	v_mov_b32_e32 v7, v87
	s_swappc_b64 s[30:31], s[42:43]
	v_mov_b32_e32 v4, v80
	v_mov_b32_e32 v5, v81
	v_mov_b32_e32 v6, v82
	v_mov_b32_e32 v7, v83
	s_swappc_b64 s[30:31], s[42:43]
	v_mov_b32_e32 v4, v76
	v_mov_b32_e32 v5, v77
	v_mov_b32_e32 v6, v78
	v_mov_b32_e32 v7, v79
	s_swappc_b64 s[30:31], s[42:43]
	v_mov_b32_e32 v4, v72
	v_mov_b32_e32 v5, v73
	v_mov_b32_e32 v6, v74
	v_mov_b32_e32 v7, v75
	s_swappc_b64 s[30:31], s[42:43]
	v_mov_b32_e32 v4, v68
	v_mov_b32_e32 v5, v69
	v_mov_b32_e32 v6, v70
	v_mov_b32_e32 v7, v71
	s_swappc_b64 s[30:31], s[42:43]
	v_mov_b32_e32 v4, v64
	v_mov_b32_e32 v5, v65
	v_mov_b32_e32 v6, v66
	v_mov_b32_e32 v7, v67
	s_swappc_b64 s[30:31], s[42:43]
	v_mov_b32_e32 v4, v60
	v_mov_b32_e32 v5, v61
	v_mov_b32_e32 v6, v62
	v_mov_b32_e32 v7, v63
	s_swappc_b64 s[30:31], s[42:43]
	v_mov_b32_e32 v4, v56
	v_mov_b32_e32 v5, v57
	v_mov_b32_e32 v6, v58
	v_mov_b32_e32 v7, v59
	s_swappc_b64 s[30:31], s[42:43]
	v_mov_b32_e32 v4, v52
	v_mov_b32_e32 v5, v53
	v_mov_b32_e32 v6, v54
	v_mov_b32_e32 v7, v55
	s_swappc_b64 s[30:31], s[42:43]
	v_mov_b32_e32 v4, v0
	v_mbcnt_lo_u32_b32 v0, -1, 0
	v_mbcnt_hi_u32_b32 v112, -1, v0
	v_mov_b32_e32 v5, v1
	v_mov_b32_e32 v6, v2
	;; [unrolled: 1-line block ×3, first 2 shown]
	v_and_b32_e32 v41, 15, v112
	v_mov_b32_dpp v0, v4 row_shr:1 row_mask:0xf bank_mask:0xf
	v_mov_b32_dpp v1, v5 row_shr:1 row_mask:0xf bank_mask:0xf
	;; [unrolled: 1-line block ×4, first 2 shown]
	v_cmp_ne_u32_e32 vcc, 0, v41
	s_and_saveexec_b64 s[66:67], vcc
	s_cbranch_execz .LBB205_41
; %bb.40:
	s_swappc_b64 s[30:31], s[42:43]
	v_mov_b32_e32 v4, v0
	v_mov_b32_e32 v5, v1
	v_mov_b32_e32 v6, v2
	v_mov_b32_e32 v7, v3
.LBB205_41:
	s_or_b64 exec, exec, s[66:67]
	v_mov_b32_dpp v0, v4 row_shr:2 row_mask:0xf bank_mask:0xf
	v_mov_b32_dpp v1, v5 row_shr:2 row_mask:0xf bank_mask:0xf
	v_mov_b32_dpp v2, v6 row_shr:2 row_mask:0xf bank_mask:0xf
	v_mov_b32_dpp v3, v7 row_shr:2 row_mask:0xf bank_mask:0xf
	v_cmp_lt_u32_e32 vcc, 1, v41
	s_and_saveexec_b64 s[42:43], vcc
	s_cbranch_execz .LBB205_43
; %bb.42:
	s_getpc_b64 s[4:5]
	s_add_u32 s4, s4, _ZZZZN2at6native31launch_logcumsumexp_cuda_kernelERKNS_10TensorBaseES3_lENKUlvE_clEvENKUlvE1_clEvENKUlN3c107complexIdEES8_E_clES8_S8_@rel32@lo+4
	s_addc_u32 s5, s5, _ZZZZN2at6native31launch_logcumsumexp_cuda_kernelERKNS_10TensorBaseES3_lENKUlvE_clEvENKUlvE1_clEvENKUlN3c107complexIdEES8_E_clES8_S8_@rel32@hi+12
	s_swappc_b64 s[30:31], s[4:5]
	v_mov_b32_e32 v4, v0
	v_mov_b32_e32 v5, v1
	v_mov_b32_e32 v6, v2
	v_mov_b32_e32 v7, v3
.LBB205_43:
	s_or_b64 exec, exec, s[42:43]
	v_mov_b32_dpp v0, v4 row_shr:4 row_mask:0xf bank_mask:0xf
	v_mov_b32_dpp v1, v5 row_shr:4 row_mask:0xf bank_mask:0xf
	v_mov_b32_dpp v2, v6 row_shr:4 row_mask:0xf bank_mask:0xf
	v_mov_b32_dpp v3, v7 row_shr:4 row_mask:0xf bank_mask:0xf
	v_cmp_lt_u32_e32 vcc, 3, v41
	s_and_saveexec_b64 s[42:43], vcc
	s_cbranch_execz .LBB205_45
; %bb.44:
	s_getpc_b64 s[4:5]
	s_add_u32 s4, s4, _ZZZZN2at6native31launch_logcumsumexp_cuda_kernelERKNS_10TensorBaseES3_lENKUlvE_clEvENKUlvE1_clEvENKUlN3c107complexIdEES8_E_clES8_S8_@rel32@lo+4
	s_addc_u32 s5, s5, _ZZZZN2at6native31launch_logcumsumexp_cuda_kernelERKNS_10TensorBaseES3_lENKUlvE_clEvENKUlvE1_clEvENKUlN3c107complexIdEES8_E_clES8_S8_@rel32@hi+12
	s_swappc_b64 s[30:31], s[4:5]
	v_mov_b32_e32 v4, v0
	v_mov_b32_e32 v5, v1
	v_mov_b32_e32 v6, v2
	v_mov_b32_e32 v7, v3
.LBB205_45:
	;; [unrolled: 18-line block ×3, first 2 shown]
	s_or_b64 exec, exec, s[42:43]
	v_and_b32_e32 v8, 16, v112
	v_mov_b32_dpp v0, v4 row_bcast:15 row_mask:0xf bank_mask:0xf
	v_mov_b32_dpp v1, v5 row_bcast:15 row_mask:0xf bank_mask:0xf
	;; [unrolled: 1-line block ×4, first 2 shown]
	v_cmp_ne_u32_e32 vcc, 0, v8
	s_and_saveexec_b64 s[42:43], vcc
	s_cbranch_execz .LBB205_49
; %bb.48:
	s_getpc_b64 s[4:5]
	s_add_u32 s4, s4, _ZZZZN2at6native31launch_logcumsumexp_cuda_kernelERKNS_10TensorBaseES3_lENKUlvE_clEvENKUlvE1_clEvENKUlN3c107complexIdEES8_E_clES8_S8_@rel32@lo+4
	s_addc_u32 s5, s5, _ZZZZN2at6native31launch_logcumsumexp_cuda_kernelERKNS_10TensorBaseES3_lENKUlvE_clEvENKUlvE1_clEvENKUlN3c107complexIdEES8_E_clES8_S8_@rel32@hi+12
	s_swappc_b64 s[30:31], s[4:5]
	v_mov_b32_e32 v4, v0
	v_mov_b32_e32 v5, v1
	v_mov_b32_e32 v6, v2
	v_mov_b32_e32 v7, v3
.LBB205_49:
	s_or_b64 exec, exec, s[42:43]
	v_mov_b32_dpp v0, v4 row_bcast:31 row_mask:0xf bank_mask:0xf
	v_mov_b32_dpp v1, v5 row_bcast:31 row_mask:0xf bank_mask:0xf
	;; [unrolled: 1-line block ×4, first 2 shown]
	v_cmp_lt_u32_e32 vcc, 31, v112
	s_and_saveexec_b64 s[42:43], vcc
	s_cbranch_execz .LBB205_51
; %bb.50:
	s_getpc_b64 s[4:5]
	s_add_u32 s4, s4, _ZZZZN2at6native31launch_logcumsumexp_cuda_kernelERKNS_10TensorBaseES3_lENKUlvE_clEvENKUlvE1_clEvENKUlN3c107complexIdEES8_E_clES8_S8_@rel32@lo+4
	s_addc_u32 s5, s5, _ZZZZN2at6native31launch_logcumsumexp_cuda_kernelERKNS_10TensorBaseES3_lENKUlvE_clEvENKUlvE1_clEvENKUlN3c107complexIdEES8_E_clES8_S8_@rel32@hi+12
	s_swappc_b64 s[30:31], s[4:5]
	v_mov_b32_e32 v4, v0
	v_mov_b32_e32 v5, v1
	;; [unrolled: 1-line block ×4, first 2 shown]
.LBB205_51:
	s_or_b64 exec, exec, s[42:43]
	v_cmp_eq_u32_e32 vcc, 63, v46
	s_and_saveexec_b64 s[4:5], vcc
	s_cbranch_execz .LBB205_53
; %bb.52:
	v_mov_b32_e32 v0, 0
	ds_write_b128 v0, v[4:7]
.LBB205_53:
	s_or_b64 exec, exec, s[4:5]
	v_add_u32_e32 v0, -1, v112
	v_and_b32_e32 v1, 64, v112
	v_cmp_lt_i32_e32 vcc, v0, v1
	v_cndmask_b32_e32 v0, v0, v112, vcc
	v_lshlrev_b32_e32 v0, 2, v0
	ds_bpermute_b32 v41, v0, v4
	ds_bpermute_b32 v47, v0, v5
	;; [unrolled: 1-line block ×4, first 2 shown]
	v_cmp_gt_u32_e32 vcc, 64, v46
	s_waitcnt lgkmcnt(0)
	; wave barrier
	s_waitcnt lgkmcnt(0)
	s_and_saveexec_b64 s[66:67], vcc
	s_cbranch_execz .LBB205_100
; %bb.54:
	v_mov_b32_e32 v1, 0
	ds_read_b128 v[108:111], v1
	s_mov_b32 s7, 0
	v_cmp_eq_u32_e64 s[42:43], 0, v112
	s_and_saveexec_b64 s[4:5], s[42:43]
	s_cbranch_execz .LBB205_56
; %bb.55:
	s_add_i32 s6, s70, 64
	s_lshl_b64 s[8:9], s[6:7], 4
	s_add_u32 s8, s60, s8
	s_addc_u32 s9, s61, s9
	v_mov_b32_e32 v0, s6
	v_mov_b32_e32 v2, 1
	s_waitcnt lgkmcnt(0)
	global_store_dwordx4 v1, v[108:111], s[8:9]
	s_waitcnt vmcnt(0)
	buffer_wbinvl1_vol
	global_store_byte v0, v2, s[64:65]
.LBB205_56:
	s_or_b64 exec, exec, s[4:5]
	v_xad_u32 v118, v112, -1, s70
	v_add_u32_e32 v0, 64, v118
	global_load_ubyte v122, v0, s[64:65] glc
	s_waitcnt vmcnt(0)
	v_cmp_eq_u16_e32 vcc, 0, v122
	s_and_saveexec_b64 s[4:5], vcc
	s_cbranch_execz .LBB205_62
; %bb.57:
	v_mov_b32_e32 v3, s65
	v_add_co_u32_e32 v2, vcc, s64, v0
	v_addc_co_u32_e32 v3, vcc, 0, v3, vcc
	s_mov_b32 s8, 1
	s_mov_b64 s[6:7], 0
.LBB205_58:                             ; =>This Loop Header: Depth=1
                                        ;     Child Loop BB205_59 Depth 2
	s_max_u32 s9, s8, 1
.LBB205_59:                             ;   Parent Loop BB205_58 Depth=1
                                        ; =>  This Inner Loop Header: Depth=2
	s_add_i32 s9, s9, -1
	s_cmp_eq_u32 s9, 0
	s_sleep 1
	s_cbranch_scc0 .LBB205_59
; %bb.60:                               ;   in Loop: Header=BB205_58 Depth=1
	global_load_ubyte v122, v[2:3], off glc
	s_cmp_lt_u32 s8, 32
	s_cselect_b64 s[10:11], -1, 0
	s_cmp_lg_u64 s[10:11], 0
	s_addc_u32 s8, s8, 0
	s_waitcnt vmcnt(0)
	v_cmp_ne_u16_e32 vcc, 0, v122
	s_or_b64 s[6:7], vcc, s[6:7]
	s_andn2_b64 exec, exec, s[6:7]
	s_cbranch_execnz .LBB205_58
; %bb.61:
	s_or_b64 exec, exec, s[6:7]
.LBB205_62:
	s_or_b64 exec, exec, s[4:5]
	v_mov_b32_e32 v2, s63
	v_mov_b32_e32 v3, s61
	v_cmp_eq_u16_e32 vcc, 1, v122
	v_cndmask_b32_e32 v2, v2, v3, vcc
	v_mov_b32_e32 v3, s62
	v_mov_b32_e32 v4, s60
	v_cndmask_b32_e32 v3, v3, v4, vcc
	v_lshlrev_b64 v[0:1], 4, v[0:1]
	v_add_co_u32_e32 v0, vcc, v3, v0
	v_addc_co_u32_e32 v1, vcc, v2, v1, vcc
	s_waitcnt lgkmcnt(0)
	buffer_wbinvl1_vol
	global_load_dwordx4 v[4:7], v[0:1], off
	v_cmp_eq_u16_e32 vcc, 2, v122
	v_lshlrev_b64 v[120:121], v112, -1
	v_and_b32_e32 v123, 63, v112
	v_and_b32_e32 v0, vcc_hi, v121
	v_and_b32_e32 v8, vcc_lo, v120
	v_cmp_ne_u32_e32 vcc, 63, v123
	v_addc_co_u32_e32 v1, vcc, 0, v112, vcc
	v_or_b32_e32 v0, 0x80000000, v0
	v_lshlrev_b32_e32 v124, 2, v1
	v_ffbl_b32_e32 v9, v0
	v_add_u32_e32 v9, 32, v9
	v_ffbl_b32_e32 v8, v8
	v_min_u32_e32 v113, v8, v9
	v_cmp_lt_u32_e32 vcc, v123, v113
	s_waitcnt vmcnt(0)
	ds_bpermute_b32 v0, v124, v4
	ds_bpermute_b32 v1, v124, v5
	;; [unrolled: 1-line block ×4, first 2 shown]
	s_and_saveexec_b64 s[68:69], vcc
	s_cbranch_execz .LBB205_64
; %bb.63:
	s_getpc_b64 s[4:5]
	s_add_u32 s4, s4, _ZZZZN2at6native31launch_logcumsumexp_cuda_kernelERKNS_10TensorBaseES3_lENKUlvE_clEvENKUlvE1_clEvENKUlN3c107complexIdEES8_E_clES8_S8_@rel32@lo+4
	s_addc_u32 s5, s5, _ZZZZN2at6native31launch_logcumsumexp_cuda_kernelERKNS_10TensorBaseES3_lENKUlvE_clEvENKUlvE1_clEvENKUlN3c107complexIdEES8_E_clES8_S8_@rel32@hi+12
	s_swappc_b64 s[30:31], s[4:5]
	v_mov_b32_e32 v4, v0
	v_mov_b32_e32 v5, v1
	v_mov_b32_e32 v6, v2
	v_mov_b32_e32 v7, v3
.LBB205_64:
	s_or_b64 exec, exec, s[68:69]
	v_cmp_gt_u32_e32 vcc, 62, v123
	s_waitcnt lgkmcnt(3)
	v_cndmask_b32_e64 v0, 0, 1, vcc
	v_lshlrev_b32_e32 v0, 1, v0
	v_add_lshl_u32 v125, v0, v112, 2
	ds_bpermute_b32 v0, v125, v4
	s_waitcnt lgkmcnt(3)
	ds_bpermute_b32 v1, v125, v5
	s_waitcnt lgkmcnt(3)
	ds_bpermute_b32 v2, v125, v6
	s_waitcnt lgkmcnt(3)
	ds_bpermute_b32 v3, v125, v7
	v_add_u32_e32 v126, 2, v123
	v_cmp_le_u32_e32 vcc, v126, v113
	s_and_saveexec_b64 s[68:69], vcc
	s_cbranch_execz .LBB205_66
; %bb.65:
	s_getpc_b64 s[4:5]
	s_add_u32 s4, s4, _ZZZZN2at6native31launch_logcumsumexp_cuda_kernelERKNS_10TensorBaseES3_lENKUlvE_clEvENKUlvE1_clEvENKUlN3c107complexIdEES8_E_clES8_S8_@rel32@lo+4
	s_addc_u32 s5, s5, _ZZZZN2at6native31launch_logcumsumexp_cuda_kernelERKNS_10TensorBaseES3_lENKUlvE_clEvENKUlvE1_clEvENKUlN3c107complexIdEES8_E_clES8_S8_@rel32@hi+12
	s_swappc_b64 s[30:31], s[4:5]
	v_mov_b32_e32 v4, v0
	v_mov_b32_e32 v5, v1
	v_mov_b32_e32 v6, v2
	v_mov_b32_e32 v7, v3
.LBB205_66:
	s_or_b64 exec, exec, s[68:69]
	v_cmp_gt_u32_e32 vcc, 60, v123
	s_waitcnt lgkmcnt(3)
	v_cndmask_b32_e64 v0, 0, 1, vcc
	v_lshlrev_b32_e32 v0, 2, v0
	v_add_lshl_u32 v127, v0, v112, 2
	ds_bpermute_b32 v0, v127, v4
	s_waitcnt lgkmcnt(3)
	ds_bpermute_b32 v1, v127, v5
	s_waitcnt lgkmcnt(3)
	ds_bpermute_b32 v2, v127, v6
	s_waitcnt lgkmcnt(3)
	ds_bpermute_b32 v3, v127, v7
	v_add_u32_e32 v128, 4, v123
	v_cmp_le_u32_e32 vcc, v128, v113
	;; [unrolled: 27-line block ×5, first 2 shown]
	s_and_saveexec_b64 s[68:69], vcc
	s_cbranch_execz .LBB205_74
; %bb.73:
	s_getpc_b64 s[4:5]
	s_add_u32 s4, s4, _ZZZZN2at6native31launch_logcumsumexp_cuda_kernelERKNS_10TensorBaseES3_lENKUlvE_clEvENKUlvE1_clEvENKUlN3c107complexIdEES8_E_clES8_S8_@rel32@lo+4
	s_addc_u32 s5, s5, _ZZZZN2at6native31launch_logcumsumexp_cuda_kernelERKNS_10TensorBaseES3_lENKUlvE_clEvENKUlvE1_clEvENKUlN3c107complexIdEES8_E_clES8_S8_@rel32@hi+12
	s_swappc_b64 s[30:31], s[4:5]
	v_mov_b32_e32 v4, v0
	v_mov_b32_e32 v5, v1
	;; [unrolled: 1-line block ×4, first 2 shown]
.LBB205_74:
	s_or_b64 exec, exec, s[68:69]
	v_mov_b32_e32 v119, 0
	v_mov_b32_e32 v135, 2
	s_branch .LBB205_76
.LBB205_75:                             ;   in Loop: Header=BB205_76 Depth=1
	s_or_b64 exec, exec, s[68:69]
	s_waitcnt lgkmcnt(3)
	v_mov_b32_e32 v0, v4
	s_waitcnt lgkmcnt(2)
	v_mov_b32_e32 v1, v5
	;; [unrolled: 2-line block ×4, first 2 shown]
	v_mov_b32_e32 v4, v112
	v_mov_b32_e32 v5, v113
	;; [unrolled: 1-line block ×4, first 2 shown]
	v_subrev_u32_e32 v118, 64, v118
	s_getpc_b64 s[4:5]
	s_add_u32 s4, s4, _ZZZZN2at6native31launch_logcumsumexp_cuda_kernelERKNS_10TensorBaseES3_lENKUlvE_clEvENKUlvE1_clEvENKUlN3c107complexIdEES8_E_clES8_S8_@rel32@lo+4
	s_addc_u32 s5, s5, _ZZZZN2at6native31launch_logcumsumexp_cuda_kernelERKNS_10TensorBaseES3_lENKUlvE_clEvENKUlvE1_clEvENKUlN3c107complexIdEES8_E_clES8_S8_@rel32@hi+12
	s_swappc_b64 s[30:31], s[4:5]
	v_mov_b32_e32 v4, v0
	v_mov_b32_e32 v5, v1
	;; [unrolled: 1-line block ×4, first 2 shown]
.LBB205_76:                             ; =>This Loop Header: Depth=1
                                        ;     Child Loop BB205_79 Depth 2
                                        ;       Child Loop BB205_80 Depth 3
	v_cmp_ne_u16_sdwa s[4:5], v122, v135 src0_sel:BYTE_0 src1_sel:DWORD
	s_waitcnt lgkmcnt(3)
	v_cndmask_b32_e64 v0, 0, 1, s[4:5]
	;;#ASMSTART
	;;#ASMEND
	v_cmp_ne_u32_e32 vcc, 0, v0
	v_pk_mov_b32 v[114:115], v[6:7], v[6:7] op_sel:[0,1]
	s_cmp_lg_u64 vcc, exec
	v_pk_mov_b32 v[112:113], v[4:5], v[4:5] op_sel:[0,1]
	s_cbranch_scc1 .LBB205_95
; %bb.77:                               ;   in Loop: Header=BB205_76 Depth=1
	global_load_ubyte v122, v118, s[64:65] glc
	s_waitcnt vmcnt(0)
	v_cmp_eq_u16_e32 vcc, 0, v122
	s_and_saveexec_b64 s[4:5], vcc
	s_cbranch_execz .LBB205_83
; %bb.78:                               ;   in Loop: Header=BB205_76 Depth=1
	s_waitcnt lgkmcnt(2)
	v_mov_b32_e32 v1, s65
	v_add_co_u32_e32 v0, vcc, s64, v118
	v_addc_co_u32_e32 v1, vcc, 0, v1, vcc
	s_mov_b32 s8, 1
	s_mov_b64 s[6:7], 0
.LBB205_79:                             ;   Parent Loop BB205_76 Depth=1
                                        ; =>  This Loop Header: Depth=2
                                        ;       Child Loop BB205_80 Depth 3
	s_max_u32 s9, s8, 1
.LBB205_80:                             ;   Parent Loop BB205_76 Depth=1
                                        ;     Parent Loop BB205_79 Depth=2
                                        ; =>    This Inner Loop Header: Depth=3
	s_add_i32 s9, s9, -1
	s_cmp_eq_u32 s9, 0
	s_sleep 1
	s_cbranch_scc0 .LBB205_80
; %bb.81:                               ;   in Loop: Header=BB205_79 Depth=2
	global_load_ubyte v122, v[0:1], off glc
	s_cmp_lt_u32 s8, 32
	s_cselect_b64 s[10:11], -1, 0
	s_cmp_lg_u64 s[10:11], 0
	s_addc_u32 s8, s8, 0
	s_waitcnt vmcnt(0)
	v_cmp_ne_u16_e32 vcc, 0, v122
	s_or_b64 s[6:7], vcc, s[6:7]
	s_andn2_b64 exec, exec, s[6:7]
	s_cbranch_execnz .LBB205_79
; %bb.82:                               ;   in Loop: Header=BB205_76 Depth=1
	s_or_b64 exec, exec, s[6:7]
.LBB205_83:                             ;   in Loop: Header=BB205_76 Depth=1
	s_or_b64 exec, exec, s[4:5]
	v_mov_b32_e32 v0, s63
	s_waitcnt lgkmcnt(2)
	v_mov_b32_e32 v1, s61
	v_cmp_eq_u16_e32 vcc, 1, v122
	s_waitcnt lgkmcnt(1)
	v_cndmask_b32_e32 v2, v0, v1, vcc
	v_mov_b32_e32 v0, s62
	v_mov_b32_e32 v1, s60
	s_waitcnt lgkmcnt(0)
	v_cndmask_b32_e32 v3, v0, v1, vcc
	v_lshlrev_b64 v[0:1], 4, v[118:119]
	v_add_co_u32_e32 v0, vcc, v3, v0
	v_addc_co_u32_e32 v1, vcc, v2, v1, vcc
	buffer_wbinvl1_vol
	global_load_dwordx4 v[4:7], v[0:1], off
	v_cmp_eq_u16_e32 vcc, 2, v122
	v_and_b32_e32 v0, vcc_hi, v121
	v_or_b32_e32 v0, 0x80000000, v0
	v_ffbl_b32_e32 v9, v0
	v_and_b32_e32 v8, vcc_lo, v120
	v_add_u32_e32 v9, 32, v9
	v_ffbl_b32_e32 v8, v8
	v_min_u32_e32 v136, v8, v9
	v_cmp_lt_u32_e32 vcc, v123, v136
	s_waitcnt vmcnt(0)
	ds_bpermute_b32 v0, v124, v4
	ds_bpermute_b32 v1, v124, v5
	;; [unrolled: 1-line block ×4, first 2 shown]
	s_and_saveexec_b64 s[68:69], vcc
	s_cbranch_execz .LBB205_85
; %bb.84:                               ;   in Loop: Header=BB205_76 Depth=1
	s_getpc_b64 s[4:5]
	s_add_u32 s4, s4, _ZZZZN2at6native31launch_logcumsumexp_cuda_kernelERKNS_10TensorBaseES3_lENKUlvE_clEvENKUlvE1_clEvENKUlN3c107complexIdEES8_E_clES8_S8_@rel32@lo+4
	s_addc_u32 s5, s5, _ZZZZN2at6native31launch_logcumsumexp_cuda_kernelERKNS_10TensorBaseES3_lENKUlvE_clEvENKUlvE1_clEvENKUlN3c107complexIdEES8_E_clES8_S8_@rel32@hi+12
	s_swappc_b64 s[30:31], s[4:5]
	v_mov_b32_e32 v4, v0
	v_mov_b32_e32 v5, v1
	v_mov_b32_e32 v6, v2
	v_mov_b32_e32 v7, v3
.LBB205_85:                             ;   in Loop: Header=BB205_76 Depth=1
	s_or_b64 exec, exec, s[68:69]
	s_waitcnt lgkmcnt(3)
	ds_bpermute_b32 v0, v125, v4
	s_waitcnt lgkmcnt(3)
	ds_bpermute_b32 v1, v125, v5
	s_waitcnt lgkmcnt(3)
	ds_bpermute_b32 v2, v125, v6
	s_waitcnt lgkmcnt(3)
	ds_bpermute_b32 v3, v125, v7
	v_cmp_le_u32_e32 vcc, v126, v136
	s_and_saveexec_b64 s[68:69], vcc
	s_cbranch_execz .LBB205_87
; %bb.86:                               ;   in Loop: Header=BB205_76 Depth=1
	s_getpc_b64 s[4:5]
	s_add_u32 s4, s4, _ZZZZN2at6native31launch_logcumsumexp_cuda_kernelERKNS_10TensorBaseES3_lENKUlvE_clEvENKUlvE1_clEvENKUlN3c107complexIdEES8_E_clES8_S8_@rel32@lo+4
	s_addc_u32 s5, s5, _ZZZZN2at6native31launch_logcumsumexp_cuda_kernelERKNS_10TensorBaseES3_lENKUlvE_clEvENKUlvE1_clEvENKUlN3c107complexIdEES8_E_clES8_S8_@rel32@hi+12
	s_swappc_b64 s[30:31], s[4:5]
	v_mov_b32_e32 v4, v0
	v_mov_b32_e32 v5, v1
	v_mov_b32_e32 v6, v2
	v_mov_b32_e32 v7, v3
.LBB205_87:                             ;   in Loop: Header=BB205_76 Depth=1
	s_or_b64 exec, exec, s[68:69]
	s_waitcnt lgkmcnt(3)
	ds_bpermute_b32 v0, v127, v4
	s_waitcnt lgkmcnt(3)
	ds_bpermute_b32 v1, v127, v5
	s_waitcnt lgkmcnt(3)
	ds_bpermute_b32 v2, v127, v6
	s_waitcnt lgkmcnt(3)
	ds_bpermute_b32 v3, v127, v7
	v_cmp_le_u32_e32 vcc, v128, v136
	;; [unrolled: 22-line block ×5, first 2 shown]
	s_and_saveexec_b64 s[68:69], vcc
	s_cbranch_execz .LBB205_75
; %bb.94:                               ;   in Loop: Header=BB205_76 Depth=1
	s_getpc_b64 s[4:5]
	s_add_u32 s4, s4, _ZZZZN2at6native31launch_logcumsumexp_cuda_kernelERKNS_10TensorBaseES3_lENKUlvE_clEvENKUlvE1_clEvENKUlN3c107complexIdEES8_E_clES8_S8_@rel32@lo+4
	s_addc_u32 s5, s5, _ZZZZN2at6native31launch_logcumsumexp_cuda_kernelERKNS_10TensorBaseES3_lENKUlvE_clEvENKUlvE1_clEvENKUlN3c107complexIdEES8_E_clES8_S8_@rel32@hi+12
	s_swappc_b64 s[30:31], s[4:5]
	v_mov_b32_e32 v4, v0
	v_mov_b32_e32 v5, v1
	;; [unrolled: 1-line block ×4, first 2 shown]
	s_branch .LBB205_75
.LBB205_95:                             ;   in Loop: Header=BB205_76 Depth=1
                                        ; implicit-def: $vgpr6_vgpr7
                                        ; implicit-def: $vgpr122
	s_cbranch_execz .LBB205_76
; %bb.96:
	s_and_saveexec_b64 s[60:61], s[42:43]
	s_cbranch_execz .LBB205_98
; %bb.97:
	v_mov_b32_e32 v0, v112
	s_waitcnt lgkmcnt(2)
	v_mov_b32_e32 v1, v113
	s_waitcnt lgkmcnt(1)
	;; [unrolled: 2-line block ×3, first 2 shown]
	v_mov_b32_e32 v3, v115
	v_mov_b32_e32 v4, v108
	;; [unrolled: 1-line block ×5, first 2 shown]
	s_getpc_b64 s[4:5]
	s_add_u32 s4, s4, _ZZZZN2at6native31launch_logcumsumexp_cuda_kernelERKNS_10TensorBaseES3_lENKUlvE_clEvENKUlvE1_clEvENKUlN3c107complexIdEES8_E_clES8_S8_@rel32@lo+4
	s_addc_u32 s5, s5, _ZZZZN2at6native31launch_logcumsumexp_cuda_kernelERKNS_10TensorBaseES3_lENKUlvE_clEvENKUlvE1_clEvENKUlN3c107complexIdEES8_E_clES8_S8_@rel32@hi+12
	s_swappc_b64 s[30:31], s[4:5]
	s_add_i32 s4, s70, 64
	s_mov_b32 s5, 0
	s_lshl_b64 s[6:7], s[4:5], 4
	s_add_u32 s6, s62, s6
	s_addc_u32 s7, s63, s7
	v_mov_b32_e32 v4, 0
	global_store_dwordx4 v4, v[0:3], s[6:7]
	s_waitcnt vmcnt(0)
	buffer_wbinvl1_vol
	v_mov_b32_e32 v0, s4
	v_mov_b32_e32 v1, 2
	global_store_byte v0, v1, s[64:65]
.LBB205_98:
	s_or_b64 exec, exec, s[60:61]
	s_and_b64 exec, exec, s[40:41]
	s_cbranch_execz .LBB205_100
; %bb.99:
	v_mov_b32_e32 v0, 0
	ds_write_b128 v0, v[112:115]
.LBB205_100:
	s_or_b64 exec, exec, s[66:67]
	v_mov_b32_e32 v0, 0
	s_waitcnt lgkmcnt(0)
	; wave barrier
	s_waitcnt lgkmcnt(0)
	ds_read_b128 v[108:111], v0
	v_pk_mov_b32 v[6:7], v[44:45], v[44:45] op_sel:[0,1]
	v_pk_mov_b32 v[4:5], v[42:43], v[42:43] op_sel:[0,1]
	s_and_saveexec_b64 s[42:43], s[38:39]
	s_cbranch_execz .LBB205_102
; %bb.101:
	v_mov_b32_e32 v0, v41
	v_mov_b32_e32 v1, v47
	;; [unrolled: 1-line block ×8, first 2 shown]
	s_getpc_b64 s[4:5]
	s_add_u32 s4, s4, _ZZZZN2at6native31launch_logcumsumexp_cuda_kernelERKNS_10TensorBaseES3_lENKUlvE_clEvENKUlvE1_clEvENKUlN3c107complexIdEES8_E_clES8_S8_@rel32@lo+4
	s_addc_u32 s5, s5, _ZZZZN2at6native31launch_logcumsumexp_cuda_kernelERKNS_10TensorBaseES3_lENKUlvE_clEvENKUlvE1_clEvENKUlN3c107complexIdEES8_E_clES8_S8_@rel32@hi+12
	s_swappc_b64 s[30:31], s[4:5]
	v_mov_b32_e32 v4, v0
	v_mov_b32_e32 v5, v1
	v_mov_b32_e32 v6, v2
	v_mov_b32_e32 v7, v3
.LBB205_102:
	s_or_b64 exec, exec, s[42:43]
	s_waitcnt lgkmcnt(0)
	v_mov_b32_e32 v0, v108
	v_mov_b32_e32 v1, v109
	;; [unrolled: 1-line block ×4, first 2 shown]
	s_getpc_b64 s[42:43]
	s_add_u32 s42, s42, _ZZZZN2at6native31launch_logcumsumexp_cuda_kernelERKNS_10TensorBaseES3_lENKUlvE_clEvENKUlvE1_clEvENKUlN3c107complexIdEES8_E_clES8_S8_@rel32@lo+4
	s_addc_u32 s43, s43, _ZZZZN2at6native31launch_logcumsumexp_cuda_kernelERKNS_10TensorBaseES3_lENKUlvE_clEvENKUlvE1_clEvENKUlN3c107complexIdEES8_E_clES8_S8_@rel32@hi+12
	s_swappc_b64 s[30:31], s[42:43]
	v_mov_b32_e32 v4, v104
	v_mov_b32_e32 v5, v105
	v_mov_b32_e32 v6, v106
	v_mov_b32_e32 v7, v107
	v_mov_b32_e32 v164, v0
	v_mov_b32_e32 v165, v1
	v_mov_b32_e32 v166, v2
	v_mov_b32_e32 v167, v3
	s_swappc_b64 s[30:31], s[42:43]
	v_mov_b32_e32 v4, v100
	v_mov_b32_e32 v5, v101
	v_mov_b32_e32 v6, v102
	v_mov_b32_e32 v7, v103
	v_mov_b32_e32 v108, v0
	v_mov_b32_e32 v109, v1
	v_mov_b32_e32 v110, v2
	v_mov_b32_e32 v111, v3
	;; [unrolled: 9-line block ×14, first 2 shown]
	s_swappc_b64 s[30:31], s[42:43]
	v_mov_b32_e32 v160, v0
	v_mov_b32_e32 v161, v1
	;; [unrolled: 1-line block ×4, first 2 shown]
	s_branch .LBB205_125
.LBB205_103:
                                        ; implicit-def: $vgpr164_vgpr165
                                        ; implicit-def: $vgpr108_vgpr109
                                        ; implicit-def: $vgpr112_vgpr113
                                        ; implicit-def: $vgpr116_vgpr117
                                        ; implicit-def: $vgpr120_vgpr121
                                        ; implicit-def: $vgpr124_vgpr125
                                        ; implicit-def: $vgpr128_vgpr129
                                        ; implicit-def: $vgpr132_vgpr133
                                        ; implicit-def: $vgpr136_vgpr137
                                        ; implicit-def: $vgpr140_vgpr141
                                        ; implicit-def: $vgpr144_vgpr145
                                        ; implicit-def: $vgpr148_vgpr149
                                        ; implicit-def: $vgpr152_vgpr153
                                        ; implicit-def: $vgpr156_vgpr157
                                        ; implicit-def: $vgpr160_vgpr161
	s_cbranch_execz .LBB205_125
; %bb.104:
	s_cmp_lg_u64 s[48:49], 0
	s_cselect_b64 s[4:5], -1, 0
	s_and_b64 s[4:5], s[40:41], s[4:5]
	s_and_saveexec_b64 s[40:41], s[4:5]
	s_cbranch_execz .LBB205_106
; %bb.105:
	v_mov_b32_e32 v0, 0
	global_load_dwordx4 v[0:3], v0, s[44:45]
	v_mov_b32_e32 v4, v42
	v_mov_b32_e32 v5, v43
	;; [unrolled: 1-line block ×4, first 2 shown]
	s_getpc_b64 s[4:5]
	s_add_u32 s4, s4, _ZZZZN2at6native31launch_logcumsumexp_cuda_kernelERKNS_10TensorBaseES3_lENKUlvE_clEvENKUlvE1_clEvENKUlN3c107complexIdEES8_E_clES8_S8_@rel32@lo+4
	s_addc_u32 s5, s5, _ZZZZN2at6native31launch_logcumsumexp_cuda_kernelERKNS_10TensorBaseES3_lENKUlvE_clEvENKUlvE1_clEvENKUlN3c107complexIdEES8_E_clES8_S8_@rel32@hi+12
	s_swappc_b64 s[30:31], s[4:5]
	v_mov_b32_e32 v42, v0
	v_mov_b32_e32 v43, v1
	;; [unrolled: 1-line block ×4, first 2 shown]
.LBB205_106:
	s_or_b64 exec, exec, s[40:41]
	v_mov_b32_e32 v0, v42
	v_mov_b32_e32 v1, v43
	;; [unrolled: 1-line block ×8, first 2 shown]
	s_getpc_b64 s[40:41]
	s_add_u32 s40, s40, _ZZZZN2at6native31launch_logcumsumexp_cuda_kernelERKNS_10TensorBaseES3_lENKUlvE_clEvENKUlvE1_clEvENKUlN3c107complexIdEES8_E_clES8_S8_@rel32@lo+4
	s_addc_u32 s41, s41, _ZZZZN2at6native31launch_logcumsumexp_cuda_kernelERKNS_10TensorBaseES3_lENKUlvE_clEvENKUlvE1_clEvENKUlN3c107complexIdEES8_E_clES8_S8_@rel32@hi+12
	s_swappc_b64 s[30:31], s[40:41]
	v_mov_b32_e32 v4, v100
	v_mov_b32_e32 v5, v101
	v_mov_b32_e32 v6, v102
	v_mov_b32_e32 v7, v103
	v_mov_b32_e32 v108, v0
	v_mov_b32_e32 v109, v1
	v_mov_b32_e32 v110, v2
	v_mov_b32_e32 v111, v3
	s_swappc_b64 s[30:31], s[40:41]
	v_mov_b32_e32 v4, v96
	v_mov_b32_e32 v5, v97
	v_mov_b32_e32 v6, v98
	v_mov_b32_e32 v7, v99
	v_mov_b32_e32 v112, v0
	v_mov_b32_e32 v113, v1
	v_mov_b32_e32 v114, v2
	v_mov_b32_e32 v115, v3
	;; [unrolled: 9-line block ×13, first 2 shown]
	s_swappc_b64 s[30:31], s[40:41]
	v_mov_b32_e32 v160, v0
	v_mbcnt_lo_u32_b32 v0, -1, 0
	v_mbcnt_hi_u32_b32 v41, -1, v0
	v_mov_b32_e32 v161, v1
	v_mov_b32_e32 v162, v2
	;; [unrolled: 1-line block ×3, first 2 shown]
	v_and_b32_e32 v47, 15, v41
	v_mov_b32_dpp v8, v160 row_shr:1 row_mask:0xf bank_mask:0xf
	v_mov_b32_dpp v9, v161 row_shr:1 row_mask:0xf bank_mask:0xf
	;; [unrolled: 1-line block ×4, first 2 shown]
	v_cmp_ne_u32_e32 vcc, 0, v47
	v_pk_mov_b32 v[4:5], v[160:161], v[160:161] op_sel:[0,1]
	v_pk_mov_b32 v[6:7], v[162:163], v[162:163] op_sel:[0,1]
	v_mov_b32_e32 v0, v160
	s_and_saveexec_b64 s[42:43], vcc
	s_cbranch_execz .LBB205_108
; %bb.107:
	v_mov_b32_e32 v0, v8
	v_mov_b32_e32 v1, v9
	;; [unrolled: 1-line block ×8, first 2 shown]
	s_swappc_b64 s[30:31], s[40:41]
	v_mov_b32_e32 v4, v0
	v_mov_b32_e32 v5, v1
	;; [unrolled: 1-line block ×4, first 2 shown]
.LBB205_108:
	s_or_b64 exec, exec, s[42:43]
	v_mov_b32_dpp v8, v0 row_shr:2 row_mask:0xf bank_mask:0xf
	v_mov_b32_dpp v9, v1 row_shr:2 row_mask:0xf bank_mask:0xf
	v_mov_b32_dpp v10, v2 row_shr:2 row_mask:0xf bank_mask:0xf
	v_mov_b32_dpp v11, v3 row_shr:2 row_mask:0xf bank_mask:0xf
	v_cmp_lt_u32_e32 vcc, 1, v47
	s_and_saveexec_b64 s[40:41], vcc
	s_cbranch_execz .LBB205_110
; %bb.109:
	v_mov_b32_e32 v0, v8
	v_mov_b32_e32 v1, v9
	v_mov_b32_e32 v2, v10
	v_mov_b32_e32 v3, v11
	s_getpc_b64 s[4:5]
	s_add_u32 s4, s4, _ZZZZN2at6native31launch_logcumsumexp_cuda_kernelERKNS_10TensorBaseES3_lENKUlvE_clEvENKUlvE1_clEvENKUlN3c107complexIdEES8_E_clES8_S8_@rel32@lo+4
	s_addc_u32 s5, s5, _ZZZZN2at6native31launch_logcumsumexp_cuda_kernelERKNS_10TensorBaseES3_lENKUlvE_clEvENKUlvE1_clEvENKUlN3c107complexIdEES8_E_clES8_S8_@rel32@hi+12
	s_swappc_b64 s[30:31], s[4:5]
	v_pk_mov_b32 v[6:7], v[2:3], v[2:3] op_sel:[0,1]
	v_pk_mov_b32 v[4:5], v[0:1], v[0:1] op_sel:[0,1]
.LBB205_110:
	s_or_b64 exec, exec, s[40:41]
	v_mov_b32_dpp v8, v0 row_shr:4 row_mask:0xf bank_mask:0xf
	v_mov_b32_dpp v9, v1 row_shr:4 row_mask:0xf bank_mask:0xf
	v_mov_b32_dpp v10, v2 row_shr:4 row_mask:0xf bank_mask:0xf
	v_mov_b32_dpp v11, v3 row_shr:4 row_mask:0xf bank_mask:0xf
	v_cmp_lt_u32_e32 vcc, 3, v47
	s_and_saveexec_b64 s[40:41], vcc
	s_cbranch_execz .LBB205_112
; %bb.111:
	v_mov_b32_e32 v0, v8
	v_mov_b32_e32 v1, v9
	v_mov_b32_e32 v2, v10
	v_mov_b32_e32 v3, v11
	s_getpc_b64 s[4:5]
	s_add_u32 s4, s4, _ZZZZN2at6native31launch_logcumsumexp_cuda_kernelERKNS_10TensorBaseES3_lENKUlvE_clEvENKUlvE1_clEvENKUlN3c107complexIdEES8_E_clES8_S8_@rel32@lo+4
	s_addc_u32 s5, s5, _ZZZZN2at6native31launch_logcumsumexp_cuda_kernelERKNS_10TensorBaseES3_lENKUlvE_clEvENKUlvE1_clEvENKUlN3c107complexIdEES8_E_clES8_S8_@rel32@hi+12
	s_swappc_b64 s[30:31], s[4:5]
	v_pk_mov_b32 v[6:7], v[2:3], v[2:3] op_sel:[0,1]
	v_pk_mov_b32 v[4:5], v[0:1], v[0:1] op_sel:[0,1]
.LBB205_112:
	;; [unrolled: 20-line block ×3, first 2 shown]
	s_or_b64 exec, exec, s[40:41]
	v_and_b32_e32 v12, 16, v41
	v_mov_b32_dpp v8, v0 row_bcast:15 row_mask:0xf bank_mask:0xf
	v_mov_b32_dpp v9, v1 row_bcast:15 row_mask:0xf bank_mask:0xf
	;; [unrolled: 1-line block ×4, first 2 shown]
	v_cmp_ne_u32_e32 vcc, 0, v12
	s_and_saveexec_b64 s[40:41], vcc
	s_cbranch_execz .LBB205_116
; %bb.115:
	v_mov_b32_e32 v0, v8
	v_mov_b32_e32 v1, v9
	;; [unrolled: 1-line block ×4, first 2 shown]
	s_getpc_b64 s[4:5]
	s_add_u32 s4, s4, _ZZZZN2at6native31launch_logcumsumexp_cuda_kernelERKNS_10TensorBaseES3_lENKUlvE_clEvENKUlvE1_clEvENKUlN3c107complexIdEES8_E_clES8_S8_@rel32@lo+4
	s_addc_u32 s5, s5, _ZZZZN2at6native31launch_logcumsumexp_cuda_kernelERKNS_10TensorBaseES3_lENKUlvE_clEvENKUlvE1_clEvENKUlN3c107complexIdEES8_E_clES8_S8_@rel32@hi+12
	s_swappc_b64 s[30:31], s[4:5]
	v_mov_b32_e32 v4, v0
	v_mov_b32_e32 v5, v1
	;; [unrolled: 1-line block ×4, first 2 shown]
.LBB205_116:
	s_or_b64 exec, exec, s[40:41]
	v_mov_b32_dpp v0, v0 row_bcast:31 row_mask:0xf bank_mask:0xf
	v_mov_b32_dpp v1, v1 row_bcast:31 row_mask:0xf bank_mask:0xf
	v_mov_b32_dpp v2, v2 row_bcast:31 row_mask:0xf bank_mask:0xf
	v_mov_b32_dpp v3, v3 row_bcast:31 row_mask:0xf bank_mask:0xf
	v_cmp_lt_u32_e32 vcc, 31, v41
	s_and_saveexec_b64 s[40:41], vcc
	s_cbranch_execz .LBB205_118
; %bb.117:
	s_getpc_b64 s[4:5]
	s_add_u32 s4, s4, _ZZZZN2at6native31launch_logcumsumexp_cuda_kernelERKNS_10TensorBaseES3_lENKUlvE_clEvENKUlvE1_clEvENKUlN3c107complexIdEES8_E_clES8_S8_@rel32@lo+4
	s_addc_u32 s5, s5, _ZZZZN2at6native31launch_logcumsumexp_cuda_kernelERKNS_10TensorBaseES3_lENKUlvE_clEvENKUlvE1_clEvENKUlN3c107complexIdEES8_E_clES8_S8_@rel32@hi+12
	s_swappc_b64 s[30:31], s[4:5]
	v_mov_b32_e32 v4, v0
	v_mov_b32_e32 v5, v1
	;; [unrolled: 1-line block ×4, first 2 shown]
.LBB205_118:
	s_or_b64 exec, exec, s[40:41]
	v_cmp_eq_u32_e64 s[40:41], 63, v46
	s_and_saveexec_b64 s[4:5], s[40:41]
	s_cbranch_execz .LBB205_120
; %bb.119:
	v_mov_b32_e32 v0, 0
	ds_write_b128 v0, v[4:7]
.LBB205_120:
	s_or_b64 exec, exec, s[4:5]
	v_add_u32_e32 v0, -1, v41
	v_and_b32_e32 v1, 64, v41
	v_cmp_lt_i32_e32 vcc, v0, v1
	v_cndmask_b32_e32 v0, v0, v41, vcc
	v_lshlrev_b32_e32 v3, 2, v0
	ds_bpermute_b32 v0, v3, v4
	ds_bpermute_b32 v1, v3, v5
	;; [unrolled: 1-line block ×4, first 2 shown]
	s_waitcnt lgkmcnt(0)
	; wave barrier
	s_waitcnt lgkmcnt(0)
	s_and_saveexec_b64 s[42:43], s[38:39]
	s_cbranch_execz .LBB205_122
; %bb.121:
	v_mov_b32_e32 v4, v42
	v_mov_b32_e32 v5, v43
	;; [unrolled: 1-line block ×4, first 2 shown]
	s_getpc_b64 s[38:39]
	s_add_u32 s38, s38, _ZZZZN2at6native31launch_logcumsumexp_cuda_kernelERKNS_10TensorBaseES3_lENKUlvE_clEvENKUlvE1_clEvENKUlN3c107complexIdEES8_E_clES8_S8_@rel32@lo+4
	s_addc_u32 s39, s39, _ZZZZN2at6native31launch_logcumsumexp_cuda_kernelERKNS_10TensorBaseES3_lENKUlvE_clEvENKUlvE1_clEvENKUlN3c107complexIdEES8_E_clES8_S8_@rel32@hi+12
	s_swappc_b64 s[30:31], s[38:39]
	v_mov_b32_e32 v4, v104
	v_mov_b32_e32 v5, v105
	v_mov_b32_e32 v6, v106
	v_mov_b32_e32 v7, v107
	v_mov_b32_e32 v42, v0
	v_mov_b32_e32 v43, v1
	v_mov_b32_e32 v44, v2
	v_mov_b32_e32 v45, v3
	;;#ASMSTART
	;;#ASMEND
	s_swappc_b64 s[30:31], s[38:39]
	v_mov_b32_e32 v4, v100
	v_mov_b32_e32 v5, v101
	v_mov_b32_e32 v6, v102
	v_mov_b32_e32 v7, v103
	v_mov_b32_e32 v108, v0
	v_mov_b32_e32 v109, v1
	v_mov_b32_e32 v110, v2
	v_mov_b32_e32 v111, v3
	s_swappc_b64 s[30:31], s[38:39]
	v_mov_b32_e32 v4, v96
	v_mov_b32_e32 v5, v97
	v_mov_b32_e32 v6, v98
	v_mov_b32_e32 v7, v99
	v_mov_b32_e32 v112, v0
	v_mov_b32_e32 v113, v1
	v_mov_b32_e32 v114, v2
	v_mov_b32_e32 v115, v3
	s_swappc_b64 s[30:31], s[38:39]
	v_mov_b32_e32 v4, v92
	v_mov_b32_e32 v5, v93
	v_mov_b32_e32 v6, v94
	v_mov_b32_e32 v7, v95
	v_mov_b32_e32 v116, v0
	v_mov_b32_e32 v117, v1
	v_mov_b32_e32 v118, v2
	v_mov_b32_e32 v119, v3
	s_swappc_b64 s[30:31], s[38:39]
	v_mov_b32_e32 v4, v88
	v_mov_b32_e32 v5, v89
	v_mov_b32_e32 v6, v90
	v_mov_b32_e32 v7, v91
	v_mov_b32_e32 v120, v0
	v_mov_b32_e32 v121, v1
	v_mov_b32_e32 v122, v2
	v_mov_b32_e32 v123, v3
	s_swappc_b64 s[30:31], s[38:39]
	v_mov_b32_e32 v4, v84
	v_mov_b32_e32 v5, v85
	v_mov_b32_e32 v6, v86
	v_mov_b32_e32 v7, v87
	v_mov_b32_e32 v124, v0
	v_mov_b32_e32 v125, v1
	v_mov_b32_e32 v126, v2
	v_mov_b32_e32 v127, v3
	s_swappc_b64 s[30:31], s[38:39]
	v_mov_b32_e32 v4, v80
	v_mov_b32_e32 v5, v81
	v_mov_b32_e32 v6, v82
	v_mov_b32_e32 v7, v83
	v_mov_b32_e32 v128, v0
	v_mov_b32_e32 v129, v1
	v_mov_b32_e32 v130, v2
	v_mov_b32_e32 v131, v3
	s_swappc_b64 s[30:31], s[38:39]
	v_mov_b32_e32 v4, v76
	v_mov_b32_e32 v5, v77
	v_mov_b32_e32 v6, v78
	v_mov_b32_e32 v7, v79
	v_mov_b32_e32 v132, v0
	v_mov_b32_e32 v133, v1
	v_mov_b32_e32 v134, v2
	v_mov_b32_e32 v135, v3
	s_swappc_b64 s[30:31], s[38:39]
	v_mov_b32_e32 v4, v72
	v_mov_b32_e32 v5, v73
	v_mov_b32_e32 v6, v74
	v_mov_b32_e32 v7, v75
	v_mov_b32_e32 v136, v0
	v_mov_b32_e32 v137, v1
	v_mov_b32_e32 v138, v2
	v_mov_b32_e32 v139, v3
	s_swappc_b64 s[30:31], s[38:39]
	v_mov_b32_e32 v4, v68
	v_mov_b32_e32 v5, v69
	v_mov_b32_e32 v6, v70
	v_mov_b32_e32 v7, v71
	v_mov_b32_e32 v140, v0
	v_mov_b32_e32 v141, v1
	v_mov_b32_e32 v142, v2
	v_mov_b32_e32 v143, v3
	s_swappc_b64 s[30:31], s[38:39]
	v_mov_b32_e32 v4, v64
	v_mov_b32_e32 v5, v65
	v_mov_b32_e32 v6, v66
	v_mov_b32_e32 v7, v67
	v_mov_b32_e32 v144, v0
	v_mov_b32_e32 v145, v1
	v_mov_b32_e32 v146, v2
	v_mov_b32_e32 v147, v3
	s_swappc_b64 s[30:31], s[38:39]
	v_mov_b32_e32 v4, v60
	v_mov_b32_e32 v5, v61
	v_mov_b32_e32 v6, v62
	v_mov_b32_e32 v7, v63
	v_mov_b32_e32 v148, v0
	v_mov_b32_e32 v149, v1
	v_mov_b32_e32 v150, v2
	v_mov_b32_e32 v151, v3
	s_swappc_b64 s[30:31], s[38:39]
	v_mov_b32_e32 v4, v56
	v_mov_b32_e32 v5, v57
	v_mov_b32_e32 v6, v58
	v_mov_b32_e32 v7, v59
	v_mov_b32_e32 v152, v0
	v_mov_b32_e32 v153, v1
	v_mov_b32_e32 v154, v2
	v_mov_b32_e32 v155, v3
	s_swappc_b64 s[30:31], s[38:39]
	v_mov_b32_e32 v4, v52
	v_mov_b32_e32 v5, v53
	v_mov_b32_e32 v6, v54
	v_mov_b32_e32 v7, v55
	v_mov_b32_e32 v156, v0
	v_mov_b32_e32 v157, v1
	v_mov_b32_e32 v158, v2
	v_mov_b32_e32 v159, v3
	s_swappc_b64 s[30:31], s[38:39]
	v_mov_b32_e32 v160, v0
	v_mov_b32_e32 v161, v1
	;; [unrolled: 1-line block ×4, first 2 shown]
.LBB205_122:
	s_or_b64 exec, exec, s[42:43]
	s_and_saveexec_b64 s[4:5], s[40:41]
	s_cbranch_execz .LBB205_124
; %bb.123:
	v_mov_b32_e32 v0, 0
	v_mov_b32_e32 v1, 2
	global_store_dwordx4 v0, v[160:163], s[62:63] offset:1024
	s_waitcnt vmcnt(0)
	buffer_wbinvl1_vol
	global_store_byte v0, v1, s[64:65] offset:64
.LBB205_124:
	s_or_b64 exec, exec, s[4:5]
	v_pk_mov_b32 v[164:165], v[42:43], v[42:43] op_sel:[0,1]
	v_pk_mov_b32 v[166:167], v[44:45], v[44:45] op_sel:[0,1]
.LBB205_125:
	s_add_u32 s4, s56, s54
	s_addc_u32 s5, s57, s55
	s_add_u32 s4, s4, s58
	s_addc_u32 s5, s5, s59
	s_mov_b64 s[6:7], -1
	s_and_b64 vcc, exec, s[52:53]
	s_waitcnt lgkmcnt(0)
	; wave barrier
	s_cbranch_vccz .LBB205_127
; %bb.126:
	v_mul_u32_u24_e32 v0, 0xf0, v46
	s_movk_i32 s6, 0xf0
	ds_write_b128 v0, v[164:167]
	ds_write_b128 v0, v[108:111] offset:16
	ds_write_b128 v0, v[112:115] offset:32
	;; [unrolled: 1-line block ×14, first 2 shown]
	v_mul_i32_i24_e32 v0, 0xffffff20, v46
	v_mad_u32_u24 v44, v46, s6, v0
	s_waitcnt lgkmcnt(0)
	; wave barrier
	s_waitcnt lgkmcnt(0)
	ds_read_b128 v[0:3], v44
	ds_read_b128 v[4:7], v44 offset:1024
	ds_read_b128 v[8:11], v44 offset:2048
	;; [unrolled: 1-line block ×14, first 2 shown]
	v_mov_b32_e32 v44, s5
	v_add_co_u32_e32 v45, vcc, s4, v168
	v_addc_co_u32_e32 v44, vcc, 0, v44, vcc
	s_movk_i32 s6, 0x1000
	s_waitcnt lgkmcnt(14)
	global_store_dwordx4 v168, v[0:3], s[4:5]
	s_waitcnt lgkmcnt(13)
	global_store_dwordx4 v168, v[4:7], s[4:5] offset:1024
	s_waitcnt lgkmcnt(12)
	global_store_dwordx4 v168, v[8:11], s[4:5] offset:2048
	s_waitcnt lgkmcnt(11)
	global_store_dwordx4 v168, v[12:15], s[4:5] offset:3072
	v_add_co_u32_e32 v0, vcc, s6, v45
	v_addc_co_u32_e32 v1, vcc, 0, v44, vcc
	s_waitcnt lgkmcnt(10)
	global_store_dwordx4 v[0:1], v[16:19], off
	s_waitcnt lgkmcnt(9)
	global_store_dwordx4 v[0:1], v[20:23], off offset:1024
	s_waitcnt lgkmcnt(8)
	global_store_dwordx4 v[0:1], v[24:27], off offset:2048
	;; [unrolled: 2-line block ×3, first 2 shown]
	v_add_co_u32_e32 v0, vcc, 0x2000, v45
	v_addc_co_u32_e32 v1, vcc, 0, v44, vcc
	s_waitcnt lgkmcnt(6)
	global_store_dwordx4 v[0:1], v[32:35], off
	s_waitcnt lgkmcnt(5)
	global_store_dwordx4 v[0:1], v[36:39], off offset:1024
	s_waitcnt lgkmcnt(4)
	global_store_dwordx4 v[0:1], v[40:43], off offset:2048
	;; [unrolled: 2-line block ×3, first 2 shown]
	v_add_co_u32_e32 v0, vcc, 0x3000, v45
	v_addc_co_u32_e32 v1, vcc, 0, v44, vcc
	s_waitcnt lgkmcnt(2)
	global_store_dwordx4 v[0:1], v[52:55], off
	s_waitcnt lgkmcnt(1)
	global_store_dwordx4 v[0:1], v[56:59], off offset:1024
	s_waitcnt lgkmcnt(0)
	global_store_dwordx4 v[0:1], v[60:63], off offset:2048
	s_mov_b64 s[6:7], 0
.LBB205_127:
	s_andn2_b64 vcc, exec, s[6:7]
	s_cbranch_vccnz .LBB205_213
; %bb.128:
	s_movk_i32 s6, 0xff20
	v_mad_i32_i24 v44, v46, s6, v170
	ds_write_b128 v170, v[164:167]
	ds_write_b128 v170, v[108:111] offset:16
	ds_write_b128 v170, v[112:115] offset:32
	;; [unrolled: 1-line block ×14, first 2 shown]
	s_waitcnt lgkmcnt(0)
	; wave barrier
	s_waitcnt lgkmcnt(0)
	ds_read_b128 v[8:11], v44
	ds_read_b128 v[0:3], v44 offset:1024
	ds_read_b128 v[4:7], v44 offset:2048
	;; [unrolled: 1-line block ×14, first 2 shown]
	v_mov_b32_e32 v45, s5
	v_add_co_u32_e32 v44, vcc, s4, v168
	v_addc_co_u32_e32 v45, vcc, 0, v45, vcc
	v_mov_b32_e32 v47, 0
	v_cmp_gt_u32_e32 vcc, s33, v46
	s_and_saveexec_b64 s[4:5], vcc
	s_cbranch_execz .LBB205_130
; %bb.129:
	s_waitcnt lgkmcnt(14)
	global_store_dwordx4 v[44:45], v[8:11], off
.LBB205_130:
	s_or_b64 exec, exec, s[4:5]
	v_or_b32_e32 v64, 64, v46
	v_cmp_gt_u32_e32 vcc, s33, v64
	s_and_saveexec_b64 s[4:5], vcc
	s_cbranch_execz .LBB205_132
; %bb.131:
	s_waitcnt lgkmcnt(13)
	global_store_dwordx4 v[44:45], v[0:3], off offset:1024
.LBB205_132:
	s_or_b64 exec, exec, s[4:5]
	v_or_b32_e32 v64, 0x80, v46
	v_cmp_gt_u32_e32 vcc, s33, v64
	s_and_saveexec_b64 s[4:5], vcc
	s_cbranch_execz .LBB205_134
; %bb.133:
	s_waitcnt lgkmcnt(12)
	global_store_dwordx4 v[44:45], v[4:7], off offset:2048
.LBB205_134:
	;; [unrolled: 9-line block ×3, first 2 shown]
	s_or_b64 exec, exec, s[4:5]
	v_or_b32_e32 v64, 0x100, v46
	v_cmp_gt_u32_e32 vcc, s33, v64
	s_and_saveexec_b64 s[4:5], vcc
	s_cbranch_execz .LBB205_138
; %bb.137:
	v_add_co_u32_e32 v64, vcc, 0x1000, v44
	v_addc_co_u32_e32 v65, vcc, 0, v45, vcc
	s_waitcnt lgkmcnt(10)
	global_store_dwordx4 v[64:65], v[12:15], off
.LBB205_138:
	s_or_b64 exec, exec, s[4:5]
	v_or_b32_e32 v64, 0x140, v46
	v_cmp_gt_u32_e32 vcc, s33, v64
	s_and_saveexec_b64 s[4:5], vcc
	s_cbranch_execz .LBB205_140
; %bb.139:
	v_add_co_u32_e32 v64, vcc, 0x1000, v44
	v_addc_co_u32_e32 v65, vcc, 0, v45, vcc
	s_waitcnt lgkmcnt(9)
	global_store_dwordx4 v[64:65], v[20:23], off offset:1024
.LBB205_140:
	s_or_b64 exec, exec, s[4:5]
	v_or_b32_e32 v64, 0x180, v46
	v_cmp_gt_u32_e32 vcc, s33, v64
	s_and_saveexec_b64 s[4:5], vcc
	s_cbranch_execz .LBB205_142
; %bb.141:
	v_add_co_u32_e32 v64, vcc, 0x1000, v44
	v_addc_co_u32_e32 v65, vcc, 0, v45, vcc
	s_waitcnt lgkmcnt(8)
	global_store_dwordx4 v[64:65], v[24:27], off offset:2048
.LBB205_142:
	;; [unrolled: 11-line block ×3, first 2 shown]
	s_or_b64 exec, exec, s[4:5]
	v_or_b32_e32 v64, 0x200, v46
	v_cmp_gt_u32_e32 vcc, s33, v64
	s_and_saveexec_b64 s[4:5], vcc
	s_cbranch_execz .LBB205_146
; %bb.145:
	v_add_co_u32_e32 v64, vcc, 0x2000, v44
	v_addc_co_u32_e32 v65, vcc, 0, v45, vcc
	s_waitcnt lgkmcnt(6)
	global_store_dwordx4 v[64:65], v[40:43], off
.LBB205_146:
	s_or_b64 exec, exec, s[4:5]
	v_or_b32_e32 v64, 0x240, v46
	v_cmp_gt_u32_e32 vcc, s33, v64
	s_and_saveexec_b64 s[4:5], vcc
	s_cbranch_execz .LBB205_148
; %bb.147:
	v_add_co_u32_e32 v64, vcc, 0x2000, v44
	v_addc_co_u32_e32 v65, vcc, 0, v45, vcc
	s_waitcnt lgkmcnt(5)
	global_store_dwordx4 v[64:65], v[36:39], off offset:1024
.LBB205_148:
	s_or_b64 exec, exec, s[4:5]
	v_or_b32_e32 v64, 0x280, v46
	v_cmp_gt_u32_e32 vcc, s33, v64
	s_and_saveexec_b64 s[4:5], vcc
	s_cbranch_execz .LBB205_150
; %bb.149:
	v_add_co_u32_e32 v64, vcc, 0x2000, v44
	v_addc_co_u32_e32 v65, vcc, 0, v45, vcc
	s_waitcnt lgkmcnt(4)
	global_store_dwordx4 v[64:65], v[48:51], off offset:2048
.LBB205_150:
	;; [unrolled: 11-line block ×3, first 2 shown]
	s_or_b64 exec, exec, s[4:5]
	v_or_b32_e32 v64, 0x300, v46
	v_cmp_gt_u32_e32 vcc, s33, v64
	s_and_saveexec_b64 s[4:5], vcc
	s_cbranch_execz .LBB205_154
; %bb.153:
	v_add_co_u32_e32 v64, vcc, 0x3000, v44
	v_addc_co_u32_e32 v65, vcc, 0, v45, vcc
	s_waitcnt lgkmcnt(2)
	global_store_dwordx4 v[64:65], v[52:55], off
.LBB205_154:
	s_or_b64 exec, exec, s[4:5]
	v_or_b32_e32 v64, 0x340, v46
	v_cmp_gt_u32_e32 vcc, s33, v64
	s_and_saveexec_b64 s[4:5], vcc
	s_cbranch_execz .LBB205_156
; %bb.155:
	v_add_co_u32_e32 v64, vcc, 0x3000, v44
	v_addc_co_u32_e32 v65, vcc, 0, v45, vcc
	s_waitcnt lgkmcnt(1)
	global_store_dwordx4 v[64:65], v[56:59], off offset:1024
.LBB205_156:
	s_or_b64 exec, exec, s[4:5]
	v_or_b32_e32 v64, 0x380, v46
	v_cmp_gt_u32_e32 vcc, s33, v64
	s_and_saveexec_b64 s[4:5], vcc
	s_cbranch_execz .LBB205_158
; %bb.157:
	v_add_co_u32_e32 v44, vcc, 0x3000, v44
	v_addc_co_u32_e32 v45, vcc, 0, v45, vcc
	s_waitcnt lgkmcnt(0)
	global_store_dwordx4 v[44:45], v[60:63], off offset:2048
.LBB205_158:
	s_or_b64 exec, exec, s[4:5]
	v_cmp_lt_u64_e64 s[4:5], s[50:51], 2
	s_and_b64 vcc, exec, s[4:5]
	s_cbranch_vccnz .LBB205_213
; %bb.159:
	s_add_u32 s4, s33, -1
	s_addc_u32 s5, s37, -1
	s_add_u32 s6, 0, 0x11108400
	s_addc_u32 s7, 0, 49
	s_add_i32 s7, s7, 0x111110e0
	s_mul_hi_u32 s11, s6, -15
	s_sub_i32 s11, s11, s6
	s_mul_i32 s12, s7, -15
	s_mul_i32 s8, s6, -15
	s_add_i32 s11, s11, s12
	s_mul_hi_u32 s9, s7, s8
	s_mul_i32 s10, s7, s8
	s_mul_i32 s13, s6, s11
	s_mul_hi_u32 s8, s6, s8
	s_mul_hi_u32 s12, s6, s11
	s_add_u32 s8, s8, s13
	s_addc_u32 s12, 0, s12
	s_add_u32 s8, s8, s10
	s_mul_hi_u32 s13, s7, s11
	s_addc_u32 s8, s12, s9
	s_addc_u32 s9, s13, 0
	s_mul_i32 s10, s7, s11
	s_add_u32 s8, s8, s10
	v_mov_b32_e32 v44, s8
	s_addc_u32 s9, 0, s9
	v_add_co_u32_e32 v44, vcc, s6, v44
	s_cmp_lg_u64 vcc, 0
	s_addc_u32 s6, s7, s9
	v_readfirstlane_b32 s9, v44
	s_mul_i32 s8, s4, s6
	s_mul_hi_u32 s10, s4, s9
	s_mul_hi_u32 s7, s4, s6
	s_add_u32 s8, s10, s8
	s_addc_u32 s7, 0, s7
	s_mul_hi_u32 s11, s5, s9
	s_mul_i32 s9, s5, s9
	s_add_u32 s8, s8, s9
	s_mul_hi_u32 s10, s5, s6
	s_addc_u32 s7, s7, s11
	s_addc_u32 s8, s10, 0
	s_mul_i32 s6, s5, s6
	s_add_u32 s6, s7, s6
	s_addc_u32 s7, 0, s8
	s_add_u32 s8, s6, 1
	s_addc_u32 s9, s7, 0
	s_add_u32 s10, s6, 2
	s_mul_i32 s12, s7, 15
	s_mul_hi_u32 s13, s6, 15
	s_addc_u32 s11, s7, 0
	s_add_i32 s13, s13, s12
	s_mul_i32 s12, s6, 15
	v_mov_b32_e32 v44, s12
	v_sub_co_u32_e32 v44, vcc, s4, v44
	s_cmp_lg_u64 vcc, 0
	s_subb_u32 s12, s5, s13
	v_subrev_co_u32_e32 v45, vcc, 15, v44
	s_cmp_lg_u64 vcc, 0
	s_subb_u32 s13, s12, 0
	v_readfirstlane_b32 s14, v45
	s_cmp_gt_u32 s14, 14
	s_cselect_b32 s14, -1, 0
	s_cmp_eq_u32 s13, 0
	s_cselect_b32 s13, s14, -1
	s_cmp_lg_u32 s13, 0
	s_cselect_b32 s8, s10, s8
	v_readfirstlane_b32 s10, v44
	s_cselect_b32 s9, s11, s9
	s_cmp_gt_u32 s10, 14
	s_cselect_b32 s10, -1, 0
	s_cmp_eq_u32 s12, 0
	s_cselect_b32 s10, s10, -1
	s_cmp_lg_u32 s10, 0
	s_cselect_b32 s7, s9, s7
	s_cselect_b32 s6, s8, s6
	v_cmp_eq_u64_e32 vcc, s[6:7], v[46:47]
	s_and_saveexec_b64 s[6:7], vcc
	s_cbranch_execz .LBB205_213
; %bb.160:
	v_mul_hi_u32_u24_e32 v45, 15, v46
	v_mov_b32_e32 v46, s5
	v_sub_co_u32_e32 v44, vcc, s4, v169
	v_subb_co_u32_e32 v45, vcc, v46, v45, vcc
	v_cmp_lt_i64_e32 vcc, 7, v[44:45]
	s_and_saveexec_b64 s[4:5], vcc
	s_xor_b64 s[4:5], exec, s[4:5]
	s_cbranch_execz .LBB205_186
; %bb.161:
	v_cmp_lt_i64_e32 vcc, 10, v[44:45]
	s_and_saveexec_b64 s[6:7], vcc
	s_xor_b64 s[6:7], exec, s[6:7]
	s_cbranch_execz .LBB205_175
; %bb.162:
	;; [unrolled: 5-line block ×4, first 2 shown]
	s_waitcnt lgkmcnt(13)
	v_mov_b32_e32 v0, 0
	s_waitcnt lgkmcnt(0)
	global_store_dwordx4 v0, v[60:63], s[46:47]
                                        ; implicit-def: $vgpr56_vgpr57_vgpr58_vgpr59
.LBB205_165:
	s_andn2_saveexec_b64 s[10:11], s[10:11]
	s_cbranch_execz .LBB205_167
; %bb.166:
	s_waitcnt lgkmcnt(13)
	v_mov_b32_e32 v0, 0
	s_waitcnt lgkmcnt(1)
	global_store_dwordx4 v0, v[56:59], s[46:47]
.LBB205_167:
	s_or_b64 exec, exec, s[10:11]
                                        ; implicit-def: $vgpr32_vgpr33_vgpr34_vgpr35
                                        ; implicit-def: $vgpr44_vgpr45
                                        ; implicit-def: $vgpr52_vgpr53_vgpr54_vgpr55
.LBB205_168:
	s_andn2_saveexec_b64 s[8:9], s[8:9]
	s_cbranch_execz .LBB205_174
; %bb.169:
	v_cmp_lt_i64_e32 vcc, 11, v[44:45]
	s_and_saveexec_b64 s[10:11], vcc
	s_xor_b64 s[10:11], exec, s[10:11]
	s_cbranch_execz .LBB205_171
; %bb.170:
	s_waitcnt lgkmcnt(13)
	v_mov_b32_e32 v0, 0
	s_waitcnt lgkmcnt(2)
	global_store_dwordx4 v0, v[52:55], s[46:47]
                                        ; implicit-def: $vgpr32_vgpr33_vgpr34_vgpr35
.LBB205_171:
	s_andn2_saveexec_b64 s[10:11], s[10:11]
	s_cbranch_execz .LBB205_173
; %bb.172:
	s_waitcnt lgkmcnt(13)
	v_mov_b32_e32 v0, 0
	s_waitcnt lgkmcnt(3)
	global_store_dwordx4 v0, v[32:35], s[46:47]
.LBB205_173:
	s_or_b64 exec, exec, s[10:11]
.LBB205_174:
	s_or_b64 exec, exec, s[8:9]
                                        ; implicit-def: $vgpr40_vgpr41_vgpr42_vgpr43
                                        ; implicit-def: $vgpr44_vgpr45
                                        ; implicit-def: $vgpr36_vgpr37_vgpr38_vgpr39
                                        ; implicit-def: $vgpr48_vgpr49_vgpr50_vgpr51
.LBB205_175:
	s_andn2_saveexec_b64 s[6:7], s[6:7]
	s_cbranch_execz .LBB205_185
; %bb.176:
	v_cmp_lt_i64_e32 vcc, 8, v[44:45]
	s_and_saveexec_b64 s[8:9], vcc
	s_xor_b64 s[8:9], exec, s[8:9]
	s_cbranch_execz .LBB205_182
; %bb.177:
	v_cmp_lt_i64_e32 vcc, 9, v[44:45]
	s_and_saveexec_b64 s[10:11], vcc
	s_xor_b64 s[10:11], exec, s[10:11]
	s_cbranch_execz .LBB205_179
; %bb.178:
	s_waitcnt lgkmcnt(13)
	v_mov_b32_e32 v0, 0
	s_waitcnt lgkmcnt(4)
	global_store_dwordx4 v0, v[48:51], s[46:47]
                                        ; implicit-def: $vgpr36_vgpr37_vgpr38_vgpr39
.LBB205_179:
	s_andn2_saveexec_b64 s[10:11], s[10:11]
	s_cbranch_execz .LBB205_181
; %bb.180:
	s_waitcnt lgkmcnt(13)
	v_mov_b32_e32 v0, 0
	s_waitcnt lgkmcnt(5)
	global_store_dwordx4 v0, v[36:39], s[46:47]
.LBB205_181:
	s_or_b64 exec, exec, s[10:11]
                                        ; implicit-def: $vgpr40_vgpr41_vgpr42_vgpr43
.LBB205_182:
	s_andn2_saveexec_b64 s[8:9], s[8:9]
	s_cbranch_execz .LBB205_184
; %bb.183:
	s_waitcnt lgkmcnt(13)
	v_mov_b32_e32 v0, 0
	s_waitcnt lgkmcnt(6)
	global_store_dwordx4 v0, v[40:43], s[46:47]
.LBB205_184:
	s_or_b64 exec, exec, s[8:9]
.LBB205_185:
	s_or_b64 exec, exec, s[6:7]
                                        ; implicit-def: $vgpr0_vgpr1_vgpr2_vgpr3
                                        ; implicit-def: $vgpr4_vgpr5_vgpr6_vgpr7
                                        ; implicit-def: $vgpr16_vgpr17_vgpr18_vgpr19
                                        ; implicit-def: $vgpr12_vgpr13_vgpr14_vgpr15
                                        ; implicit-def: $vgpr20_vgpr21_vgpr22_vgpr23
                                        ; implicit-def: $vgpr24_vgpr25_vgpr26_vgpr27
                                        ; implicit-def: $vgpr28_vgpr29_vgpr30_vgpr31
                                        ; implicit-def: $vgpr44_vgpr45
                                        ; implicit-def: $vgpr8_vgpr9_vgpr10_vgpr11
.LBB205_186:
	s_andn2_saveexec_b64 s[4:5], s[4:5]
	s_cbranch_execz .LBB205_213
; %bb.187:
	v_cmp_lt_i64_e32 vcc, 3, v[44:45]
	s_and_saveexec_b64 s[4:5], vcc
	s_xor_b64 s[4:5], exec, s[4:5]
	s_cbranch_execz .LBB205_201
; %bb.188:
	v_cmp_lt_i64_e32 vcc, 5, v[44:45]
	s_and_saveexec_b64 s[6:7], vcc
	s_xor_b64 s[6:7], exec, s[6:7]
	;; [unrolled: 5-line block ×3, first 2 shown]
	s_cbranch_execz .LBB205_191
; %bb.190:
	s_waitcnt lgkmcnt(13)
	v_mov_b32_e32 v0, 0
	s_waitcnt lgkmcnt(7)
	global_store_dwordx4 v0, v[28:31], s[46:47]
                                        ; implicit-def: $vgpr24_vgpr25_vgpr26_vgpr27
.LBB205_191:
	s_andn2_saveexec_b64 s[8:9], s[8:9]
	s_cbranch_execz .LBB205_193
; %bb.192:
	s_waitcnt lgkmcnt(13)
	v_mov_b32_e32 v0, 0
	s_waitcnt lgkmcnt(8)
	global_store_dwordx4 v0, v[24:27], s[46:47]
.LBB205_193:
	s_or_b64 exec, exec, s[8:9]
                                        ; implicit-def: $vgpr12_vgpr13_vgpr14_vgpr15
                                        ; implicit-def: $vgpr44_vgpr45
                                        ; implicit-def: $vgpr20_vgpr21_vgpr22_vgpr23
.LBB205_194:
	s_andn2_saveexec_b64 s[6:7], s[6:7]
	s_cbranch_execz .LBB205_200
; %bb.195:
	v_cmp_lt_i64_e32 vcc, 4, v[44:45]
	s_and_saveexec_b64 s[8:9], vcc
	s_xor_b64 s[8:9], exec, s[8:9]
	s_cbranch_execz .LBB205_197
; %bb.196:
	s_waitcnt lgkmcnt(13)
	v_mov_b32_e32 v0, 0
	s_waitcnt lgkmcnt(9)
	global_store_dwordx4 v0, v[20:23], s[46:47]
                                        ; implicit-def: $vgpr12_vgpr13_vgpr14_vgpr15
.LBB205_197:
	s_andn2_saveexec_b64 s[8:9], s[8:9]
	s_cbranch_execz .LBB205_199
; %bb.198:
	s_waitcnt lgkmcnt(13)
	v_mov_b32_e32 v0, 0
	s_waitcnt lgkmcnt(10)
	global_store_dwordx4 v0, v[12:15], s[46:47]
.LBB205_199:
	s_or_b64 exec, exec, s[8:9]
.LBB205_200:
	s_or_b64 exec, exec, s[6:7]
                                        ; implicit-def: $vgpr44_vgpr45
                                        ; implicit-def: $vgpr0_vgpr1_vgpr2_vgpr3
                                        ; implicit-def: $vgpr4_vgpr5_vgpr6_vgpr7
                                        ; implicit-def: $vgpr8_vgpr9_vgpr10_vgpr11
                                        ; implicit-def: $vgpr16_vgpr17_vgpr18_vgpr19
.LBB205_201:
	s_andn2_saveexec_b64 s[4:5], s[4:5]
	s_cbranch_execz .LBB205_213
; %bb.202:
	v_cmp_lt_i64_e32 vcc, 1, v[44:45]
	s_and_saveexec_b64 s[4:5], vcc
	s_xor_b64 s[4:5], exec, s[4:5]
	s_cbranch_execz .LBB205_208
; %bb.203:
	v_cmp_lt_i64_e32 vcc, 2, v[44:45]
	s_and_saveexec_b64 s[6:7], vcc
	s_xor_b64 s[6:7], exec, s[6:7]
	s_cbranch_execz .LBB205_205
; %bb.204:
	s_waitcnt lgkmcnt(13)
	v_mov_b32_e32 v0, 0
	s_waitcnt lgkmcnt(11)
	global_store_dwordx4 v0, v[16:19], s[46:47]
                                        ; implicit-def: $vgpr4_vgpr5_vgpr6_vgpr7
.LBB205_205:
	s_andn2_saveexec_b64 s[6:7], s[6:7]
	s_cbranch_execz .LBB205_207
; %bb.206:
	s_waitcnt lgkmcnt(13)
	v_mov_b32_e32 v0, 0
	s_waitcnt lgkmcnt(12)
	global_store_dwordx4 v0, v[4:7], s[46:47]
.LBB205_207:
	s_or_b64 exec, exec, s[6:7]
                                        ; implicit-def: $vgpr0_vgpr1_vgpr2_vgpr3
                                        ; implicit-def: $vgpr44_vgpr45
                                        ; implicit-def: $vgpr8_vgpr9_vgpr10_vgpr11
.LBB205_208:
	s_andn2_saveexec_b64 s[4:5], s[4:5]
	s_cbranch_execz .LBB205_213
; %bb.209:
	v_cmp_ne_u64_e32 vcc, 1, v[44:45]
	s_and_saveexec_b64 s[4:5], vcc
	s_xor_b64 s[4:5], exec, s[4:5]
	s_cbranch_execz .LBB205_211
; %bb.210:
	s_waitcnt lgkmcnt(13)
	v_mov_b32_e32 v0, 0
	global_store_dwordx4 v0, v[8:11], s[46:47]
                                        ; implicit-def: $vgpr0_vgpr1_vgpr2_vgpr3
.LBB205_211:
	s_andn2_saveexec_b64 s[4:5], s[4:5]
	s_cbranch_execz .LBB205_213
; %bb.212:
	s_waitcnt lgkmcnt(12)
	v_mov_b32_e32 v4, 0
	global_store_dwordx4 v4, v[0:3], s[46:47]
.LBB205_213:
	s_endpgm
	.section	.rodata,"a",@progbits
	.p2align	6, 0x0
	.amdhsa_kernel _ZN7rocprim17ROCPRIM_400000_NS6detail17trampoline_kernelINS0_14default_configENS1_20scan_config_selectorIN3c107complexIdEEEEZZNS1_9scan_implILNS1_25lookback_scan_determinismE0ELb0ELb0ES3_PKS7_PS7_S7_ZZZN2at6native31launch_logcumsumexp_cuda_kernelERKNSE_10TensorBaseESI_lENKUlvE_clEvENKUlvE1_clEvEUlS7_S7_E_S7_EEDaPvRmT3_T4_T5_mT6_P12ihipStream_tbENKUlT_T0_E_clISt17integral_constantIbLb1EESZ_EEDaSU_SV_EUlSU_E_NS1_11comp_targetILNS1_3genE4ELNS1_11target_archE910ELNS1_3gpuE8ELNS1_3repE0EEENS1_30default_config_static_selectorELNS0_4arch9wavefront6targetE1EEEvT1_
		.amdhsa_group_segment_fixed_size 15360
		.amdhsa_private_segment_fixed_size 8
		.amdhsa_kernarg_size 128
		.amdhsa_user_sgpr_count 8
		.amdhsa_user_sgpr_private_segment_buffer 1
		.amdhsa_user_sgpr_dispatch_ptr 0
		.amdhsa_user_sgpr_queue_ptr 0
		.amdhsa_user_sgpr_kernarg_segment_ptr 1
		.amdhsa_user_sgpr_dispatch_id 0
		.amdhsa_user_sgpr_flat_scratch_init 1
		.amdhsa_user_sgpr_kernarg_preload_length 0
		.amdhsa_user_sgpr_kernarg_preload_offset 0
		.amdhsa_user_sgpr_private_segment_size 0
		.amdhsa_uses_dynamic_stack 0
		.amdhsa_system_sgpr_private_segment_wavefront_offset 1
		.amdhsa_system_sgpr_workgroup_id_x 1
		.amdhsa_system_sgpr_workgroup_id_y 0
		.amdhsa_system_sgpr_workgroup_id_z 0
		.amdhsa_system_sgpr_workgroup_info 0
		.amdhsa_system_vgpr_workitem_id 0
		.amdhsa_next_free_vgpr 171
		.amdhsa_next_free_sgpr 71
		.amdhsa_accum_offset 172
		.amdhsa_reserve_vcc 1
		.amdhsa_reserve_flat_scratch 1
		.amdhsa_float_round_mode_32 0
		.amdhsa_float_round_mode_16_64 0
		.amdhsa_float_denorm_mode_32 3
		.amdhsa_float_denorm_mode_16_64 3
		.amdhsa_dx10_clamp 1
		.amdhsa_ieee_mode 1
		.amdhsa_fp16_overflow 0
		.amdhsa_tg_split 0
		.amdhsa_exception_fp_ieee_invalid_op 0
		.amdhsa_exception_fp_denorm_src 0
		.amdhsa_exception_fp_ieee_div_zero 0
		.amdhsa_exception_fp_ieee_overflow 0
		.amdhsa_exception_fp_ieee_underflow 0
		.amdhsa_exception_fp_ieee_inexact 0
		.amdhsa_exception_int_div_zero 0
	.end_amdhsa_kernel
	.section	.text._ZN7rocprim17ROCPRIM_400000_NS6detail17trampoline_kernelINS0_14default_configENS1_20scan_config_selectorIN3c107complexIdEEEEZZNS1_9scan_implILNS1_25lookback_scan_determinismE0ELb0ELb0ES3_PKS7_PS7_S7_ZZZN2at6native31launch_logcumsumexp_cuda_kernelERKNSE_10TensorBaseESI_lENKUlvE_clEvENKUlvE1_clEvEUlS7_S7_E_S7_EEDaPvRmT3_T4_T5_mT6_P12ihipStream_tbENKUlT_T0_E_clISt17integral_constantIbLb1EESZ_EEDaSU_SV_EUlSU_E_NS1_11comp_targetILNS1_3genE4ELNS1_11target_archE910ELNS1_3gpuE8ELNS1_3repE0EEENS1_30default_config_static_selectorELNS0_4arch9wavefront6targetE1EEEvT1_,"axG",@progbits,_ZN7rocprim17ROCPRIM_400000_NS6detail17trampoline_kernelINS0_14default_configENS1_20scan_config_selectorIN3c107complexIdEEEEZZNS1_9scan_implILNS1_25lookback_scan_determinismE0ELb0ELb0ES3_PKS7_PS7_S7_ZZZN2at6native31launch_logcumsumexp_cuda_kernelERKNSE_10TensorBaseESI_lENKUlvE_clEvENKUlvE1_clEvEUlS7_S7_E_S7_EEDaPvRmT3_T4_T5_mT6_P12ihipStream_tbENKUlT_T0_E_clISt17integral_constantIbLb1EESZ_EEDaSU_SV_EUlSU_E_NS1_11comp_targetILNS1_3genE4ELNS1_11target_archE910ELNS1_3gpuE8ELNS1_3repE0EEENS1_30default_config_static_selectorELNS0_4arch9wavefront6targetE1EEEvT1_,comdat
.Lfunc_end205:
	.size	_ZN7rocprim17ROCPRIM_400000_NS6detail17trampoline_kernelINS0_14default_configENS1_20scan_config_selectorIN3c107complexIdEEEEZZNS1_9scan_implILNS1_25lookback_scan_determinismE0ELb0ELb0ES3_PKS7_PS7_S7_ZZZN2at6native31launch_logcumsumexp_cuda_kernelERKNSE_10TensorBaseESI_lENKUlvE_clEvENKUlvE1_clEvEUlS7_S7_E_S7_EEDaPvRmT3_T4_T5_mT6_P12ihipStream_tbENKUlT_T0_E_clISt17integral_constantIbLb1EESZ_EEDaSU_SV_EUlSU_E_NS1_11comp_targetILNS1_3genE4ELNS1_11target_archE910ELNS1_3gpuE8ELNS1_3repE0EEENS1_30default_config_static_selectorELNS0_4arch9wavefront6targetE1EEEvT1_, .Lfunc_end205-_ZN7rocprim17ROCPRIM_400000_NS6detail17trampoline_kernelINS0_14default_configENS1_20scan_config_selectorIN3c107complexIdEEEEZZNS1_9scan_implILNS1_25lookback_scan_determinismE0ELb0ELb0ES3_PKS7_PS7_S7_ZZZN2at6native31launch_logcumsumexp_cuda_kernelERKNSE_10TensorBaseESI_lENKUlvE_clEvENKUlvE1_clEvEUlS7_S7_E_S7_EEDaPvRmT3_T4_T5_mT6_P12ihipStream_tbENKUlT_T0_E_clISt17integral_constantIbLb1EESZ_EEDaSU_SV_EUlSU_E_NS1_11comp_targetILNS1_3genE4ELNS1_11target_archE910ELNS1_3gpuE8ELNS1_3repE0EEENS1_30default_config_static_selectorELNS0_4arch9wavefront6targetE1EEEvT1_
                                        ; -- End function
	.section	.AMDGPU.csdata,"",@progbits
; Kernel info:
; codeLenInByte = 10124
; NumSgprs: 77
; NumVgprs: 171
; NumAgprs: 0
; TotalNumVgprs: 171
; ScratchSize: 8
; MemoryBound: 1
; FloatMode: 240
; IeeeMode: 1
; LDSByteSize: 15360 bytes/workgroup (compile time only)
; SGPRBlocks: 9
; VGPRBlocks: 21
; NumSGPRsForWavesPerEU: 77
; NumVGPRsForWavesPerEU: 171
; AccumOffset: 172
; Occupancy: 1
; WaveLimiterHint : 1
; COMPUTE_PGM_RSRC2:SCRATCH_EN: 1
; COMPUTE_PGM_RSRC2:USER_SGPR: 8
; COMPUTE_PGM_RSRC2:TRAP_HANDLER: 0
; COMPUTE_PGM_RSRC2:TGID_X_EN: 1
; COMPUTE_PGM_RSRC2:TGID_Y_EN: 0
; COMPUTE_PGM_RSRC2:TGID_Z_EN: 0
; COMPUTE_PGM_RSRC2:TIDIG_COMP_CNT: 0
; COMPUTE_PGM_RSRC3_GFX90A:ACCUM_OFFSET: 42
; COMPUTE_PGM_RSRC3_GFX90A:TG_SPLIT: 0
	.section	.text._ZN7rocprim17ROCPRIM_400000_NS6detail17trampoline_kernelINS0_14default_configENS1_20scan_config_selectorIN3c107complexIdEEEEZZNS1_9scan_implILNS1_25lookback_scan_determinismE0ELb0ELb0ES3_PKS7_PS7_S7_ZZZN2at6native31launch_logcumsumexp_cuda_kernelERKNSE_10TensorBaseESI_lENKUlvE_clEvENKUlvE1_clEvEUlS7_S7_E_S7_EEDaPvRmT3_T4_T5_mT6_P12ihipStream_tbENKUlT_T0_E_clISt17integral_constantIbLb1EESZ_EEDaSU_SV_EUlSU_E_NS1_11comp_targetILNS1_3genE3ELNS1_11target_archE908ELNS1_3gpuE7ELNS1_3repE0EEENS1_30default_config_static_selectorELNS0_4arch9wavefront6targetE1EEEvT1_,"axG",@progbits,_ZN7rocprim17ROCPRIM_400000_NS6detail17trampoline_kernelINS0_14default_configENS1_20scan_config_selectorIN3c107complexIdEEEEZZNS1_9scan_implILNS1_25lookback_scan_determinismE0ELb0ELb0ES3_PKS7_PS7_S7_ZZZN2at6native31launch_logcumsumexp_cuda_kernelERKNSE_10TensorBaseESI_lENKUlvE_clEvENKUlvE1_clEvEUlS7_S7_E_S7_EEDaPvRmT3_T4_T5_mT6_P12ihipStream_tbENKUlT_T0_E_clISt17integral_constantIbLb1EESZ_EEDaSU_SV_EUlSU_E_NS1_11comp_targetILNS1_3genE3ELNS1_11target_archE908ELNS1_3gpuE7ELNS1_3repE0EEENS1_30default_config_static_selectorELNS0_4arch9wavefront6targetE1EEEvT1_,comdat
	.globl	_ZN7rocprim17ROCPRIM_400000_NS6detail17trampoline_kernelINS0_14default_configENS1_20scan_config_selectorIN3c107complexIdEEEEZZNS1_9scan_implILNS1_25lookback_scan_determinismE0ELb0ELb0ES3_PKS7_PS7_S7_ZZZN2at6native31launch_logcumsumexp_cuda_kernelERKNSE_10TensorBaseESI_lENKUlvE_clEvENKUlvE1_clEvEUlS7_S7_E_S7_EEDaPvRmT3_T4_T5_mT6_P12ihipStream_tbENKUlT_T0_E_clISt17integral_constantIbLb1EESZ_EEDaSU_SV_EUlSU_E_NS1_11comp_targetILNS1_3genE3ELNS1_11target_archE908ELNS1_3gpuE7ELNS1_3repE0EEENS1_30default_config_static_selectorELNS0_4arch9wavefront6targetE1EEEvT1_ ; -- Begin function _ZN7rocprim17ROCPRIM_400000_NS6detail17trampoline_kernelINS0_14default_configENS1_20scan_config_selectorIN3c107complexIdEEEEZZNS1_9scan_implILNS1_25lookback_scan_determinismE0ELb0ELb0ES3_PKS7_PS7_S7_ZZZN2at6native31launch_logcumsumexp_cuda_kernelERKNSE_10TensorBaseESI_lENKUlvE_clEvENKUlvE1_clEvEUlS7_S7_E_S7_EEDaPvRmT3_T4_T5_mT6_P12ihipStream_tbENKUlT_T0_E_clISt17integral_constantIbLb1EESZ_EEDaSU_SV_EUlSU_E_NS1_11comp_targetILNS1_3genE3ELNS1_11target_archE908ELNS1_3gpuE7ELNS1_3repE0EEENS1_30default_config_static_selectorELNS0_4arch9wavefront6targetE1EEEvT1_
	.p2align	8
	.type	_ZN7rocprim17ROCPRIM_400000_NS6detail17trampoline_kernelINS0_14default_configENS1_20scan_config_selectorIN3c107complexIdEEEEZZNS1_9scan_implILNS1_25lookback_scan_determinismE0ELb0ELb0ES3_PKS7_PS7_S7_ZZZN2at6native31launch_logcumsumexp_cuda_kernelERKNSE_10TensorBaseESI_lENKUlvE_clEvENKUlvE1_clEvEUlS7_S7_E_S7_EEDaPvRmT3_T4_T5_mT6_P12ihipStream_tbENKUlT_T0_E_clISt17integral_constantIbLb1EESZ_EEDaSU_SV_EUlSU_E_NS1_11comp_targetILNS1_3genE3ELNS1_11target_archE908ELNS1_3gpuE7ELNS1_3repE0EEENS1_30default_config_static_selectorELNS0_4arch9wavefront6targetE1EEEvT1_,@function
_ZN7rocprim17ROCPRIM_400000_NS6detail17trampoline_kernelINS0_14default_configENS1_20scan_config_selectorIN3c107complexIdEEEEZZNS1_9scan_implILNS1_25lookback_scan_determinismE0ELb0ELb0ES3_PKS7_PS7_S7_ZZZN2at6native31launch_logcumsumexp_cuda_kernelERKNSE_10TensorBaseESI_lENKUlvE_clEvENKUlvE1_clEvEUlS7_S7_E_S7_EEDaPvRmT3_T4_T5_mT6_P12ihipStream_tbENKUlT_T0_E_clISt17integral_constantIbLb1EESZ_EEDaSU_SV_EUlSU_E_NS1_11comp_targetILNS1_3genE3ELNS1_11target_archE908ELNS1_3gpuE7ELNS1_3repE0EEENS1_30default_config_static_selectorELNS0_4arch9wavefront6targetE1EEEvT1_: ; @_ZN7rocprim17ROCPRIM_400000_NS6detail17trampoline_kernelINS0_14default_configENS1_20scan_config_selectorIN3c107complexIdEEEEZZNS1_9scan_implILNS1_25lookback_scan_determinismE0ELb0ELb0ES3_PKS7_PS7_S7_ZZZN2at6native31launch_logcumsumexp_cuda_kernelERKNSE_10TensorBaseESI_lENKUlvE_clEvENKUlvE1_clEvEUlS7_S7_E_S7_EEDaPvRmT3_T4_T5_mT6_P12ihipStream_tbENKUlT_T0_E_clISt17integral_constantIbLb1EESZ_EEDaSU_SV_EUlSU_E_NS1_11comp_targetILNS1_3genE3ELNS1_11target_archE908ELNS1_3gpuE7ELNS1_3repE0EEENS1_30default_config_static_selectorELNS0_4arch9wavefront6targetE1EEEvT1_
; %bb.0:
	.section	.rodata,"a",@progbits
	.p2align	6, 0x0
	.amdhsa_kernel _ZN7rocprim17ROCPRIM_400000_NS6detail17trampoline_kernelINS0_14default_configENS1_20scan_config_selectorIN3c107complexIdEEEEZZNS1_9scan_implILNS1_25lookback_scan_determinismE0ELb0ELb0ES3_PKS7_PS7_S7_ZZZN2at6native31launch_logcumsumexp_cuda_kernelERKNSE_10TensorBaseESI_lENKUlvE_clEvENKUlvE1_clEvEUlS7_S7_E_S7_EEDaPvRmT3_T4_T5_mT6_P12ihipStream_tbENKUlT_T0_E_clISt17integral_constantIbLb1EESZ_EEDaSU_SV_EUlSU_E_NS1_11comp_targetILNS1_3genE3ELNS1_11target_archE908ELNS1_3gpuE7ELNS1_3repE0EEENS1_30default_config_static_selectorELNS0_4arch9wavefront6targetE1EEEvT1_
		.amdhsa_group_segment_fixed_size 0
		.amdhsa_private_segment_fixed_size 0
		.amdhsa_kernarg_size 128
		.amdhsa_user_sgpr_count 6
		.amdhsa_user_sgpr_private_segment_buffer 1
		.amdhsa_user_sgpr_dispatch_ptr 0
		.amdhsa_user_sgpr_queue_ptr 0
		.amdhsa_user_sgpr_kernarg_segment_ptr 1
		.amdhsa_user_sgpr_dispatch_id 0
		.amdhsa_user_sgpr_flat_scratch_init 0
		.amdhsa_user_sgpr_kernarg_preload_length 0
		.amdhsa_user_sgpr_kernarg_preload_offset 0
		.amdhsa_user_sgpr_private_segment_size 0
		.amdhsa_uses_dynamic_stack 0
		.amdhsa_system_sgpr_private_segment_wavefront_offset 0
		.amdhsa_system_sgpr_workgroup_id_x 1
		.amdhsa_system_sgpr_workgroup_id_y 0
		.amdhsa_system_sgpr_workgroup_id_z 0
		.amdhsa_system_sgpr_workgroup_info 0
		.amdhsa_system_vgpr_workitem_id 0
		.amdhsa_next_free_vgpr 1
		.amdhsa_next_free_sgpr 0
		.amdhsa_accum_offset 4
		.amdhsa_reserve_vcc 0
		.amdhsa_reserve_flat_scratch 0
		.amdhsa_float_round_mode_32 0
		.amdhsa_float_round_mode_16_64 0
		.amdhsa_float_denorm_mode_32 3
		.amdhsa_float_denorm_mode_16_64 3
		.amdhsa_dx10_clamp 1
		.amdhsa_ieee_mode 1
		.amdhsa_fp16_overflow 0
		.amdhsa_tg_split 0
		.amdhsa_exception_fp_ieee_invalid_op 0
		.amdhsa_exception_fp_denorm_src 0
		.amdhsa_exception_fp_ieee_div_zero 0
		.amdhsa_exception_fp_ieee_overflow 0
		.amdhsa_exception_fp_ieee_underflow 0
		.amdhsa_exception_fp_ieee_inexact 0
		.amdhsa_exception_int_div_zero 0
	.end_amdhsa_kernel
	.section	.text._ZN7rocprim17ROCPRIM_400000_NS6detail17trampoline_kernelINS0_14default_configENS1_20scan_config_selectorIN3c107complexIdEEEEZZNS1_9scan_implILNS1_25lookback_scan_determinismE0ELb0ELb0ES3_PKS7_PS7_S7_ZZZN2at6native31launch_logcumsumexp_cuda_kernelERKNSE_10TensorBaseESI_lENKUlvE_clEvENKUlvE1_clEvEUlS7_S7_E_S7_EEDaPvRmT3_T4_T5_mT6_P12ihipStream_tbENKUlT_T0_E_clISt17integral_constantIbLb1EESZ_EEDaSU_SV_EUlSU_E_NS1_11comp_targetILNS1_3genE3ELNS1_11target_archE908ELNS1_3gpuE7ELNS1_3repE0EEENS1_30default_config_static_selectorELNS0_4arch9wavefront6targetE1EEEvT1_,"axG",@progbits,_ZN7rocprim17ROCPRIM_400000_NS6detail17trampoline_kernelINS0_14default_configENS1_20scan_config_selectorIN3c107complexIdEEEEZZNS1_9scan_implILNS1_25lookback_scan_determinismE0ELb0ELb0ES3_PKS7_PS7_S7_ZZZN2at6native31launch_logcumsumexp_cuda_kernelERKNSE_10TensorBaseESI_lENKUlvE_clEvENKUlvE1_clEvEUlS7_S7_E_S7_EEDaPvRmT3_T4_T5_mT6_P12ihipStream_tbENKUlT_T0_E_clISt17integral_constantIbLb1EESZ_EEDaSU_SV_EUlSU_E_NS1_11comp_targetILNS1_3genE3ELNS1_11target_archE908ELNS1_3gpuE7ELNS1_3repE0EEENS1_30default_config_static_selectorELNS0_4arch9wavefront6targetE1EEEvT1_,comdat
.Lfunc_end206:
	.size	_ZN7rocprim17ROCPRIM_400000_NS6detail17trampoline_kernelINS0_14default_configENS1_20scan_config_selectorIN3c107complexIdEEEEZZNS1_9scan_implILNS1_25lookback_scan_determinismE0ELb0ELb0ES3_PKS7_PS7_S7_ZZZN2at6native31launch_logcumsumexp_cuda_kernelERKNSE_10TensorBaseESI_lENKUlvE_clEvENKUlvE1_clEvEUlS7_S7_E_S7_EEDaPvRmT3_T4_T5_mT6_P12ihipStream_tbENKUlT_T0_E_clISt17integral_constantIbLb1EESZ_EEDaSU_SV_EUlSU_E_NS1_11comp_targetILNS1_3genE3ELNS1_11target_archE908ELNS1_3gpuE7ELNS1_3repE0EEENS1_30default_config_static_selectorELNS0_4arch9wavefront6targetE1EEEvT1_, .Lfunc_end206-_ZN7rocprim17ROCPRIM_400000_NS6detail17trampoline_kernelINS0_14default_configENS1_20scan_config_selectorIN3c107complexIdEEEEZZNS1_9scan_implILNS1_25lookback_scan_determinismE0ELb0ELb0ES3_PKS7_PS7_S7_ZZZN2at6native31launch_logcumsumexp_cuda_kernelERKNSE_10TensorBaseESI_lENKUlvE_clEvENKUlvE1_clEvEUlS7_S7_E_S7_EEDaPvRmT3_T4_T5_mT6_P12ihipStream_tbENKUlT_T0_E_clISt17integral_constantIbLb1EESZ_EEDaSU_SV_EUlSU_E_NS1_11comp_targetILNS1_3genE3ELNS1_11target_archE908ELNS1_3gpuE7ELNS1_3repE0EEENS1_30default_config_static_selectorELNS0_4arch9wavefront6targetE1EEEvT1_
                                        ; -- End function
	.section	.AMDGPU.csdata,"",@progbits
; Kernel info:
; codeLenInByte = 0
; NumSgprs: 4
; NumVgprs: 0
; NumAgprs: 0
; TotalNumVgprs: 0
; ScratchSize: 0
; MemoryBound: 0
; FloatMode: 240
; IeeeMode: 1
; LDSByteSize: 0 bytes/workgroup (compile time only)
; SGPRBlocks: 0
; VGPRBlocks: 0
; NumSGPRsForWavesPerEU: 4
; NumVGPRsForWavesPerEU: 1
; AccumOffset: 4
; Occupancy: 8
; WaveLimiterHint : 0
; COMPUTE_PGM_RSRC2:SCRATCH_EN: 0
; COMPUTE_PGM_RSRC2:USER_SGPR: 6
; COMPUTE_PGM_RSRC2:TRAP_HANDLER: 0
; COMPUTE_PGM_RSRC2:TGID_X_EN: 1
; COMPUTE_PGM_RSRC2:TGID_Y_EN: 0
; COMPUTE_PGM_RSRC2:TGID_Z_EN: 0
; COMPUTE_PGM_RSRC2:TIDIG_COMP_CNT: 0
; COMPUTE_PGM_RSRC3_GFX90A:ACCUM_OFFSET: 0
; COMPUTE_PGM_RSRC3_GFX90A:TG_SPLIT: 0
	.section	.text._ZN7rocprim17ROCPRIM_400000_NS6detail17trampoline_kernelINS0_14default_configENS1_20scan_config_selectorIN3c107complexIdEEEEZZNS1_9scan_implILNS1_25lookback_scan_determinismE0ELb0ELb0ES3_PKS7_PS7_S7_ZZZN2at6native31launch_logcumsumexp_cuda_kernelERKNSE_10TensorBaseESI_lENKUlvE_clEvENKUlvE1_clEvEUlS7_S7_E_S7_EEDaPvRmT3_T4_T5_mT6_P12ihipStream_tbENKUlT_T0_E_clISt17integral_constantIbLb1EESZ_EEDaSU_SV_EUlSU_E_NS1_11comp_targetILNS1_3genE2ELNS1_11target_archE906ELNS1_3gpuE6ELNS1_3repE0EEENS1_30default_config_static_selectorELNS0_4arch9wavefront6targetE1EEEvT1_,"axG",@progbits,_ZN7rocprim17ROCPRIM_400000_NS6detail17trampoline_kernelINS0_14default_configENS1_20scan_config_selectorIN3c107complexIdEEEEZZNS1_9scan_implILNS1_25lookback_scan_determinismE0ELb0ELb0ES3_PKS7_PS7_S7_ZZZN2at6native31launch_logcumsumexp_cuda_kernelERKNSE_10TensorBaseESI_lENKUlvE_clEvENKUlvE1_clEvEUlS7_S7_E_S7_EEDaPvRmT3_T4_T5_mT6_P12ihipStream_tbENKUlT_T0_E_clISt17integral_constantIbLb1EESZ_EEDaSU_SV_EUlSU_E_NS1_11comp_targetILNS1_3genE2ELNS1_11target_archE906ELNS1_3gpuE6ELNS1_3repE0EEENS1_30default_config_static_selectorELNS0_4arch9wavefront6targetE1EEEvT1_,comdat
	.globl	_ZN7rocprim17ROCPRIM_400000_NS6detail17trampoline_kernelINS0_14default_configENS1_20scan_config_selectorIN3c107complexIdEEEEZZNS1_9scan_implILNS1_25lookback_scan_determinismE0ELb0ELb0ES3_PKS7_PS7_S7_ZZZN2at6native31launch_logcumsumexp_cuda_kernelERKNSE_10TensorBaseESI_lENKUlvE_clEvENKUlvE1_clEvEUlS7_S7_E_S7_EEDaPvRmT3_T4_T5_mT6_P12ihipStream_tbENKUlT_T0_E_clISt17integral_constantIbLb1EESZ_EEDaSU_SV_EUlSU_E_NS1_11comp_targetILNS1_3genE2ELNS1_11target_archE906ELNS1_3gpuE6ELNS1_3repE0EEENS1_30default_config_static_selectorELNS0_4arch9wavefront6targetE1EEEvT1_ ; -- Begin function _ZN7rocprim17ROCPRIM_400000_NS6detail17trampoline_kernelINS0_14default_configENS1_20scan_config_selectorIN3c107complexIdEEEEZZNS1_9scan_implILNS1_25lookback_scan_determinismE0ELb0ELb0ES3_PKS7_PS7_S7_ZZZN2at6native31launch_logcumsumexp_cuda_kernelERKNSE_10TensorBaseESI_lENKUlvE_clEvENKUlvE1_clEvEUlS7_S7_E_S7_EEDaPvRmT3_T4_T5_mT6_P12ihipStream_tbENKUlT_T0_E_clISt17integral_constantIbLb1EESZ_EEDaSU_SV_EUlSU_E_NS1_11comp_targetILNS1_3genE2ELNS1_11target_archE906ELNS1_3gpuE6ELNS1_3repE0EEENS1_30default_config_static_selectorELNS0_4arch9wavefront6targetE1EEEvT1_
	.p2align	8
	.type	_ZN7rocprim17ROCPRIM_400000_NS6detail17trampoline_kernelINS0_14default_configENS1_20scan_config_selectorIN3c107complexIdEEEEZZNS1_9scan_implILNS1_25lookback_scan_determinismE0ELb0ELb0ES3_PKS7_PS7_S7_ZZZN2at6native31launch_logcumsumexp_cuda_kernelERKNSE_10TensorBaseESI_lENKUlvE_clEvENKUlvE1_clEvEUlS7_S7_E_S7_EEDaPvRmT3_T4_T5_mT6_P12ihipStream_tbENKUlT_T0_E_clISt17integral_constantIbLb1EESZ_EEDaSU_SV_EUlSU_E_NS1_11comp_targetILNS1_3genE2ELNS1_11target_archE906ELNS1_3gpuE6ELNS1_3repE0EEENS1_30default_config_static_selectorELNS0_4arch9wavefront6targetE1EEEvT1_,@function
_ZN7rocprim17ROCPRIM_400000_NS6detail17trampoline_kernelINS0_14default_configENS1_20scan_config_selectorIN3c107complexIdEEEEZZNS1_9scan_implILNS1_25lookback_scan_determinismE0ELb0ELb0ES3_PKS7_PS7_S7_ZZZN2at6native31launch_logcumsumexp_cuda_kernelERKNSE_10TensorBaseESI_lENKUlvE_clEvENKUlvE1_clEvEUlS7_S7_E_S7_EEDaPvRmT3_T4_T5_mT6_P12ihipStream_tbENKUlT_T0_E_clISt17integral_constantIbLb1EESZ_EEDaSU_SV_EUlSU_E_NS1_11comp_targetILNS1_3genE2ELNS1_11target_archE906ELNS1_3gpuE6ELNS1_3repE0EEENS1_30default_config_static_selectorELNS0_4arch9wavefront6targetE1EEEvT1_: ; @_ZN7rocprim17ROCPRIM_400000_NS6detail17trampoline_kernelINS0_14default_configENS1_20scan_config_selectorIN3c107complexIdEEEEZZNS1_9scan_implILNS1_25lookback_scan_determinismE0ELb0ELb0ES3_PKS7_PS7_S7_ZZZN2at6native31launch_logcumsumexp_cuda_kernelERKNSE_10TensorBaseESI_lENKUlvE_clEvENKUlvE1_clEvEUlS7_S7_E_S7_EEDaPvRmT3_T4_T5_mT6_P12ihipStream_tbENKUlT_T0_E_clISt17integral_constantIbLb1EESZ_EEDaSU_SV_EUlSU_E_NS1_11comp_targetILNS1_3genE2ELNS1_11target_archE906ELNS1_3gpuE6ELNS1_3repE0EEENS1_30default_config_static_selectorELNS0_4arch9wavefront6targetE1EEEvT1_
; %bb.0:
	.section	.rodata,"a",@progbits
	.p2align	6, 0x0
	.amdhsa_kernel _ZN7rocprim17ROCPRIM_400000_NS6detail17trampoline_kernelINS0_14default_configENS1_20scan_config_selectorIN3c107complexIdEEEEZZNS1_9scan_implILNS1_25lookback_scan_determinismE0ELb0ELb0ES3_PKS7_PS7_S7_ZZZN2at6native31launch_logcumsumexp_cuda_kernelERKNSE_10TensorBaseESI_lENKUlvE_clEvENKUlvE1_clEvEUlS7_S7_E_S7_EEDaPvRmT3_T4_T5_mT6_P12ihipStream_tbENKUlT_T0_E_clISt17integral_constantIbLb1EESZ_EEDaSU_SV_EUlSU_E_NS1_11comp_targetILNS1_3genE2ELNS1_11target_archE906ELNS1_3gpuE6ELNS1_3repE0EEENS1_30default_config_static_selectorELNS0_4arch9wavefront6targetE1EEEvT1_
		.amdhsa_group_segment_fixed_size 0
		.amdhsa_private_segment_fixed_size 0
		.amdhsa_kernarg_size 128
		.amdhsa_user_sgpr_count 6
		.amdhsa_user_sgpr_private_segment_buffer 1
		.amdhsa_user_sgpr_dispatch_ptr 0
		.amdhsa_user_sgpr_queue_ptr 0
		.amdhsa_user_sgpr_kernarg_segment_ptr 1
		.amdhsa_user_sgpr_dispatch_id 0
		.amdhsa_user_sgpr_flat_scratch_init 0
		.amdhsa_user_sgpr_kernarg_preload_length 0
		.amdhsa_user_sgpr_kernarg_preload_offset 0
		.amdhsa_user_sgpr_private_segment_size 0
		.amdhsa_uses_dynamic_stack 0
		.amdhsa_system_sgpr_private_segment_wavefront_offset 0
		.amdhsa_system_sgpr_workgroup_id_x 1
		.amdhsa_system_sgpr_workgroup_id_y 0
		.amdhsa_system_sgpr_workgroup_id_z 0
		.amdhsa_system_sgpr_workgroup_info 0
		.amdhsa_system_vgpr_workitem_id 0
		.amdhsa_next_free_vgpr 1
		.amdhsa_next_free_sgpr 0
		.amdhsa_accum_offset 4
		.amdhsa_reserve_vcc 0
		.amdhsa_reserve_flat_scratch 0
		.amdhsa_float_round_mode_32 0
		.amdhsa_float_round_mode_16_64 0
		.amdhsa_float_denorm_mode_32 3
		.amdhsa_float_denorm_mode_16_64 3
		.amdhsa_dx10_clamp 1
		.amdhsa_ieee_mode 1
		.amdhsa_fp16_overflow 0
		.amdhsa_tg_split 0
		.amdhsa_exception_fp_ieee_invalid_op 0
		.amdhsa_exception_fp_denorm_src 0
		.amdhsa_exception_fp_ieee_div_zero 0
		.amdhsa_exception_fp_ieee_overflow 0
		.amdhsa_exception_fp_ieee_underflow 0
		.amdhsa_exception_fp_ieee_inexact 0
		.amdhsa_exception_int_div_zero 0
	.end_amdhsa_kernel
	.section	.text._ZN7rocprim17ROCPRIM_400000_NS6detail17trampoline_kernelINS0_14default_configENS1_20scan_config_selectorIN3c107complexIdEEEEZZNS1_9scan_implILNS1_25lookback_scan_determinismE0ELb0ELb0ES3_PKS7_PS7_S7_ZZZN2at6native31launch_logcumsumexp_cuda_kernelERKNSE_10TensorBaseESI_lENKUlvE_clEvENKUlvE1_clEvEUlS7_S7_E_S7_EEDaPvRmT3_T4_T5_mT6_P12ihipStream_tbENKUlT_T0_E_clISt17integral_constantIbLb1EESZ_EEDaSU_SV_EUlSU_E_NS1_11comp_targetILNS1_3genE2ELNS1_11target_archE906ELNS1_3gpuE6ELNS1_3repE0EEENS1_30default_config_static_selectorELNS0_4arch9wavefront6targetE1EEEvT1_,"axG",@progbits,_ZN7rocprim17ROCPRIM_400000_NS6detail17trampoline_kernelINS0_14default_configENS1_20scan_config_selectorIN3c107complexIdEEEEZZNS1_9scan_implILNS1_25lookback_scan_determinismE0ELb0ELb0ES3_PKS7_PS7_S7_ZZZN2at6native31launch_logcumsumexp_cuda_kernelERKNSE_10TensorBaseESI_lENKUlvE_clEvENKUlvE1_clEvEUlS7_S7_E_S7_EEDaPvRmT3_T4_T5_mT6_P12ihipStream_tbENKUlT_T0_E_clISt17integral_constantIbLb1EESZ_EEDaSU_SV_EUlSU_E_NS1_11comp_targetILNS1_3genE2ELNS1_11target_archE906ELNS1_3gpuE6ELNS1_3repE0EEENS1_30default_config_static_selectorELNS0_4arch9wavefront6targetE1EEEvT1_,comdat
.Lfunc_end207:
	.size	_ZN7rocprim17ROCPRIM_400000_NS6detail17trampoline_kernelINS0_14default_configENS1_20scan_config_selectorIN3c107complexIdEEEEZZNS1_9scan_implILNS1_25lookback_scan_determinismE0ELb0ELb0ES3_PKS7_PS7_S7_ZZZN2at6native31launch_logcumsumexp_cuda_kernelERKNSE_10TensorBaseESI_lENKUlvE_clEvENKUlvE1_clEvEUlS7_S7_E_S7_EEDaPvRmT3_T4_T5_mT6_P12ihipStream_tbENKUlT_T0_E_clISt17integral_constantIbLb1EESZ_EEDaSU_SV_EUlSU_E_NS1_11comp_targetILNS1_3genE2ELNS1_11target_archE906ELNS1_3gpuE6ELNS1_3repE0EEENS1_30default_config_static_selectorELNS0_4arch9wavefront6targetE1EEEvT1_, .Lfunc_end207-_ZN7rocprim17ROCPRIM_400000_NS6detail17trampoline_kernelINS0_14default_configENS1_20scan_config_selectorIN3c107complexIdEEEEZZNS1_9scan_implILNS1_25lookback_scan_determinismE0ELb0ELb0ES3_PKS7_PS7_S7_ZZZN2at6native31launch_logcumsumexp_cuda_kernelERKNSE_10TensorBaseESI_lENKUlvE_clEvENKUlvE1_clEvEUlS7_S7_E_S7_EEDaPvRmT3_T4_T5_mT6_P12ihipStream_tbENKUlT_T0_E_clISt17integral_constantIbLb1EESZ_EEDaSU_SV_EUlSU_E_NS1_11comp_targetILNS1_3genE2ELNS1_11target_archE906ELNS1_3gpuE6ELNS1_3repE0EEENS1_30default_config_static_selectorELNS0_4arch9wavefront6targetE1EEEvT1_
                                        ; -- End function
	.section	.AMDGPU.csdata,"",@progbits
; Kernel info:
; codeLenInByte = 0
; NumSgprs: 4
; NumVgprs: 0
; NumAgprs: 0
; TotalNumVgprs: 0
; ScratchSize: 0
; MemoryBound: 0
; FloatMode: 240
; IeeeMode: 1
; LDSByteSize: 0 bytes/workgroup (compile time only)
; SGPRBlocks: 0
; VGPRBlocks: 0
; NumSGPRsForWavesPerEU: 4
; NumVGPRsForWavesPerEU: 1
; AccumOffset: 4
; Occupancy: 8
; WaveLimiterHint : 0
; COMPUTE_PGM_RSRC2:SCRATCH_EN: 0
; COMPUTE_PGM_RSRC2:USER_SGPR: 6
; COMPUTE_PGM_RSRC2:TRAP_HANDLER: 0
; COMPUTE_PGM_RSRC2:TGID_X_EN: 1
; COMPUTE_PGM_RSRC2:TGID_Y_EN: 0
; COMPUTE_PGM_RSRC2:TGID_Z_EN: 0
; COMPUTE_PGM_RSRC2:TIDIG_COMP_CNT: 0
; COMPUTE_PGM_RSRC3_GFX90A:ACCUM_OFFSET: 0
; COMPUTE_PGM_RSRC3_GFX90A:TG_SPLIT: 0
	.section	.text._ZN7rocprim17ROCPRIM_400000_NS6detail17trampoline_kernelINS0_14default_configENS1_20scan_config_selectorIN3c107complexIdEEEEZZNS1_9scan_implILNS1_25lookback_scan_determinismE0ELb0ELb0ES3_PKS7_PS7_S7_ZZZN2at6native31launch_logcumsumexp_cuda_kernelERKNSE_10TensorBaseESI_lENKUlvE_clEvENKUlvE1_clEvEUlS7_S7_E_S7_EEDaPvRmT3_T4_T5_mT6_P12ihipStream_tbENKUlT_T0_E_clISt17integral_constantIbLb1EESZ_EEDaSU_SV_EUlSU_E_NS1_11comp_targetILNS1_3genE10ELNS1_11target_archE1201ELNS1_3gpuE5ELNS1_3repE0EEENS1_30default_config_static_selectorELNS0_4arch9wavefront6targetE1EEEvT1_,"axG",@progbits,_ZN7rocprim17ROCPRIM_400000_NS6detail17trampoline_kernelINS0_14default_configENS1_20scan_config_selectorIN3c107complexIdEEEEZZNS1_9scan_implILNS1_25lookback_scan_determinismE0ELb0ELb0ES3_PKS7_PS7_S7_ZZZN2at6native31launch_logcumsumexp_cuda_kernelERKNSE_10TensorBaseESI_lENKUlvE_clEvENKUlvE1_clEvEUlS7_S7_E_S7_EEDaPvRmT3_T4_T5_mT6_P12ihipStream_tbENKUlT_T0_E_clISt17integral_constantIbLb1EESZ_EEDaSU_SV_EUlSU_E_NS1_11comp_targetILNS1_3genE10ELNS1_11target_archE1201ELNS1_3gpuE5ELNS1_3repE0EEENS1_30default_config_static_selectorELNS0_4arch9wavefront6targetE1EEEvT1_,comdat
	.globl	_ZN7rocprim17ROCPRIM_400000_NS6detail17trampoline_kernelINS0_14default_configENS1_20scan_config_selectorIN3c107complexIdEEEEZZNS1_9scan_implILNS1_25lookback_scan_determinismE0ELb0ELb0ES3_PKS7_PS7_S7_ZZZN2at6native31launch_logcumsumexp_cuda_kernelERKNSE_10TensorBaseESI_lENKUlvE_clEvENKUlvE1_clEvEUlS7_S7_E_S7_EEDaPvRmT3_T4_T5_mT6_P12ihipStream_tbENKUlT_T0_E_clISt17integral_constantIbLb1EESZ_EEDaSU_SV_EUlSU_E_NS1_11comp_targetILNS1_3genE10ELNS1_11target_archE1201ELNS1_3gpuE5ELNS1_3repE0EEENS1_30default_config_static_selectorELNS0_4arch9wavefront6targetE1EEEvT1_ ; -- Begin function _ZN7rocprim17ROCPRIM_400000_NS6detail17trampoline_kernelINS0_14default_configENS1_20scan_config_selectorIN3c107complexIdEEEEZZNS1_9scan_implILNS1_25lookback_scan_determinismE0ELb0ELb0ES3_PKS7_PS7_S7_ZZZN2at6native31launch_logcumsumexp_cuda_kernelERKNSE_10TensorBaseESI_lENKUlvE_clEvENKUlvE1_clEvEUlS7_S7_E_S7_EEDaPvRmT3_T4_T5_mT6_P12ihipStream_tbENKUlT_T0_E_clISt17integral_constantIbLb1EESZ_EEDaSU_SV_EUlSU_E_NS1_11comp_targetILNS1_3genE10ELNS1_11target_archE1201ELNS1_3gpuE5ELNS1_3repE0EEENS1_30default_config_static_selectorELNS0_4arch9wavefront6targetE1EEEvT1_
	.p2align	8
	.type	_ZN7rocprim17ROCPRIM_400000_NS6detail17trampoline_kernelINS0_14default_configENS1_20scan_config_selectorIN3c107complexIdEEEEZZNS1_9scan_implILNS1_25lookback_scan_determinismE0ELb0ELb0ES3_PKS7_PS7_S7_ZZZN2at6native31launch_logcumsumexp_cuda_kernelERKNSE_10TensorBaseESI_lENKUlvE_clEvENKUlvE1_clEvEUlS7_S7_E_S7_EEDaPvRmT3_T4_T5_mT6_P12ihipStream_tbENKUlT_T0_E_clISt17integral_constantIbLb1EESZ_EEDaSU_SV_EUlSU_E_NS1_11comp_targetILNS1_3genE10ELNS1_11target_archE1201ELNS1_3gpuE5ELNS1_3repE0EEENS1_30default_config_static_selectorELNS0_4arch9wavefront6targetE1EEEvT1_,@function
_ZN7rocprim17ROCPRIM_400000_NS6detail17trampoline_kernelINS0_14default_configENS1_20scan_config_selectorIN3c107complexIdEEEEZZNS1_9scan_implILNS1_25lookback_scan_determinismE0ELb0ELb0ES3_PKS7_PS7_S7_ZZZN2at6native31launch_logcumsumexp_cuda_kernelERKNSE_10TensorBaseESI_lENKUlvE_clEvENKUlvE1_clEvEUlS7_S7_E_S7_EEDaPvRmT3_T4_T5_mT6_P12ihipStream_tbENKUlT_T0_E_clISt17integral_constantIbLb1EESZ_EEDaSU_SV_EUlSU_E_NS1_11comp_targetILNS1_3genE10ELNS1_11target_archE1201ELNS1_3gpuE5ELNS1_3repE0EEENS1_30default_config_static_selectorELNS0_4arch9wavefront6targetE1EEEvT1_: ; @_ZN7rocprim17ROCPRIM_400000_NS6detail17trampoline_kernelINS0_14default_configENS1_20scan_config_selectorIN3c107complexIdEEEEZZNS1_9scan_implILNS1_25lookback_scan_determinismE0ELb0ELb0ES3_PKS7_PS7_S7_ZZZN2at6native31launch_logcumsumexp_cuda_kernelERKNSE_10TensorBaseESI_lENKUlvE_clEvENKUlvE1_clEvEUlS7_S7_E_S7_EEDaPvRmT3_T4_T5_mT6_P12ihipStream_tbENKUlT_T0_E_clISt17integral_constantIbLb1EESZ_EEDaSU_SV_EUlSU_E_NS1_11comp_targetILNS1_3genE10ELNS1_11target_archE1201ELNS1_3gpuE5ELNS1_3repE0EEENS1_30default_config_static_selectorELNS0_4arch9wavefront6targetE1EEEvT1_
; %bb.0:
	.section	.rodata,"a",@progbits
	.p2align	6, 0x0
	.amdhsa_kernel _ZN7rocprim17ROCPRIM_400000_NS6detail17trampoline_kernelINS0_14default_configENS1_20scan_config_selectorIN3c107complexIdEEEEZZNS1_9scan_implILNS1_25lookback_scan_determinismE0ELb0ELb0ES3_PKS7_PS7_S7_ZZZN2at6native31launch_logcumsumexp_cuda_kernelERKNSE_10TensorBaseESI_lENKUlvE_clEvENKUlvE1_clEvEUlS7_S7_E_S7_EEDaPvRmT3_T4_T5_mT6_P12ihipStream_tbENKUlT_T0_E_clISt17integral_constantIbLb1EESZ_EEDaSU_SV_EUlSU_E_NS1_11comp_targetILNS1_3genE10ELNS1_11target_archE1201ELNS1_3gpuE5ELNS1_3repE0EEENS1_30default_config_static_selectorELNS0_4arch9wavefront6targetE1EEEvT1_
		.amdhsa_group_segment_fixed_size 0
		.amdhsa_private_segment_fixed_size 0
		.amdhsa_kernarg_size 128
		.amdhsa_user_sgpr_count 6
		.amdhsa_user_sgpr_private_segment_buffer 1
		.amdhsa_user_sgpr_dispatch_ptr 0
		.amdhsa_user_sgpr_queue_ptr 0
		.amdhsa_user_sgpr_kernarg_segment_ptr 1
		.amdhsa_user_sgpr_dispatch_id 0
		.amdhsa_user_sgpr_flat_scratch_init 0
		.amdhsa_user_sgpr_kernarg_preload_length 0
		.amdhsa_user_sgpr_kernarg_preload_offset 0
		.amdhsa_user_sgpr_private_segment_size 0
		.amdhsa_uses_dynamic_stack 0
		.amdhsa_system_sgpr_private_segment_wavefront_offset 0
		.amdhsa_system_sgpr_workgroup_id_x 1
		.amdhsa_system_sgpr_workgroup_id_y 0
		.amdhsa_system_sgpr_workgroup_id_z 0
		.amdhsa_system_sgpr_workgroup_info 0
		.amdhsa_system_vgpr_workitem_id 0
		.amdhsa_next_free_vgpr 1
		.amdhsa_next_free_sgpr 0
		.amdhsa_accum_offset 4
		.amdhsa_reserve_vcc 0
		.amdhsa_reserve_flat_scratch 0
		.amdhsa_float_round_mode_32 0
		.amdhsa_float_round_mode_16_64 0
		.amdhsa_float_denorm_mode_32 3
		.amdhsa_float_denorm_mode_16_64 3
		.amdhsa_dx10_clamp 1
		.amdhsa_ieee_mode 1
		.amdhsa_fp16_overflow 0
		.amdhsa_tg_split 0
		.amdhsa_exception_fp_ieee_invalid_op 0
		.amdhsa_exception_fp_denorm_src 0
		.amdhsa_exception_fp_ieee_div_zero 0
		.amdhsa_exception_fp_ieee_overflow 0
		.amdhsa_exception_fp_ieee_underflow 0
		.amdhsa_exception_fp_ieee_inexact 0
		.amdhsa_exception_int_div_zero 0
	.end_amdhsa_kernel
	.section	.text._ZN7rocprim17ROCPRIM_400000_NS6detail17trampoline_kernelINS0_14default_configENS1_20scan_config_selectorIN3c107complexIdEEEEZZNS1_9scan_implILNS1_25lookback_scan_determinismE0ELb0ELb0ES3_PKS7_PS7_S7_ZZZN2at6native31launch_logcumsumexp_cuda_kernelERKNSE_10TensorBaseESI_lENKUlvE_clEvENKUlvE1_clEvEUlS7_S7_E_S7_EEDaPvRmT3_T4_T5_mT6_P12ihipStream_tbENKUlT_T0_E_clISt17integral_constantIbLb1EESZ_EEDaSU_SV_EUlSU_E_NS1_11comp_targetILNS1_3genE10ELNS1_11target_archE1201ELNS1_3gpuE5ELNS1_3repE0EEENS1_30default_config_static_selectorELNS0_4arch9wavefront6targetE1EEEvT1_,"axG",@progbits,_ZN7rocprim17ROCPRIM_400000_NS6detail17trampoline_kernelINS0_14default_configENS1_20scan_config_selectorIN3c107complexIdEEEEZZNS1_9scan_implILNS1_25lookback_scan_determinismE0ELb0ELb0ES3_PKS7_PS7_S7_ZZZN2at6native31launch_logcumsumexp_cuda_kernelERKNSE_10TensorBaseESI_lENKUlvE_clEvENKUlvE1_clEvEUlS7_S7_E_S7_EEDaPvRmT3_T4_T5_mT6_P12ihipStream_tbENKUlT_T0_E_clISt17integral_constantIbLb1EESZ_EEDaSU_SV_EUlSU_E_NS1_11comp_targetILNS1_3genE10ELNS1_11target_archE1201ELNS1_3gpuE5ELNS1_3repE0EEENS1_30default_config_static_selectorELNS0_4arch9wavefront6targetE1EEEvT1_,comdat
.Lfunc_end208:
	.size	_ZN7rocprim17ROCPRIM_400000_NS6detail17trampoline_kernelINS0_14default_configENS1_20scan_config_selectorIN3c107complexIdEEEEZZNS1_9scan_implILNS1_25lookback_scan_determinismE0ELb0ELb0ES3_PKS7_PS7_S7_ZZZN2at6native31launch_logcumsumexp_cuda_kernelERKNSE_10TensorBaseESI_lENKUlvE_clEvENKUlvE1_clEvEUlS7_S7_E_S7_EEDaPvRmT3_T4_T5_mT6_P12ihipStream_tbENKUlT_T0_E_clISt17integral_constantIbLb1EESZ_EEDaSU_SV_EUlSU_E_NS1_11comp_targetILNS1_3genE10ELNS1_11target_archE1201ELNS1_3gpuE5ELNS1_3repE0EEENS1_30default_config_static_selectorELNS0_4arch9wavefront6targetE1EEEvT1_, .Lfunc_end208-_ZN7rocprim17ROCPRIM_400000_NS6detail17trampoline_kernelINS0_14default_configENS1_20scan_config_selectorIN3c107complexIdEEEEZZNS1_9scan_implILNS1_25lookback_scan_determinismE0ELb0ELb0ES3_PKS7_PS7_S7_ZZZN2at6native31launch_logcumsumexp_cuda_kernelERKNSE_10TensorBaseESI_lENKUlvE_clEvENKUlvE1_clEvEUlS7_S7_E_S7_EEDaPvRmT3_T4_T5_mT6_P12ihipStream_tbENKUlT_T0_E_clISt17integral_constantIbLb1EESZ_EEDaSU_SV_EUlSU_E_NS1_11comp_targetILNS1_3genE10ELNS1_11target_archE1201ELNS1_3gpuE5ELNS1_3repE0EEENS1_30default_config_static_selectorELNS0_4arch9wavefront6targetE1EEEvT1_
                                        ; -- End function
	.section	.AMDGPU.csdata,"",@progbits
; Kernel info:
; codeLenInByte = 0
; NumSgprs: 4
; NumVgprs: 0
; NumAgprs: 0
; TotalNumVgprs: 0
; ScratchSize: 0
; MemoryBound: 0
; FloatMode: 240
; IeeeMode: 1
; LDSByteSize: 0 bytes/workgroup (compile time only)
; SGPRBlocks: 0
; VGPRBlocks: 0
; NumSGPRsForWavesPerEU: 4
; NumVGPRsForWavesPerEU: 1
; AccumOffset: 4
; Occupancy: 8
; WaveLimiterHint : 0
; COMPUTE_PGM_RSRC2:SCRATCH_EN: 0
; COMPUTE_PGM_RSRC2:USER_SGPR: 6
; COMPUTE_PGM_RSRC2:TRAP_HANDLER: 0
; COMPUTE_PGM_RSRC2:TGID_X_EN: 1
; COMPUTE_PGM_RSRC2:TGID_Y_EN: 0
; COMPUTE_PGM_RSRC2:TGID_Z_EN: 0
; COMPUTE_PGM_RSRC2:TIDIG_COMP_CNT: 0
; COMPUTE_PGM_RSRC3_GFX90A:ACCUM_OFFSET: 0
; COMPUTE_PGM_RSRC3_GFX90A:TG_SPLIT: 0
	.section	.text._ZN7rocprim17ROCPRIM_400000_NS6detail17trampoline_kernelINS0_14default_configENS1_20scan_config_selectorIN3c107complexIdEEEEZZNS1_9scan_implILNS1_25lookback_scan_determinismE0ELb0ELb0ES3_PKS7_PS7_S7_ZZZN2at6native31launch_logcumsumexp_cuda_kernelERKNSE_10TensorBaseESI_lENKUlvE_clEvENKUlvE1_clEvEUlS7_S7_E_S7_EEDaPvRmT3_T4_T5_mT6_P12ihipStream_tbENKUlT_T0_E_clISt17integral_constantIbLb1EESZ_EEDaSU_SV_EUlSU_E_NS1_11comp_targetILNS1_3genE10ELNS1_11target_archE1200ELNS1_3gpuE4ELNS1_3repE0EEENS1_30default_config_static_selectorELNS0_4arch9wavefront6targetE1EEEvT1_,"axG",@progbits,_ZN7rocprim17ROCPRIM_400000_NS6detail17trampoline_kernelINS0_14default_configENS1_20scan_config_selectorIN3c107complexIdEEEEZZNS1_9scan_implILNS1_25lookback_scan_determinismE0ELb0ELb0ES3_PKS7_PS7_S7_ZZZN2at6native31launch_logcumsumexp_cuda_kernelERKNSE_10TensorBaseESI_lENKUlvE_clEvENKUlvE1_clEvEUlS7_S7_E_S7_EEDaPvRmT3_T4_T5_mT6_P12ihipStream_tbENKUlT_T0_E_clISt17integral_constantIbLb1EESZ_EEDaSU_SV_EUlSU_E_NS1_11comp_targetILNS1_3genE10ELNS1_11target_archE1200ELNS1_3gpuE4ELNS1_3repE0EEENS1_30default_config_static_selectorELNS0_4arch9wavefront6targetE1EEEvT1_,comdat
	.globl	_ZN7rocprim17ROCPRIM_400000_NS6detail17trampoline_kernelINS0_14default_configENS1_20scan_config_selectorIN3c107complexIdEEEEZZNS1_9scan_implILNS1_25lookback_scan_determinismE0ELb0ELb0ES3_PKS7_PS7_S7_ZZZN2at6native31launch_logcumsumexp_cuda_kernelERKNSE_10TensorBaseESI_lENKUlvE_clEvENKUlvE1_clEvEUlS7_S7_E_S7_EEDaPvRmT3_T4_T5_mT6_P12ihipStream_tbENKUlT_T0_E_clISt17integral_constantIbLb1EESZ_EEDaSU_SV_EUlSU_E_NS1_11comp_targetILNS1_3genE10ELNS1_11target_archE1200ELNS1_3gpuE4ELNS1_3repE0EEENS1_30default_config_static_selectorELNS0_4arch9wavefront6targetE1EEEvT1_ ; -- Begin function _ZN7rocprim17ROCPRIM_400000_NS6detail17trampoline_kernelINS0_14default_configENS1_20scan_config_selectorIN3c107complexIdEEEEZZNS1_9scan_implILNS1_25lookback_scan_determinismE0ELb0ELb0ES3_PKS7_PS7_S7_ZZZN2at6native31launch_logcumsumexp_cuda_kernelERKNSE_10TensorBaseESI_lENKUlvE_clEvENKUlvE1_clEvEUlS7_S7_E_S7_EEDaPvRmT3_T4_T5_mT6_P12ihipStream_tbENKUlT_T0_E_clISt17integral_constantIbLb1EESZ_EEDaSU_SV_EUlSU_E_NS1_11comp_targetILNS1_3genE10ELNS1_11target_archE1200ELNS1_3gpuE4ELNS1_3repE0EEENS1_30default_config_static_selectorELNS0_4arch9wavefront6targetE1EEEvT1_
	.p2align	8
	.type	_ZN7rocprim17ROCPRIM_400000_NS6detail17trampoline_kernelINS0_14default_configENS1_20scan_config_selectorIN3c107complexIdEEEEZZNS1_9scan_implILNS1_25lookback_scan_determinismE0ELb0ELb0ES3_PKS7_PS7_S7_ZZZN2at6native31launch_logcumsumexp_cuda_kernelERKNSE_10TensorBaseESI_lENKUlvE_clEvENKUlvE1_clEvEUlS7_S7_E_S7_EEDaPvRmT3_T4_T5_mT6_P12ihipStream_tbENKUlT_T0_E_clISt17integral_constantIbLb1EESZ_EEDaSU_SV_EUlSU_E_NS1_11comp_targetILNS1_3genE10ELNS1_11target_archE1200ELNS1_3gpuE4ELNS1_3repE0EEENS1_30default_config_static_selectorELNS0_4arch9wavefront6targetE1EEEvT1_,@function
_ZN7rocprim17ROCPRIM_400000_NS6detail17trampoline_kernelINS0_14default_configENS1_20scan_config_selectorIN3c107complexIdEEEEZZNS1_9scan_implILNS1_25lookback_scan_determinismE0ELb0ELb0ES3_PKS7_PS7_S7_ZZZN2at6native31launch_logcumsumexp_cuda_kernelERKNSE_10TensorBaseESI_lENKUlvE_clEvENKUlvE1_clEvEUlS7_S7_E_S7_EEDaPvRmT3_T4_T5_mT6_P12ihipStream_tbENKUlT_T0_E_clISt17integral_constantIbLb1EESZ_EEDaSU_SV_EUlSU_E_NS1_11comp_targetILNS1_3genE10ELNS1_11target_archE1200ELNS1_3gpuE4ELNS1_3repE0EEENS1_30default_config_static_selectorELNS0_4arch9wavefront6targetE1EEEvT1_: ; @_ZN7rocprim17ROCPRIM_400000_NS6detail17trampoline_kernelINS0_14default_configENS1_20scan_config_selectorIN3c107complexIdEEEEZZNS1_9scan_implILNS1_25lookback_scan_determinismE0ELb0ELb0ES3_PKS7_PS7_S7_ZZZN2at6native31launch_logcumsumexp_cuda_kernelERKNSE_10TensorBaseESI_lENKUlvE_clEvENKUlvE1_clEvEUlS7_S7_E_S7_EEDaPvRmT3_T4_T5_mT6_P12ihipStream_tbENKUlT_T0_E_clISt17integral_constantIbLb1EESZ_EEDaSU_SV_EUlSU_E_NS1_11comp_targetILNS1_3genE10ELNS1_11target_archE1200ELNS1_3gpuE4ELNS1_3repE0EEENS1_30default_config_static_selectorELNS0_4arch9wavefront6targetE1EEEvT1_
; %bb.0:
	.section	.rodata,"a",@progbits
	.p2align	6, 0x0
	.amdhsa_kernel _ZN7rocprim17ROCPRIM_400000_NS6detail17trampoline_kernelINS0_14default_configENS1_20scan_config_selectorIN3c107complexIdEEEEZZNS1_9scan_implILNS1_25lookback_scan_determinismE0ELb0ELb0ES3_PKS7_PS7_S7_ZZZN2at6native31launch_logcumsumexp_cuda_kernelERKNSE_10TensorBaseESI_lENKUlvE_clEvENKUlvE1_clEvEUlS7_S7_E_S7_EEDaPvRmT3_T4_T5_mT6_P12ihipStream_tbENKUlT_T0_E_clISt17integral_constantIbLb1EESZ_EEDaSU_SV_EUlSU_E_NS1_11comp_targetILNS1_3genE10ELNS1_11target_archE1200ELNS1_3gpuE4ELNS1_3repE0EEENS1_30default_config_static_selectorELNS0_4arch9wavefront6targetE1EEEvT1_
		.amdhsa_group_segment_fixed_size 0
		.amdhsa_private_segment_fixed_size 0
		.amdhsa_kernarg_size 128
		.amdhsa_user_sgpr_count 6
		.amdhsa_user_sgpr_private_segment_buffer 1
		.amdhsa_user_sgpr_dispatch_ptr 0
		.amdhsa_user_sgpr_queue_ptr 0
		.amdhsa_user_sgpr_kernarg_segment_ptr 1
		.amdhsa_user_sgpr_dispatch_id 0
		.amdhsa_user_sgpr_flat_scratch_init 0
		.amdhsa_user_sgpr_kernarg_preload_length 0
		.amdhsa_user_sgpr_kernarg_preload_offset 0
		.amdhsa_user_sgpr_private_segment_size 0
		.amdhsa_uses_dynamic_stack 0
		.amdhsa_system_sgpr_private_segment_wavefront_offset 0
		.amdhsa_system_sgpr_workgroup_id_x 1
		.amdhsa_system_sgpr_workgroup_id_y 0
		.amdhsa_system_sgpr_workgroup_id_z 0
		.amdhsa_system_sgpr_workgroup_info 0
		.amdhsa_system_vgpr_workitem_id 0
		.amdhsa_next_free_vgpr 1
		.amdhsa_next_free_sgpr 0
		.amdhsa_accum_offset 4
		.amdhsa_reserve_vcc 0
		.amdhsa_reserve_flat_scratch 0
		.amdhsa_float_round_mode_32 0
		.amdhsa_float_round_mode_16_64 0
		.amdhsa_float_denorm_mode_32 3
		.amdhsa_float_denorm_mode_16_64 3
		.amdhsa_dx10_clamp 1
		.amdhsa_ieee_mode 1
		.amdhsa_fp16_overflow 0
		.amdhsa_tg_split 0
		.amdhsa_exception_fp_ieee_invalid_op 0
		.amdhsa_exception_fp_denorm_src 0
		.amdhsa_exception_fp_ieee_div_zero 0
		.amdhsa_exception_fp_ieee_overflow 0
		.amdhsa_exception_fp_ieee_underflow 0
		.amdhsa_exception_fp_ieee_inexact 0
		.amdhsa_exception_int_div_zero 0
	.end_amdhsa_kernel
	.section	.text._ZN7rocprim17ROCPRIM_400000_NS6detail17trampoline_kernelINS0_14default_configENS1_20scan_config_selectorIN3c107complexIdEEEEZZNS1_9scan_implILNS1_25lookback_scan_determinismE0ELb0ELb0ES3_PKS7_PS7_S7_ZZZN2at6native31launch_logcumsumexp_cuda_kernelERKNSE_10TensorBaseESI_lENKUlvE_clEvENKUlvE1_clEvEUlS7_S7_E_S7_EEDaPvRmT3_T4_T5_mT6_P12ihipStream_tbENKUlT_T0_E_clISt17integral_constantIbLb1EESZ_EEDaSU_SV_EUlSU_E_NS1_11comp_targetILNS1_3genE10ELNS1_11target_archE1200ELNS1_3gpuE4ELNS1_3repE0EEENS1_30default_config_static_selectorELNS0_4arch9wavefront6targetE1EEEvT1_,"axG",@progbits,_ZN7rocprim17ROCPRIM_400000_NS6detail17trampoline_kernelINS0_14default_configENS1_20scan_config_selectorIN3c107complexIdEEEEZZNS1_9scan_implILNS1_25lookback_scan_determinismE0ELb0ELb0ES3_PKS7_PS7_S7_ZZZN2at6native31launch_logcumsumexp_cuda_kernelERKNSE_10TensorBaseESI_lENKUlvE_clEvENKUlvE1_clEvEUlS7_S7_E_S7_EEDaPvRmT3_T4_T5_mT6_P12ihipStream_tbENKUlT_T0_E_clISt17integral_constantIbLb1EESZ_EEDaSU_SV_EUlSU_E_NS1_11comp_targetILNS1_3genE10ELNS1_11target_archE1200ELNS1_3gpuE4ELNS1_3repE0EEENS1_30default_config_static_selectorELNS0_4arch9wavefront6targetE1EEEvT1_,comdat
.Lfunc_end209:
	.size	_ZN7rocprim17ROCPRIM_400000_NS6detail17trampoline_kernelINS0_14default_configENS1_20scan_config_selectorIN3c107complexIdEEEEZZNS1_9scan_implILNS1_25lookback_scan_determinismE0ELb0ELb0ES3_PKS7_PS7_S7_ZZZN2at6native31launch_logcumsumexp_cuda_kernelERKNSE_10TensorBaseESI_lENKUlvE_clEvENKUlvE1_clEvEUlS7_S7_E_S7_EEDaPvRmT3_T4_T5_mT6_P12ihipStream_tbENKUlT_T0_E_clISt17integral_constantIbLb1EESZ_EEDaSU_SV_EUlSU_E_NS1_11comp_targetILNS1_3genE10ELNS1_11target_archE1200ELNS1_3gpuE4ELNS1_3repE0EEENS1_30default_config_static_selectorELNS0_4arch9wavefront6targetE1EEEvT1_, .Lfunc_end209-_ZN7rocprim17ROCPRIM_400000_NS6detail17trampoline_kernelINS0_14default_configENS1_20scan_config_selectorIN3c107complexIdEEEEZZNS1_9scan_implILNS1_25lookback_scan_determinismE0ELb0ELb0ES3_PKS7_PS7_S7_ZZZN2at6native31launch_logcumsumexp_cuda_kernelERKNSE_10TensorBaseESI_lENKUlvE_clEvENKUlvE1_clEvEUlS7_S7_E_S7_EEDaPvRmT3_T4_T5_mT6_P12ihipStream_tbENKUlT_T0_E_clISt17integral_constantIbLb1EESZ_EEDaSU_SV_EUlSU_E_NS1_11comp_targetILNS1_3genE10ELNS1_11target_archE1200ELNS1_3gpuE4ELNS1_3repE0EEENS1_30default_config_static_selectorELNS0_4arch9wavefront6targetE1EEEvT1_
                                        ; -- End function
	.section	.AMDGPU.csdata,"",@progbits
; Kernel info:
; codeLenInByte = 0
; NumSgprs: 4
; NumVgprs: 0
; NumAgprs: 0
; TotalNumVgprs: 0
; ScratchSize: 0
; MemoryBound: 0
; FloatMode: 240
; IeeeMode: 1
; LDSByteSize: 0 bytes/workgroup (compile time only)
; SGPRBlocks: 0
; VGPRBlocks: 0
; NumSGPRsForWavesPerEU: 4
; NumVGPRsForWavesPerEU: 1
; AccumOffset: 4
; Occupancy: 8
; WaveLimiterHint : 0
; COMPUTE_PGM_RSRC2:SCRATCH_EN: 0
; COMPUTE_PGM_RSRC2:USER_SGPR: 6
; COMPUTE_PGM_RSRC2:TRAP_HANDLER: 0
; COMPUTE_PGM_RSRC2:TGID_X_EN: 1
; COMPUTE_PGM_RSRC2:TGID_Y_EN: 0
; COMPUTE_PGM_RSRC2:TGID_Z_EN: 0
; COMPUTE_PGM_RSRC2:TIDIG_COMP_CNT: 0
; COMPUTE_PGM_RSRC3_GFX90A:ACCUM_OFFSET: 0
; COMPUTE_PGM_RSRC3_GFX90A:TG_SPLIT: 0
	.section	.text._ZN7rocprim17ROCPRIM_400000_NS6detail17trampoline_kernelINS0_14default_configENS1_20scan_config_selectorIN3c107complexIdEEEEZZNS1_9scan_implILNS1_25lookback_scan_determinismE0ELb0ELb0ES3_PKS7_PS7_S7_ZZZN2at6native31launch_logcumsumexp_cuda_kernelERKNSE_10TensorBaseESI_lENKUlvE_clEvENKUlvE1_clEvEUlS7_S7_E_S7_EEDaPvRmT3_T4_T5_mT6_P12ihipStream_tbENKUlT_T0_E_clISt17integral_constantIbLb1EESZ_EEDaSU_SV_EUlSU_E_NS1_11comp_targetILNS1_3genE9ELNS1_11target_archE1100ELNS1_3gpuE3ELNS1_3repE0EEENS1_30default_config_static_selectorELNS0_4arch9wavefront6targetE1EEEvT1_,"axG",@progbits,_ZN7rocprim17ROCPRIM_400000_NS6detail17trampoline_kernelINS0_14default_configENS1_20scan_config_selectorIN3c107complexIdEEEEZZNS1_9scan_implILNS1_25lookback_scan_determinismE0ELb0ELb0ES3_PKS7_PS7_S7_ZZZN2at6native31launch_logcumsumexp_cuda_kernelERKNSE_10TensorBaseESI_lENKUlvE_clEvENKUlvE1_clEvEUlS7_S7_E_S7_EEDaPvRmT3_T4_T5_mT6_P12ihipStream_tbENKUlT_T0_E_clISt17integral_constantIbLb1EESZ_EEDaSU_SV_EUlSU_E_NS1_11comp_targetILNS1_3genE9ELNS1_11target_archE1100ELNS1_3gpuE3ELNS1_3repE0EEENS1_30default_config_static_selectorELNS0_4arch9wavefront6targetE1EEEvT1_,comdat
	.globl	_ZN7rocprim17ROCPRIM_400000_NS6detail17trampoline_kernelINS0_14default_configENS1_20scan_config_selectorIN3c107complexIdEEEEZZNS1_9scan_implILNS1_25lookback_scan_determinismE0ELb0ELb0ES3_PKS7_PS7_S7_ZZZN2at6native31launch_logcumsumexp_cuda_kernelERKNSE_10TensorBaseESI_lENKUlvE_clEvENKUlvE1_clEvEUlS7_S7_E_S7_EEDaPvRmT3_T4_T5_mT6_P12ihipStream_tbENKUlT_T0_E_clISt17integral_constantIbLb1EESZ_EEDaSU_SV_EUlSU_E_NS1_11comp_targetILNS1_3genE9ELNS1_11target_archE1100ELNS1_3gpuE3ELNS1_3repE0EEENS1_30default_config_static_selectorELNS0_4arch9wavefront6targetE1EEEvT1_ ; -- Begin function _ZN7rocprim17ROCPRIM_400000_NS6detail17trampoline_kernelINS0_14default_configENS1_20scan_config_selectorIN3c107complexIdEEEEZZNS1_9scan_implILNS1_25lookback_scan_determinismE0ELb0ELb0ES3_PKS7_PS7_S7_ZZZN2at6native31launch_logcumsumexp_cuda_kernelERKNSE_10TensorBaseESI_lENKUlvE_clEvENKUlvE1_clEvEUlS7_S7_E_S7_EEDaPvRmT3_T4_T5_mT6_P12ihipStream_tbENKUlT_T0_E_clISt17integral_constantIbLb1EESZ_EEDaSU_SV_EUlSU_E_NS1_11comp_targetILNS1_3genE9ELNS1_11target_archE1100ELNS1_3gpuE3ELNS1_3repE0EEENS1_30default_config_static_selectorELNS0_4arch9wavefront6targetE1EEEvT1_
	.p2align	8
	.type	_ZN7rocprim17ROCPRIM_400000_NS6detail17trampoline_kernelINS0_14default_configENS1_20scan_config_selectorIN3c107complexIdEEEEZZNS1_9scan_implILNS1_25lookback_scan_determinismE0ELb0ELb0ES3_PKS7_PS7_S7_ZZZN2at6native31launch_logcumsumexp_cuda_kernelERKNSE_10TensorBaseESI_lENKUlvE_clEvENKUlvE1_clEvEUlS7_S7_E_S7_EEDaPvRmT3_T4_T5_mT6_P12ihipStream_tbENKUlT_T0_E_clISt17integral_constantIbLb1EESZ_EEDaSU_SV_EUlSU_E_NS1_11comp_targetILNS1_3genE9ELNS1_11target_archE1100ELNS1_3gpuE3ELNS1_3repE0EEENS1_30default_config_static_selectorELNS0_4arch9wavefront6targetE1EEEvT1_,@function
_ZN7rocprim17ROCPRIM_400000_NS6detail17trampoline_kernelINS0_14default_configENS1_20scan_config_selectorIN3c107complexIdEEEEZZNS1_9scan_implILNS1_25lookback_scan_determinismE0ELb0ELb0ES3_PKS7_PS7_S7_ZZZN2at6native31launch_logcumsumexp_cuda_kernelERKNSE_10TensorBaseESI_lENKUlvE_clEvENKUlvE1_clEvEUlS7_S7_E_S7_EEDaPvRmT3_T4_T5_mT6_P12ihipStream_tbENKUlT_T0_E_clISt17integral_constantIbLb1EESZ_EEDaSU_SV_EUlSU_E_NS1_11comp_targetILNS1_3genE9ELNS1_11target_archE1100ELNS1_3gpuE3ELNS1_3repE0EEENS1_30default_config_static_selectorELNS0_4arch9wavefront6targetE1EEEvT1_: ; @_ZN7rocprim17ROCPRIM_400000_NS6detail17trampoline_kernelINS0_14default_configENS1_20scan_config_selectorIN3c107complexIdEEEEZZNS1_9scan_implILNS1_25lookback_scan_determinismE0ELb0ELb0ES3_PKS7_PS7_S7_ZZZN2at6native31launch_logcumsumexp_cuda_kernelERKNSE_10TensorBaseESI_lENKUlvE_clEvENKUlvE1_clEvEUlS7_S7_E_S7_EEDaPvRmT3_T4_T5_mT6_P12ihipStream_tbENKUlT_T0_E_clISt17integral_constantIbLb1EESZ_EEDaSU_SV_EUlSU_E_NS1_11comp_targetILNS1_3genE9ELNS1_11target_archE1100ELNS1_3gpuE3ELNS1_3repE0EEENS1_30default_config_static_selectorELNS0_4arch9wavefront6targetE1EEEvT1_
; %bb.0:
	.section	.rodata,"a",@progbits
	.p2align	6, 0x0
	.amdhsa_kernel _ZN7rocprim17ROCPRIM_400000_NS6detail17trampoline_kernelINS0_14default_configENS1_20scan_config_selectorIN3c107complexIdEEEEZZNS1_9scan_implILNS1_25lookback_scan_determinismE0ELb0ELb0ES3_PKS7_PS7_S7_ZZZN2at6native31launch_logcumsumexp_cuda_kernelERKNSE_10TensorBaseESI_lENKUlvE_clEvENKUlvE1_clEvEUlS7_S7_E_S7_EEDaPvRmT3_T4_T5_mT6_P12ihipStream_tbENKUlT_T0_E_clISt17integral_constantIbLb1EESZ_EEDaSU_SV_EUlSU_E_NS1_11comp_targetILNS1_3genE9ELNS1_11target_archE1100ELNS1_3gpuE3ELNS1_3repE0EEENS1_30default_config_static_selectorELNS0_4arch9wavefront6targetE1EEEvT1_
		.amdhsa_group_segment_fixed_size 0
		.amdhsa_private_segment_fixed_size 0
		.amdhsa_kernarg_size 128
		.amdhsa_user_sgpr_count 6
		.amdhsa_user_sgpr_private_segment_buffer 1
		.amdhsa_user_sgpr_dispatch_ptr 0
		.amdhsa_user_sgpr_queue_ptr 0
		.amdhsa_user_sgpr_kernarg_segment_ptr 1
		.amdhsa_user_sgpr_dispatch_id 0
		.amdhsa_user_sgpr_flat_scratch_init 0
		.amdhsa_user_sgpr_kernarg_preload_length 0
		.amdhsa_user_sgpr_kernarg_preload_offset 0
		.amdhsa_user_sgpr_private_segment_size 0
		.amdhsa_uses_dynamic_stack 0
		.amdhsa_system_sgpr_private_segment_wavefront_offset 0
		.amdhsa_system_sgpr_workgroup_id_x 1
		.amdhsa_system_sgpr_workgroup_id_y 0
		.amdhsa_system_sgpr_workgroup_id_z 0
		.amdhsa_system_sgpr_workgroup_info 0
		.amdhsa_system_vgpr_workitem_id 0
		.amdhsa_next_free_vgpr 1
		.amdhsa_next_free_sgpr 0
		.amdhsa_accum_offset 4
		.amdhsa_reserve_vcc 0
		.amdhsa_reserve_flat_scratch 0
		.amdhsa_float_round_mode_32 0
		.amdhsa_float_round_mode_16_64 0
		.amdhsa_float_denorm_mode_32 3
		.amdhsa_float_denorm_mode_16_64 3
		.amdhsa_dx10_clamp 1
		.amdhsa_ieee_mode 1
		.amdhsa_fp16_overflow 0
		.amdhsa_tg_split 0
		.amdhsa_exception_fp_ieee_invalid_op 0
		.amdhsa_exception_fp_denorm_src 0
		.amdhsa_exception_fp_ieee_div_zero 0
		.amdhsa_exception_fp_ieee_overflow 0
		.amdhsa_exception_fp_ieee_underflow 0
		.amdhsa_exception_fp_ieee_inexact 0
		.amdhsa_exception_int_div_zero 0
	.end_amdhsa_kernel
	.section	.text._ZN7rocprim17ROCPRIM_400000_NS6detail17trampoline_kernelINS0_14default_configENS1_20scan_config_selectorIN3c107complexIdEEEEZZNS1_9scan_implILNS1_25lookback_scan_determinismE0ELb0ELb0ES3_PKS7_PS7_S7_ZZZN2at6native31launch_logcumsumexp_cuda_kernelERKNSE_10TensorBaseESI_lENKUlvE_clEvENKUlvE1_clEvEUlS7_S7_E_S7_EEDaPvRmT3_T4_T5_mT6_P12ihipStream_tbENKUlT_T0_E_clISt17integral_constantIbLb1EESZ_EEDaSU_SV_EUlSU_E_NS1_11comp_targetILNS1_3genE9ELNS1_11target_archE1100ELNS1_3gpuE3ELNS1_3repE0EEENS1_30default_config_static_selectorELNS0_4arch9wavefront6targetE1EEEvT1_,"axG",@progbits,_ZN7rocprim17ROCPRIM_400000_NS6detail17trampoline_kernelINS0_14default_configENS1_20scan_config_selectorIN3c107complexIdEEEEZZNS1_9scan_implILNS1_25lookback_scan_determinismE0ELb0ELb0ES3_PKS7_PS7_S7_ZZZN2at6native31launch_logcumsumexp_cuda_kernelERKNSE_10TensorBaseESI_lENKUlvE_clEvENKUlvE1_clEvEUlS7_S7_E_S7_EEDaPvRmT3_T4_T5_mT6_P12ihipStream_tbENKUlT_T0_E_clISt17integral_constantIbLb1EESZ_EEDaSU_SV_EUlSU_E_NS1_11comp_targetILNS1_3genE9ELNS1_11target_archE1100ELNS1_3gpuE3ELNS1_3repE0EEENS1_30default_config_static_selectorELNS0_4arch9wavefront6targetE1EEEvT1_,comdat
.Lfunc_end210:
	.size	_ZN7rocprim17ROCPRIM_400000_NS6detail17trampoline_kernelINS0_14default_configENS1_20scan_config_selectorIN3c107complexIdEEEEZZNS1_9scan_implILNS1_25lookback_scan_determinismE0ELb0ELb0ES3_PKS7_PS7_S7_ZZZN2at6native31launch_logcumsumexp_cuda_kernelERKNSE_10TensorBaseESI_lENKUlvE_clEvENKUlvE1_clEvEUlS7_S7_E_S7_EEDaPvRmT3_T4_T5_mT6_P12ihipStream_tbENKUlT_T0_E_clISt17integral_constantIbLb1EESZ_EEDaSU_SV_EUlSU_E_NS1_11comp_targetILNS1_3genE9ELNS1_11target_archE1100ELNS1_3gpuE3ELNS1_3repE0EEENS1_30default_config_static_selectorELNS0_4arch9wavefront6targetE1EEEvT1_, .Lfunc_end210-_ZN7rocprim17ROCPRIM_400000_NS6detail17trampoline_kernelINS0_14default_configENS1_20scan_config_selectorIN3c107complexIdEEEEZZNS1_9scan_implILNS1_25lookback_scan_determinismE0ELb0ELb0ES3_PKS7_PS7_S7_ZZZN2at6native31launch_logcumsumexp_cuda_kernelERKNSE_10TensorBaseESI_lENKUlvE_clEvENKUlvE1_clEvEUlS7_S7_E_S7_EEDaPvRmT3_T4_T5_mT6_P12ihipStream_tbENKUlT_T0_E_clISt17integral_constantIbLb1EESZ_EEDaSU_SV_EUlSU_E_NS1_11comp_targetILNS1_3genE9ELNS1_11target_archE1100ELNS1_3gpuE3ELNS1_3repE0EEENS1_30default_config_static_selectorELNS0_4arch9wavefront6targetE1EEEvT1_
                                        ; -- End function
	.section	.AMDGPU.csdata,"",@progbits
; Kernel info:
; codeLenInByte = 0
; NumSgprs: 4
; NumVgprs: 0
; NumAgprs: 0
; TotalNumVgprs: 0
; ScratchSize: 0
; MemoryBound: 0
; FloatMode: 240
; IeeeMode: 1
; LDSByteSize: 0 bytes/workgroup (compile time only)
; SGPRBlocks: 0
; VGPRBlocks: 0
; NumSGPRsForWavesPerEU: 4
; NumVGPRsForWavesPerEU: 1
; AccumOffset: 4
; Occupancy: 8
; WaveLimiterHint : 0
; COMPUTE_PGM_RSRC2:SCRATCH_EN: 0
; COMPUTE_PGM_RSRC2:USER_SGPR: 6
; COMPUTE_PGM_RSRC2:TRAP_HANDLER: 0
; COMPUTE_PGM_RSRC2:TGID_X_EN: 1
; COMPUTE_PGM_RSRC2:TGID_Y_EN: 0
; COMPUTE_PGM_RSRC2:TGID_Z_EN: 0
; COMPUTE_PGM_RSRC2:TIDIG_COMP_CNT: 0
; COMPUTE_PGM_RSRC3_GFX90A:ACCUM_OFFSET: 0
; COMPUTE_PGM_RSRC3_GFX90A:TG_SPLIT: 0
	.section	.text._ZN7rocprim17ROCPRIM_400000_NS6detail17trampoline_kernelINS0_14default_configENS1_20scan_config_selectorIN3c107complexIdEEEEZZNS1_9scan_implILNS1_25lookback_scan_determinismE0ELb0ELb0ES3_PKS7_PS7_S7_ZZZN2at6native31launch_logcumsumexp_cuda_kernelERKNSE_10TensorBaseESI_lENKUlvE_clEvENKUlvE1_clEvEUlS7_S7_E_S7_EEDaPvRmT3_T4_T5_mT6_P12ihipStream_tbENKUlT_T0_E_clISt17integral_constantIbLb1EESZ_EEDaSU_SV_EUlSU_E_NS1_11comp_targetILNS1_3genE8ELNS1_11target_archE1030ELNS1_3gpuE2ELNS1_3repE0EEENS1_30default_config_static_selectorELNS0_4arch9wavefront6targetE1EEEvT1_,"axG",@progbits,_ZN7rocprim17ROCPRIM_400000_NS6detail17trampoline_kernelINS0_14default_configENS1_20scan_config_selectorIN3c107complexIdEEEEZZNS1_9scan_implILNS1_25lookback_scan_determinismE0ELb0ELb0ES3_PKS7_PS7_S7_ZZZN2at6native31launch_logcumsumexp_cuda_kernelERKNSE_10TensorBaseESI_lENKUlvE_clEvENKUlvE1_clEvEUlS7_S7_E_S7_EEDaPvRmT3_T4_T5_mT6_P12ihipStream_tbENKUlT_T0_E_clISt17integral_constantIbLb1EESZ_EEDaSU_SV_EUlSU_E_NS1_11comp_targetILNS1_3genE8ELNS1_11target_archE1030ELNS1_3gpuE2ELNS1_3repE0EEENS1_30default_config_static_selectorELNS0_4arch9wavefront6targetE1EEEvT1_,comdat
	.globl	_ZN7rocprim17ROCPRIM_400000_NS6detail17trampoline_kernelINS0_14default_configENS1_20scan_config_selectorIN3c107complexIdEEEEZZNS1_9scan_implILNS1_25lookback_scan_determinismE0ELb0ELb0ES3_PKS7_PS7_S7_ZZZN2at6native31launch_logcumsumexp_cuda_kernelERKNSE_10TensorBaseESI_lENKUlvE_clEvENKUlvE1_clEvEUlS7_S7_E_S7_EEDaPvRmT3_T4_T5_mT6_P12ihipStream_tbENKUlT_T0_E_clISt17integral_constantIbLb1EESZ_EEDaSU_SV_EUlSU_E_NS1_11comp_targetILNS1_3genE8ELNS1_11target_archE1030ELNS1_3gpuE2ELNS1_3repE0EEENS1_30default_config_static_selectorELNS0_4arch9wavefront6targetE1EEEvT1_ ; -- Begin function _ZN7rocprim17ROCPRIM_400000_NS6detail17trampoline_kernelINS0_14default_configENS1_20scan_config_selectorIN3c107complexIdEEEEZZNS1_9scan_implILNS1_25lookback_scan_determinismE0ELb0ELb0ES3_PKS7_PS7_S7_ZZZN2at6native31launch_logcumsumexp_cuda_kernelERKNSE_10TensorBaseESI_lENKUlvE_clEvENKUlvE1_clEvEUlS7_S7_E_S7_EEDaPvRmT3_T4_T5_mT6_P12ihipStream_tbENKUlT_T0_E_clISt17integral_constantIbLb1EESZ_EEDaSU_SV_EUlSU_E_NS1_11comp_targetILNS1_3genE8ELNS1_11target_archE1030ELNS1_3gpuE2ELNS1_3repE0EEENS1_30default_config_static_selectorELNS0_4arch9wavefront6targetE1EEEvT1_
	.p2align	8
	.type	_ZN7rocprim17ROCPRIM_400000_NS6detail17trampoline_kernelINS0_14default_configENS1_20scan_config_selectorIN3c107complexIdEEEEZZNS1_9scan_implILNS1_25lookback_scan_determinismE0ELb0ELb0ES3_PKS7_PS7_S7_ZZZN2at6native31launch_logcumsumexp_cuda_kernelERKNSE_10TensorBaseESI_lENKUlvE_clEvENKUlvE1_clEvEUlS7_S7_E_S7_EEDaPvRmT3_T4_T5_mT6_P12ihipStream_tbENKUlT_T0_E_clISt17integral_constantIbLb1EESZ_EEDaSU_SV_EUlSU_E_NS1_11comp_targetILNS1_3genE8ELNS1_11target_archE1030ELNS1_3gpuE2ELNS1_3repE0EEENS1_30default_config_static_selectorELNS0_4arch9wavefront6targetE1EEEvT1_,@function
_ZN7rocprim17ROCPRIM_400000_NS6detail17trampoline_kernelINS0_14default_configENS1_20scan_config_selectorIN3c107complexIdEEEEZZNS1_9scan_implILNS1_25lookback_scan_determinismE0ELb0ELb0ES3_PKS7_PS7_S7_ZZZN2at6native31launch_logcumsumexp_cuda_kernelERKNSE_10TensorBaseESI_lENKUlvE_clEvENKUlvE1_clEvEUlS7_S7_E_S7_EEDaPvRmT3_T4_T5_mT6_P12ihipStream_tbENKUlT_T0_E_clISt17integral_constantIbLb1EESZ_EEDaSU_SV_EUlSU_E_NS1_11comp_targetILNS1_3genE8ELNS1_11target_archE1030ELNS1_3gpuE2ELNS1_3repE0EEENS1_30default_config_static_selectorELNS0_4arch9wavefront6targetE1EEEvT1_: ; @_ZN7rocprim17ROCPRIM_400000_NS6detail17trampoline_kernelINS0_14default_configENS1_20scan_config_selectorIN3c107complexIdEEEEZZNS1_9scan_implILNS1_25lookback_scan_determinismE0ELb0ELb0ES3_PKS7_PS7_S7_ZZZN2at6native31launch_logcumsumexp_cuda_kernelERKNSE_10TensorBaseESI_lENKUlvE_clEvENKUlvE1_clEvEUlS7_S7_E_S7_EEDaPvRmT3_T4_T5_mT6_P12ihipStream_tbENKUlT_T0_E_clISt17integral_constantIbLb1EESZ_EEDaSU_SV_EUlSU_E_NS1_11comp_targetILNS1_3genE8ELNS1_11target_archE1030ELNS1_3gpuE2ELNS1_3repE0EEENS1_30default_config_static_selectorELNS0_4arch9wavefront6targetE1EEEvT1_
; %bb.0:
	.section	.rodata,"a",@progbits
	.p2align	6, 0x0
	.amdhsa_kernel _ZN7rocprim17ROCPRIM_400000_NS6detail17trampoline_kernelINS0_14default_configENS1_20scan_config_selectorIN3c107complexIdEEEEZZNS1_9scan_implILNS1_25lookback_scan_determinismE0ELb0ELb0ES3_PKS7_PS7_S7_ZZZN2at6native31launch_logcumsumexp_cuda_kernelERKNSE_10TensorBaseESI_lENKUlvE_clEvENKUlvE1_clEvEUlS7_S7_E_S7_EEDaPvRmT3_T4_T5_mT6_P12ihipStream_tbENKUlT_T0_E_clISt17integral_constantIbLb1EESZ_EEDaSU_SV_EUlSU_E_NS1_11comp_targetILNS1_3genE8ELNS1_11target_archE1030ELNS1_3gpuE2ELNS1_3repE0EEENS1_30default_config_static_selectorELNS0_4arch9wavefront6targetE1EEEvT1_
		.amdhsa_group_segment_fixed_size 0
		.amdhsa_private_segment_fixed_size 0
		.amdhsa_kernarg_size 128
		.amdhsa_user_sgpr_count 6
		.amdhsa_user_sgpr_private_segment_buffer 1
		.amdhsa_user_sgpr_dispatch_ptr 0
		.amdhsa_user_sgpr_queue_ptr 0
		.amdhsa_user_sgpr_kernarg_segment_ptr 1
		.amdhsa_user_sgpr_dispatch_id 0
		.amdhsa_user_sgpr_flat_scratch_init 0
		.amdhsa_user_sgpr_kernarg_preload_length 0
		.amdhsa_user_sgpr_kernarg_preload_offset 0
		.amdhsa_user_sgpr_private_segment_size 0
		.amdhsa_uses_dynamic_stack 0
		.amdhsa_system_sgpr_private_segment_wavefront_offset 0
		.amdhsa_system_sgpr_workgroup_id_x 1
		.amdhsa_system_sgpr_workgroup_id_y 0
		.amdhsa_system_sgpr_workgroup_id_z 0
		.amdhsa_system_sgpr_workgroup_info 0
		.amdhsa_system_vgpr_workitem_id 0
		.amdhsa_next_free_vgpr 1
		.amdhsa_next_free_sgpr 0
		.amdhsa_accum_offset 4
		.amdhsa_reserve_vcc 0
		.amdhsa_reserve_flat_scratch 0
		.amdhsa_float_round_mode_32 0
		.amdhsa_float_round_mode_16_64 0
		.amdhsa_float_denorm_mode_32 3
		.amdhsa_float_denorm_mode_16_64 3
		.amdhsa_dx10_clamp 1
		.amdhsa_ieee_mode 1
		.amdhsa_fp16_overflow 0
		.amdhsa_tg_split 0
		.amdhsa_exception_fp_ieee_invalid_op 0
		.amdhsa_exception_fp_denorm_src 0
		.amdhsa_exception_fp_ieee_div_zero 0
		.amdhsa_exception_fp_ieee_overflow 0
		.amdhsa_exception_fp_ieee_underflow 0
		.amdhsa_exception_fp_ieee_inexact 0
		.amdhsa_exception_int_div_zero 0
	.end_amdhsa_kernel
	.section	.text._ZN7rocprim17ROCPRIM_400000_NS6detail17trampoline_kernelINS0_14default_configENS1_20scan_config_selectorIN3c107complexIdEEEEZZNS1_9scan_implILNS1_25lookback_scan_determinismE0ELb0ELb0ES3_PKS7_PS7_S7_ZZZN2at6native31launch_logcumsumexp_cuda_kernelERKNSE_10TensorBaseESI_lENKUlvE_clEvENKUlvE1_clEvEUlS7_S7_E_S7_EEDaPvRmT3_T4_T5_mT6_P12ihipStream_tbENKUlT_T0_E_clISt17integral_constantIbLb1EESZ_EEDaSU_SV_EUlSU_E_NS1_11comp_targetILNS1_3genE8ELNS1_11target_archE1030ELNS1_3gpuE2ELNS1_3repE0EEENS1_30default_config_static_selectorELNS0_4arch9wavefront6targetE1EEEvT1_,"axG",@progbits,_ZN7rocprim17ROCPRIM_400000_NS6detail17trampoline_kernelINS0_14default_configENS1_20scan_config_selectorIN3c107complexIdEEEEZZNS1_9scan_implILNS1_25lookback_scan_determinismE0ELb0ELb0ES3_PKS7_PS7_S7_ZZZN2at6native31launch_logcumsumexp_cuda_kernelERKNSE_10TensorBaseESI_lENKUlvE_clEvENKUlvE1_clEvEUlS7_S7_E_S7_EEDaPvRmT3_T4_T5_mT6_P12ihipStream_tbENKUlT_T0_E_clISt17integral_constantIbLb1EESZ_EEDaSU_SV_EUlSU_E_NS1_11comp_targetILNS1_3genE8ELNS1_11target_archE1030ELNS1_3gpuE2ELNS1_3repE0EEENS1_30default_config_static_selectorELNS0_4arch9wavefront6targetE1EEEvT1_,comdat
.Lfunc_end211:
	.size	_ZN7rocprim17ROCPRIM_400000_NS6detail17trampoline_kernelINS0_14default_configENS1_20scan_config_selectorIN3c107complexIdEEEEZZNS1_9scan_implILNS1_25lookback_scan_determinismE0ELb0ELb0ES3_PKS7_PS7_S7_ZZZN2at6native31launch_logcumsumexp_cuda_kernelERKNSE_10TensorBaseESI_lENKUlvE_clEvENKUlvE1_clEvEUlS7_S7_E_S7_EEDaPvRmT3_T4_T5_mT6_P12ihipStream_tbENKUlT_T0_E_clISt17integral_constantIbLb1EESZ_EEDaSU_SV_EUlSU_E_NS1_11comp_targetILNS1_3genE8ELNS1_11target_archE1030ELNS1_3gpuE2ELNS1_3repE0EEENS1_30default_config_static_selectorELNS0_4arch9wavefront6targetE1EEEvT1_, .Lfunc_end211-_ZN7rocprim17ROCPRIM_400000_NS6detail17trampoline_kernelINS0_14default_configENS1_20scan_config_selectorIN3c107complexIdEEEEZZNS1_9scan_implILNS1_25lookback_scan_determinismE0ELb0ELb0ES3_PKS7_PS7_S7_ZZZN2at6native31launch_logcumsumexp_cuda_kernelERKNSE_10TensorBaseESI_lENKUlvE_clEvENKUlvE1_clEvEUlS7_S7_E_S7_EEDaPvRmT3_T4_T5_mT6_P12ihipStream_tbENKUlT_T0_E_clISt17integral_constantIbLb1EESZ_EEDaSU_SV_EUlSU_E_NS1_11comp_targetILNS1_3genE8ELNS1_11target_archE1030ELNS1_3gpuE2ELNS1_3repE0EEENS1_30default_config_static_selectorELNS0_4arch9wavefront6targetE1EEEvT1_
                                        ; -- End function
	.section	.AMDGPU.csdata,"",@progbits
; Kernel info:
; codeLenInByte = 0
; NumSgprs: 4
; NumVgprs: 0
; NumAgprs: 0
; TotalNumVgprs: 0
; ScratchSize: 0
; MemoryBound: 0
; FloatMode: 240
; IeeeMode: 1
; LDSByteSize: 0 bytes/workgroup (compile time only)
; SGPRBlocks: 0
; VGPRBlocks: 0
; NumSGPRsForWavesPerEU: 4
; NumVGPRsForWavesPerEU: 1
; AccumOffset: 4
; Occupancy: 8
; WaveLimiterHint : 0
; COMPUTE_PGM_RSRC2:SCRATCH_EN: 0
; COMPUTE_PGM_RSRC2:USER_SGPR: 6
; COMPUTE_PGM_RSRC2:TRAP_HANDLER: 0
; COMPUTE_PGM_RSRC2:TGID_X_EN: 1
; COMPUTE_PGM_RSRC2:TGID_Y_EN: 0
; COMPUTE_PGM_RSRC2:TGID_Z_EN: 0
; COMPUTE_PGM_RSRC2:TIDIG_COMP_CNT: 0
; COMPUTE_PGM_RSRC3_GFX90A:ACCUM_OFFSET: 0
; COMPUTE_PGM_RSRC3_GFX90A:TG_SPLIT: 0
	.section	.text._ZN7rocprim17ROCPRIM_400000_NS6detail17trampoline_kernelINS0_14default_configENS1_20scan_config_selectorIN3c107complexIdEEEEZZNS1_9scan_implILNS1_25lookback_scan_determinismE0ELb0ELb0ES3_PKS7_PS7_S7_ZZZN2at6native31launch_logcumsumexp_cuda_kernelERKNSE_10TensorBaseESI_lENKUlvE_clEvENKUlvE1_clEvEUlS7_S7_E_S7_EEDaPvRmT3_T4_T5_mT6_P12ihipStream_tbENKUlT_T0_E_clISt17integral_constantIbLb1EESZ_EEDaSU_SV_EUlSU_E0_NS1_11comp_targetILNS1_3genE0ELNS1_11target_archE4294967295ELNS1_3gpuE0ELNS1_3repE0EEENS1_30default_config_static_selectorELNS0_4arch9wavefront6targetE1EEEvT1_,"axG",@progbits,_ZN7rocprim17ROCPRIM_400000_NS6detail17trampoline_kernelINS0_14default_configENS1_20scan_config_selectorIN3c107complexIdEEEEZZNS1_9scan_implILNS1_25lookback_scan_determinismE0ELb0ELb0ES3_PKS7_PS7_S7_ZZZN2at6native31launch_logcumsumexp_cuda_kernelERKNSE_10TensorBaseESI_lENKUlvE_clEvENKUlvE1_clEvEUlS7_S7_E_S7_EEDaPvRmT3_T4_T5_mT6_P12ihipStream_tbENKUlT_T0_E_clISt17integral_constantIbLb1EESZ_EEDaSU_SV_EUlSU_E0_NS1_11comp_targetILNS1_3genE0ELNS1_11target_archE4294967295ELNS1_3gpuE0ELNS1_3repE0EEENS1_30default_config_static_selectorELNS0_4arch9wavefront6targetE1EEEvT1_,comdat
	.globl	_ZN7rocprim17ROCPRIM_400000_NS6detail17trampoline_kernelINS0_14default_configENS1_20scan_config_selectorIN3c107complexIdEEEEZZNS1_9scan_implILNS1_25lookback_scan_determinismE0ELb0ELb0ES3_PKS7_PS7_S7_ZZZN2at6native31launch_logcumsumexp_cuda_kernelERKNSE_10TensorBaseESI_lENKUlvE_clEvENKUlvE1_clEvEUlS7_S7_E_S7_EEDaPvRmT3_T4_T5_mT6_P12ihipStream_tbENKUlT_T0_E_clISt17integral_constantIbLb1EESZ_EEDaSU_SV_EUlSU_E0_NS1_11comp_targetILNS1_3genE0ELNS1_11target_archE4294967295ELNS1_3gpuE0ELNS1_3repE0EEENS1_30default_config_static_selectorELNS0_4arch9wavefront6targetE1EEEvT1_ ; -- Begin function _ZN7rocprim17ROCPRIM_400000_NS6detail17trampoline_kernelINS0_14default_configENS1_20scan_config_selectorIN3c107complexIdEEEEZZNS1_9scan_implILNS1_25lookback_scan_determinismE0ELb0ELb0ES3_PKS7_PS7_S7_ZZZN2at6native31launch_logcumsumexp_cuda_kernelERKNSE_10TensorBaseESI_lENKUlvE_clEvENKUlvE1_clEvEUlS7_S7_E_S7_EEDaPvRmT3_T4_T5_mT6_P12ihipStream_tbENKUlT_T0_E_clISt17integral_constantIbLb1EESZ_EEDaSU_SV_EUlSU_E0_NS1_11comp_targetILNS1_3genE0ELNS1_11target_archE4294967295ELNS1_3gpuE0ELNS1_3repE0EEENS1_30default_config_static_selectorELNS0_4arch9wavefront6targetE1EEEvT1_
	.p2align	8
	.type	_ZN7rocprim17ROCPRIM_400000_NS6detail17trampoline_kernelINS0_14default_configENS1_20scan_config_selectorIN3c107complexIdEEEEZZNS1_9scan_implILNS1_25lookback_scan_determinismE0ELb0ELb0ES3_PKS7_PS7_S7_ZZZN2at6native31launch_logcumsumexp_cuda_kernelERKNSE_10TensorBaseESI_lENKUlvE_clEvENKUlvE1_clEvEUlS7_S7_E_S7_EEDaPvRmT3_T4_T5_mT6_P12ihipStream_tbENKUlT_T0_E_clISt17integral_constantIbLb1EESZ_EEDaSU_SV_EUlSU_E0_NS1_11comp_targetILNS1_3genE0ELNS1_11target_archE4294967295ELNS1_3gpuE0ELNS1_3repE0EEENS1_30default_config_static_selectorELNS0_4arch9wavefront6targetE1EEEvT1_,@function
_ZN7rocprim17ROCPRIM_400000_NS6detail17trampoline_kernelINS0_14default_configENS1_20scan_config_selectorIN3c107complexIdEEEEZZNS1_9scan_implILNS1_25lookback_scan_determinismE0ELb0ELb0ES3_PKS7_PS7_S7_ZZZN2at6native31launch_logcumsumexp_cuda_kernelERKNSE_10TensorBaseESI_lENKUlvE_clEvENKUlvE1_clEvEUlS7_S7_E_S7_EEDaPvRmT3_T4_T5_mT6_P12ihipStream_tbENKUlT_T0_E_clISt17integral_constantIbLb1EESZ_EEDaSU_SV_EUlSU_E0_NS1_11comp_targetILNS1_3genE0ELNS1_11target_archE4294967295ELNS1_3gpuE0ELNS1_3repE0EEENS1_30default_config_static_selectorELNS0_4arch9wavefront6targetE1EEEvT1_: ; @_ZN7rocprim17ROCPRIM_400000_NS6detail17trampoline_kernelINS0_14default_configENS1_20scan_config_selectorIN3c107complexIdEEEEZZNS1_9scan_implILNS1_25lookback_scan_determinismE0ELb0ELb0ES3_PKS7_PS7_S7_ZZZN2at6native31launch_logcumsumexp_cuda_kernelERKNSE_10TensorBaseESI_lENKUlvE_clEvENKUlvE1_clEvEUlS7_S7_E_S7_EEDaPvRmT3_T4_T5_mT6_P12ihipStream_tbENKUlT_T0_E_clISt17integral_constantIbLb1EESZ_EEDaSU_SV_EUlSU_E0_NS1_11comp_targetILNS1_3genE0ELNS1_11target_archE4294967295ELNS1_3gpuE0ELNS1_3repE0EEENS1_30default_config_static_selectorELNS0_4arch9wavefront6targetE1EEEvT1_
; %bb.0:
	.section	.rodata,"a",@progbits
	.p2align	6, 0x0
	.amdhsa_kernel _ZN7rocprim17ROCPRIM_400000_NS6detail17trampoline_kernelINS0_14default_configENS1_20scan_config_selectorIN3c107complexIdEEEEZZNS1_9scan_implILNS1_25lookback_scan_determinismE0ELb0ELb0ES3_PKS7_PS7_S7_ZZZN2at6native31launch_logcumsumexp_cuda_kernelERKNSE_10TensorBaseESI_lENKUlvE_clEvENKUlvE1_clEvEUlS7_S7_E_S7_EEDaPvRmT3_T4_T5_mT6_P12ihipStream_tbENKUlT_T0_E_clISt17integral_constantIbLb1EESZ_EEDaSU_SV_EUlSU_E0_NS1_11comp_targetILNS1_3genE0ELNS1_11target_archE4294967295ELNS1_3gpuE0ELNS1_3repE0EEENS1_30default_config_static_selectorELNS0_4arch9wavefront6targetE1EEEvT1_
		.amdhsa_group_segment_fixed_size 0
		.amdhsa_private_segment_fixed_size 0
		.amdhsa_kernarg_size 48
		.amdhsa_user_sgpr_count 6
		.amdhsa_user_sgpr_private_segment_buffer 1
		.amdhsa_user_sgpr_dispatch_ptr 0
		.amdhsa_user_sgpr_queue_ptr 0
		.amdhsa_user_sgpr_kernarg_segment_ptr 1
		.amdhsa_user_sgpr_dispatch_id 0
		.amdhsa_user_sgpr_flat_scratch_init 0
		.amdhsa_user_sgpr_kernarg_preload_length 0
		.amdhsa_user_sgpr_kernarg_preload_offset 0
		.amdhsa_user_sgpr_private_segment_size 0
		.amdhsa_uses_dynamic_stack 0
		.amdhsa_system_sgpr_private_segment_wavefront_offset 0
		.amdhsa_system_sgpr_workgroup_id_x 1
		.amdhsa_system_sgpr_workgroup_id_y 0
		.amdhsa_system_sgpr_workgroup_id_z 0
		.amdhsa_system_sgpr_workgroup_info 0
		.amdhsa_system_vgpr_workitem_id 0
		.amdhsa_next_free_vgpr 1
		.amdhsa_next_free_sgpr 0
		.amdhsa_accum_offset 4
		.amdhsa_reserve_vcc 0
		.amdhsa_reserve_flat_scratch 0
		.amdhsa_float_round_mode_32 0
		.amdhsa_float_round_mode_16_64 0
		.amdhsa_float_denorm_mode_32 3
		.amdhsa_float_denorm_mode_16_64 3
		.amdhsa_dx10_clamp 1
		.amdhsa_ieee_mode 1
		.amdhsa_fp16_overflow 0
		.amdhsa_tg_split 0
		.amdhsa_exception_fp_ieee_invalid_op 0
		.amdhsa_exception_fp_denorm_src 0
		.amdhsa_exception_fp_ieee_div_zero 0
		.amdhsa_exception_fp_ieee_overflow 0
		.amdhsa_exception_fp_ieee_underflow 0
		.amdhsa_exception_fp_ieee_inexact 0
		.amdhsa_exception_int_div_zero 0
	.end_amdhsa_kernel
	.section	.text._ZN7rocprim17ROCPRIM_400000_NS6detail17trampoline_kernelINS0_14default_configENS1_20scan_config_selectorIN3c107complexIdEEEEZZNS1_9scan_implILNS1_25lookback_scan_determinismE0ELb0ELb0ES3_PKS7_PS7_S7_ZZZN2at6native31launch_logcumsumexp_cuda_kernelERKNSE_10TensorBaseESI_lENKUlvE_clEvENKUlvE1_clEvEUlS7_S7_E_S7_EEDaPvRmT3_T4_T5_mT6_P12ihipStream_tbENKUlT_T0_E_clISt17integral_constantIbLb1EESZ_EEDaSU_SV_EUlSU_E0_NS1_11comp_targetILNS1_3genE0ELNS1_11target_archE4294967295ELNS1_3gpuE0ELNS1_3repE0EEENS1_30default_config_static_selectorELNS0_4arch9wavefront6targetE1EEEvT1_,"axG",@progbits,_ZN7rocprim17ROCPRIM_400000_NS6detail17trampoline_kernelINS0_14default_configENS1_20scan_config_selectorIN3c107complexIdEEEEZZNS1_9scan_implILNS1_25lookback_scan_determinismE0ELb0ELb0ES3_PKS7_PS7_S7_ZZZN2at6native31launch_logcumsumexp_cuda_kernelERKNSE_10TensorBaseESI_lENKUlvE_clEvENKUlvE1_clEvEUlS7_S7_E_S7_EEDaPvRmT3_T4_T5_mT6_P12ihipStream_tbENKUlT_T0_E_clISt17integral_constantIbLb1EESZ_EEDaSU_SV_EUlSU_E0_NS1_11comp_targetILNS1_3genE0ELNS1_11target_archE4294967295ELNS1_3gpuE0ELNS1_3repE0EEENS1_30default_config_static_selectorELNS0_4arch9wavefront6targetE1EEEvT1_,comdat
.Lfunc_end212:
	.size	_ZN7rocprim17ROCPRIM_400000_NS6detail17trampoline_kernelINS0_14default_configENS1_20scan_config_selectorIN3c107complexIdEEEEZZNS1_9scan_implILNS1_25lookback_scan_determinismE0ELb0ELb0ES3_PKS7_PS7_S7_ZZZN2at6native31launch_logcumsumexp_cuda_kernelERKNSE_10TensorBaseESI_lENKUlvE_clEvENKUlvE1_clEvEUlS7_S7_E_S7_EEDaPvRmT3_T4_T5_mT6_P12ihipStream_tbENKUlT_T0_E_clISt17integral_constantIbLb1EESZ_EEDaSU_SV_EUlSU_E0_NS1_11comp_targetILNS1_3genE0ELNS1_11target_archE4294967295ELNS1_3gpuE0ELNS1_3repE0EEENS1_30default_config_static_selectorELNS0_4arch9wavefront6targetE1EEEvT1_, .Lfunc_end212-_ZN7rocprim17ROCPRIM_400000_NS6detail17trampoline_kernelINS0_14default_configENS1_20scan_config_selectorIN3c107complexIdEEEEZZNS1_9scan_implILNS1_25lookback_scan_determinismE0ELb0ELb0ES3_PKS7_PS7_S7_ZZZN2at6native31launch_logcumsumexp_cuda_kernelERKNSE_10TensorBaseESI_lENKUlvE_clEvENKUlvE1_clEvEUlS7_S7_E_S7_EEDaPvRmT3_T4_T5_mT6_P12ihipStream_tbENKUlT_T0_E_clISt17integral_constantIbLb1EESZ_EEDaSU_SV_EUlSU_E0_NS1_11comp_targetILNS1_3genE0ELNS1_11target_archE4294967295ELNS1_3gpuE0ELNS1_3repE0EEENS1_30default_config_static_selectorELNS0_4arch9wavefront6targetE1EEEvT1_
                                        ; -- End function
	.section	.AMDGPU.csdata,"",@progbits
; Kernel info:
; codeLenInByte = 0
; NumSgprs: 4
; NumVgprs: 0
; NumAgprs: 0
; TotalNumVgprs: 0
; ScratchSize: 0
; MemoryBound: 0
; FloatMode: 240
; IeeeMode: 1
; LDSByteSize: 0 bytes/workgroup (compile time only)
; SGPRBlocks: 0
; VGPRBlocks: 0
; NumSGPRsForWavesPerEU: 4
; NumVGPRsForWavesPerEU: 1
; AccumOffset: 4
; Occupancy: 8
; WaveLimiterHint : 0
; COMPUTE_PGM_RSRC2:SCRATCH_EN: 0
; COMPUTE_PGM_RSRC2:USER_SGPR: 6
; COMPUTE_PGM_RSRC2:TRAP_HANDLER: 0
; COMPUTE_PGM_RSRC2:TGID_X_EN: 1
; COMPUTE_PGM_RSRC2:TGID_Y_EN: 0
; COMPUTE_PGM_RSRC2:TGID_Z_EN: 0
; COMPUTE_PGM_RSRC2:TIDIG_COMP_CNT: 0
; COMPUTE_PGM_RSRC3_GFX90A:ACCUM_OFFSET: 0
; COMPUTE_PGM_RSRC3_GFX90A:TG_SPLIT: 0
	.section	.text._ZN7rocprim17ROCPRIM_400000_NS6detail17trampoline_kernelINS0_14default_configENS1_20scan_config_selectorIN3c107complexIdEEEEZZNS1_9scan_implILNS1_25lookback_scan_determinismE0ELb0ELb0ES3_PKS7_PS7_S7_ZZZN2at6native31launch_logcumsumexp_cuda_kernelERKNSE_10TensorBaseESI_lENKUlvE_clEvENKUlvE1_clEvEUlS7_S7_E_S7_EEDaPvRmT3_T4_T5_mT6_P12ihipStream_tbENKUlT_T0_E_clISt17integral_constantIbLb1EESZ_EEDaSU_SV_EUlSU_E0_NS1_11comp_targetILNS1_3genE5ELNS1_11target_archE942ELNS1_3gpuE9ELNS1_3repE0EEENS1_30default_config_static_selectorELNS0_4arch9wavefront6targetE1EEEvT1_,"axG",@progbits,_ZN7rocprim17ROCPRIM_400000_NS6detail17trampoline_kernelINS0_14default_configENS1_20scan_config_selectorIN3c107complexIdEEEEZZNS1_9scan_implILNS1_25lookback_scan_determinismE0ELb0ELb0ES3_PKS7_PS7_S7_ZZZN2at6native31launch_logcumsumexp_cuda_kernelERKNSE_10TensorBaseESI_lENKUlvE_clEvENKUlvE1_clEvEUlS7_S7_E_S7_EEDaPvRmT3_T4_T5_mT6_P12ihipStream_tbENKUlT_T0_E_clISt17integral_constantIbLb1EESZ_EEDaSU_SV_EUlSU_E0_NS1_11comp_targetILNS1_3genE5ELNS1_11target_archE942ELNS1_3gpuE9ELNS1_3repE0EEENS1_30default_config_static_selectorELNS0_4arch9wavefront6targetE1EEEvT1_,comdat
	.globl	_ZN7rocprim17ROCPRIM_400000_NS6detail17trampoline_kernelINS0_14default_configENS1_20scan_config_selectorIN3c107complexIdEEEEZZNS1_9scan_implILNS1_25lookback_scan_determinismE0ELb0ELb0ES3_PKS7_PS7_S7_ZZZN2at6native31launch_logcumsumexp_cuda_kernelERKNSE_10TensorBaseESI_lENKUlvE_clEvENKUlvE1_clEvEUlS7_S7_E_S7_EEDaPvRmT3_T4_T5_mT6_P12ihipStream_tbENKUlT_T0_E_clISt17integral_constantIbLb1EESZ_EEDaSU_SV_EUlSU_E0_NS1_11comp_targetILNS1_3genE5ELNS1_11target_archE942ELNS1_3gpuE9ELNS1_3repE0EEENS1_30default_config_static_selectorELNS0_4arch9wavefront6targetE1EEEvT1_ ; -- Begin function _ZN7rocprim17ROCPRIM_400000_NS6detail17trampoline_kernelINS0_14default_configENS1_20scan_config_selectorIN3c107complexIdEEEEZZNS1_9scan_implILNS1_25lookback_scan_determinismE0ELb0ELb0ES3_PKS7_PS7_S7_ZZZN2at6native31launch_logcumsumexp_cuda_kernelERKNSE_10TensorBaseESI_lENKUlvE_clEvENKUlvE1_clEvEUlS7_S7_E_S7_EEDaPvRmT3_T4_T5_mT6_P12ihipStream_tbENKUlT_T0_E_clISt17integral_constantIbLb1EESZ_EEDaSU_SV_EUlSU_E0_NS1_11comp_targetILNS1_3genE5ELNS1_11target_archE942ELNS1_3gpuE9ELNS1_3repE0EEENS1_30default_config_static_selectorELNS0_4arch9wavefront6targetE1EEEvT1_
	.p2align	8
	.type	_ZN7rocprim17ROCPRIM_400000_NS6detail17trampoline_kernelINS0_14default_configENS1_20scan_config_selectorIN3c107complexIdEEEEZZNS1_9scan_implILNS1_25lookback_scan_determinismE0ELb0ELb0ES3_PKS7_PS7_S7_ZZZN2at6native31launch_logcumsumexp_cuda_kernelERKNSE_10TensorBaseESI_lENKUlvE_clEvENKUlvE1_clEvEUlS7_S7_E_S7_EEDaPvRmT3_T4_T5_mT6_P12ihipStream_tbENKUlT_T0_E_clISt17integral_constantIbLb1EESZ_EEDaSU_SV_EUlSU_E0_NS1_11comp_targetILNS1_3genE5ELNS1_11target_archE942ELNS1_3gpuE9ELNS1_3repE0EEENS1_30default_config_static_selectorELNS0_4arch9wavefront6targetE1EEEvT1_,@function
_ZN7rocprim17ROCPRIM_400000_NS6detail17trampoline_kernelINS0_14default_configENS1_20scan_config_selectorIN3c107complexIdEEEEZZNS1_9scan_implILNS1_25lookback_scan_determinismE0ELb0ELb0ES3_PKS7_PS7_S7_ZZZN2at6native31launch_logcumsumexp_cuda_kernelERKNSE_10TensorBaseESI_lENKUlvE_clEvENKUlvE1_clEvEUlS7_S7_E_S7_EEDaPvRmT3_T4_T5_mT6_P12ihipStream_tbENKUlT_T0_E_clISt17integral_constantIbLb1EESZ_EEDaSU_SV_EUlSU_E0_NS1_11comp_targetILNS1_3genE5ELNS1_11target_archE942ELNS1_3gpuE9ELNS1_3repE0EEENS1_30default_config_static_selectorELNS0_4arch9wavefront6targetE1EEEvT1_: ; @_ZN7rocprim17ROCPRIM_400000_NS6detail17trampoline_kernelINS0_14default_configENS1_20scan_config_selectorIN3c107complexIdEEEEZZNS1_9scan_implILNS1_25lookback_scan_determinismE0ELb0ELb0ES3_PKS7_PS7_S7_ZZZN2at6native31launch_logcumsumexp_cuda_kernelERKNSE_10TensorBaseESI_lENKUlvE_clEvENKUlvE1_clEvEUlS7_S7_E_S7_EEDaPvRmT3_T4_T5_mT6_P12ihipStream_tbENKUlT_T0_E_clISt17integral_constantIbLb1EESZ_EEDaSU_SV_EUlSU_E0_NS1_11comp_targetILNS1_3genE5ELNS1_11target_archE942ELNS1_3gpuE9ELNS1_3repE0EEENS1_30default_config_static_selectorELNS0_4arch9wavefront6targetE1EEEvT1_
; %bb.0:
	.section	.rodata,"a",@progbits
	.p2align	6, 0x0
	.amdhsa_kernel _ZN7rocprim17ROCPRIM_400000_NS6detail17trampoline_kernelINS0_14default_configENS1_20scan_config_selectorIN3c107complexIdEEEEZZNS1_9scan_implILNS1_25lookback_scan_determinismE0ELb0ELb0ES3_PKS7_PS7_S7_ZZZN2at6native31launch_logcumsumexp_cuda_kernelERKNSE_10TensorBaseESI_lENKUlvE_clEvENKUlvE1_clEvEUlS7_S7_E_S7_EEDaPvRmT3_T4_T5_mT6_P12ihipStream_tbENKUlT_T0_E_clISt17integral_constantIbLb1EESZ_EEDaSU_SV_EUlSU_E0_NS1_11comp_targetILNS1_3genE5ELNS1_11target_archE942ELNS1_3gpuE9ELNS1_3repE0EEENS1_30default_config_static_selectorELNS0_4arch9wavefront6targetE1EEEvT1_
		.amdhsa_group_segment_fixed_size 0
		.amdhsa_private_segment_fixed_size 0
		.amdhsa_kernarg_size 48
		.amdhsa_user_sgpr_count 6
		.amdhsa_user_sgpr_private_segment_buffer 1
		.amdhsa_user_sgpr_dispatch_ptr 0
		.amdhsa_user_sgpr_queue_ptr 0
		.amdhsa_user_sgpr_kernarg_segment_ptr 1
		.amdhsa_user_sgpr_dispatch_id 0
		.amdhsa_user_sgpr_flat_scratch_init 0
		.amdhsa_user_sgpr_kernarg_preload_length 0
		.amdhsa_user_sgpr_kernarg_preload_offset 0
		.amdhsa_user_sgpr_private_segment_size 0
		.amdhsa_uses_dynamic_stack 0
		.amdhsa_system_sgpr_private_segment_wavefront_offset 0
		.amdhsa_system_sgpr_workgroup_id_x 1
		.amdhsa_system_sgpr_workgroup_id_y 0
		.amdhsa_system_sgpr_workgroup_id_z 0
		.amdhsa_system_sgpr_workgroup_info 0
		.amdhsa_system_vgpr_workitem_id 0
		.amdhsa_next_free_vgpr 1
		.amdhsa_next_free_sgpr 0
		.amdhsa_accum_offset 4
		.amdhsa_reserve_vcc 0
		.amdhsa_reserve_flat_scratch 0
		.amdhsa_float_round_mode_32 0
		.amdhsa_float_round_mode_16_64 0
		.amdhsa_float_denorm_mode_32 3
		.amdhsa_float_denorm_mode_16_64 3
		.amdhsa_dx10_clamp 1
		.amdhsa_ieee_mode 1
		.amdhsa_fp16_overflow 0
		.amdhsa_tg_split 0
		.amdhsa_exception_fp_ieee_invalid_op 0
		.amdhsa_exception_fp_denorm_src 0
		.amdhsa_exception_fp_ieee_div_zero 0
		.amdhsa_exception_fp_ieee_overflow 0
		.amdhsa_exception_fp_ieee_underflow 0
		.amdhsa_exception_fp_ieee_inexact 0
		.amdhsa_exception_int_div_zero 0
	.end_amdhsa_kernel
	.section	.text._ZN7rocprim17ROCPRIM_400000_NS6detail17trampoline_kernelINS0_14default_configENS1_20scan_config_selectorIN3c107complexIdEEEEZZNS1_9scan_implILNS1_25lookback_scan_determinismE0ELb0ELb0ES3_PKS7_PS7_S7_ZZZN2at6native31launch_logcumsumexp_cuda_kernelERKNSE_10TensorBaseESI_lENKUlvE_clEvENKUlvE1_clEvEUlS7_S7_E_S7_EEDaPvRmT3_T4_T5_mT6_P12ihipStream_tbENKUlT_T0_E_clISt17integral_constantIbLb1EESZ_EEDaSU_SV_EUlSU_E0_NS1_11comp_targetILNS1_3genE5ELNS1_11target_archE942ELNS1_3gpuE9ELNS1_3repE0EEENS1_30default_config_static_selectorELNS0_4arch9wavefront6targetE1EEEvT1_,"axG",@progbits,_ZN7rocprim17ROCPRIM_400000_NS6detail17trampoline_kernelINS0_14default_configENS1_20scan_config_selectorIN3c107complexIdEEEEZZNS1_9scan_implILNS1_25lookback_scan_determinismE0ELb0ELb0ES3_PKS7_PS7_S7_ZZZN2at6native31launch_logcumsumexp_cuda_kernelERKNSE_10TensorBaseESI_lENKUlvE_clEvENKUlvE1_clEvEUlS7_S7_E_S7_EEDaPvRmT3_T4_T5_mT6_P12ihipStream_tbENKUlT_T0_E_clISt17integral_constantIbLb1EESZ_EEDaSU_SV_EUlSU_E0_NS1_11comp_targetILNS1_3genE5ELNS1_11target_archE942ELNS1_3gpuE9ELNS1_3repE0EEENS1_30default_config_static_selectorELNS0_4arch9wavefront6targetE1EEEvT1_,comdat
.Lfunc_end213:
	.size	_ZN7rocprim17ROCPRIM_400000_NS6detail17trampoline_kernelINS0_14default_configENS1_20scan_config_selectorIN3c107complexIdEEEEZZNS1_9scan_implILNS1_25lookback_scan_determinismE0ELb0ELb0ES3_PKS7_PS7_S7_ZZZN2at6native31launch_logcumsumexp_cuda_kernelERKNSE_10TensorBaseESI_lENKUlvE_clEvENKUlvE1_clEvEUlS7_S7_E_S7_EEDaPvRmT3_T4_T5_mT6_P12ihipStream_tbENKUlT_T0_E_clISt17integral_constantIbLb1EESZ_EEDaSU_SV_EUlSU_E0_NS1_11comp_targetILNS1_3genE5ELNS1_11target_archE942ELNS1_3gpuE9ELNS1_3repE0EEENS1_30default_config_static_selectorELNS0_4arch9wavefront6targetE1EEEvT1_, .Lfunc_end213-_ZN7rocprim17ROCPRIM_400000_NS6detail17trampoline_kernelINS0_14default_configENS1_20scan_config_selectorIN3c107complexIdEEEEZZNS1_9scan_implILNS1_25lookback_scan_determinismE0ELb0ELb0ES3_PKS7_PS7_S7_ZZZN2at6native31launch_logcumsumexp_cuda_kernelERKNSE_10TensorBaseESI_lENKUlvE_clEvENKUlvE1_clEvEUlS7_S7_E_S7_EEDaPvRmT3_T4_T5_mT6_P12ihipStream_tbENKUlT_T0_E_clISt17integral_constantIbLb1EESZ_EEDaSU_SV_EUlSU_E0_NS1_11comp_targetILNS1_3genE5ELNS1_11target_archE942ELNS1_3gpuE9ELNS1_3repE0EEENS1_30default_config_static_selectorELNS0_4arch9wavefront6targetE1EEEvT1_
                                        ; -- End function
	.section	.AMDGPU.csdata,"",@progbits
; Kernel info:
; codeLenInByte = 0
; NumSgprs: 4
; NumVgprs: 0
; NumAgprs: 0
; TotalNumVgprs: 0
; ScratchSize: 0
; MemoryBound: 0
; FloatMode: 240
; IeeeMode: 1
; LDSByteSize: 0 bytes/workgroup (compile time only)
; SGPRBlocks: 0
; VGPRBlocks: 0
; NumSGPRsForWavesPerEU: 4
; NumVGPRsForWavesPerEU: 1
; AccumOffset: 4
; Occupancy: 8
; WaveLimiterHint : 0
; COMPUTE_PGM_RSRC2:SCRATCH_EN: 0
; COMPUTE_PGM_RSRC2:USER_SGPR: 6
; COMPUTE_PGM_RSRC2:TRAP_HANDLER: 0
; COMPUTE_PGM_RSRC2:TGID_X_EN: 1
; COMPUTE_PGM_RSRC2:TGID_Y_EN: 0
; COMPUTE_PGM_RSRC2:TGID_Z_EN: 0
; COMPUTE_PGM_RSRC2:TIDIG_COMP_CNT: 0
; COMPUTE_PGM_RSRC3_GFX90A:ACCUM_OFFSET: 0
; COMPUTE_PGM_RSRC3_GFX90A:TG_SPLIT: 0
	.section	.text._ZN7rocprim17ROCPRIM_400000_NS6detail17trampoline_kernelINS0_14default_configENS1_20scan_config_selectorIN3c107complexIdEEEEZZNS1_9scan_implILNS1_25lookback_scan_determinismE0ELb0ELb0ES3_PKS7_PS7_S7_ZZZN2at6native31launch_logcumsumexp_cuda_kernelERKNSE_10TensorBaseESI_lENKUlvE_clEvENKUlvE1_clEvEUlS7_S7_E_S7_EEDaPvRmT3_T4_T5_mT6_P12ihipStream_tbENKUlT_T0_E_clISt17integral_constantIbLb1EESZ_EEDaSU_SV_EUlSU_E0_NS1_11comp_targetILNS1_3genE4ELNS1_11target_archE910ELNS1_3gpuE8ELNS1_3repE0EEENS1_30default_config_static_selectorELNS0_4arch9wavefront6targetE1EEEvT1_,"axG",@progbits,_ZN7rocprim17ROCPRIM_400000_NS6detail17trampoline_kernelINS0_14default_configENS1_20scan_config_selectorIN3c107complexIdEEEEZZNS1_9scan_implILNS1_25lookback_scan_determinismE0ELb0ELb0ES3_PKS7_PS7_S7_ZZZN2at6native31launch_logcumsumexp_cuda_kernelERKNSE_10TensorBaseESI_lENKUlvE_clEvENKUlvE1_clEvEUlS7_S7_E_S7_EEDaPvRmT3_T4_T5_mT6_P12ihipStream_tbENKUlT_T0_E_clISt17integral_constantIbLb1EESZ_EEDaSU_SV_EUlSU_E0_NS1_11comp_targetILNS1_3genE4ELNS1_11target_archE910ELNS1_3gpuE8ELNS1_3repE0EEENS1_30default_config_static_selectorELNS0_4arch9wavefront6targetE1EEEvT1_,comdat
	.globl	_ZN7rocprim17ROCPRIM_400000_NS6detail17trampoline_kernelINS0_14default_configENS1_20scan_config_selectorIN3c107complexIdEEEEZZNS1_9scan_implILNS1_25lookback_scan_determinismE0ELb0ELb0ES3_PKS7_PS7_S7_ZZZN2at6native31launch_logcumsumexp_cuda_kernelERKNSE_10TensorBaseESI_lENKUlvE_clEvENKUlvE1_clEvEUlS7_S7_E_S7_EEDaPvRmT3_T4_T5_mT6_P12ihipStream_tbENKUlT_T0_E_clISt17integral_constantIbLb1EESZ_EEDaSU_SV_EUlSU_E0_NS1_11comp_targetILNS1_3genE4ELNS1_11target_archE910ELNS1_3gpuE8ELNS1_3repE0EEENS1_30default_config_static_selectorELNS0_4arch9wavefront6targetE1EEEvT1_ ; -- Begin function _ZN7rocprim17ROCPRIM_400000_NS6detail17trampoline_kernelINS0_14default_configENS1_20scan_config_selectorIN3c107complexIdEEEEZZNS1_9scan_implILNS1_25lookback_scan_determinismE0ELb0ELb0ES3_PKS7_PS7_S7_ZZZN2at6native31launch_logcumsumexp_cuda_kernelERKNSE_10TensorBaseESI_lENKUlvE_clEvENKUlvE1_clEvEUlS7_S7_E_S7_EEDaPvRmT3_T4_T5_mT6_P12ihipStream_tbENKUlT_T0_E_clISt17integral_constantIbLb1EESZ_EEDaSU_SV_EUlSU_E0_NS1_11comp_targetILNS1_3genE4ELNS1_11target_archE910ELNS1_3gpuE8ELNS1_3repE0EEENS1_30default_config_static_selectorELNS0_4arch9wavefront6targetE1EEEvT1_
	.p2align	8
	.type	_ZN7rocprim17ROCPRIM_400000_NS6detail17trampoline_kernelINS0_14default_configENS1_20scan_config_selectorIN3c107complexIdEEEEZZNS1_9scan_implILNS1_25lookback_scan_determinismE0ELb0ELb0ES3_PKS7_PS7_S7_ZZZN2at6native31launch_logcumsumexp_cuda_kernelERKNSE_10TensorBaseESI_lENKUlvE_clEvENKUlvE1_clEvEUlS7_S7_E_S7_EEDaPvRmT3_T4_T5_mT6_P12ihipStream_tbENKUlT_T0_E_clISt17integral_constantIbLb1EESZ_EEDaSU_SV_EUlSU_E0_NS1_11comp_targetILNS1_3genE4ELNS1_11target_archE910ELNS1_3gpuE8ELNS1_3repE0EEENS1_30default_config_static_selectorELNS0_4arch9wavefront6targetE1EEEvT1_,@function
_ZN7rocprim17ROCPRIM_400000_NS6detail17trampoline_kernelINS0_14default_configENS1_20scan_config_selectorIN3c107complexIdEEEEZZNS1_9scan_implILNS1_25lookback_scan_determinismE0ELb0ELb0ES3_PKS7_PS7_S7_ZZZN2at6native31launch_logcumsumexp_cuda_kernelERKNSE_10TensorBaseESI_lENKUlvE_clEvENKUlvE1_clEvEUlS7_S7_E_S7_EEDaPvRmT3_T4_T5_mT6_P12ihipStream_tbENKUlT_T0_E_clISt17integral_constantIbLb1EESZ_EEDaSU_SV_EUlSU_E0_NS1_11comp_targetILNS1_3genE4ELNS1_11target_archE910ELNS1_3gpuE8ELNS1_3repE0EEENS1_30default_config_static_selectorELNS0_4arch9wavefront6targetE1EEEvT1_: ; @_ZN7rocprim17ROCPRIM_400000_NS6detail17trampoline_kernelINS0_14default_configENS1_20scan_config_selectorIN3c107complexIdEEEEZZNS1_9scan_implILNS1_25lookback_scan_determinismE0ELb0ELb0ES3_PKS7_PS7_S7_ZZZN2at6native31launch_logcumsumexp_cuda_kernelERKNSE_10TensorBaseESI_lENKUlvE_clEvENKUlvE1_clEvEUlS7_S7_E_S7_EEDaPvRmT3_T4_T5_mT6_P12ihipStream_tbENKUlT_T0_E_clISt17integral_constantIbLb1EESZ_EEDaSU_SV_EUlSU_E0_NS1_11comp_targetILNS1_3genE4ELNS1_11target_archE910ELNS1_3gpuE8ELNS1_3repE0EEENS1_30default_config_static_selectorELNS0_4arch9wavefront6targetE1EEEvT1_
; %bb.0:
	s_add_u32 flat_scratch_lo, s6, s9
	s_addc_u32 flat_scratch_hi, s7, 0
	s_mov_b64 s[68:69], s[4:5]
	s_load_dwordx4 s[4:7], s[4:5], 0x0
	s_add_u32 s0, s0, s9
	v_mov_b32_e32 v41, v0
	s_addc_u32 s1, s1, 0
	v_lshlrev_b32_e32 v164, 4, v41
	s_waitcnt lgkmcnt(0)
	s_load_dwordx4 s[8:11], s[4:5], 0x0
	v_cmp_gt_u32_e64 s[38:39], s6, v41
	s_mov_b32 s32, 0
	s_waitcnt lgkmcnt(0)
	v_pk_mov_b32 v[2:3], s[10:11], s[10:11] op_sel:[0,1]
	v_pk_mov_b32 v[0:1], s[8:9], s[8:9] op_sel:[0,1]
	s_and_saveexec_b64 s[12:13], s[38:39]
	s_cbranch_execz .LBB214_2
; %bb.1:
	global_load_dwordx4 v[0:3], v164, s[4:5]
.LBB214_2:
	s_or_b64 exec, exec, s[12:13]
	v_or_b32_e32 v4, 64, v41
	v_cmp_gt_u32_e64 s[40:41], s6, v4
	v_pk_mov_b32 v[6:7], s[10:11], s[10:11] op_sel:[0,1]
	v_pk_mov_b32 v[4:5], s[8:9], s[8:9] op_sel:[0,1]
	s_and_saveexec_b64 s[12:13], s[40:41]
	s_cbranch_execz .LBB214_4
; %bb.3:
	global_load_dwordx4 v[4:7], v164, s[4:5] offset:1024
.LBB214_4:
	s_or_b64 exec, exec, s[12:13]
	v_or_b32_e32 v8, 0x80, v41
	v_cmp_gt_u32_e64 s[42:43], s6, v8
	v_pk_mov_b32 v[10:11], s[10:11], s[10:11] op_sel:[0,1]
	v_pk_mov_b32 v[8:9], s[8:9], s[8:9] op_sel:[0,1]
	s_and_saveexec_b64 s[12:13], s[42:43]
	s_cbranch_execz .LBB214_6
; %bb.5:
	global_load_dwordx4 v[8:11], v164, s[4:5] offset:2048
.LBB214_6:
	s_or_b64 exec, exec, s[12:13]
	v_or_b32_e32 v12, 0xc0, v41
	v_cmp_gt_u32_e64 s[44:45], s6, v12
	v_pk_mov_b32 v[14:15], s[10:11], s[10:11] op_sel:[0,1]
	v_pk_mov_b32 v[12:13], s[8:9], s[8:9] op_sel:[0,1]
	s_and_saveexec_b64 s[12:13], s[44:45]
	s_cbranch_execz .LBB214_8
; %bb.7:
	global_load_dwordx4 v[12:15], v164, s[4:5] offset:3072
.LBB214_8:
	s_or_b64 exec, exec, s[12:13]
	v_or_b32_e32 v20, 0x100, v41
	v_cmp_gt_u32_e64 s[46:47], s6, v20
	v_pk_mov_b32 v[18:19], s[10:11], s[10:11] op_sel:[0,1]
	v_pk_mov_b32 v[16:17], s[8:9], s[8:9] op_sel:[0,1]
	s_and_saveexec_b64 s[12:13], s[46:47]
	s_cbranch_execz .LBB214_10
; %bb.9:
	v_lshlrev_b32_e32 v16, 4, v20
	global_load_dwordx4 v[16:19], v16, s[4:5]
.LBB214_10:
	s_or_b64 exec, exec, s[12:13]
	v_or_b32_e32 v24, 0x140, v41
	v_cmp_gt_u32_e64 s[48:49], s6, v24
	v_pk_mov_b32 v[22:23], s[10:11], s[10:11] op_sel:[0,1]
	v_pk_mov_b32 v[20:21], s[8:9], s[8:9] op_sel:[0,1]
	s_and_saveexec_b64 s[12:13], s[48:49]
	s_cbranch_execz .LBB214_12
; %bb.11:
	v_lshlrev_b32_e32 v20, 4, v24
	global_load_dwordx4 v[20:23], v20, s[4:5]
.LBB214_12:
	;; [unrolled: 11-line block ×11, first 2 shown]
	s_or_b64 exec, exec, s[6:7]
	s_movk_i32 s4, 0xe0
	s_waitcnt vmcnt(0)
	ds_write_b128 v164, v[0:3]
	ds_write_b128 v164, v[4:7] offset:1024
	ds_write_b128 v164, v[8:11] offset:2048
	ds_write_b128 v164, v[12:15] offset:3072
	ds_write_b128 v164, v[16:19] offset:4096
	ds_write_b128 v164, v[20:23] offset:5120
	ds_write_b128 v164, v[24:27] offset:6144
	ds_write_b128 v164, v[28:31] offset:7168
	ds_write_b128 v164, v[32:35] offset:8192
	ds_write_b128 v164, v[36:39] offset:9216
	ds_write_b128 v164, v[42:45] offset:10240
	ds_write_b128 v164, v[46:49] offset:11264
	ds_write_b128 v164, v[50:53] offset:12288
	ds_write_b128 v164, v[54:57] offset:13312
	ds_write_b128 v164, v[58:61] offset:14336
	v_mad_u32_u24 v46, v41, s4, v164
	s_waitcnt lgkmcnt(0)
	; wave barrier
	s_waitcnt lgkmcnt(0)
	ds_read_b128 v[42:45], v46
	ds_read_b128 v[136:139], v46 offset:16
	ds_read_b128 v[132:135], v46 offset:32
	;; [unrolled: 1-line block ×14, first 2 shown]
	s_waitcnt lgkmcnt(14)
	v_mov_b32_e32 v0, v42
	v_mov_b32_e32 v1, v43
	;; [unrolled: 1-line block ×4, first 2 shown]
	s_waitcnt lgkmcnt(13)
	v_mov_b32_e32 v4, v136
	v_mov_b32_e32 v5, v137
	;; [unrolled: 1-line block ×4, first 2 shown]
	s_waitcnt lgkmcnt(0)
	; wave barrier
	s_waitcnt lgkmcnt(0)
	s_getpc_b64 s[70:71]
	s_add_u32 s70, s70, _ZZZZN2at6native31launch_logcumsumexp_cuda_kernelERKNS_10TensorBaseES3_lENKUlvE_clEvENKUlvE1_clEvENKUlN3c107complexIdEES8_E_clES8_S8_@rel32@lo+4
	s_addc_u32 s71, s71, _ZZZZN2at6native31launch_logcumsumexp_cuda_kernelERKNS_10TensorBaseES3_lENKUlvE_clEvENKUlvE1_clEvENKUlN3c107complexIdEES8_E_clES8_S8_@rel32@hi+12
	s_swappc_b64 s[30:31], s[70:71]
	v_mov_b32_e32 v4, v132
	v_mov_b32_e32 v5, v133
	v_mov_b32_e32 v6, v134
	v_mov_b32_e32 v7, v135
	v_mov_b32_e32 v52, v0
	v_mov_b32_e32 v53, v1
	v_mov_b32_e32 v54, v2
	v_mov_b32_e32 v55, v3
	s_swappc_b64 s[30:31], s[70:71]
	v_mov_b32_e32 v4, v124
	v_mov_b32_e32 v5, v125
	v_mov_b32_e32 v6, v126
	v_mov_b32_e32 v7, v127
	v_mov_b32_e32 v60, v0
	v_mov_b32_e32 v61, v1
	v_mov_b32_e32 v62, v2
	v_mov_b32_e32 v63, v3
	;; [unrolled: 9-line block ×13, first 2 shown]
	s_swappc_b64 s[30:31], s[70:71]
	v_mov_b32_e32 v160, v0
	v_mbcnt_lo_u32_b32 v0, -1, 0
	v_mbcnt_hi_u32_b32 v47, -1, v0
	v_mov_b32_e32 v161, v1
	v_mov_b32_e32 v162, v2
	;; [unrolled: 1-line block ×3, first 2 shown]
	v_and_b32_e32 v165, 15, v47
	v_mov_b32_dpp v8, v160 row_shr:1 row_mask:0xf bank_mask:0xf
	v_mov_b32_dpp v9, v161 row_shr:1 row_mask:0xf bank_mask:0xf
	;; [unrolled: 1-line block ×4, first 2 shown]
	v_cmp_ne_u32_e32 vcc, 0, v165
	v_pk_mov_b32 v[4:5], v[160:161], v[160:161] op_sel:[0,1]
	v_pk_mov_b32 v[6:7], v[162:163], v[162:163] op_sel:[0,1]
	v_mov_b32_e32 v0, v160
	s_and_saveexec_b64 s[72:73], vcc
	s_cbranch_execz .LBB214_32
; %bb.31:
	v_mov_b32_e32 v0, v8
	v_mov_b32_e32 v1, v9
	;; [unrolled: 1-line block ×8, first 2 shown]
	s_swappc_b64 s[30:31], s[70:71]
	v_mov_b32_e32 v4, v0
	v_mov_b32_e32 v5, v1
	v_mov_b32_e32 v6, v2
	v_mov_b32_e32 v7, v3
.LBB214_32:
	s_or_b64 exec, exec, s[72:73]
	v_mov_b32_dpp v8, v0 row_shr:2 row_mask:0xf bank_mask:0xf
	v_mov_b32_dpp v9, v1 row_shr:2 row_mask:0xf bank_mask:0xf
	v_mov_b32_dpp v10, v2 row_shr:2 row_mask:0xf bank_mask:0xf
	v_mov_b32_dpp v11, v3 row_shr:2 row_mask:0xf bank_mask:0xf
	v_cmp_lt_u32_e32 vcc, 1, v165
	s_and_saveexec_b64 s[70:71], vcc
	s_cbranch_execz .LBB214_34
; %bb.33:
	v_mov_b32_e32 v0, v8
	v_mov_b32_e32 v1, v9
	v_mov_b32_e32 v2, v10
	v_mov_b32_e32 v3, v11
	s_getpc_b64 s[4:5]
	s_add_u32 s4, s4, _ZZZZN2at6native31launch_logcumsumexp_cuda_kernelERKNS_10TensorBaseES3_lENKUlvE_clEvENKUlvE1_clEvENKUlN3c107complexIdEES8_E_clES8_S8_@rel32@lo+4
	s_addc_u32 s5, s5, _ZZZZN2at6native31launch_logcumsumexp_cuda_kernelERKNS_10TensorBaseES3_lENKUlvE_clEvENKUlvE1_clEvENKUlN3c107complexIdEES8_E_clES8_S8_@rel32@hi+12
	s_swappc_b64 s[30:31], s[4:5]
	v_pk_mov_b32 v[6:7], v[2:3], v[2:3] op_sel:[0,1]
	v_pk_mov_b32 v[4:5], v[0:1], v[0:1] op_sel:[0,1]
.LBB214_34:
	s_or_b64 exec, exec, s[70:71]
	v_mov_b32_dpp v8, v0 row_shr:4 row_mask:0xf bank_mask:0xf
	v_mov_b32_dpp v9, v1 row_shr:4 row_mask:0xf bank_mask:0xf
	v_mov_b32_dpp v10, v2 row_shr:4 row_mask:0xf bank_mask:0xf
	v_mov_b32_dpp v11, v3 row_shr:4 row_mask:0xf bank_mask:0xf
	v_cmp_lt_u32_e32 vcc, 3, v165
	s_and_saveexec_b64 s[70:71], vcc
	s_cbranch_execz .LBB214_36
; %bb.35:
	v_mov_b32_e32 v0, v8
	v_mov_b32_e32 v1, v9
	v_mov_b32_e32 v2, v10
	v_mov_b32_e32 v3, v11
	s_getpc_b64 s[4:5]
	s_add_u32 s4, s4, _ZZZZN2at6native31launch_logcumsumexp_cuda_kernelERKNS_10TensorBaseES3_lENKUlvE_clEvENKUlvE1_clEvENKUlN3c107complexIdEES8_E_clES8_S8_@rel32@lo+4
	s_addc_u32 s5, s5, _ZZZZN2at6native31launch_logcumsumexp_cuda_kernelERKNS_10TensorBaseES3_lENKUlvE_clEvENKUlvE1_clEvENKUlN3c107complexIdEES8_E_clES8_S8_@rel32@hi+12
	s_swappc_b64 s[30:31], s[4:5]
	v_pk_mov_b32 v[6:7], v[2:3], v[2:3] op_sel:[0,1]
	v_pk_mov_b32 v[4:5], v[0:1], v[0:1] op_sel:[0,1]
.LBB214_36:
	;; [unrolled: 20-line block ×3, first 2 shown]
	s_or_b64 exec, exec, s[70:71]
	v_and_b32_e32 v12, 16, v47
	v_mov_b32_dpp v8, v0 row_bcast:15 row_mask:0xf bank_mask:0xf
	v_mov_b32_dpp v9, v1 row_bcast:15 row_mask:0xf bank_mask:0xf
	;; [unrolled: 1-line block ×4, first 2 shown]
	v_cmp_ne_u32_e32 vcc, 0, v12
	s_and_saveexec_b64 s[70:71], vcc
	s_cbranch_execz .LBB214_40
; %bb.39:
	v_mov_b32_e32 v0, v8
	v_mov_b32_e32 v1, v9
	;; [unrolled: 1-line block ×4, first 2 shown]
	s_getpc_b64 s[4:5]
	s_add_u32 s4, s4, _ZZZZN2at6native31launch_logcumsumexp_cuda_kernelERKNS_10TensorBaseES3_lENKUlvE_clEvENKUlvE1_clEvENKUlN3c107complexIdEES8_E_clES8_S8_@rel32@lo+4
	s_addc_u32 s5, s5, _ZZZZN2at6native31launch_logcumsumexp_cuda_kernelERKNS_10TensorBaseES3_lENKUlvE_clEvENKUlvE1_clEvENKUlN3c107complexIdEES8_E_clES8_S8_@rel32@hi+12
	s_swappc_b64 s[30:31], s[4:5]
	v_mov_b32_e32 v4, v0
	v_mov_b32_e32 v5, v1
	;; [unrolled: 1-line block ×4, first 2 shown]
.LBB214_40:
	s_or_b64 exec, exec, s[70:71]
	v_mov_b32_dpp v0, v0 row_bcast:31 row_mask:0xf bank_mask:0xf
	v_mov_b32_dpp v1, v1 row_bcast:31 row_mask:0xf bank_mask:0xf
	;; [unrolled: 1-line block ×4, first 2 shown]
	v_cmp_lt_u32_e32 vcc, 31, v47
	s_and_saveexec_b64 s[70:71], vcc
	s_cbranch_execz .LBB214_42
; %bb.41:
	s_getpc_b64 s[4:5]
	s_add_u32 s4, s4, _ZZZZN2at6native31launch_logcumsumexp_cuda_kernelERKNS_10TensorBaseES3_lENKUlvE_clEvENKUlvE1_clEvENKUlN3c107complexIdEES8_E_clES8_S8_@rel32@lo+4
	s_addc_u32 s5, s5, _ZZZZN2at6native31launch_logcumsumexp_cuda_kernelERKNS_10TensorBaseES3_lENKUlvE_clEvENKUlvE1_clEvENKUlN3c107complexIdEES8_E_clES8_S8_@rel32@hi+12
	s_swappc_b64 s[30:31], s[4:5]
	v_mov_b32_e32 v4, v0
	v_mov_b32_e32 v5, v1
	;; [unrolled: 1-line block ×4, first 2 shown]
.LBB214_42:
	s_or_b64 exec, exec, s[70:71]
	s_load_dwordx2 s[68:69], s[68:69], 0x28
	v_cmp_eq_u32_e32 vcc, 63, v41
	s_and_saveexec_b64 s[4:5], vcc
	s_cbranch_execz .LBB214_44
; %bb.43:
	v_mov_b32_e32 v0, 0
	ds_write_b128 v0, v[4:7]
.LBB214_44:
	s_or_b64 exec, exec, s[4:5]
	v_add_u32_e32 v0, -1, v47
	v_and_b32_e32 v1, 64, v47
	v_cmp_lt_i32_e32 vcc, v0, v1
	v_cndmask_b32_e32 v0, v0, v47, vcc
	v_lshlrev_b32_e32 v3, 2, v0
	ds_bpermute_b32 v0, v3, v4
	ds_bpermute_b32 v1, v3, v5
	;; [unrolled: 1-line block ×4, first 2 shown]
	v_cmp_ne_u32_e32 vcc, 0, v41
	s_waitcnt lgkmcnt(0)
	; wave barrier
	s_waitcnt lgkmcnt(0)
	s_and_saveexec_b64 s[70:71], vcc
	s_cbranch_execz .LBB214_46
; %bb.45:
	v_mov_b32_e32 v4, v42
	v_mov_b32_e32 v5, v43
	;; [unrolled: 1-line block ×4, first 2 shown]
	s_getpc_b64 s[72:73]
	s_add_u32 s72, s72, _ZZZZN2at6native31launch_logcumsumexp_cuda_kernelERKNS_10TensorBaseES3_lENKUlvE_clEvENKUlvE1_clEvENKUlN3c107complexIdEES8_E_clES8_S8_@rel32@lo+4
	s_addc_u32 s73, s73, _ZZZZN2at6native31launch_logcumsumexp_cuda_kernelERKNS_10TensorBaseES3_lENKUlvE_clEvENKUlvE1_clEvENKUlN3c107complexIdEES8_E_clES8_S8_@rel32@hi+12
	s_swappc_b64 s[30:31], s[72:73]
	v_mov_b32_e32 v4, v136
	v_mov_b32_e32 v5, v137
	;; [unrolled: 1-line block ×8, first 2 shown]
	;;#ASMSTART
	;;#ASMEND
	s_swappc_b64 s[30:31], s[72:73]
	v_mov_b32_e32 v4, v132
	v_mov_b32_e32 v5, v133
	v_mov_b32_e32 v6, v134
	v_mov_b32_e32 v7, v135
	v_mov_b32_e32 v52, v0
	v_mov_b32_e32 v53, v1
	v_mov_b32_e32 v54, v2
	v_mov_b32_e32 v55, v3
	s_swappc_b64 s[30:31], s[72:73]
	v_mov_b32_e32 v4, v124
	v_mov_b32_e32 v5, v125
	v_mov_b32_e32 v6, v126
	v_mov_b32_e32 v7, v127
	v_mov_b32_e32 v60, v0
	v_mov_b32_e32 v61, v1
	v_mov_b32_e32 v62, v2
	v_mov_b32_e32 v63, v3
	;; [unrolled: 9-line block ×13, first 2 shown]
	s_swappc_b64 s[30:31], s[72:73]
	v_mov_b32_e32 v160, v0
	v_mov_b32_e32 v161, v1
	;; [unrolled: 1-line block ×4, first 2 shown]
.LBB214_46:
	s_or_b64 exec, exec, s[70:71]
	s_movk_i32 s4, 0xff20
	v_mad_i32_i24 v0, v41, s4, v46
	s_waitcnt lgkmcnt(0)
	; wave barrier
	ds_write_b128 v46, v[42:45]
	ds_write_b128 v46, v[52:55] offset:16
	ds_write_b128 v46, v[60:63] offset:32
	;; [unrolled: 1-line block ×14, first 2 shown]
	s_waitcnt lgkmcnt(0)
	; wave barrier
	s_waitcnt lgkmcnt(0)
	ds_read_b128 v[52:55], v0 offset:1024
	ds_read_b128 v[48:51], v0 offset:2048
	;; [unrolled: 1-line block ×14, first 2 shown]
	v_mov_b32_e32 v57, s69
	v_add_co_u32_e32 v56, vcc, s68, v164
	v_addc_co_u32_e32 v57, vcc, 0, v57, vcc
	s_and_saveexec_b64 s[4:5], s[38:39]
	s_cbranch_execnz .LBB214_62
; %bb.47:
	s_or_b64 exec, exec, s[4:5]
	s_and_saveexec_b64 s[4:5], s[40:41]
	s_cbranch_execnz .LBB214_63
.LBB214_48:
	s_or_b64 exec, exec, s[4:5]
	s_and_saveexec_b64 s[4:5], s[42:43]
	s_cbranch_execnz .LBB214_64
.LBB214_49:
	s_or_b64 exec, exec, s[4:5]
	s_and_saveexec_b64 s[4:5], s[44:45]
	s_cbranch_execnz .LBB214_65
.LBB214_50:
	s_or_b64 exec, exec, s[4:5]
	s_and_saveexec_b64 s[4:5], s[46:47]
	s_cbranch_execnz .LBB214_66
.LBB214_51:
	s_or_b64 exec, exec, s[4:5]
	s_and_saveexec_b64 s[4:5], s[48:49]
	s_cbranch_execnz .LBB214_67
.LBB214_52:
	s_or_b64 exec, exec, s[4:5]
	s_and_saveexec_b64 s[4:5], s[50:51]
	s_cbranch_execnz .LBB214_68
.LBB214_53:
	s_or_b64 exec, exec, s[4:5]
	s_and_saveexec_b64 s[4:5], s[52:53]
	s_cbranch_execnz .LBB214_69
.LBB214_54:
	s_or_b64 exec, exec, s[4:5]
	s_and_saveexec_b64 s[4:5], s[54:55]
	s_cbranch_execnz .LBB214_70
.LBB214_55:
	s_or_b64 exec, exec, s[4:5]
	s_and_saveexec_b64 s[4:5], s[56:57]
	s_cbranch_execnz .LBB214_71
.LBB214_56:
	s_or_b64 exec, exec, s[4:5]
	s_and_saveexec_b64 s[4:5], s[58:59]
	s_cbranch_execnz .LBB214_72
.LBB214_57:
	s_or_b64 exec, exec, s[4:5]
	s_and_saveexec_b64 s[4:5], s[60:61]
	s_cbranch_execnz .LBB214_73
.LBB214_58:
	s_or_b64 exec, exec, s[4:5]
	s_and_saveexec_b64 s[4:5], s[62:63]
	s_cbranch_execnz .LBB214_74
.LBB214_59:
	s_or_b64 exec, exec, s[4:5]
	s_and_saveexec_b64 s[4:5], s[64:65]
	s_cbranch_execnz .LBB214_75
.LBB214_60:
	s_or_b64 exec, exec, s[4:5]
	s_and_saveexec_b64 s[4:5], s[66:67]
	s_cbranch_execnz .LBB214_76
.LBB214_61:
	s_endpgm
.LBB214_62:
	ds_read_b128 v[58:61], v164
	s_waitcnt lgkmcnt(0)
	global_store_dwordx4 v[56:57], v[58:61], off
	s_or_b64 exec, exec, s[4:5]
	s_and_saveexec_b64 s[4:5], s[40:41]
	s_cbranch_execz .LBB214_48
.LBB214_63:
	s_waitcnt lgkmcnt(13)
	global_store_dwordx4 v[56:57], v[52:55], off offset:1024
	s_or_b64 exec, exec, s[4:5]
	s_and_saveexec_b64 s[4:5], s[42:43]
	s_cbranch_execz .LBB214_49
.LBB214_64:
	s_waitcnt lgkmcnt(12)
	global_store_dwordx4 v[56:57], v[48:51], off offset:2048
	s_or_b64 exec, exec, s[4:5]
	s_and_saveexec_b64 s[4:5], s[44:45]
	s_cbranch_execz .LBB214_50
.LBB214_65:
	s_waitcnt lgkmcnt(11)
	global_store_dwordx4 v[56:57], v[44:47], off offset:3072
	s_or_b64 exec, exec, s[4:5]
	s_and_saveexec_b64 s[4:5], s[46:47]
	s_cbranch_execz .LBB214_51
.LBB214_66:
	s_waitcnt lgkmcnt(11)
	v_add_co_u32_e32 v44, vcc, 0x1000, v56
	v_addc_co_u32_e32 v45, vcc, 0, v57, vcc
	s_waitcnt lgkmcnt(10)
	global_store_dwordx4 v[44:45], v[40:43], off
	s_or_b64 exec, exec, s[4:5]
	s_and_saveexec_b64 s[4:5], s[48:49]
	s_cbranch_execz .LBB214_52
.LBB214_67:
	s_waitcnt lgkmcnt(10)
	v_add_co_u32_e32 v40, vcc, 0x1000, v56
	v_addc_co_u32_e32 v41, vcc, 0, v57, vcc
	s_waitcnt lgkmcnt(9)
	global_store_dwordx4 v[40:41], v[36:39], off offset:1024
	s_or_b64 exec, exec, s[4:5]
	s_and_saveexec_b64 s[4:5], s[50:51]
	s_cbranch_execz .LBB214_53
.LBB214_68:
	s_waitcnt lgkmcnt(9)
	v_add_co_u32_e32 v36, vcc, 0x1000, v56
	v_addc_co_u32_e32 v37, vcc, 0, v57, vcc
	s_waitcnt lgkmcnt(8)
	global_store_dwordx4 v[36:37], v[32:35], off offset:2048
	s_or_b64 exec, exec, s[4:5]
	s_and_saveexec_b64 s[4:5], s[52:53]
	s_cbranch_execz .LBB214_54
.LBB214_69:
	s_waitcnt lgkmcnt(8)
	v_add_co_u32_e32 v32, vcc, 0x1000, v56
	v_addc_co_u32_e32 v33, vcc, 0, v57, vcc
	s_waitcnt lgkmcnt(7)
	global_store_dwordx4 v[32:33], v[28:31], off offset:3072
	s_or_b64 exec, exec, s[4:5]
	s_and_saveexec_b64 s[4:5], s[54:55]
	s_cbranch_execz .LBB214_55
.LBB214_70:
	s_waitcnt lgkmcnt(7)
	v_add_co_u32_e32 v28, vcc, 0x2000, v56
	v_addc_co_u32_e32 v29, vcc, 0, v57, vcc
	s_waitcnt lgkmcnt(6)
	global_store_dwordx4 v[28:29], v[24:27], off
	s_or_b64 exec, exec, s[4:5]
	s_and_saveexec_b64 s[4:5], s[56:57]
	s_cbranch_execz .LBB214_56
.LBB214_71:
	s_waitcnt lgkmcnt(6)
	v_add_co_u32_e32 v24, vcc, 0x2000, v56
	v_addc_co_u32_e32 v25, vcc, 0, v57, vcc
	s_waitcnt lgkmcnt(5)
	global_store_dwordx4 v[24:25], v[20:23], off offset:1024
	s_or_b64 exec, exec, s[4:5]
	s_and_saveexec_b64 s[4:5], s[58:59]
	s_cbranch_execz .LBB214_57
.LBB214_72:
	s_waitcnt lgkmcnt(5)
	v_add_co_u32_e32 v20, vcc, 0x2000, v56
	v_addc_co_u32_e32 v21, vcc, 0, v57, vcc
	s_waitcnt lgkmcnt(4)
	global_store_dwordx4 v[20:21], v[16:19], off offset:2048
	s_or_b64 exec, exec, s[4:5]
	s_and_saveexec_b64 s[4:5], s[60:61]
	s_cbranch_execz .LBB214_58
.LBB214_73:
	s_waitcnt lgkmcnt(4)
	v_add_co_u32_e32 v16, vcc, 0x2000, v56
	v_addc_co_u32_e32 v17, vcc, 0, v57, vcc
	s_waitcnt lgkmcnt(3)
	global_store_dwordx4 v[16:17], v[12:15], off offset:3072
	s_or_b64 exec, exec, s[4:5]
	s_and_saveexec_b64 s[4:5], s[62:63]
	s_cbranch_execz .LBB214_59
.LBB214_74:
	s_waitcnt lgkmcnt(3)
	v_add_co_u32_e32 v12, vcc, 0x3000, v56
	v_addc_co_u32_e32 v13, vcc, 0, v57, vcc
	s_waitcnt lgkmcnt(2)
	global_store_dwordx4 v[12:13], v[8:11], off
	s_or_b64 exec, exec, s[4:5]
	s_and_saveexec_b64 s[4:5], s[64:65]
	s_cbranch_execz .LBB214_60
.LBB214_75:
	s_waitcnt lgkmcnt(2)
	v_add_co_u32_e32 v8, vcc, 0x3000, v56
	v_addc_co_u32_e32 v9, vcc, 0, v57, vcc
	s_waitcnt lgkmcnt(1)
	global_store_dwordx4 v[8:9], v[4:7], off offset:1024
	s_or_b64 exec, exec, s[4:5]
	s_and_saveexec_b64 s[4:5], s[66:67]
	s_cbranch_execz .LBB214_61
.LBB214_76:
	s_waitcnt lgkmcnt(1)
	v_add_co_u32_e32 v4, vcc, 0x3000, v56
	v_addc_co_u32_e32 v5, vcc, 0, v57, vcc
	s_waitcnt lgkmcnt(0)
	global_store_dwordx4 v[4:5], v[0:3], off offset:2048
	s_endpgm
	.section	.rodata,"a",@progbits
	.p2align	6, 0x0
	.amdhsa_kernel _ZN7rocprim17ROCPRIM_400000_NS6detail17trampoline_kernelINS0_14default_configENS1_20scan_config_selectorIN3c107complexIdEEEEZZNS1_9scan_implILNS1_25lookback_scan_determinismE0ELb0ELb0ES3_PKS7_PS7_S7_ZZZN2at6native31launch_logcumsumexp_cuda_kernelERKNSE_10TensorBaseESI_lENKUlvE_clEvENKUlvE1_clEvEUlS7_S7_E_S7_EEDaPvRmT3_T4_T5_mT6_P12ihipStream_tbENKUlT_T0_E_clISt17integral_constantIbLb1EESZ_EEDaSU_SV_EUlSU_E0_NS1_11comp_targetILNS1_3genE4ELNS1_11target_archE910ELNS1_3gpuE8ELNS1_3repE0EEENS1_30default_config_static_selectorELNS0_4arch9wavefront6targetE1EEEvT1_
		.amdhsa_group_segment_fixed_size 15360
		.amdhsa_private_segment_fixed_size 8
		.amdhsa_kernarg_size 48
		.amdhsa_user_sgpr_count 8
		.amdhsa_user_sgpr_private_segment_buffer 1
		.amdhsa_user_sgpr_dispatch_ptr 0
		.amdhsa_user_sgpr_queue_ptr 0
		.amdhsa_user_sgpr_kernarg_segment_ptr 1
		.amdhsa_user_sgpr_dispatch_id 0
		.amdhsa_user_sgpr_flat_scratch_init 1
		.amdhsa_user_sgpr_kernarg_preload_length 0
		.amdhsa_user_sgpr_kernarg_preload_offset 0
		.amdhsa_user_sgpr_private_segment_size 0
		.amdhsa_uses_dynamic_stack 0
		.amdhsa_system_sgpr_private_segment_wavefront_offset 1
		.amdhsa_system_sgpr_workgroup_id_x 1
		.amdhsa_system_sgpr_workgroup_id_y 0
		.amdhsa_system_sgpr_workgroup_id_z 0
		.amdhsa_system_sgpr_workgroup_info 0
		.amdhsa_system_vgpr_workitem_id 0
		.amdhsa_next_free_vgpr 166
		.amdhsa_next_free_sgpr 74
		.amdhsa_accum_offset 168
		.amdhsa_reserve_vcc 1
		.amdhsa_reserve_flat_scratch 1
		.amdhsa_float_round_mode_32 0
		.amdhsa_float_round_mode_16_64 0
		.amdhsa_float_denorm_mode_32 3
		.amdhsa_float_denorm_mode_16_64 3
		.amdhsa_dx10_clamp 1
		.amdhsa_ieee_mode 1
		.amdhsa_fp16_overflow 0
		.amdhsa_tg_split 0
		.amdhsa_exception_fp_ieee_invalid_op 0
		.amdhsa_exception_fp_denorm_src 0
		.amdhsa_exception_fp_ieee_div_zero 0
		.amdhsa_exception_fp_ieee_overflow 0
		.amdhsa_exception_fp_ieee_underflow 0
		.amdhsa_exception_fp_ieee_inexact 0
		.amdhsa_exception_int_div_zero 0
	.end_amdhsa_kernel
	.section	.text._ZN7rocprim17ROCPRIM_400000_NS6detail17trampoline_kernelINS0_14default_configENS1_20scan_config_selectorIN3c107complexIdEEEEZZNS1_9scan_implILNS1_25lookback_scan_determinismE0ELb0ELb0ES3_PKS7_PS7_S7_ZZZN2at6native31launch_logcumsumexp_cuda_kernelERKNSE_10TensorBaseESI_lENKUlvE_clEvENKUlvE1_clEvEUlS7_S7_E_S7_EEDaPvRmT3_T4_T5_mT6_P12ihipStream_tbENKUlT_T0_E_clISt17integral_constantIbLb1EESZ_EEDaSU_SV_EUlSU_E0_NS1_11comp_targetILNS1_3genE4ELNS1_11target_archE910ELNS1_3gpuE8ELNS1_3repE0EEENS1_30default_config_static_selectorELNS0_4arch9wavefront6targetE1EEEvT1_,"axG",@progbits,_ZN7rocprim17ROCPRIM_400000_NS6detail17trampoline_kernelINS0_14default_configENS1_20scan_config_selectorIN3c107complexIdEEEEZZNS1_9scan_implILNS1_25lookback_scan_determinismE0ELb0ELb0ES3_PKS7_PS7_S7_ZZZN2at6native31launch_logcumsumexp_cuda_kernelERKNSE_10TensorBaseESI_lENKUlvE_clEvENKUlvE1_clEvEUlS7_S7_E_S7_EEDaPvRmT3_T4_T5_mT6_P12ihipStream_tbENKUlT_T0_E_clISt17integral_constantIbLb1EESZ_EEDaSU_SV_EUlSU_E0_NS1_11comp_targetILNS1_3genE4ELNS1_11target_archE910ELNS1_3gpuE8ELNS1_3repE0EEENS1_30default_config_static_selectorELNS0_4arch9wavefront6targetE1EEEvT1_,comdat
.Lfunc_end214:
	.size	_ZN7rocprim17ROCPRIM_400000_NS6detail17trampoline_kernelINS0_14default_configENS1_20scan_config_selectorIN3c107complexIdEEEEZZNS1_9scan_implILNS1_25lookback_scan_determinismE0ELb0ELb0ES3_PKS7_PS7_S7_ZZZN2at6native31launch_logcumsumexp_cuda_kernelERKNSE_10TensorBaseESI_lENKUlvE_clEvENKUlvE1_clEvEUlS7_S7_E_S7_EEDaPvRmT3_T4_T5_mT6_P12ihipStream_tbENKUlT_T0_E_clISt17integral_constantIbLb1EESZ_EEDaSU_SV_EUlSU_E0_NS1_11comp_targetILNS1_3genE4ELNS1_11target_archE910ELNS1_3gpuE8ELNS1_3repE0EEENS1_30default_config_static_selectorELNS0_4arch9wavefront6targetE1EEEvT1_, .Lfunc_end214-_ZN7rocprim17ROCPRIM_400000_NS6detail17trampoline_kernelINS0_14default_configENS1_20scan_config_selectorIN3c107complexIdEEEEZZNS1_9scan_implILNS1_25lookback_scan_determinismE0ELb0ELb0ES3_PKS7_PS7_S7_ZZZN2at6native31launch_logcumsumexp_cuda_kernelERKNSE_10TensorBaseESI_lENKUlvE_clEvENKUlvE1_clEvEUlS7_S7_E_S7_EEDaPvRmT3_T4_T5_mT6_P12ihipStream_tbENKUlT_T0_E_clISt17integral_constantIbLb1EESZ_EEDaSU_SV_EUlSU_E0_NS1_11comp_targetILNS1_3genE4ELNS1_11target_archE910ELNS1_3gpuE8ELNS1_3repE0EEENS1_30default_config_static_selectorELNS0_4arch9wavefront6targetE1EEEvT1_
                                        ; -- End function
	.section	.AMDGPU.csdata,"",@progbits
; Kernel info:
; codeLenInByte = 3992
; NumSgprs: 80
; NumVgprs: 166
; NumAgprs: 0
; TotalNumVgprs: 166
; ScratchSize: 8
; MemoryBound: 1
; FloatMode: 240
; IeeeMode: 1
; LDSByteSize: 15360 bytes/workgroup (compile time only)
; SGPRBlocks: 9
; VGPRBlocks: 20
; NumSGPRsForWavesPerEU: 80
; NumVGPRsForWavesPerEU: 166
; AccumOffset: 168
; Occupancy: 1
; WaveLimiterHint : 0
; COMPUTE_PGM_RSRC2:SCRATCH_EN: 1
; COMPUTE_PGM_RSRC2:USER_SGPR: 8
; COMPUTE_PGM_RSRC2:TRAP_HANDLER: 0
; COMPUTE_PGM_RSRC2:TGID_X_EN: 1
; COMPUTE_PGM_RSRC2:TGID_Y_EN: 0
; COMPUTE_PGM_RSRC2:TGID_Z_EN: 0
; COMPUTE_PGM_RSRC2:TIDIG_COMP_CNT: 0
; COMPUTE_PGM_RSRC3_GFX90A:ACCUM_OFFSET: 41
; COMPUTE_PGM_RSRC3_GFX90A:TG_SPLIT: 0
	.section	.text._ZN7rocprim17ROCPRIM_400000_NS6detail17trampoline_kernelINS0_14default_configENS1_20scan_config_selectorIN3c107complexIdEEEEZZNS1_9scan_implILNS1_25lookback_scan_determinismE0ELb0ELb0ES3_PKS7_PS7_S7_ZZZN2at6native31launch_logcumsumexp_cuda_kernelERKNSE_10TensorBaseESI_lENKUlvE_clEvENKUlvE1_clEvEUlS7_S7_E_S7_EEDaPvRmT3_T4_T5_mT6_P12ihipStream_tbENKUlT_T0_E_clISt17integral_constantIbLb1EESZ_EEDaSU_SV_EUlSU_E0_NS1_11comp_targetILNS1_3genE3ELNS1_11target_archE908ELNS1_3gpuE7ELNS1_3repE0EEENS1_30default_config_static_selectorELNS0_4arch9wavefront6targetE1EEEvT1_,"axG",@progbits,_ZN7rocprim17ROCPRIM_400000_NS6detail17trampoline_kernelINS0_14default_configENS1_20scan_config_selectorIN3c107complexIdEEEEZZNS1_9scan_implILNS1_25lookback_scan_determinismE0ELb0ELb0ES3_PKS7_PS7_S7_ZZZN2at6native31launch_logcumsumexp_cuda_kernelERKNSE_10TensorBaseESI_lENKUlvE_clEvENKUlvE1_clEvEUlS7_S7_E_S7_EEDaPvRmT3_T4_T5_mT6_P12ihipStream_tbENKUlT_T0_E_clISt17integral_constantIbLb1EESZ_EEDaSU_SV_EUlSU_E0_NS1_11comp_targetILNS1_3genE3ELNS1_11target_archE908ELNS1_3gpuE7ELNS1_3repE0EEENS1_30default_config_static_selectorELNS0_4arch9wavefront6targetE1EEEvT1_,comdat
	.globl	_ZN7rocprim17ROCPRIM_400000_NS6detail17trampoline_kernelINS0_14default_configENS1_20scan_config_selectorIN3c107complexIdEEEEZZNS1_9scan_implILNS1_25lookback_scan_determinismE0ELb0ELb0ES3_PKS7_PS7_S7_ZZZN2at6native31launch_logcumsumexp_cuda_kernelERKNSE_10TensorBaseESI_lENKUlvE_clEvENKUlvE1_clEvEUlS7_S7_E_S7_EEDaPvRmT3_T4_T5_mT6_P12ihipStream_tbENKUlT_T0_E_clISt17integral_constantIbLb1EESZ_EEDaSU_SV_EUlSU_E0_NS1_11comp_targetILNS1_3genE3ELNS1_11target_archE908ELNS1_3gpuE7ELNS1_3repE0EEENS1_30default_config_static_selectorELNS0_4arch9wavefront6targetE1EEEvT1_ ; -- Begin function _ZN7rocprim17ROCPRIM_400000_NS6detail17trampoline_kernelINS0_14default_configENS1_20scan_config_selectorIN3c107complexIdEEEEZZNS1_9scan_implILNS1_25lookback_scan_determinismE0ELb0ELb0ES3_PKS7_PS7_S7_ZZZN2at6native31launch_logcumsumexp_cuda_kernelERKNSE_10TensorBaseESI_lENKUlvE_clEvENKUlvE1_clEvEUlS7_S7_E_S7_EEDaPvRmT3_T4_T5_mT6_P12ihipStream_tbENKUlT_T0_E_clISt17integral_constantIbLb1EESZ_EEDaSU_SV_EUlSU_E0_NS1_11comp_targetILNS1_3genE3ELNS1_11target_archE908ELNS1_3gpuE7ELNS1_3repE0EEENS1_30default_config_static_selectorELNS0_4arch9wavefront6targetE1EEEvT1_
	.p2align	8
	.type	_ZN7rocprim17ROCPRIM_400000_NS6detail17trampoline_kernelINS0_14default_configENS1_20scan_config_selectorIN3c107complexIdEEEEZZNS1_9scan_implILNS1_25lookback_scan_determinismE0ELb0ELb0ES3_PKS7_PS7_S7_ZZZN2at6native31launch_logcumsumexp_cuda_kernelERKNSE_10TensorBaseESI_lENKUlvE_clEvENKUlvE1_clEvEUlS7_S7_E_S7_EEDaPvRmT3_T4_T5_mT6_P12ihipStream_tbENKUlT_T0_E_clISt17integral_constantIbLb1EESZ_EEDaSU_SV_EUlSU_E0_NS1_11comp_targetILNS1_3genE3ELNS1_11target_archE908ELNS1_3gpuE7ELNS1_3repE0EEENS1_30default_config_static_selectorELNS0_4arch9wavefront6targetE1EEEvT1_,@function
_ZN7rocprim17ROCPRIM_400000_NS6detail17trampoline_kernelINS0_14default_configENS1_20scan_config_selectorIN3c107complexIdEEEEZZNS1_9scan_implILNS1_25lookback_scan_determinismE0ELb0ELb0ES3_PKS7_PS7_S7_ZZZN2at6native31launch_logcumsumexp_cuda_kernelERKNSE_10TensorBaseESI_lENKUlvE_clEvENKUlvE1_clEvEUlS7_S7_E_S7_EEDaPvRmT3_T4_T5_mT6_P12ihipStream_tbENKUlT_T0_E_clISt17integral_constantIbLb1EESZ_EEDaSU_SV_EUlSU_E0_NS1_11comp_targetILNS1_3genE3ELNS1_11target_archE908ELNS1_3gpuE7ELNS1_3repE0EEENS1_30default_config_static_selectorELNS0_4arch9wavefront6targetE1EEEvT1_: ; @_ZN7rocprim17ROCPRIM_400000_NS6detail17trampoline_kernelINS0_14default_configENS1_20scan_config_selectorIN3c107complexIdEEEEZZNS1_9scan_implILNS1_25lookback_scan_determinismE0ELb0ELb0ES3_PKS7_PS7_S7_ZZZN2at6native31launch_logcumsumexp_cuda_kernelERKNSE_10TensorBaseESI_lENKUlvE_clEvENKUlvE1_clEvEUlS7_S7_E_S7_EEDaPvRmT3_T4_T5_mT6_P12ihipStream_tbENKUlT_T0_E_clISt17integral_constantIbLb1EESZ_EEDaSU_SV_EUlSU_E0_NS1_11comp_targetILNS1_3genE3ELNS1_11target_archE908ELNS1_3gpuE7ELNS1_3repE0EEENS1_30default_config_static_selectorELNS0_4arch9wavefront6targetE1EEEvT1_
; %bb.0:
	.section	.rodata,"a",@progbits
	.p2align	6, 0x0
	.amdhsa_kernel _ZN7rocprim17ROCPRIM_400000_NS6detail17trampoline_kernelINS0_14default_configENS1_20scan_config_selectorIN3c107complexIdEEEEZZNS1_9scan_implILNS1_25lookback_scan_determinismE0ELb0ELb0ES3_PKS7_PS7_S7_ZZZN2at6native31launch_logcumsumexp_cuda_kernelERKNSE_10TensorBaseESI_lENKUlvE_clEvENKUlvE1_clEvEUlS7_S7_E_S7_EEDaPvRmT3_T4_T5_mT6_P12ihipStream_tbENKUlT_T0_E_clISt17integral_constantIbLb1EESZ_EEDaSU_SV_EUlSU_E0_NS1_11comp_targetILNS1_3genE3ELNS1_11target_archE908ELNS1_3gpuE7ELNS1_3repE0EEENS1_30default_config_static_selectorELNS0_4arch9wavefront6targetE1EEEvT1_
		.amdhsa_group_segment_fixed_size 0
		.amdhsa_private_segment_fixed_size 0
		.amdhsa_kernarg_size 48
		.amdhsa_user_sgpr_count 6
		.amdhsa_user_sgpr_private_segment_buffer 1
		.amdhsa_user_sgpr_dispatch_ptr 0
		.amdhsa_user_sgpr_queue_ptr 0
		.amdhsa_user_sgpr_kernarg_segment_ptr 1
		.amdhsa_user_sgpr_dispatch_id 0
		.amdhsa_user_sgpr_flat_scratch_init 0
		.amdhsa_user_sgpr_kernarg_preload_length 0
		.amdhsa_user_sgpr_kernarg_preload_offset 0
		.amdhsa_user_sgpr_private_segment_size 0
		.amdhsa_uses_dynamic_stack 0
		.amdhsa_system_sgpr_private_segment_wavefront_offset 0
		.amdhsa_system_sgpr_workgroup_id_x 1
		.amdhsa_system_sgpr_workgroup_id_y 0
		.amdhsa_system_sgpr_workgroup_id_z 0
		.amdhsa_system_sgpr_workgroup_info 0
		.amdhsa_system_vgpr_workitem_id 0
		.amdhsa_next_free_vgpr 1
		.amdhsa_next_free_sgpr 0
		.amdhsa_accum_offset 4
		.amdhsa_reserve_vcc 0
		.amdhsa_reserve_flat_scratch 0
		.amdhsa_float_round_mode_32 0
		.amdhsa_float_round_mode_16_64 0
		.amdhsa_float_denorm_mode_32 3
		.amdhsa_float_denorm_mode_16_64 3
		.amdhsa_dx10_clamp 1
		.amdhsa_ieee_mode 1
		.amdhsa_fp16_overflow 0
		.amdhsa_tg_split 0
		.amdhsa_exception_fp_ieee_invalid_op 0
		.amdhsa_exception_fp_denorm_src 0
		.amdhsa_exception_fp_ieee_div_zero 0
		.amdhsa_exception_fp_ieee_overflow 0
		.amdhsa_exception_fp_ieee_underflow 0
		.amdhsa_exception_fp_ieee_inexact 0
		.amdhsa_exception_int_div_zero 0
	.end_amdhsa_kernel
	.section	.text._ZN7rocprim17ROCPRIM_400000_NS6detail17trampoline_kernelINS0_14default_configENS1_20scan_config_selectorIN3c107complexIdEEEEZZNS1_9scan_implILNS1_25lookback_scan_determinismE0ELb0ELb0ES3_PKS7_PS7_S7_ZZZN2at6native31launch_logcumsumexp_cuda_kernelERKNSE_10TensorBaseESI_lENKUlvE_clEvENKUlvE1_clEvEUlS7_S7_E_S7_EEDaPvRmT3_T4_T5_mT6_P12ihipStream_tbENKUlT_T0_E_clISt17integral_constantIbLb1EESZ_EEDaSU_SV_EUlSU_E0_NS1_11comp_targetILNS1_3genE3ELNS1_11target_archE908ELNS1_3gpuE7ELNS1_3repE0EEENS1_30default_config_static_selectorELNS0_4arch9wavefront6targetE1EEEvT1_,"axG",@progbits,_ZN7rocprim17ROCPRIM_400000_NS6detail17trampoline_kernelINS0_14default_configENS1_20scan_config_selectorIN3c107complexIdEEEEZZNS1_9scan_implILNS1_25lookback_scan_determinismE0ELb0ELb0ES3_PKS7_PS7_S7_ZZZN2at6native31launch_logcumsumexp_cuda_kernelERKNSE_10TensorBaseESI_lENKUlvE_clEvENKUlvE1_clEvEUlS7_S7_E_S7_EEDaPvRmT3_T4_T5_mT6_P12ihipStream_tbENKUlT_T0_E_clISt17integral_constantIbLb1EESZ_EEDaSU_SV_EUlSU_E0_NS1_11comp_targetILNS1_3genE3ELNS1_11target_archE908ELNS1_3gpuE7ELNS1_3repE0EEENS1_30default_config_static_selectorELNS0_4arch9wavefront6targetE1EEEvT1_,comdat
.Lfunc_end215:
	.size	_ZN7rocprim17ROCPRIM_400000_NS6detail17trampoline_kernelINS0_14default_configENS1_20scan_config_selectorIN3c107complexIdEEEEZZNS1_9scan_implILNS1_25lookback_scan_determinismE0ELb0ELb0ES3_PKS7_PS7_S7_ZZZN2at6native31launch_logcumsumexp_cuda_kernelERKNSE_10TensorBaseESI_lENKUlvE_clEvENKUlvE1_clEvEUlS7_S7_E_S7_EEDaPvRmT3_T4_T5_mT6_P12ihipStream_tbENKUlT_T0_E_clISt17integral_constantIbLb1EESZ_EEDaSU_SV_EUlSU_E0_NS1_11comp_targetILNS1_3genE3ELNS1_11target_archE908ELNS1_3gpuE7ELNS1_3repE0EEENS1_30default_config_static_selectorELNS0_4arch9wavefront6targetE1EEEvT1_, .Lfunc_end215-_ZN7rocprim17ROCPRIM_400000_NS6detail17trampoline_kernelINS0_14default_configENS1_20scan_config_selectorIN3c107complexIdEEEEZZNS1_9scan_implILNS1_25lookback_scan_determinismE0ELb0ELb0ES3_PKS7_PS7_S7_ZZZN2at6native31launch_logcumsumexp_cuda_kernelERKNSE_10TensorBaseESI_lENKUlvE_clEvENKUlvE1_clEvEUlS7_S7_E_S7_EEDaPvRmT3_T4_T5_mT6_P12ihipStream_tbENKUlT_T0_E_clISt17integral_constantIbLb1EESZ_EEDaSU_SV_EUlSU_E0_NS1_11comp_targetILNS1_3genE3ELNS1_11target_archE908ELNS1_3gpuE7ELNS1_3repE0EEENS1_30default_config_static_selectorELNS0_4arch9wavefront6targetE1EEEvT1_
                                        ; -- End function
	.section	.AMDGPU.csdata,"",@progbits
; Kernel info:
; codeLenInByte = 0
; NumSgprs: 4
; NumVgprs: 0
; NumAgprs: 0
; TotalNumVgprs: 0
; ScratchSize: 0
; MemoryBound: 0
; FloatMode: 240
; IeeeMode: 1
; LDSByteSize: 0 bytes/workgroup (compile time only)
; SGPRBlocks: 0
; VGPRBlocks: 0
; NumSGPRsForWavesPerEU: 4
; NumVGPRsForWavesPerEU: 1
; AccumOffset: 4
; Occupancy: 8
; WaveLimiterHint : 0
; COMPUTE_PGM_RSRC2:SCRATCH_EN: 0
; COMPUTE_PGM_RSRC2:USER_SGPR: 6
; COMPUTE_PGM_RSRC2:TRAP_HANDLER: 0
; COMPUTE_PGM_RSRC2:TGID_X_EN: 1
; COMPUTE_PGM_RSRC2:TGID_Y_EN: 0
; COMPUTE_PGM_RSRC2:TGID_Z_EN: 0
; COMPUTE_PGM_RSRC2:TIDIG_COMP_CNT: 0
; COMPUTE_PGM_RSRC3_GFX90A:ACCUM_OFFSET: 0
; COMPUTE_PGM_RSRC3_GFX90A:TG_SPLIT: 0
	.section	.text._ZN7rocprim17ROCPRIM_400000_NS6detail17trampoline_kernelINS0_14default_configENS1_20scan_config_selectorIN3c107complexIdEEEEZZNS1_9scan_implILNS1_25lookback_scan_determinismE0ELb0ELb0ES3_PKS7_PS7_S7_ZZZN2at6native31launch_logcumsumexp_cuda_kernelERKNSE_10TensorBaseESI_lENKUlvE_clEvENKUlvE1_clEvEUlS7_S7_E_S7_EEDaPvRmT3_T4_T5_mT6_P12ihipStream_tbENKUlT_T0_E_clISt17integral_constantIbLb1EESZ_EEDaSU_SV_EUlSU_E0_NS1_11comp_targetILNS1_3genE2ELNS1_11target_archE906ELNS1_3gpuE6ELNS1_3repE0EEENS1_30default_config_static_selectorELNS0_4arch9wavefront6targetE1EEEvT1_,"axG",@progbits,_ZN7rocprim17ROCPRIM_400000_NS6detail17trampoline_kernelINS0_14default_configENS1_20scan_config_selectorIN3c107complexIdEEEEZZNS1_9scan_implILNS1_25lookback_scan_determinismE0ELb0ELb0ES3_PKS7_PS7_S7_ZZZN2at6native31launch_logcumsumexp_cuda_kernelERKNSE_10TensorBaseESI_lENKUlvE_clEvENKUlvE1_clEvEUlS7_S7_E_S7_EEDaPvRmT3_T4_T5_mT6_P12ihipStream_tbENKUlT_T0_E_clISt17integral_constantIbLb1EESZ_EEDaSU_SV_EUlSU_E0_NS1_11comp_targetILNS1_3genE2ELNS1_11target_archE906ELNS1_3gpuE6ELNS1_3repE0EEENS1_30default_config_static_selectorELNS0_4arch9wavefront6targetE1EEEvT1_,comdat
	.globl	_ZN7rocprim17ROCPRIM_400000_NS6detail17trampoline_kernelINS0_14default_configENS1_20scan_config_selectorIN3c107complexIdEEEEZZNS1_9scan_implILNS1_25lookback_scan_determinismE0ELb0ELb0ES3_PKS7_PS7_S7_ZZZN2at6native31launch_logcumsumexp_cuda_kernelERKNSE_10TensorBaseESI_lENKUlvE_clEvENKUlvE1_clEvEUlS7_S7_E_S7_EEDaPvRmT3_T4_T5_mT6_P12ihipStream_tbENKUlT_T0_E_clISt17integral_constantIbLb1EESZ_EEDaSU_SV_EUlSU_E0_NS1_11comp_targetILNS1_3genE2ELNS1_11target_archE906ELNS1_3gpuE6ELNS1_3repE0EEENS1_30default_config_static_selectorELNS0_4arch9wavefront6targetE1EEEvT1_ ; -- Begin function _ZN7rocprim17ROCPRIM_400000_NS6detail17trampoline_kernelINS0_14default_configENS1_20scan_config_selectorIN3c107complexIdEEEEZZNS1_9scan_implILNS1_25lookback_scan_determinismE0ELb0ELb0ES3_PKS7_PS7_S7_ZZZN2at6native31launch_logcumsumexp_cuda_kernelERKNSE_10TensorBaseESI_lENKUlvE_clEvENKUlvE1_clEvEUlS7_S7_E_S7_EEDaPvRmT3_T4_T5_mT6_P12ihipStream_tbENKUlT_T0_E_clISt17integral_constantIbLb1EESZ_EEDaSU_SV_EUlSU_E0_NS1_11comp_targetILNS1_3genE2ELNS1_11target_archE906ELNS1_3gpuE6ELNS1_3repE0EEENS1_30default_config_static_selectorELNS0_4arch9wavefront6targetE1EEEvT1_
	.p2align	8
	.type	_ZN7rocprim17ROCPRIM_400000_NS6detail17trampoline_kernelINS0_14default_configENS1_20scan_config_selectorIN3c107complexIdEEEEZZNS1_9scan_implILNS1_25lookback_scan_determinismE0ELb0ELb0ES3_PKS7_PS7_S7_ZZZN2at6native31launch_logcumsumexp_cuda_kernelERKNSE_10TensorBaseESI_lENKUlvE_clEvENKUlvE1_clEvEUlS7_S7_E_S7_EEDaPvRmT3_T4_T5_mT6_P12ihipStream_tbENKUlT_T0_E_clISt17integral_constantIbLb1EESZ_EEDaSU_SV_EUlSU_E0_NS1_11comp_targetILNS1_3genE2ELNS1_11target_archE906ELNS1_3gpuE6ELNS1_3repE0EEENS1_30default_config_static_selectorELNS0_4arch9wavefront6targetE1EEEvT1_,@function
_ZN7rocprim17ROCPRIM_400000_NS6detail17trampoline_kernelINS0_14default_configENS1_20scan_config_selectorIN3c107complexIdEEEEZZNS1_9scan_implILNS1_25lookback_scan_determinismE0ELb0ELb0ES3_PKS7_PS7_S7_ZZZN2at6native31launch_logcumsumexp_cuda_kernelERKNSE_10TensorBaseESI_lENKUlvE_clEvENKUlvE1_clEvEUlS7_S7_E_S7_EEDaPvRmT3_T4_T5_mT6_P12ihipStream_tbENKUlT_T0_E_clISt17integral_constantIbLb1EESZ_EEDaSU_SV_EUlSU_E0_NS1_11comp_targetILNS1_3genE2ELNS1_11target_archE906ELNS1_3gpuE6ELNS1_3repE0EEENS1_30default_config_static_selectorELNS0_4arch9wavefront6targetE1EEEvT1_: ; @_ZN7rocprim17ROCPRIM_400000_NS6detail17trampoline_kernelINS0_14default_configENS1_20scan_config_selectorIN3c107complexIdEEEEZZNS1_9scan_implILNS1_25lookback_scan_determinismE0ELb0ELb0ES3_PKS7_PS7_S7_ZZZN2at6native31launch_logcumsumexp_cuda_kernelERKNSE_10TensorBaseESI_lENKUlvE_clEvENKUlvE1_clEvEUlS7_S7_E_S7_EEDaPvRmT3_T4_T5_mT6_P12ihipStream_tbENKUlT_T0_E_clISt17integral_constantIbLb1EESZ_EEDaSU_SV_EUlSU_E0_NS1_11comp_targetILNS1_3genE2ELNS1_11target_archE906ELNS1_3gpuE6ELNS1_3repE0EEENS1_30default_config_static_selectorELNS0_4arch9wavefront6targetE1EEEvT1_
; %bb.0:
	.section	.rodata,"a",@progbits
	.p2align	6, 0x0
	.amdhsa_kernel _ZN7rocprim17ROCPRIM_400000_NS6detail17trampoline_kernelINS0_14default_configENS1_20scan_config_selectorIN3c107complexIdEEEEZZNS1_9scan_implILNS1_25lookback_scan_determinismE0ELb0ELb0ES3_PKS7_PS7_S7_ZZZN2at6native31launch_logcumsumexp_cuda_kernelERKNSE_10TensorBaseESI_lENKUlvE_clEvENKUlvE1_clEvEUlS7_S7_E_S7_EEDaPvRmT3_T4_T5_mT6_P12ihipStream_tbENKUlT_T0_E_clISt17integral_constantIbLb1EESZ_EEDaSU_SV_EUlSU_E0_NS1_11comp_targetILNS1_3genE2ELNS1_11target_archE906ELNS1_3gpuE6ELNS1_3repE0EEENS1_30default_config_static_selectorELNS0_4arch9wavefront6targetE1EEEvT1_
		.amdhsa_group_segment_fixed_size 0
		.amdhsa_private_segment_fixed_size 0
		.amdhsa_kernarg_size 48
		.amdhsa_user_sgpr_count 6
		.amdhsa_user_sgpr_private_segment_buffer 1
		.amdhsa_user_sgpr_dispatch_ptr 0
		.amdhsa_user_sgpr_queue_ptr 0
		.amdhsa_user_sgpr_kernarg_segment_ptr 1
		.amdhsa_user_sgpr_dispatch_id 0
		.amdhsa_user_sgpr_flat_scratch_init 0
		.amdhsa_user_sgpr_kernarg_preload_length 0
		.amdhsa_user_sgpr_kernarg_preload_offset 0
		.amdhsa_user_sgpr_private_segment_size 0
		.amdhsa_uses_dynamic_stack 0
		.amdhsa_system_sgpr_private_segment_wavefront_offset 0
		.amdhsa_system_sgpr_workgroup_id_x 1
		.amdhsa_system_sgpr_workgroup_id_y 0
		.amdhsa_system_sgpr_workgroup_id_z 0
		.amdhsa_system_sgpr_workgroup_info 0
		.amdhsa_system_vgpr_workitem_id 0
		.amdhsa_next_free_vgpr 1
		.amdhsa_next_free_sgpr 0
		.amdhsa_accum_offset 4
		.amdhsa_reserve_vcc 0
		.amdhsa_reserve_flat_scratch 0
		.amdhsa_float_round_mode_32 0
		.amdhsa_float_round_mode_16_64 0
		.amdhsa_float_denorm_mode_32 3
		.amdhsa_float_denorm_mode_16_64 3
		.amdhsa_dx10_clamp 1
		.amdhsa_ieee_mode 1
		.amdhsa_fp16_overflow 0
		.amdhsa_tg_split 0
		.amdhsa_exception_fp_ieee_invalid_op 0
		.amdhsa_exception_fp_denorm_src 0
		.amdhsa_exception_fp_ieee_div_zero 0
		.amdhsa_exception_fp_ieee_overflow 0
		.amdhsa_exception_fp_ieee_underflow 0
		.amdhsa_exception_fp_ieee_inexact 0
		.amdhsa_exception_int_div_zero 0
	.end_amdhsa_kernel
	.section	.text._ZN7rocprim17ROCPRIM_400000_NS6detail17trampoline_kernelINS0_14default_configENS1_20scan_config_selectorIN3c107complexIdEEEEZZNS1_9scan_implILNS1_25lookback_scan_determinismE0ELb0ELb0ES3_PKS7_PS7_S7_ZZZN2at6native31launch_logcumsumexp_cuda_kernelERKNSE_10TensorBaseESI_lENKUlvE_clEvENKUlvE1_clEvEUlS7_S7_E_S7_EEDaPvRmT3_T4_T5_mT6_P12ihipStream_tbENKUlT_T0_E_clISt17integral_constantIbLb1EESZ_EEDaSU_SV_EUlSU_E0_NS1_11comp_targetILNS1_3genE2ELNS1_11target_archE906ELNS1_3gpuE6ELNS1_3repE0EEENS1_30default_config_static_selectorELNS0_4arch9wavefront6targetE1EEEvT1_,"axG",@progbits,_ZN7rocprim17ROCPRIM_400000_NS6detail17trampoline_kernelINS0_14default_configENS1_20scan_config_selectorIN3c107complexIdEEEEZZNS1_9scan_implILNS1_25lookback_scan_determinismE0ELb0ELb0ES3_PKS7_PS7_S7_ZZZN2at6native31launch_logcumsumexp_cuda_kernelERKNSE_10TensorBaseESI_lENKUlvE_clEvENKUlvE1_clEvEUlS7_S7_E_S7_EEDaPvRmT3_T4_T5_mT6_P12ihipStream_tbENKUlT_T0_E_clISt17integral_constantIbLb1EESZ_EEDaSU_SV_EUlSU_E0_NS1_11comp_targetILNS1_3genE2ELNS1_11target_archE906ELNS1_3gpuE6ELNS1_3repE0EEENS1_30default_config_static_selectorELNS0_4arch9wavefront6targetE1EEEvT1_,comdat
.Lfunc_end216:
	.size	_ZN7rocprim17ROCPRIM_400000_NS6detail17trampoline_kernelINS0_14default_configENS1_20scan_config_selectorIN3c107complexIdEEEEZZNS1_9scan_implILNS1_25lookback_scan_determinismE0ELb0ELb0ES3_PKS7_PS7_S7_ZZZN2at6native31launch_logcumsumexp_cuda_kernelERKNSE_10TensorBaseESI_lENKUlvE_clEvENKUlvE1_clEvEUlS7_S7_E_S7_EEDaPvRmT3_T4_T5_mT6_P12ihipStream_tbENKUlT_T0_E_clISt17integral_constantIbLb1EESZ_EEDaSU_SV_EUlSU_E0_NS1_11comp_targetILNS1_3genE2ELNS1_11target_archE906ELNS1_3gpuE6ELNS1_3repE0EEENS1_30default_config_static_selectorELNS0_4arch9wavefront6targetE1EEEvT1_, .Lfunc_end216-_ZN7rocprim17ROCPRIM_400000_NS6detail17trampoline_kernelINS0_14default_configENS1_20scan_config_selectorIN3c107complexIdEEEEZZNS1_9scan_implILNS1_25lookback_scan_determinismE0ELb0ELb0ES3_PKS7_PS7_S7_ZZZN2at6native31launch_logcumsumexp_cuda_kernelERKNSE_10TensorBaseESI_lENKUlvE_clEvENKUlvE1_clEvEUlS7_S7_E_S7_EEDaPvRmT3_T4_T5_mT6_P12ihipStream_tbENKUlT_T0_E_clISt17integral_constantIbLb1EESZ_EEDaSU_SV_EUlSU_E0_NS1_11comp_targetILNS1_3genE2ELNS1_11target_archE906ELNS1_3gpuE6ELNS1_3repE0EEENS1_30default_config_static_selectorELNS0_4arch9wavefront6targetE1EEEvT1_
                                        ; -- End function
	.section	.AMDGPU.csdata,"",@progbits
; Kernel info:
; codeLenInByte = 0
; NumSgprs: 4
; NumVgprs: 0
; NumAgprs: 0
; TotalNumVgprs: 0
; ScratchSize: 0
; MemoryBound: 0
; FloatMode: 240
; IeeeMode: 1
; LDSByteSize: 0 bytes/workgroup (compile time only)
; SGPRBlocks: 0
; VGPRBlocks: 0
; NumSGPRsForWavesPerEU: 4
; NumVGPRsForWavesPerEU: 1
; AccumOffset: 4
; Occupancy: 8
; WaveLimiterHint : 0
; COMPUTE_PGM_RSRC2:SCRATCH_EN: 0
; COMPUTE_PGM_RSRC2:USER_SGPR: 6
; COMPUTE_PGM_RSRC2:TRAP_HANDLER: 0
; COMPUTE_PGM_RSRC2:TGID_X_EN: 1
; COMPUTE_PGM_RSRC2:TGID_Y_EN: 0
; COMPUTE_PGM_RSRC2:TGID_Z_EN: 0
; COMPUTE_PGM_RSRC2:TIDIG_COMP_CNT: 0
; COMPUTE_PGM_RSRC3_GFX90A:ACCUM_OFFSET: 0
; COMPUTE_PGM_RSRC3_GFX90A:TG_SPLIT: 0
	.section	.text._ZN7rocprim17ROCPRIM_400000_NS6detail17trampoline_kernelINS0_14default_configENS1_20scan_config_selectorIN3c107complexIdEEEEZZNS1_9scan_implILNS1_25lookback_scan_determinismE0ELb0ELb0ES3_PKS7_PS7_S7_ZZZN2at6native31launch_logcumsumexp_cuda_kernelERKNSE_10TensorBaseESI_lENKUlvE_clEvENKUlvE1_clEvEUlS7_S7_E_S7_EEDaPvRmT3_T4_T5_mT6_P12ihipStream_tbENKUlT_T0_E_clISt17integral_constantIbLb1EESZ_EEDaSU_SV_EUlSU_E0_NS1_11comp_targetILNS1_3genE10ELNS1_11target_archE1201ELNS1_3gpuE5ELNS1_3repE0EEENS1_30default_config_static_selectorELNS0_4arch9wavefront6targetE1EEEvT1_,"axG",@progbits,_ZN7rocprim17ROCPRIM_400000_NS6detail17trampoline_kernelINS0_14default_configENS1_20scan_config_selectorIN3c107complexIdEEEEZZNS1_9scan_implILNS1_25lookback_scan_determinismE0ELb0ELb0ES3_PKS7_PS7_S7_ZZZN2at6native31launch_logcumsumexp_cuda_kernelERKNSE_10TensorBaseESI_lENKUlvE_clEvENKUlvE1_clEvEUlS7_S7_E_S7_EEDaPvRmT3_T4_T5_mT6_P12ihipStream_tbENKUlT_T0_E_clISt17integral_constantIbLb1EESZ_EEDaSU_SV_EUlSU_E0_NS1_11comp_targetILNS1_3genE10ELNS1_11target_archE1201ELNS1_3gpuE5ELNS1_3repE0EEENS1_30default_config_static_selectorELNS0_4arch9wavefront6targetE1EEEvT1_,comdat
	.globl	_ZN7rocprim17ROCPRIM_400000_NS6detail17trampoline_kernelINS0_14default_configENS1_20scan_config_selectorIN3c107complexIdEEEEZZNS1_9scan_implILNS1_25lookback_scan_determinismE0ELb0ELb0ES3_PKS7_PS7_S7_ZZZN2at6native31launch_logcumsumexp_cuda_kernelERKNSE_10TensorBaseESI_lENKUlvE_clEvENKUlvE1_clEvEUlS7_S7_E_S7_EEDaPvRmT3_T4_T5_mT6_P12ihipStream_tbENKUlT_T0_E_clISt17integral_constantIbLb1EESZ_EEDaSU_SV_EUlSU_E0_NS1_11comp_targetILNS1_3genE10ELNS1_11target_archE1201ELNS1_3gpuE5ELNS1_3repE0EEENS1_30default_config_static_selectorELNS0_4arch9wavefront6targetE1EEEvT1_ ; -- Begin function _ZN7rocprim17ROCPRIM_400000_NS6detail17trampoline_kernelINS0_14default_configENS1_20scan_config_selectorIN3c107complexIdEEEEZZNS1_9scan_implILNS1_25lookback_scan_determinismE0ELb0ELb0ES3_PKS7_PS7_S7_ZZZN2at6native31launch_logcumsumexp_cuda_kernelERKNSE_10TensorBaseESI_lENKUlvE_clEvENKUlvE1_clEvEUlS7_S7_E_S7_EEDaPvRmT3_T4_T5_mT6_P12ihipStream_tbENKUlT_T0_E_clISt17integral_constantIbLb1EESZ_EEDaSU_SV_EUlSU_E0_NS1_11comp_targetILNS1_3genE10ELNS1_11target_archE1201ELNS1_3gpuE5ELNS1_3repE0EEENS1_30default_config_static_selectorELNS0_4arch9wavefront6targetE1EEEvT1_
	.p2align	8
	.type	_ZN7rocprim17ROCPRIM_400000_NS6detail17trampoline_kernelINS0_14default_configENS1_20scan_config_selectorIN3c107complexIdEEEEZZNS1_9scan_implILNS1_25lookback_scan_determinismE0ELb0ELb0ES3_PKS7_PS7_S7_ZZZN2at6native31launch_logcumsumexp_cuda_kernelERKNSE_10TensorBaseESI_lENKUlvE_clEvENKUlvE1_clEvEUlS7_S7_E_S7_EEDaPvRmT3_T4_T5_mT6_P12ihipStream_tbENKUlT_T0_E_clISt17integral_constantIbLb1EESZ_EEDaSU_SV_EUlSU_E0_NS1_11comp_targetILNS1_3genE10ELNS1_11target_archE1201ELNS1_3gpuE5ELNS1_3repE0EEENS1_30default_config_static_selectorELNS0_4arch9wavefront6targetE1EEEvT1_,@function
_ZN7rocprim17ROCPRIM_400000_NS6detail17trampoline_kernelINS0_14default_configENS1_20scan_config_selectorIN3c107complexIdEEEEZZNS1_9scan_implILNS1_25lookback_scan_determinismE0ELb0ELb0ES3_PKS7_PS7_S7_ZZZN2at6native31launch_logcumsumexp_cuda_kernelERKNSE_10TensorBaseESI_lENKUlvE_clEvENKUlvE1_clEvEUlS7_S7_E_S7_EEDaPvRmT3_T4_T5_mT6_P12ihipStream_tbENKUlT_T0_E_clISt17integral_constantIbLb1EESZ_EEDaSU_SV_EUlSU_E0_NS1_11comp_targetILNS1_3genE10ELNS1_11target_archE1201ELNS1_3gpuE5ELNS1_3repE0EEENS1_30default_config_static_selectorELNS0_4arch9wavefront6targetE1EEEvT1_: ; @_ZN7rocprim17ROCPRIM_400000_NS6detail17trampoline_kernelINS0_14default_configENS1_20scan_config_selectorIN3c107complexIdEEEEZZNS1_9scan_implILNS1_25lookback_scan_determinismE0ELb0ELb0ES3_PKS7_PS7_S7_ZZZN2at6native31launch_logcumsumexp_cuda_kernelERKNSE_10TensorBaseESI_lENKUlvE_clEvENKUlvE1_clEvEUlS7_S7_E_S7_EEDaPvRmT3_T4_T5_mT6_P12ihipStream_tbENKUlT_T0_E_clISt17integral_constantIbLb1EESZ_EEDaSU_SV_EUlSU_E0_NS1_11comp_targetILNS1_3genE10ELNS1_11target_archE1201ELNS1_3gpuE5ELNS1_3repE0EEENS1_30default_config_static_selectorELNS0_4arch9wavefront6targetE1EEEvT1_
; %bb.0:
	.section	.rodata,"a",@progbits
	.p2align	6, 0x0
	.amdhsa_kernel _ZN7rocprim17ROCPRIM_400000_NS6detail17trampoline_kernelINS0_14default_configENS1_20scan_config_selectorIN3c107complexIdEEEEZZNS1_9scan_implILNS1_25lookback_scan_determinismE0ELb0ELb0ES3_PKS7_PS7_S7_ZZZN2at6native31launch_logcumsumexp_cuda_kernelERKNSE_10TensorBaseESI_lENKUlvE_clEvENKUlvE1_clEvEUlS7_S7_E_S7_EEDaPvRmT3_T4_T5_mT6_P12ihipStream_tbENKUlT_T0_E_clISt17integral_constantIbLb1EESZ_EEDaSU_SV_EUlSU_E0_NS1_11comp_targetILNS1_3genE10ELNS1_11target_archE1201ELNS1_3gpuE5ELNS1_3repE0EEENS1_30default_config_static_selectorELNS0_4arch9wavefront6targetE1EEEvT1_
		.amdhsa_group_segment_fixed_size 0
		.amdhsa_private_segment_fixed_size 0
		.amdhsa_kernarg_size 48
		.amdhsa_user_sgpr_count 6
		.amdhsa_user_sgpr_private_segment_buffer 1
		.amdhsa_user_sgpr_dispatch_ptr 0
		.amdhsa_user_sgpr_queue_ptr 0
		.amdhsa_user_sgpr_kernarg_segment_ptr 1
		.amdhsa_user_sgpr_dispatch_id 0
		.amdhsa_user_sgpr_flat_scratch_init 0
		.amdhsa_user_sgpr_kernarg_preload_length 0
		.amdhsa_user_sgpr_kernarg_preload_offset 0
		.amdhsa_user_sgpr_private_segment_size 0
		.amdhsa_uses_dynamic_stack 0
		.amdhsa_system_sgpr_private_segment_wavefront_offset 0
		.amdhsa_system_sgpr_workgroup_id_x 1
		.amdhsa_system_sgpr_workgroup_id_y 0
		.amdhsa_system_sgpr_workgroup_id_z 0
		.amdhsa_system_sgpr_workgroup_info 0
		.amdhsa_system_vgpr_workitem_id 0
		.amdhsa_next_free_vgpr 1
		.amdhsa_next_free_sgpr 0
		.amdhsa_accum_offset 4
		.amdhsa_reserve_vcc 0
		.amdhsa_reserve_flat_scratch 0
		.amdhsa_float_round_mode_32 0
		.amdhsa_float_round_mode_16_64 0
		.amdhsa_float_denorm_mode_32 3
		.amdhsa_float_denorm_mode_16_64 3
		.amdhsa_dx10_clamp 1
		.amdhsa_ieee_mode 1
		.amdhsa_fp16_overflow 0
		.amdhsa_tg_split 0
		.amdhsa_exception_fp_ieee_invalid_op 0
		.amdhsa_exception_fp_denorm_src 0
		.amdhsa_exception_fp_ieee_div_zero 0
		.amdhsa_exception_fp_ieee_overflow 0
		.amdhsa_exception_fp_ieee_underflow 0
		.amdhsa_exception_fp_ieee_inexact 0
		.amdhsa_exception_int_div_zero 0
	.end_amdhsa_kernel
	.section	.text._ZN7rocprim17ROCPRIM_400000_NS6detail17trampoline_kernelINS0_14default_configENS1_20scan_config_selectorIN3c107complexIdEEEEZZNS1_9scan_implILNS1_25lookback_scan_determinismE0ELb0ELb0ES3_PKS7_PS7_S7_ZZZN2at6native31launch_logcumsumexp_cuda_kernelERKNSE_10TensorBaseESI_lENKUlvE_clEvENKUlvE1_clEvEUlS7_S7_E_S7_EEDaPvRmT3_T4_T5_mT6_P12ihipStream_tbENKUlT_T0_E_clISt17integral_constantIbLb1EESZ_EEDaSU_SV_EUlSU_E0_NS1_11comp_targetILNS1_3genE10ELNS1_11target_archE1201ELNS1_3gpuE5ELNS1_3repE0EEENS1_30default_config_static_selectorELNS0_4arch9wavefront6targetE1EEEvT1_,"axG",@progbits,_ZN7rocprim17ROCPRIM_400000_NS6detail17trampoline_kernelINS0_14default_configENS1_20scan_config_selectorIN3c107complexIdEEEEZZNS1_9scan_implILNS1_25lookback_scan_determinismE0ELb0ELb0ES3_PKS7_PS7_S7_ZZZN2at6native31launch_logcumsumexp_cuda_kernelERKNSE_10TensorBaseESI_lENKUlvE_clEvENKUlvE1_clEvEUlS7_S7_E_S7_EEDaPvRmT3_T4_T5_mT6_P12ihipStream_tbENKUlT_T0_E_clISt17integral_constantIbLb1EESZ_EEDaSU_SV_EUlSU_E0_NS1_11comp_targetILNS1_3genE10ELNS1_11target_archE1201ELNS1_3gpuE5ELNS1_3repE0EEENS1_30default_config_static_selectorELNS0_4arch9wavefront6targetE1EEEvT1_,comdat
.Lfunc_end217:
	.size	_ZN7rocprim17ROCPRIM_400000_NS6detail17trampoline_kernelINS0_14default_configENS1_20scan_config_selectorIN3c107complexIdEEEEZZNS1_9scan_implILNS1_25lookback_scan_determinismE0ELb0ELb0ES3_PKS7_PS7_S7_ZZZN2at6native31launch_logcumsumexp_cuda_kernelERKNSE_10TensorBaseESI_lENKUlvE_clEvENKUlvE1_clEvEUlS7_S7_E_S7_EEDaPvRmT3_T4_T5_mT6_P12ihipStream_tbENKUlT_T0_E_clISt17integral_constantIbLb1EESZ_EEDaSU_SV_EUlSU_E0_NS1_11comp_targetILNS1_3genE10ELNS1_11target_archE1201ELNS1_3gpuE5ELNS1_3repE0EEENS1_30default_config_static_selectorELNS0_4arch9wavefront6targetE1EEEvT1_, .Lfunc_end217-_ZN7rocprim17ROCPRIM_400000_NS6detail17trampoline_kernelINS0_14default_configENS1_20scan_config_selectorIN3c107complexIdEEEEZZNS1_9scan_implILNS1_25lookback_scan_determinismE0ELb0ELb0ES3_PKS7_PS7_S7_ZZZN2at6native31launch_logcumsumexp_cuda_kernelERKNSE_10TensorBaseESI_lENKUlvE_clEvENKUlvE1_clEvEUlS7_S7_E_S7_EEDaPvRmT3_T4_T5_mT6_P12ihipStream_tbENKUlT_T0_E_clISt17integral_constantIbLb1EESZ_EEDaSU_SV_EUlSU_E0_NS1_11comp_targetILNS1_3genE10ELNS1_11target_archE1201ELNS1_3gpuE5ELNS1_3repE0EEENS1_30default_config_static_selectorELNS0_4arch9wavefront6targetE1EEEvT1_
                                        ; -- End function
	.section	.AMDGPU.csdata,"",@progbits
; Kernel info:
; codeLenInByte = 0
; NumSgprs: 4
; NumVgprs: 0
; NumAgprs: 0
; TotalNumVgprs: 0
; ScratchSize: 0
; MemoryBound: 0
; FloatMode: 240
; IeeeMode: 1
; LDSByteSize: 0 bytes/workgroup (compile time only)
; SGPRBlocks: 0
; VGPRBlocks: 0
; NumSGPRsForWavesPerEU: 4
; NumVGPRsForWavesPerEU: 1
; AccumOffset: 4
; Occupancy: 8
; WaveLimiterHint : 0
; COMPUTE_PGM_RSRC2:SCRATCH_EN: 0
; COMPUTE_PGM_RSRC2:USER_SGPR: 6
; COMPUTE_PGM_RSRC2:TRAP_HANDLER: 0
; COMPUTE_PGM_RSRC2:TGID_X_EN: 1
; COMPUTE_PGM_RSRC2:TGID_Y_EN: 0
; COMPUTE_PGM_RSRC2:TGID_Z_EN: 0
; COMPUTE_PGM_RSRC2:TIDIG_COMP_CNT: 0
; COMPUTE_PGM_RSRC3_GFX90A:ACCUM_OFFSET: 0
; COMPUTE_PGM_RSRC3_GFX90A:TG_SPLIT: 0
	.section	.text._ZN7rocprim17ROCPRIM_400000_NS6detail17trampoline_kernelINS0_14default_configENS1_20scan_config_selectorIN3c107complexIdEEEEZZNS1_9scan_implILNS1_25lookback_scan_determinismE0ELb0ELb0ES3_PKS7_PS7_S7_ZZZN2at6native31launch_logcumsumexp_cuda_kernelERKNSE_10TensorBaseESI_lENKUlvE_clEvENKUlvE1_clEvEUlS7_S7_E_S7_EEDaPvRmT3_T4_T5_mT6_P12ihipStream_tbENKUlT_T0_E_clISt17integral_constantIbLb1EESZ_EEDaSU_SV_EUlSU_E0_NS1_11comp_targetILNS1_3genE10ELNS1_11target_archE1200ELNS1_3gpuE4ELNS1_3repE0EEENS1_30default_config_static_selectorELNS0_4arch9wavefront6targetE1EEEvT1_,"axG",@progbits,_ZN7rocprim17ROCPRIM_400000_NS6detail17trampoline_kernelINS0_14default_configENS1_20scan_config_selectorIN3c107complexIdEEEEZZNS1_9scan_implILNS1_25lookback_scan_determinismE0ELb0ELb0ES3_PKS7_PS7_S7_ZZZN2at6native31launch_logcumsumexp_cuda_kernelERKNSE_10TensorBaseESI_lENKUlvE_clEvENKUlvE1_clEvEUlS7_S7_E_S7_EEDaPvRmT3_T4_T5_mT6_P12ihipStream_tbENKUlT_T0_E_clISt17integral_constantIbLb1EESZ_EEDaSU_SV_EUlSU_E0_NS1_11comp_targetILNS1_3genE10ELNS1_11target_archE1200ELNS1_3gpuE4ELNS1_3repE0EEENS1_30default_config_static_selectorELNS0_4arch9wavefront6targetE1EEEvT1_,comdat
	.globl	_ZN7rocprim17ROCPRIM_400000_NS6detail17trampoline_kernelINS0_14default_configENS1_20scan_config_selectorIN3c107complexIdEEEEZZNS1_9scan_implILNS1_25lookback_scan_determinismE0ELb0ELb0ES3_PKS7_PS7_S7_ZZZN2at6native31launch_logcumsumexp_cuda_kernelERKNSE_10TensorBaseESI_lENKUlvE_clEvENKUlvE1_clEvEUlS7_S7_E_S7_EEDaPvRmT3_T4_T5_mT6_P12ihipStream_tbENKUlT_T0_E_clISt17integral_constantIbLb1EESZ_EEDaSU_SV_EUlSU_E0_NS1_11comp_targetILNS1_3genE10ELNS1_11target_archE1200ELNS1_3gpuE4ELNS1_3repE0EEENS1_30default_config_static_selectorELNS0_4arch9wavefront6targetE1EEEvT1_ ; -- Begin function _ZN7rocprim17ROCPRIM_400000_NS6detail17trampoline_kernelINS0_14default_configENS1_20scan_config_selectorIN3c107complexIdEEEEZZNS1_9scan_implILNS1_25lookback_scan_determinismE0ELb0ELb0ES3_PKS7_PS7_S7_ZZZN2at6native31launch_logcumsumexp_cuda_kernelERKNSE_10TensorBaseESI_lENKUlvE_clEvENKUlvE1_clEvEUlS7_S7_E_S7_EEDaPvRmT3_T4_T5_mT6_P12ihipStream_tbENKUlT_T0_E_clISt17integral_constantIbLb1EESZ_EEDaSU_SV_EUlSU_E0_NS1_11comp_targetILNS1_3genE10ELNS1_11target_archE1200ELNS1_3gpuE4ELNS1_3repE0EEENS1_30default_config_static_selectorELNS0_4arch9wavefront6targetE1EEEvT1_
	.p2align	8
	.type	_ZN7rocprim17ROCPRIM_400000_NS6detail17trampoline_kernelINS0_14default_configENS1_20scan_config_selectorIN3c107complexIdEEEEZZNS1_9scan_implILNS1_25lookback_scan_determinismE0ELb0ELb0ES3_PKS7_PS7_S7_ZZZN2at6native31launch_logcumsumexp_cuda_kernelERKNSE_10TensorBaseESI_lENKUlvE_clEvENKUlvE1_clEvEUlS7_S7_E_S7_EEDaPvRmT3_T4_T5_mT6_P12ihipStream_tbENKUlT_T0_E_clISt17integral_constantIbLb1EESZ_EEDaSU_SV_EUlSU_E0_NS1_11comp_targetILNS1_3genE10ELNS1_11target_archE1200ELNS1_3gpuE4ELNS1_3repE0EEENS1_30default_config_static_selectorELNS0_4arch9wavefront6targetE1EEEvT1_,@function
_ZN7rocprim17ROCPRIM_400000_NS6detail17trampoline_kernelINS0_14default_configENS1_20scan_config_selectorIN3c107complexIdEEEEZZNS1_9scan_implILNS1_25lookback_scan_determinismE0ELb0ELb0ES3_PKS7_PS7_S7_ZZZN2at6native31launch_logcumsumexp_cuda_kernelERKNSE_10TensorBaseESI_lENKUlvE_clEvENKUlvE1_clEvEUlS7_S7_E_S7_EEDaPvRmT3_T4_T5_mT6_P12ihipStream_tbENKUlT_T0_E_clISt17integral_constantIbLb1EESZ_EEDaSU_SV_EUlSU_E0_NS1_11comp_targetILNS1_3genE10ELNS1_11target_archE1200ELNS1_3gpuE4ELNS1_3repE0EEENS1_30default_config_static_selectorELNS0_4arch9wavefront6targetE1EEEvT1_: ; @_ZN7rocprim17ROCPRIM_400000_NS6detail17trampoline_kernelINS0_14default_configENS1_20scan_config_selectorIN3c107complexIdEEEEZZNS1_9scan_implILNS1_25lookback_scan_determinismE0ELb0ELb0ES3_PKS7_PS7_S7_ZZZN2at6native31launch_logcumsumexp_cuda_kernelERKNSE_10TensorBaseESI_lENKUlvE_clEvENKUlvE1_clEvEUlS7_S7_E_S7_EEDaPvRmT3_T4_T5_mT6_P12ihipStream_tbENKUlT_T0_E_clISt17integral_constantIbLb1EESZ_EEDaSU_SV_EUlSU_E0_NS1_11comp_targetILNS1_3genE10ELNS1_11target_archE1200ELNS1_3gpuE4ELNS1_3repE0EEENS1_30default_config_static_selectorELNS0_4arch9wavefront6targetE1EEEvT1_
; %bb.0:
	.section	.rodata,"a",@progbits
	.p2align	6, 0x0
	.amdhsa_kernel _ZN7rocprim17ROCPRIM_400000_NS6detail17trampoline_kernelINS0_14default_configENS1_20scan_config_selectorIN3c107complexIdEEEEZZNS1_9scan_implILNS1_25lookback_scan_determinismE0ELb0ELb0ES3_PKS7_PS7_S7_ZZZN2at6native31launch_logcumsumexp_cuda_kernelERKNSE_10TensorBaseESI_lENKUlvE_clEvENKUlvE1_clEvEUlS7_S7_E_S7_EEDaPvRmT3_T4_T5_mT6_P12ihipStream_tbENKUlT_T0_E_clISt17integral_constantIbLb1EESZ_EEDaSU_SV_EUlSU_E0_NS1_11comp_targetILNS1_3genE10ELNS1_11target_archE1200ELNS1_3gpuE4ELNS1_3repE0EEENS1_30default_config_static_selectorELNS0_4arch9wavefront6targetE1EEEvT1_
		.amdhsa_group_segment_fixed_size 0
		.amdhsa_private_segment_fixed_size 0
		.amdhsa_kernarg_size 48
		.amdhsa_user_sgpr_count 6
		.amdhsa_user_sgpr_private_segment_buffer 1
		.amdhsa_user_sgpr_dispatch_ptr 0
		.amdhsa_user_sgpr_queue_ptr 0
		.amdhsa_user_sgpr_kernarg_segment_ptr 1
		.amdhsa_user_sgpr_dispatch_id 0
		.amdhsa_user_sgpr_flat_scratch_init 0
		.amdhsa_user_sgpr_kernarg_preload_length 0
		.amdhsa_user_sgpr_kernarg_preload_offset 0
		.amdhsa_user_sgpr_private_segment_size 0
		.amdhsa_uses_dynamic_stack 0
		.amdhsa_system_sgpr_private_segment_wavefront_offset 0
		.amdhsa_system_sgpr_workgroup_id_x 1
		.amdhsa_system_sgpr_workgroup_id_y 0
		.amdhsa_system_sgpr_workgroup_id_z 0
		.amdhsa_system_sgpr_workgroup_info 0
		.amdhsa_system_vgpr_workitem_id 0
		.amdhsa_next_free_vgpr 1
		.amdhsa_next_free_sgpr 0
		.amdhsa_accum_offset 4
		.amdhsa_reserve_vcc 0
		.amdhsa_reserve_flat_scratch 0
		.amdhsa_float_round_mode_32 0
		.amdhsa_float_round_mode_16_64 0
		.amdhsa_float_denorm_mode_32 3
		.amdhsa_float_denorm_mode_16_64 3
		.amdhsa_dx10_clamp 1
		.amdhsa_ieee_mode 1
		.amdhsa_fp16_overflow 0
		.amdhsa_tg_split 0
		.amdhsa_exception_fp_ieee_invalid_op 0
		.amdhsa_exception_fp_denorm_src 0
		.amdhsa_exception_fp_ieee_div_zero 0
		.amdhsa_exception_fp_ieee_overflow 0
		.amdhsa_exception_fp_ieee_underflow 0
		.amdhsa_exception_fp_ieee_inexact 0
		.amdhsa_exception_int_div_zero 0
	.end_amdhsa_kernel
	.section	.text._ZN7rocprim17ROCPRIM_400000_NS6detail17trampoline_kernelINS0_14default_configENS1_20scan_config_selectorIN3c107complexIdEEEEZZNS1_9scan_implILNS1_25lookback_scan_determinismE0ELb0ELb0ES3_PKS7_PS7_S7_ZZZN2at6native31launch_logcumsumexp_cuda_kernelERKNSE_10TensorBaseESI_lENKUlvE_clEvENKUlvE1_clEvEUlS7_S7_E_S7_EEDaPvRmT3_T4_T5_mT6_P12ihipStream_tbENKUlT_T0_E_clISt17integral_constantIbLb1EESZ_EEDaSU_SV_EUlSU_E0_NS1_11comp_targetILNS1_3genE10ELNS1_11target_archE1200ELNS1_3gpuE4ELNS1_3repE0EEENS1_30default_config_static_selectorELNS0_4arch9wavefront6targetE1EEEvT1_,"axG",@progbits,_ZN7rocprim17ROCPRIM_400000_NS6detail17trampoline_kernelINS0_14default_configENS1_20scan_config_selectorIN3c107complexIdEEEEZZNS1_9scan_implILNS1_25lookback_scan_determinismE0ELb0ELb0ES3_PKS7_PS7_S7_ZZZN2at6native31launch_logcumsumexp_cuda_kernelERKNSE_10TensorBaseESI_lENKUlvE_clEvENKUlvE1_clEvEUlS7_S7_E_S7_EEDaPvRmT3_T4_T5_mT6_P12ihipStream_tbENKUlT_T0_E_clISt17integral_constantIbLb1EESZ_EEDaSU_SV_EUlSU_E0_NS1_11comp_targetILNS1_3genE10ELNS1_11target_archE1200ELNS1_3gpuE4ELNS1_3repE0EEENS1_30default_config_static_selectorELNS0_4arch9wavefront6targetE1EEEvT1_,comdat
.Lfunc_end218:
	.size	_ZN7rocprim17ROCPRIM_400000_NS6detail17trampoline_kernelINS0_14default_configENS1_20scan_config_selectorIN3c107complexIdEEEEZZNS1_9scan_implILNS1_25lookback_scan_determinismE0ELb0ELb0ES3_PKS7_PS7_S7_ZZZN2at6native31launch_logcumsumexp_cuda_kernelERKNSE_10TensorBaseESI_lENKUlvE_clEvENKUlvE1_clEvEUlS7_S7_E_S7_EEDaPvRmT3_T4_T5_mT6_P12ihipStream_tbENKUlT_T0_E_clISt17integral_constantIbLb1EESZ_EEDaSU_SV_EUlSU_E0_NS1_11comp_targetILNS1_3genE10ELNS1_11target_archE1200ELNS1_3gpuE4ELNS1_3repE0EEENS1_30default_config_static_selectorELNS0_4arch9wavefront6targetE1EEEvT1_, .Lfunc_end218-_ZN7rocprim17ROCPRIM_400000_NS6detail17trampoline_kernelINS0_14default_configENS1_20scan_config_selectorIN3c107complexIdEEEEZZNS1_9scan_implILNS1_25lookback_scan_determinismE0ELb0ELb0ES3_PKS7_PS7_S7_ZZZN2at6native31launch_logcumsumexp_cuda_kernelERKNSE_10TensorBaseESI_lENKUlvE_clEvENKUlvE1_clEvEUlS7_S7_E_S7_EEDaPvRmT3_T4_T5_mT6_P12ihipStream_tbENKUlT_T0_E_clISt17integral_constantIbLb1EESZ_EEDaSU_SV_EUlSU_E0_NS1_11comp_targetILNS1_3genE10ELNS1_11target_archE1200ELNS1_3gpuE4ELNS1_3repE0EEENS1_30default_config_static_selectorELNS0_4arch9wavefront6targetE1EEEvT1_
                                        ; -- End function
	.section	.AMDGPU.csdata,"",@progbits
; Kernel info:
; codeLenInByte = 0
; NumSgprs: 4
; NumVgprs: 0
; NumAgprs: 0
; TotalNumVgprs: 0
; ScratchSize: 0
; MemoryBound: 0
; FloatMode: 240
; IeeeMode: 1
; LDSByteSize: 0 bytes/workgroup (compile time only)
; SGPRBlocks: 0
; VGPRBlocks: 0
; NumSGPRsForWavesPerEU: 4
; NumVGPRsForWavesPerEU: 1
; AccumOffset: 4
; Occupancy: 8
; WaveLimiterHint : 0
; COMPUTE_PGM_RSRC2:SCRATCH_EN: 0
; COMPUTE_PGM_RSRC2:USER_SGPR: 6
; COMPUTE_PGM_RSRC2:TRAP_HANDLER: 0
; COMPUTE_PGM_RSRC2:TGID_X_EN: 1
; COMPUTE_PGM_RSRC2:TGID_Y_EN: 0
; COMPUTE_PGM_RSRC2:TGID_Z_EN: 0
; COMPUTE_PGM_RSRC2:TIDIG_COMP_CNT: 0
; COMPUTE_PGM_RSRC3_GFX90A:ACCUM_OFFSET: 0
; COMPUTE_PGM_RSRC3_GFX90A:TG_SPLIT: 0
	.section	.text._ZN7rocprim17ROCPRIM_400000_NS6detail17trampoline_kernelINS0_14default_configENS1_20scan_config_selectorIN3c107complexIdEEEEZZNS1_9scan_implILNS1_25lookback_scan_determinismE0ELb0ELb0ES3_PKS7_PS7_S7_ZZZN2at6native31launch_logcumsumexp_cuda_kernelERKNSE_10TensorBaseESI_lENKUlvE_clEvENKUlvE1_clEvEUlS7_S7_E_S7_EEDaPvRmT3_T4_T5_mT6_P12ihipStream_tbENKUlT_T0_E_clISt17integral_constantIbLb1EESZ_EEDaSU_SV_EUlSU_E0_NS1_11comp_targetILNS1_3genE9ELNS1_11target_archE1100ELNS1_3gpuE3ELNS1_3repE0EEENS1_30default_config_static_selectorELNS0_4arch9wavefront6targetE1EEEvT1_,"axG",@progbits,_ZN7rocprim17ROCPRIM_400000_NS6detail17trampoline_kernelINS0_14default_configENS1_20scan_config_selectorIN3c107complexIdEEEEZZNS1_9scan_implILNS1_25lookback_scan_determinismE0ELb0ELb0ES3_PKS7_PS7_S7_ZZZN2at6native31launch_logcumsumexp_cuda_kernelERKNSE_10TensorBaseESI_lENKUlvE_clEvENKUlvE1_clEvEUlS7_S7_E_S7_EEDaPvRmT3_T4_T5_mT6_P12ihipStream_tbENKUlT_T0_E_clISt17integral_constantIbLb1EESZ_EEDaSU_SV_EUlSU_E0_NS1_11comp_targetILNS1_3genE9ELNS1_11target_archE1100ELNS1_3gpuE3ELNS1_3repE0EEENS1_30default_config_static_selectorELNS0_4arch9wavefront6targetE1EEEvT1_,comdat
	.globl	_ZN7rocprim17ROCPRIM_400000_NS6detail17trampoline_kernelINS0_14default_configENS1_20scan_config_selectorIN3c107complexIdEEEEZZNS1_9scan_implILNS1_25lookback_scan_determinismE0ELb0ELb0ES3_PKS7_PS7_S7_ZZZN2at6native31launch_logcumsumexp_cuda_kernelERKNSE_10TensorBaseESI_lENKUlvE_clEvENKUlvE1_clEvEUlS7_S7_E_S7_EEDaPvRmT3_T4_T5_mT6_P12ihipStream_tbENKUlT_T0_E_clISt17integral_constantIbLb1EESZ_EEDaSU_SV_EUlSU_E0_NS1_11comp_targetILNS1_3genE9ELNS1_11target_archE1100ELNS1_3gpuE3ELNS1_3repE0EEENS1_30default_config_static_selectorELNS0_4arch9wavefront6targetE1EEEvT1_ ; -- Begin function _ZN7rocprim17ROCPRIM_400000_NS6detail17trampoline_kernelINS0_14default_configENS1_20scan_config_selectorIN3c107complexIdEEEEZZNS1_9scan_implILNS1_25lookback_scan_determinismE0ELb0ELb0ES3_PKS7_PS7_S7_ZZZN2at6native31launch_logcumsumexp_cuda_kernelERKNSE_10TensorBaseESI_lENKUlvE_clEvENKUlvE1_clEvEUlS7_S7_E_S7_EEDaPvRmT3_T4_T5_mT6_P12ihipStream_tbENKUlT_T0_E_clISt17integral_constantIbLb1EESZ_EEDaSU_SV_EUlSU_E0_NS1_11comp_targetILNS1_3genE9ELNS1_11target_archE1100ELNS1_3gpuE3ELNS1_3repE0EEENS1_30default_config_static_selectorELNS0_4arch9wavefront6targetE1EEEvT1_
	.p2align	8
	.type	_ZN7rocprim17ROCPRIM_400000_NS6detail17trampoline_kernelINS0_14default_configENS1_20scan_config_selectorIN3c107complexIdEEEEZZNS1_9scan_implILNS1_25lookback_scan_determinismE0ELb0ELb0ES3_PKS7_PS7_S7_ZZZN2at6native31launch_logcumsumexp_cuda_kernelERKNSE_10TensorBaseESI_lENKUlvE_clEvENKUlvE1_clEvEUlS7_S7_E_S7_EEDaPvRmT3_T4_T5_mT6_P12ihipStream_tbENKUlT_T0_E_clISt17integral_constantIbLb1EESZ_EEDaSU_SV_EUlSU_E0_NS1_11comp_targetILNS1_3genE9ELNS1_11target_archE1100ELNS1_3gpuE3ELNS1_3repE0EEENS1_30default_config_static_selectorELNS0_4arch9wavefront6targetE1EEEvT1_,@function
_ZN7rocprim17ROCPRIM_400000_NS6detail17trampoline_kernelINS0_14default_configENS1_20scan_config_selectorIN3c107complexIdEEEEZZNS1_9scan_implILNS1_25lookback_scan_determinismE0ELb0ELb0ES3_PKS7_PS7_S7_ZZZN2at6native31launch_logcumsumexp_cuda_kernelERKNSE_10TensorBaseESI_lENKUlvE_clEvENKUlvE1_clEvEUlS7_S7_E_S7_EEDaPvRmT3_T4_T5_mT6_P12ihipStream_tbENKUlT_T0_E_clISt17integral_constantIbLb1EESZ_EEDaSU_SV_EUlSU_E0_NS1_11comp_targetILNS1_3genE9ELNS1_11target_archE1100ELNS1_3gpuE3ELNS1_3repE0EEENS1_30default_config_static_selectorELNS0_4arch9wavefront6targetE1EEEvT1_: ; @_ZN7rocprim17ROCPRIM_400000_NS6detail17trampoline_kernelINS0_14default_configENS1_20scan_config_selectorIN3c107complexIdEEEEZZNS1_9scan_implILNS1_25lookback_scan_determinismE0ELb0ELb0ES3_PKS7_PS7_S7_ZZZN2at6native31launch_logcumsumexp_cuda_kernelERKNSE_10TensorBaseESI_lENKUlvE_clEvENKUlvE1_clEvEUlS7_S7_E_S7_EEDaPvRmT3_T4_T5_mT6_P12ihipStream_tbENKUlT_T0_E_clISt17integral_constantIbLb1EESZ_EEDaSU_SV_EUlSU_E0_NS1_11comp_targetILNS1_3genE9ELNS1_11target_archE1100ELNS1_3gpuE3ELNS1_3repE0EEENS1_30default_config_static_selectorELNS0_4arch9wavefront6targetE1EEEvT1_
; %bb.0:
	.section	.rodata,"a",@progbits
	.p2align	6, 0x0
	.amdhsa_kernel _ZN7rocprim17ROCPRIM_400000_NS6detail17trampoline_kernelINS0_14default_configENS1_20scan_config_selectorIN3c107complexIdEEEEZZNS1_9scan_implILNS1_25lookback_scan_determinismE0ELb0ELb0ES3_PKS7_PS7_S7_ZZZN2at6native31launch_logcumsumexp_cuda_kernelERKNSE_10TensorBaseESI_lENKUlvE_clEvENKUlvE1_clEvEUlS7_S7_E_S7_EEDaPvRmT3_T4_T5_mT6_P12ihipStream_tbENKUlT_T0_E_clISt17integral_constantIbLb1EESZ_EEDaSU_SV_EUlSU_E0_NS1_11comp_targetILNS1_3genE9ELNS1_11target_archE1100ELNS1_3gpuE3ELNS1_3repE0EEENS1_30default_config_static_selectorELNS0_4arch9wavefront6targetE1EEEvT1_
		.amdhsa_group_segment_fixed_size 0
		.amdhsa_private_segment_fixed_size 0
		.amdhsa_kernarg_size 48
		.amdhsa_user_sgpr_count 6
		.amdhsa_user_sgpr_private_segment_buffer 1
		.amdhsa_user_sgpr_dispatch_ptr 0
		.amdhsa_user_sgpr_queue_ptr 0
		.amdhsa_user_sgpr_kernarg_segment_ptr 1
		.amdhsa_user_sgpr_dispatch_id 0
		.amdhsa_user_sgpr_flat_scratch_init 0
		.amdhsa_user_sgpr_kernarg_preload_length 0
		.amdhsa_user_sgpr_kernarg_preload_offset 0
		.amdhsa_user_sgpr_private_segment_size 0
		.amdhsa_uses_dynamic_stack 0
		.amdhsa_system_sgpr_private_segment_wavefront_offset 0
		.amdhsa_system_sgpr_workgroup_id_x 1
		.amdhsa_system_sgpr_workgroup_id_y 0
		.amdhsa_system_sgpr_workgroup_id_z 0
		.amdhsa_system_sgpr_workgroup_info 0
		.amdhsa_system_vgpr_workitem_id 0
		.amdhsa_next_free_vgpr 1
		.amdhsa_next_free_sgpr 0
		.amdhsa_accum_offset 4
		.amdhsa_reserve_vcc 0
		.amdhsa_reserve_flat_scratch 0
		.amdhsa_float_round_mode_32 0
		.amdhsa_float_round_mode_16_64 0
		.amdhsa_float_denorm_mode_32 3
		.amdhsa_float_denorm_mode_16_64 3
		.amdhsa_dx10_clamp 1
		.amdhsa_ieee_mode 1
		.amdhsa_fp16_overflow 0
		.amdhsa_tg_split 0
		.amdhsa_exception_fp_ieee_invalid_op 0
		.amdhsa_exception_fp_denorm_src 0
		.amdhsa_exception_fp_ieee_div_zero 0
		.amdhsa_exception_fp_ieee_overflow 0
		.amdhsa_exception_fp_ieee_underflow 0
		.amdhsa_exception_fp_ieee_inexact 0
		.amdhsa_exception_int_div_zero 0
	.end_amdhsa_kernel
	.section	.text._ZN7rocprim17ROCPRIM_400000_NS6detail17trampoline_kernelINS0_14default_configENS1_20scan_config_selectorIN3c107complexIdEEEEZZNS1_9scan_implILNS1_25lookback_scan_determinismE0ELb0ELb0ES3_PKS7_PS7_S7_ZZZN2at6native31launch_logcumsumexp_cuda_kernelERKNSE_10TensorBaseESI_lENKUlvE_clEvENKUlvE1_clEvEUlS7_S7_E_S7_EEDaPvRmT3_T4_T5_mT6_P12ihipStream_tbENKUlT_T0_E_clISt17integral_constantIbLb1EESZ_EEDaSU_SV_EUlSU_E0_NS1_11comp_targetILNS1_3genE9ELNS1_11target_archE1100ELNS1_3gpuE3ELNS1_3repE0EEENS1_30default_config_static_selectorELNS0_4arch9wavefront6targetE1EEEvT1_,"axG",@progbits,_ZN7rocprim17ROCPRIM_400000_NS6detail17trampoline_kernelINS0_14default_configENS1_20scan_config_selectorIN3c107complexIdEEEEZZNS1_9scan_implILNS1_25lookback_scan_determinismE0ELb0ELb0ES3_PKS7_PS7_S7_ZZZN2at6native31launch_logcumsumexp_cuda_kernelERKNSE_10TensorBaseESI_lENKUlvE_clEvENKUlvE1_clEvEUlS7_S7_E_S7_EEDaPvRmT3_T4_T5_mT6_P12ihipStream_tbENKUlT_T0_E_clISt17integral_constantIbLb1EESZ_EEDaSU_SV_EUlSU_E0_NS1_11comp_targetILNS1_3genE9ELNS1_11target_archE1100ELNS1_3gpuE3ELNS1_3repE0EEENS1_30default_config_static_selectorELNS0_4arch9wavefront6targetE1EEEvT1_,comdat
.Lfunc_end219:
	.size	_ZN7rocprim17ROCPRIM_400000_NS6detail17trampoline_kernelINS0_14default_configENS1_20scan_config_selectorIN3c107complexIdEEEEZZNS1_9scan_implILNS1_25lookback_scan_determinismE0ELb0ELb0ES3_PKS7_PS7_S7_ZZZN2at6native31launch_logcumsumexp_cuda_kernelERKNSE_10TensorBaseESI_lENKUlvE_clEvENKUlvE1_clEvEUlS7_S7_E_S7_EEDaPvRmT3_T4_T5_mT6_P12ihipStream_tbENKUlT_T0_E_clISt17integral_constantIbLb1EESZ_EEDaSU_SV_EUlSU_E0_NS1_11comp_targetILNS1_3genE9ELNS1_11target_archE1100ELNS1_3gpuE3ELNS1_3repE0EEENS1_30default_config_static_selectorELNS0_4arch9wavefront6targetE1EEEvT1_, .Lfunc_end219-_ZN7rocprim17ROCPRIM_400000_NS6detail17trampoline_kernelINS0_14default_configENS1_20scan_config_selectorIN3c107complexIdEEEEZZNS1_9scan_implILNS1_25lookback_scan_determinismE0ELb0ELb0ES3_PKS7_PS7_S7_ZZZN2at6native31launch_logcumsumexp_cuda_kernelERKNSE_10TensorBaseESI_lENKUlvE_clEvENKUlvE1_clEvEUlS7_S7_E_S7_EEDaPvRmT3_T4_T5_mT6_P12ihipStream_tbENKUlT_T0_E_clISt17integral_constantIbLb1EESZ_EEDaSU_SV_EUlSU_E0_NS1_11comp_targetILNS1_3genE9ELNS1_11target_archE1100ELNS1_3gpuE3ELNS1_3repE0EEENS1_30default_config_static_selectorELNS0_4arch9wavefront6targetE1EEEvT1_
                                        ; -- End function
	.section	.AMDGPU.csdata,"",@progbits
; Kernel info:
; codeLenInByte = 0
; NumSgprs: 4
; NumVgprs: 0
; NumAgprs: 0
; TotalNumVgprs: 0
; ScratchSize: 0
; MemoryBound: 0
; FloatMode: 240
; IeeeMode: 1
; LDSByteSize: 0 bytes/workgroup (compile time only)
; SGPRBlocks: 0
; VGPRBlocks: 0
; NumSGPRsForWavesPerEU: 4
; NumVGPRsForWavesPerEU: 1
; AccumOffset: 4
; Occupancy: 8
; WaveLimiterHint : 0
; COMPUTE_PGM_RSRC2:SCRATCH_EN: 0
; COMPUTE_PGM_RSRC2:USER_SGPR: 6
; COMPUTE_PGM_RSRC2:TRAP_HANDLER: 0
; COMPUTE_PGM_RSRC2:TGID_X_EN: 1
; COMPUTE_PGM_RSRC2:TGID_Y_EN: 0
; COMPUTE_PGM_RSRC2:TGID_Z_EN: 0
; COMPUTE_PGM_RSRC2:TIDIG_COMP_CNT: 0
; COMPUTE_PGM_RSRC3_GFX90A:ACCUM_OFFSET: 0
; COMPUTE_PGM_RSRC3_GFX90A:TG_SPLIT: 0
	.section	.text._ZN7rocprim17ROCPRIM_400000_NS6detail17trampoline_kernelINS0_14default_configENS1_20scan_config_selectorIN3c107complexIdEEEEZZNS1_9scan_implILNS1_25lookback_scan_determinismE0ELb0ELb0ES3_PKS7_PS7_S7_ZZZN2at6native31launch_logcumsumexp_cuda_kernelERKNSE_10TensorBaseESI_lENKUlvE_clEvENKUlvE1_clEvEUlS7_S7_E_S7_EEDaPvRmT3_T4_T5_mT6_P12ihipStream_tbENKUlT_T0_E_clISt17integral_constantIbLb1EESZ_EEDaSU_SV_EUlSU_E0_NS1_11comp_targetILNS1_3genE8ELNS1_11target_archE1030ELNS1_3gpuE2ELNS1_3repE0EEENS1_30default_config_static_selectorELNS0_4arch9wavefront6targetE1EEEvT1_,"axG",@progbits,_ZN7rocprim17ROCPRIM_400000_NS6detail17trampoline_kernelINS0_14default_configENS1_20scan_config_selectorIN3c107complexIdEEEEZZNS1_9scan_implILNS1_25lookback_scan_determinismE0ELb0ELb0ES3_PKS7_PS7_S7_ZZZN2at6native31launch_logcumsumexp_cuda_kernelERKNSE_10TensorBaseESI_lENKUlvE_clEvENKUlvE1_clEvEUlS7_S7_E_S7_EEDaPvRmT3_T4_T5_mT6_P12ihipStream_tbENKUlT_T0_E_clISt17integral_constantIbLb1EESZ_EEDaSU_SV_EUlSU_E0_NS1_11comp_targetILNS1_3genE8ELNS1_11target_archE1030ELNS1_3gpuE2ELNS1_3repE0EEENS1_30default_config_static_selectorELNS0_4arch9wavefront6targetE1EEEvT1_,comdat
	.globl	_ZN7rocprim17ROCPRIM_400000_NS6detail17trampoline_kernelINS0_14default_configENS1_20scan_config_selectorIN3c107complexIdEEEEZZNS1_9scan_implILNS1_25lookback_scan_determinismE0ELb0ELb0ES3_PKS7_PS7_S7_ZZZN2at6native31launch_logcumsumexp_cuda_kernelERKNSE_10TensorBaseESI_lENKUlvE_clEvENKUlvE1_clEvEUlS7_S7_E_S7_EEDaPvRmT3_T4_T5_mT6_P12ihipStream_tbENKUlT_T0_E_clISt17integral_constantIbLb1EESZ_EEDaSU_SV_EUlSU_E0_NS1_11comp_targetILNS1_3genE8ELNS1_11target_archE1030ELNS1_3gpuE2ELNS1_3repE0EEENS1_30default_config_static_selectorELNS0_4arch9wavefront6targetE1EEEvT1_ ; -- Begin function _ZN7rocprim17ROCPRIM_400000_NS6detail17trampoline_kernelINS0_14default_configENS1_20scan_config_selectorIN3c107complexIdEEEEZZNS1_9scan_implILNS1_25lookback_scan_determinismE0ELb0ELb0ES3_PKS7_PS7_S7_ZZZN2at6native31launch_logcumsumexp_cuda_kernelERKNSE_10TensorBaseESI_lENKUlvE_clEvENKUlvE1_clEvEUlS7_S7_E_S7_EEDaPvRmT3_T4_T5_mT6_P12ihipStream_tbENKUlT_T0_E_clISt17integral_constantIbLb1EESZ_EEDaSU_SV_EUlSU_E0_NS1_11comp_targetILNS1_3genE8ELNS1_11target_archE1030ELNS1_3gpuE2ELNS1_3repE0EEENS1_30default_config_static_selectorELNS0_4arch9wavefront6targetE1EEEvT1_
	.p2align	8
	.type	_ZN7rocprim17ROCPRIM_400000_NS6detail17trampoline_kernelINS0_14default_configENS1_20scan_config_selectorIN3c107complexIdEEEEZZNS1_9scan_implILNS1_25lookback_scan_determinismE0ELb0ELb0ES3_PKS7_PS7_S7_ZZZN2at6native31launch_logcumsumexp_cuda_kernelERKNSE_10TensorBaseESI_lENKUlvE_clEvENKUlvE1_clEvEUlS7_S7_E_S7_EEDaPvRmT3_T4_T5_mT6_P12ihipStream_tbENKUlT_T0_E_clISt17integral_constantIbLb1EESZ_EEDaSU_SV_EUlSU_E0_NS1_11comp_targetILNS1_3genE8ELNS1_11target_archE1030ELNS1_3gpuE2ELNS1_3repE0EEENS1_30default_config_static_selectorELNS0_4arch9wavefront6targetE1EEEvT1_,@function
_ZN7rocprim17ROCPRIM_400000_NS6detail17trampoline_kernelINS0_14default_configENS1_20scan_config_selectorIN3c107complexIdEEEEZZNS1_9scan_implILNS1_25lookback_scan_determinismE0ELb0ELb0ES3_PKS7_PS7_S7_ZZZN2at6native31launch_logcumsumexp_cuda_kernelERKNSE_10TensorBaseESI_lENKUlvE_clEvENKUlvE1_clEvEUlS7_S7_E_S7_EEDaPvRmT3_T4_T5_mT6_P12ihipStream_tbENKUlT_T0_E_clISt17integral_constantIbLb1EESZ_EEDaSU_SV_EUlSU_E0_NS1_11comp_targetILNS1_3genE8ELNS1_11target_archE1030ELNS1_3gpuE2ELNS1_3repE0EEENS1_30default_config_static_selectorELNS0_4arch9wavefront6targetE1EEEvT1_: ; @_ZN7rocprim17ROCPRIM_400000_NS6detail17trampoline_kernelINS0_14default_configENS1_20scan_config_selectorIN3c107complexIdEEEEZZNS1_9scan_implILNS1_25lookback_scan_determinismE0ELb0ELb0ES3_PKS7_PS7_S7_ZZZN2at6native31launch_logcumsumexp_cuda_kernelERKNSE_10TensorBaseESI_lENKUlvE_clEvENKUlvE1_clEvEUlS7_S7_E_S7_EEDaPvRmT3_T4_T5_mT6_P12ihipStream_tbENKUlT_T0_E_clISt17integral_constantIbLb1EESZ_EEDaSU_SV_EUlSU_E0_NS1_11comp_targetILNS1_3genE8ELNS1_11target_archE1030ELNS1_3gpuE2ELNS1_3repE0EEENS1_30default_config_static_selectorELNS0_4arch9wavefront6targetE1EEEvT1_
; %bb.0:
	.section	.rodata,"a",@progbits
	.p2align	6, 0x0
	.amdhsa_kernel _ZN7rocprim17ROCPRIM_400000_NS6detail17trampoline_kernelINS0_14default_configENS1_20scan_config_selectorIN3c107complexIdEEEEZZNS1_9scan_implILNS1_25lookback_scan_determinismE0ELb0ELb0ES3_PKS7_PS7_S7_ZZZN2at6native31launch_logcumsumexp_cuda_kernelERKNSE_10TensorBaseESI_lENKUlvE_clEvENKUlvE1_clEvEUlS7_S7_E_S7_EEDaPvRmT3_T4_T5_mT6_P12ihipStream_tbENKUlT_T0_E_clISt17integral_constantIbLb1EESZ_EEDaSU_SV_EUlSU_E0_NS1_11comp_targetILNS1_3genE8ELNS1_11target_archE1030ELNS1_3gpuE2ELNS1_3repE0EEENS1_30default_config_static_selectorELNS0_4arch9wavefront6targetE1EEEvT1_
		.amdhsa_group_segment_fixed_size 0
		.amdhsa_private_segment_fixed_size 0
		.amdhsa_kernarg_size 48
		.amdhsa_user_sgpr_count 6
		.amdhsa_user_sgpr_private_segment_buffer 1
		.amdhsa_user_sgpr_dispatch_ptr 0
		.amdhsa_user_sgpr_queue_ptr 0
		.amdhsa_user_sgpr_kernarg_segment_ptr 1
		.amdhsa_user_sgpr_dispatch_id 0
		.amdhsa_user_sgpr_flat_scratch_init 0
		.amdhsa_user_sgpr_kernarg_preload_length 0
		.amdhsa_user_sgpr_kernarg_preload_offset 0
		.amdhsa_user_sgpr_private_segment_size 0
		.amdhsa_uses_dynamic_stack 0
		.amdhsa_system_sgpr_private_segment_wavefront_offset 0
		.amdhsa_system_sgpr_workgroup_id_x 1
		.amdhsa_system_sgpr_workgroup_id_y 0
		.amdhsa_system_sgpr_workgroup_id_z 0
		.amdhsa_system_sgpr_workgroup_info 0
		.amdhsa_system_vgpr_workitem_id 0
		.amdhsa_next_free_vgpr 1
		.amdhsa_next_free_sgpr 0
		.amdhsa_accum_offset 4
		.amdhsa_reserve_vcc 0
		.amdhsa_reserve_flat_scratch 0
		.amdhsa_float_round_mode_32 0
		.amdhsa_float_round_mode_16_64 0
		.amdhsa_float_denorm_mode_32 3
		.amdhsa_float_denorm_mode_16_64 3
		.amdhsa_dx10_clamp 1
		.amdhsa_ieee_mode 1
		.amdhsa_fp16_overflow 0
		.amdhsa_tg_split 0
		.amdhsa_exception_fp_ieee_invalid_op 0
		.amdhsa_exception_fp_denorm_src 0
		.amdhsa_exception_fp_ieee_div_zero 0
		.amdhsa_exception_fp_ieee_overflow 0
		.amdhsa_exception_fp_ieee_underflow 0
		.amdhsa_exception_fp_ieee_inexact 0
		.amdhsa_exception_int_div_zero 0
	.end_amdhsa_kernel
	.section	.text._ZN7rocprim17ROCPRIM_400000_NS6detail17trampoline_kernelINS0_14default_configENS1_20scan_config_selectorIN3c107complexIdEEEEZZNS1_9scan_implILNS1_25lookback_scan_determinismE0ELb0ELb0ES3_PKS7_PS7_S7_ZZZN2at6native31launch_logcumsumexp_cuda_kernelERKNSE_10TensorBaseESI_lENKUlvE_clEvENKUlvE1_clEvEUlS7_S7_E_S7_EEDaPvRmT3_T4_T5_mT6_P12ihipStream_tbENKUlT_T0_E_clISt17integral_constantIbLb1EESZ_EEDaSU_SV_EUlSU_E0_NS1_11comp_targetILNS1_3genE8ELNS1_11target_archE1030ELNS1_3gpuE2ELNS1_3repE0EEENS1_30default_config_static_selectorELNS0_4arch9wavefront6targetE1EEEvT1_,"axG",@progbits,_ZN7rocprim17ROCPRIM_400000_NS6detail17trampoline_kernelINS0_14default_configENS1_20scan_config_selectorIN3c107complexIdEEEEZZNS1_9scan_implILNS1_25lookback_scan_determinismE0ELb0ELb0ES3_PKS7_PS7_S7_ZZZN2at6native31launch_logcumsumexp_cuda_kernelERKNSE_10TensorBaseESI_lENKUlvE_clEvENKUlvE1_clEvEUlS7_S7_E_S7_EEDaPvRmT3_T4_T5_mT6_P12ihipStream_tbENKUlT_T0_E_clISt17integral_constantIbLb1EESZ_EEDaSU_SV_EUlSU_E0_NS1_11comp_targetILNS1_3genE8ELNS1_11target_archE1030ELNS1_3gpuE2ELNS1_3repE0EEENS1_30default_config_static_selectorELNS0_4arch9wavefront6targetE1EEEvT1_,comdat
.Lfunc_end220:
	.size	_ZN7rocprim17ROCPRIM_400000_NS6detail17trampoline_kernelINS0_14default_configENS1_20scan_config_selectorIN3c107complexIdEEEEZZNS1_9scan_implILNS1_25lookback_scan_determinismE0ELb0ELb0ES3_PKS7_PS7_S7_ZZZN2at6native31launch_logcumsumexp_cuda_kernelERKNSE_10TensorBaseESI_lENKUlvE_clEvENKUlvE1_clEvEUlS7_S7_E_S7_EEDaPvRmT3_T4_T5_mT6_P12ihipStream_tbENKUlT_T0_E_clISt17integral_constantIbLb1EESZ_EEDaSU_SV_EUlSU_E0_NS1_11comp_targetILNS1_3genE8ELNS1_11target_archE1030ELNS1_3gpuE2ELNS1_3repE0EEENS1_30default_config_static_selectorELNS0_4arch9wavefront6targetE1EEEvT1_, .Lfunc_end220-_ZN7rocprim17ROCPRIM_400000_NS6detail17trampoline_kernelINS0_14default_configENS1_20scan_config_selectorIN3c107complexIdEEEEZZNS1_9scan_implILNS1_25lookback_scan_determinismE0ELb0ELb0ES3_PKS7_PS7_S7_ZZZN2at6native31launch_logcumsumexp_cuda_kernelERKNSE_10TensorBaseESI_lENKUlvE_clEvENKUlvE1_clEvEUlS7_S7_E_S7_EEDaPvRmT3_T4_T5_mT6_P12ihipStream_tbENKUlT_T0_E_clISt17integral_constantIbLb1EESZ_EEDaSU_SV_EUlSU_E0_NS1_11comp_targetILNS1_3genE8ELNS1_11target_archE1030ELNS1_3gpuE2ELNS1_3repE0EEENS1_30default_config_static_selectorELNS0_4arch9wavefront6targetE1EEEvT1_
                                        ; -- End function
	.section	.AMDGPU.csdata,"",@progbits
; Kernel info:
; codeLenInByte = 0
; NumSgprs: 4
; NumVgprs: 0
; NumAgprs: 0
; TotalNumVgprs: 0
; ScratchSize: 0
; MemoryBound: 0
; FloatMode: 240
; IeeeMode: 1
; LDSByteSize: 0 bytes/workgroup (compile time only)
; SGPRBlocks: 0
; VGPRBlocks: 0
; NumSGPRsForWavesPerEU: 4
; NumVGPRsForWavesPerEU: 1
; AccumOffset: 4
; Occupancy: 8
; WaveLimiterHint : 0
; COMPUTE_PGM_RSRC2:SCRATCH_EN: 0
; COMPUTE_PGM_RSRC2:USER_SGPR: 6
; COMPUTE_PGM_RSRC2:TRAP_HANDLER: 0
; COMPUTE_PGM_RSRC2:TGID_X_EN: 1
; COMPUTE_PGM_RSRC2:TGID_Y_EN: 0
; COMPUTE_PGM_RSRC2:TGID_Z_EN: 0
; COMPUTE_PGM_RSRC2:TIDIG_COMP_CNT: 0
; COMPUTE_PGM_RSRC3_GFX90A:ACCUM_OFFSET: 0
; COMPUTE_PGM_RSRC3_GFX90A:TG_SPLIT: 0
	.section	.text._ZN7rocprim17ROCPRIM_400000_NS6detail31init_lookback_scan_state_kernelINS1_19lookback_scan_stateIN3c107complexIdEELb1ELb0EEENS1_16block_id_wrapperIjLb0EEEEEvT_jT0_jPNSA_10value_typeE,"axG",@progbits,_ZN7rocprim17ROCPRIM_400000_NS6detail31init_lookback_scan_state_kernelINS1_19lookback_scan_stateIN3c107complexIdEELb1ELb0EEENS1_16block_id_wrapperIjLb0EEEEEvT_jT0_jPNSA_10value_typeE,comdat
	.protected	_ZN7rocprim17ROCPRIM_400000_NS6detail31init_lookback_scan_state_kernelINS1_19lookback_scan_stateIN3c107complexIdEELb1ELb0EEENS1_16block_id_wrapperIjLb0EEEEEvT_jT0_jPNSA_10value_typeE ; -- Begin function _ZN7rocprim17ROCPRIM_400000_NS6detail31init_lookback_scan_state_kernelINS1_19lookback_scan_stateIN3c107complexIdEELb1ELb0EEENS1_16block_id_wrapperIjLb0EEEEEvT_jT0_jPNSA_10value_typeE
	.globl	_ZN7rocprim17ROCPRIM_400000_NS6detail31init_lookback_scan_state_kernelINS1_19lookback_scan_stateIN3c107complexIdEELb1ELb0EEENS1_16block_id_wrapperIjLb0EEEEEvT_jT0_jPNSA_10value_typeE
	.p2align	8
	.type	_ZN7rocprim17ROCPRIM_400000_NS6detail31init_lookback_scan_state_kernelINS1_19lookback_scan_stateIN3c107complexIdEELb1ELb0EEENS1_16block_id_wrapperIjLb0EEEEEvT_jT0_jPNSA_10value_typeE,@function
_ZN7rocprim17ROCPRIM_400000_NS6detail31init_lookback_scan_state_kernelINS1_19lookback_scan_stateIN3c107complexIdEELb1ELb0EEENS1_16block_id_wrapperIjLb0EEEEEvT_jT0_jPNSA_10value_typeE: ; @_ZN7rocprim17ROCPRIM_400000_NS6detail31init_lookback_scan_state_kernelINS1_19lookback_scan_stateIN3c107complexIdEELb1ELb0EEENS1_16block_id_wrapperIjLb0EEEEEvT_jT0_jPNSA_10value_typeE
; %bb.0:
	s_load_dword s0, s[4:5], 0x3c
	s_load_dwordx2 s[10:11], s[4:5], 0x28
	s_load_dwordx2 s[8:9], s[4:5], 0x10
	s_load_dword s14, s[4:5], 0x18
	s_waitcnt lgkmcnt(0)
	s_and_b32 s0, s0, 0xffff
	s_mul_i32 s6, s6, s0
	s_cmp_eq_u64 s[10:11], 0
	v_add_u32_e32 v0, s6, v0
	s_cbranch_scc1 .LBB221_11
; %bb.1:
	s_load_dword s0, s[4:5], 0x20
	s_mov_b32 s13, 0
	s_waitcnt lgkmcnt(0)
	s_cmp_lt_u32 s0, s14
	s_cselect_b32 s1, s0, 0
	v_cmp_eq_u32_e32 vcc, s1, v0
	s_and_saveexec_b64 s[6:7], vcc
	s_cbranch_execz .LBB221_10
; %bb.2:
	s_add_i32 s12, s0, 64
	v_mov_b32_e32 v1, s12
	global_load_ubyte v1, v1, s[8:9] glc
	s_load_dwordx4 s[0:3], s[4:5], 0x0
	s_add_u32 s4, s8, s12
	s_addc_u32 s5, s9, 0
	s_waitcnt vmcnt(0)
	v_cmp_ne_u16_e32 vcc, 0, v1
	v_readfirstlane_b32 s15, v1
	s_cbranch_vccz .LBB221_4
; %bb.3:
	s_and_b32 s4, 0xffff, s15
	s_branch .LBB221_9
.LBB221_4:
	s_mov_b32 s15, 1
	v_mov_b32_e32 v1, 0
.LBB221_5:                              ; =>This Loop Header: Depth=1
                                        ;     Child Loop BB221_6 Depth 2
	s_max_u32 s16, s15, 1
.LBB221_6:                              ;   Parent Loop BB221_5 Depth=1
                                        ; =>  This Inner Loop Header: Depth=2
	s_add_i32 s16, s16, -1
	s_cmp_eq_u32 s16, 0
	s_sleep 1
	s_cbranch_scc0 .LBB221_6
; %bb.7:                                ;   in Loop: Header=BB221_5 Depth=1
	global_load_ubyte v2, v1, s[4:5] glc
	s_cmp_lt_u32 s15, 32
	s_cselect_b64 s[16:17], -1, 0
	s_cmp_lg_u64 s[16:17], 0
	s_addc_u32 s15, s15, 0
	s_waitcnt vmcnt(0)
	v_cmp_ne_u16_e32 vcc, 0, v2
	v_readfirstlane_b32 s16, v2
	s_cbranch_vccz .LBB221_5
; %bb.8:
	s_and_b32 s4, 0xffff, s16
.LBB221_9:
	s_cmp_eq_u32 s4, 1
	s_waitcnt lgkmcnt(0)
	s_cselect_b32 s3, s1, s3
	s_cselect_b32 s2, s0, s2
	s_lshl_b64 s[0:1], s[12:13], 4
	s_add_u32 s0, s2, s0
	s_addc_u32 s1, s3, s1
	v_mov_b32_e32 v1, 0
	buffer_wbinvl1_vol
	global_load_dwordx4 v[2:5], v1, s[0:1]
	s_waitcnt vmcnt(0)
	global_store_dwordx4 v1, v[2:5], s[10:11]
.LBB221_10:
	s_or_b64 exec, exec, s[6:7]
.LBB221_11:
	v_cmp_gt_u32_e32 vcc, s14, v0
	s_and_saveexec_b64 s[0:1], vcc
	s_cbranch_execnz .LBB221_14
; %bb.12:
	s_or_b64 exec, exec, s[0:1]
	v_cmp_gt_u32_e32 vcc, 64, v0
	s_and_saveexec_b64 s[0:1], vcc
	s_cbranch_execnz .LBB221_15
.LBB221_13:
	s_endpgm
.LBB221_14:
	v_add_u32_e32 v1, 64, v0
	v_mov_b32_e32 v2, 0
	global_store_byte v1, v2, s[8:9]
	s_or_b64 exec, exec, s[0:1]
	v_cmp_gt_u32_e32 vcc, 64, v0
	s_and_saveexec_b64 s[0:1], vcc
	s_cbranch_execz .LBB221_13
.LBB221_15:
	v_mov_b32_e32 v1, 0xff
	global_store_byte v0, v1, s[8:9]
	s_endpgm
	.section	.rodata,"a",@progbits
	.p2align	6, 0x0
	.amdhsa_kernel _ZN7rocprim17ROCPRIM_400000_NS6detail31init_lookback_scan_state_kernelINS1_19lookback_scan_stateIN3c107complexIdEELb1ELb0EEENS1_16block_id_wrapperIjLb0EEEEEvT_jT0_jPNSA_10value_typeE
		.amdhsa_group_segment_fixed_size 0
		.amdhsa_private_segment_fixed_size 0
		.amdhsa_kernarg_size 304
		.amdhsa_user_sgpr_count 6
		.amdhsa_user_sgpr_private_segment_buffer 1
		.amdhsa_user_sgpr_dispatch_ptr 0
		.amdhsa_user_sgpr_queue_ptr 0
		.amdhsa_user_sgpr_kernarg_segment_ptr 1
		.amdhsa_user_sgpr_dispatch_id 0
		.amdhsa_user_sgpr_flat_scratch_init 0
		.amdhsa_user_sgpr_kernarg_preload_length 0
		.amdhsa_user_sgpr_kernarg_preload_offset 0
		.amdhsa_user_sgpr_private_segment_size 0
		.amdhsa_uses_dynamic_stack 0
		.amdhsa_system_sgpr_private_segment_wavefront_offset 0
		.amdhsa_system_sgpr_workgroup_id_x 1
		.amdhsa_system_sgpr_workgroup_id_y 0
		.amdhsa_system_sgpr_workgroup_id_z 0
		.amdhsa_system_sgpr_workgroup_info 0
		.amdhsa_system_vgpr_workitem_id 0
		.amdhsa_next_free_vgpr 6
		.amdhsa_next_free_sgpr 18
		.amdhsa_accum_offset 8
		.amdhsa_reserve_vcc 1
		.amdhsa_reserve_flat_scratch 0
		.amdhsa_float_round_mode_32 0
		.amdhsa_float_round_mode_16_64 0
		.amdhsa_float_denorm_mode_32 3
		.amdhsa_float_denorm_mode_16_64 3
		.amdhsa_dx10_clamp 1
		.amdhsa_ieee_mode 1
		.amdhsa_fp16_overflow 0
		.amdhsa_tg_split 0
		.amdhsa_exception_fp_ieee_invalid_op 0
		.amdhsa_exception_fp_denorm_src 0
		.amdhsa_exception_fp_ieee_div_zero 0
		.amdhsa_exception_fp_ieee_overflow 0
		.amdhsa_exception_fp_ieee_underflow 0
		.amdhsa_exception_fp_ieee_inexact 0
		.amdhsa_exception_int_div_zero 0
	.end_amdhsa_kernel
	.section	.text._ZN7rocprim17ROCPRIM_400000_NS6detail31init_lookback_scan_state_kernelINS1_19lookback_scan_stateIN3c107complexIdEELb1ELb0EEENS1_16block_id_wrapperIjLb0EEEEEvT_jT0_jPNSA_10value_typeE,"axG",@progbits,_ZN7rocprim17ROCPRIM_400000_NS6detail31init_lookback_scan_state_kernelINS1_19lookback_scan_stateIN3c107complexIdEELb1ELb0EEENS1_16block_id_wrapperIjLb0EEEEEvT_jT0_jPNSA_10value_typeE,comdat
.Lfunc_end221:
	.size	_ZN7rocprim17ROCPRIM_400000_NS6detail31init_lookback_scan_state_kernelINS1_19lookback_scan_stateIN3c107complexIdEELb1ELb0EEENS1_16block_id_wrapperIjLb0EEEEEvT_jT0_jPNSA_10value_typeE, .Lfunc_end221-_ZN7rocprim17ROCPRIM_400000_NS6detail31init_lookback_scan_state_kernelINS1_19lookback_scan_stateIN3c107complexIdEELb1ELb0EEENS1_16block_id_wrapperIjLb0EEEEEvT_jT0_jPNSA_10value_typeE
                                        ; -- End function
	.section	.AMDGPU.csdata,"",@progbits
; Kernel info:
; codeLenInByte = 380
; NumSgprs: 22
; NumVgprs: 6
; NumAgprs: 0
; TotalNumVgprs: 6
; ScratchSize: 0
; MemoryBound: 0
; FloatMode: 240
; IeeeMode: 1
; LDSByteSize: 0 bytes/workgroup (compile time only)
; SGPRBlocks: 2
; VGPRBlocks: 0
; NumSGPRsForWavesPerEU: 22
; NumVGPRsForWavesPerEU: 6
; AccumOffset: 8
; Occupancy: 8
; WaveLimiterHint : 0
; COMPUTE_PGM_RSRC2:SCRATCH_EN: 0
; COMPUTE_PGM_RSRC2:USER_SGPR: 6
; COMPUTE_PGM_RSRC2:TRAP_HANDLER: 0
; COMPUTE_PGM_RSRC2:TGID_X_EN: 1
; COMPUTE_PGM_RSRC2:TGID_Y_EN: 0
; COMPUTE_PGM_RSRC2:TGID_Z_EN: 0
; COMPUTE_PGM_RSRC2:TIDIG_COMP_CNT: 0
; COMPUTE_PGM_RSRC3_GFX90A:ACCUM_OFFSET: 1
; COMPUTE_PGM_RSRC3_GFX90A:TG_SPLIT: 0
	.section	.text._ZN7rocprim17ROCPRIM_400000_NS6detail17trampoline_kernelINS0_14default_configENS1_20scan_config_selectorIN3c107complexIdEEEEZZNS1_9scan_implILNS1_25lookback_scan_determinismE0ELb0ELb0ES3_PKS7_PS7_S7_ZZZN2at6native31launch_logcumsumexp_cuda_kernelERKNSE_10TensorBaseESI_lENKUlvE_clEvENKUlvE1_clEvEUlS7_S7_E_S7_EEDaPvRmT3_T4_T5_mT6_P12ihipStream_tbENKUlT_T0_E_clISt17integral_constantIbLb1EESY_IbLb0EEEEDaSU_SV_EUlSU_E_NS1_11comp_targetILNS1_3genE0ELNS1_11target_archE4294967295ELNS1_3gpuE0ELNS1_3repE0EEENS1_30default_config_static_selectorELNS0_4arch9wavefront6targetE1EEEvT1_,"axG",@progbits,_ZN7rocprim17ROCPRIM_400000_NS6detail17trampoline_kernelINS0_14default_configENS1_20scan_config_selectorIN3c107complexIdEEEEZZNS1_9scan_implILNS1_25lookback_scan_determinismE0ELb0ELb0ES3_PKS7_PS7_S7_ZZZN2at6native31launch_logcumsumexp_cuda_kernelERKNSE_10TensorBaseESI_lENKUlvE_clEvENKUlvE1_clEvEUlS7_S7_E_S7_EEDaPvRmT3_T4_T5_mT6_P12ihipStream_tbENKUlT_T0_E_clISt17integral_constantIbLb1EESY_IbLb0EEEEDaSU_SV_EUlSU_E_NS1_11comp_targetILNS1_3genE0ELNS1_11target_archE4294967295ELNS1_3gpuE0ELNS1_3repE0EEENS1_30default_config_static_selectorELNS0_4arch9wavefront6targetE1EEEvT1_,comdat
	.globl	_ZN7rocprim17ROCPRIM_400000_NS6detail17trampoline_kernelINS0_14default_configENS1_20scan_config_selectorIN3c107complexIdEEEEZZNS1_9scan_implILNS1_25lookback_scan_determinismE0ELb0ELb0ES3_PKS7_PS7_S7_ZZZN2at6native31launch_logcumsumexp_cuda_kernelERKNSE_10TensorBaseESI_lENKUlvE_clEvENKUlvE1_clEvEUlS7_S7_E_S7_EEDaPvRmT3_T4_T5_mT6_P12ihipStream_tbENKUlT_T0_E_clISt17integral_constantIbLb1EESY_IbLb0EEEEDaSU_SV_EUlSU_E_NS1_11comp_targetILNS1_3genE0ELNS1_11target_archE4294967295ELNS1_3gpuE0ELNS1_3repE0EEENS1_30default_config_static_selectorELNS0_4arch9wavefront6targetE1EEEvT1_ ; -- Begin function _ZN7rocprim17ROCPRIM_400000_NS6detail17trampoline_kernelINS0_14default_configENS1_20scan_config_selectorIN3c107complexIdEEEEZZNS1_9scan_implILNS1_25lookback_scan_determinismE0ELb0ELb0ES3_PKS7_PS7_S7_ZZZN2at6native31launch_logcumsumexp_cuda_kernelERKNSE_10TensorBaseESI_lENKUlvE_clEvENKUlvE1_clEvEUlS7_S7_E_S7_EEDaPvRmT3_T4_T5_mT6_P12ihipStream_tbENKUlT_T0_E_clISt17integral_constantIbLb1EESY_IbLb0EEEEDaSU_SV_EUlSU_E_NS1_11comp_targetILNS1_3genE0ELNS1_11target_archE4294967295ELNS1_3gpuE0ELNS1_3repE0EEENS1_30default_config_static_selectorELNS0_4arch9wavefront6targetE1EEEvT1_
	.p2align	8
	.type	_ZN7rocprim17ROCPRIM_400000_NS6detail17trampoline_kernelINS0_14default_configENS1_20scan_config_selectorIN3c107complexIdEEEEZZNS1_9scan_implILNS1_25lookback_scan_determinismE0ELb0ELb0ES3_PKS7_PS7_S7_ZZZN2at6native31launch_logcumsumexp_cuda_kernelERKNSE_10TensorBaseESI_lENKUlvE_clEvENKUlvE1_clEvEUlS7_S7_E_S7_EEDaPvRmT3_T4_T5_mT6_P12ihipStream_tbENKUlT_T0_E_clISt17integral_constantIbLb1EESY_IbLb0EEEEDaSU_SV_EUlSU_E_NS1_11comp_targetILNS1_3genE0ELNS1_11target_archE4294967295ELNS1_3gpuE0ELNS1_3repE0EEENS1_30default_config_static_selectorELNS0_4arch9wavefront6targetE1EEEvT1_,@function
_ZN7rocprim17ROCPRIM_400000_NS6detail17trampoline_kernelINS0_14default_configENS1_20scan_config_selectorIN3c107complexIdEEEEZZNS1_9scan_implILNS1_25lookback_scan_determinismE0ELb0ELb0ES3_PKS7_PS7_S7_ZZZN2at6native31launch_logcumsumexp_cuda_kernelERKNSE_10TensorBaseESI_lENKUlvE_clEvENKUlvE1_clEvEUlS7_S7_E_S7_EEDaPvRmT3_T4_T5_mT6_P12ihipStream_tbENKUlT_T0_E_clISt17integral_constantIbLb1EESY_IbLb0EEEEDaSU_SV_EUlSU_E_NS1_11comp_targetILNS1_3genE0ELNS1_11target_archE4294967295ELNS1_3gpuE0ELNS1_3repE0EEENS1_30default_config_static_selectorELNS0_4arch9wavefront6targetE1EEEvT1_: ; @_ZN7rocprim17ROCPRIM_400000_NS6detail17trampoline_kernelINS0_14default_configENS1_20scan_config_selectorIN3c107complexIdEEEEZZNS1_9scan_implILNS1_25lookback_scan_determinismE0ELb0ELb0ES3_PKS7_PS7_S7_ZZZN2at6native31launch_logcumsumexp_cuda_kernelERKNSE_10TensorBaseESI_lENKUlvE_clEvENKUlvE1_clEvEUlS7_S7_E_S7_EEDaPvRmT3_T4_T5_mT6_P12ihipStream_tbENKUlT_T0_E_clISt17integral_constantIbLb1EESY_IbLb0EEEEDaSU_SV_EUlSU_E_NS1_11comp_targetILNS1_3genE0ELNS1_11target_archE4294967295ELNS1_3gpuE0ELNS1_3repE0EEENS1_30default_config_static_selectorELNS0_4arch9wavefront6targetE1EEEvT1_
; %bb.0:
	.section	.rodata,"a",@progbits
	.p2align	6, 0x0
	.amdhsa_kernel _ZN7rocprim17ROCPRIM_400000_NS6detail17trampoline_kernelINS0_14default_configENS1_20scan_config_selectorIN3c107complexIdEEEEZZNS1_9scan_implILNS1_25lookback_scan_determinismE0ELb0ELb0ES3_PKS7_PS7_S7_ZZZN2at6native31launch_logcumsumexp_cuda_kernelERKNSE_10TensorBaseESI_lENKUlvE_clEvENKUlvE1_clEvEUlS7_S7_E_S7_EEDaPvRmT3_T4_T5_mT6_P12ihipStream_tbENKUlT_T0_E_clISt17integral_constantIbLb1EESY_IbLb0EEEEDaSU_SV_EUlSU_E_NS1_11comp_targetILNS1_3genE0ELNS1_11target_archE4294967295ELNS1_3gpuE0ELNS1_3repE0EEENS1_30default_config_static_selectorELNS0_4arch9wavefront6targetE1EEEvT1_
		.amdhsa_group_segment_fixed_size 0
		.amdhsa_private_segment_fixed_size 0
		.amdhsa_kernarg_size 128
		.amdhsa_user_sgpr_count 6
		.amdhsa_user_sgpr_private_segment_buffer 1
		.amdhsa_user_sgpr_dispatch_ptr 0
		.amdhsa_user_sgpr_queue_ptr 0
		.amdhsa_user_sgpr_kernarg_segment_ptr 1
		.amdhsa_user_sgpr_dispatch_id 0
		.amdhsa_user_sgpr_flat_scratch_init 0
		.amdhsa_user_sgpr_kernarg_preload_length 0
		.amdhsa_user_sgpr_kernarg_preload_offset 0
		.amdhsa_user_sgpr_private_segment_size 0
		.amdhsa_uses_dynamic_stack 0
		.amdhsa_system_sgpr_private_segment_wavefront_offset 0
		.amdhsa_system_sgpr_workgroup_id_x 1
		.amdhsa_system_sgpr_workgroup_id_y 0
		.amdhsa_system_sgpr_workgroup_id_z 0
		.amdhsa_system_sgpr_workgroup_info 0
		.amdhsa_system_vgpr_workitem_id 0
		.amdhsa_next_free_vgpr 1
		.amdhsa_next_free_sgpr 0
		.amdhsa_accum_offset 4
		.amdhsa_reserve_vcc 0
		.amdhsa_reserve_flat_scratch 0
		.amdhsa_float_round_mode_32 0
		.amdhsa_float_round_mode_16_64 0
		.amdhsa_float_denorm_mode_32 3
		.amdhsa_float_denorm_mode_16_64 3
		.amdhsa_dx10_clamp 1
		.amdhsa_ieee_mode 1
		.amdhsa_fp16_overflow 0
		.amdhsa_tg_split 0
		.amdhsa_exception_fp_ieee_invalid_op 0
		.amdhsa_exception_fp_denorm_src 0
		.amdhsa_exception_fp_ieee_div_zero 0
		.amdhsa_exception_fp_ieee_overflow 0
		.amdhsa_exception_fp_ieee_underflow 0
		.amdhsa_exception_fp_ieee_inexact 0
		.amdhsa_exception_int_div_zero 0
	.end_amdhsa_kernel
	.section	.text._ZN7rocprim17ROCPRIM_400000_NS6detail17trampoline_kernelINS0_14default_configENS1_20scan_config_selectorIN3c107complexIdEEEEZZNS1_9scan_implILNS1_25lookback_scan_determinismE0ELb0ELb0ES3_PKS7_PS7_S7_ZZZN2at6native31launch_logcumsumexp_cuda_kernelERKNSE_10TensorBaseESI_lENKUlvE_clEvENKUlvE1_clEvEUlS7_S7_E_S7_EEDaPvRmT3_T4_T5_mT6_P12ihipStream_tbENKUlT_T0_E_clISt17integral_constantIbLb1EESY_IbLb0EEEEDaSU_SV_EUlSU_E_NS1_11comp_targetILNS1_3genE0ELNS1_11target_archE4294967295ELNS1_3gpuE0ELNS1_3repE0EEENS1_30default_config_static_selectorELNS0_4arch9wavefront6targetE1EEEvT1_,"axG",@progbits,_ZN7rocprim17ROCPRIM_400000_NS6detail17trampoline_kernelINS0_14default_configENS1_20scan_config_selectorIN3c107complexIdEEEEZZNS1_9scan_implILNS1_25lookback_scan_determinismE0ELb0ELb0ES3_PKS7_PS7_S7_ZZZN2at6native31launch_logcumsumexp_cuda_kernelERKNSE_10TensorBaseESI_lENKUlvE_clEvENKUlvE1_clEvEUlS7_S7_E_S7_EEDaPvRmT3_T4_T5_mT6_P12ihipStream_tbENKUlT_T0_E_clISt17integral_constantIbLb1EESY_IbLb0EEEEDaSU_SV_EUlSU_E_NS1_11comp_targetILNS1_3genE0ELNS1_11target_archE4294967295ELNS1_3gpuE0ELNS1_3repE0EEENS1_30default_config_static_selectorELNS0_4arch9wavefront6targetE1EEEvT1_,comdat
.Lfunc_end222:
	.size	_ZN7rocprim17ROCPRIM_400000_NS6detail17trampoline_kernelINS0_14default_configENS1_20scan_config_selectorIN3c107complexIdEEEEZZNS1_9scan_implILNS1_25lookback_scan_determinismE0ELb0ELb0ES3_PKS7_PS7_S7_ZZZN2at6native31launch_logcumsumexp_cuda_kernelERKNSE_10TensorBaseESI_lENKUlvE_clEvENKUlvE1_clEvEUlS7_S7_E_S7_EEDaPvRmT3_T4_T5_mT6_P12ihipStream_tbENKUlT_T0_E_clISt17integral_constantIbLb1EESY_IbLb0EEEEDaSU_SV_EUlSU_E_NS1_11comp_targetILNS1_3genE0ELNS1_11target_archE4294967295ELNS1_3gpuE0ELNS1_3repE0EEENS1_30default_config_static_selectorELNS0_4arch9wavefront6targetE1EEEvT1_, .Lfunc_end222-_ZN7rocprim17ROCPRIM_400000_NS6detail17trampoline_kernelINS0_14default_configENS1_20scan_config_selectorIN3c107complexIdEEEEZZNS1_9scan_implILNS1_25lookback_scan_determinismE0ELb0ELb0ES3_PKS7_PS7_S7_ZZZN2at6native31launch_logcumsumexp_cuda_kernelERKNSE_10TensorBaseESI_lENKUlvE_clEvENKUlvE1_clEvEUlS7_S7_E_S7_EEDaPvRmT3_T4_T5_mT6_P12ihipStream_tbENKUlT_T0_E_clISt17integral_constantIbLb1EESY_IbLb0EEEEDaSU_SV_EUlSU_E_NS1_11comp_targetILNS1_3genE0ELNS1_11target_archE4294967295ELNS1_3gpuE0ELNS1_3repE0EEENS1_30default_config_static_selectorELNS0_4arch9wavefront6targetE1EEEvT1_
                                        ; -- End function
	.section	.AMDGPU.csdata,"",@progbits
; Kernel info:
; codeLenInByte = 0
; NumSgprs: 4
; NumVgprs: 0
; NumAgprs: 0
; TotalNumVgprs: 0
; ScratchSize: 0
; MemoryBound: 0
; FloatMode: 240
; IeeeMode: 1
; LDSByteSize: 0 bytes/workgroup (compile time only)
; SGPRBlocks: 0
; VGPRBlocks: 0
; NumSGPRsForWavesPerEU: 4
; NumVGPRsForWavesPerEU: 1
; AccumOffset: 4
; Occupancy: 8
; WaveLimiterHint : 0
; COMPUTE_PGM_RSRC2:SCRATCH_EN: 0
; COMPUTE_PGM_RSRC2:USER_SGPR: 6
; COMPUTE_PGM_RSRC2:TRAP_HANDLER: 0
; COMPUTE_PGM_RSRC2:TGID_X_EN: 1
; COMPUTE_PGM_RSRC2:TGID_Y_EN: 0
; COMPUTE_PGM_RSRC2:TGID_Z_EN: 0
; COMPUTE_PGM_RSRC2:TIDIG_COMP_CNT: 0
; COMPUTE_PGM_RSRC3_GFX90A:ACCUM_OFFSET: 0
; COMPUTE_PGM_RSRC3_GFX90A:TG_SPLIT: 0
	.section	.text._ZN7rocprim17ROCPRIM_400000_NS6detail17trampoline_kernelINS0_14default_configENS1_20scan_config_selectorIN3c107complexIdEEEEZZNS1_9scan_implILNS1_25lookback_scan_determinismE0ELb0ELb0ES3_PKS7_PS7_S7_ZZZN2at6native31launch_logcumsumexp_cuda_kernelERKNSE_10TensorBaseESI_lENKUlvE_clEvENKUlvE1_clEvEUlS7_S7_E_S7_EEDaPvRmT3_T4_T5_mT6_P12ihipStream_tbENKUlT_T0_E_clISt17integral_constantIbLb1EESY_IbLb0EEEEDaSU_SV_EUlSU_E_NS1_11comp_targetILNS1_3genE5ELNS1_11target_archE942ELNS1_3gpuE9ELNS1_3repE0EEENS1_30default_config_static_selectorELNS0_4arch9wavefront6targetE1EEEvT1_,"axG",@progbits,_ZN7rocprim17ROCPRIM_400000_NS6detail17trampoline_kernelINS0_14default_configENS1_20scan_config_selectorIN3c107complexIdEEEEZZNS1_9scan_implILNS1_25lookback_scan_determinismE0ELb0ELb0ES3_PKS7_PS7_S7_ZZZN2at6native31launch_logcumsumexp_cuda_kernelERKNSE_10TensorBaseESI_lENKUlvE_clEvENKUlvE1_clEvEUlS7_S7_E_S7_EEDaPvRmT3_T4_T5_mT6_P12ihipStream_tbENKUlT_T0_E_clISt17integral_constantIbLb1EESY_IbLb0EEEEDaSU_SV_EUlSU_E_NS1_11comp_targetILNS1_3genE5ELNS1_11target_archE942ELNS1_3gpuE9ELNS1_3repE0EEENS1_30default_config_static_selectorELNS0_4arch9wavefront6targetE1EEEvT1_,comdat
	.globl	_ZN7rocprim17ROCPRIM_400000_NS6detail17trampoline_kernelINS0_14default_configENS1_20scan_config_selectorIN3c107complexIdEEEEZZNS1_9scan_implILNS1_25lookback_scan_determinismE0ELb0ELb0ES3_PKS7_PS7_S7_ZZZN2at6native31launch_logcumsumexp_cuda_kernelERKNSE_10TensorBaseESI_lENKUlvE_clEvENKUlvE1_clEvEUlS7_S7_E_S7_EEDaPvRmT3_T4_T5_mT6_P12ihipStream_tbENKUlT_T0_E_clISt17integral_constantIbLb1EESY_IbLb0EEEEDaSU_SV_EUlSU_E_NS1_11comp_targetILNS1_3genE5ELNS1_11target_archE942ELNS1_3gpuE9ELNS1_3repE0EEENS1_30default_config_static_selectorELNS0_4arch9wavefront6targetE1EEEvT1_ ; -- Begin function _ZN7rocprim17ROCPRIM_400000_NS6detail17trampoline_kernelINS0_14default_configENS1_20scan_config_selectorIN3c107complexIdEEEEZZNS1_9scan_implILNS1_25lookback_scan_determinismE0ELb0ELb0ES3_PKS7_PS7_S7_ZZZN2at6native31launch_logcumsumexp_cuda_kernelERKNSE_10TensorBaseESI_lENKUlvE_clEvENKUlvE1_clEvEUlS7_S7_E_S7_EEDaPvRmT3_T4_T5_mT6_P12ihipStream_tbENKUlT_T0_E_clISt17integral_constantIbLb1EESY_IbLb0EEEEDaSU_SV_EUlSU_E_NS1_11comp_targetILNS1_3genE5ELNS1_11target_archE942ELNS1_3gpuE9ELNS1_3repE0EEENS1_30default_config_static_selectorELNS0_4arch9wavefront6targetE1EEEvT1_
	.p2align	8
	.type	_ZN7rocprim17ROCPRIM_400000_NS6detail17trampoline_kernelINS0_14default_configENS1_20scan_config_selectorIN3c107complexIdEEEEZZNS1_9scan_implILNS1_25lookback_scan_determinismE0ELb0ELb0ES3_PKS7_PS7_S7_ZZZN2at6native31launch_logcumsumexp_cuda_kernelERKNSE_10TensorBaseESI_lENKUlvE_clEvENKUlvE1_clEvEUlS7_S7_E_S7_EEDaPvRmT3_T4_T5_mT6_P12ihipStream_tbENKUlT_T0_E_clISt17integral_constantIbLb1EESY_IbLb0EEEEDaSU_SV_EUlSU_E_NS1_11comp_targetILNS1_3genE5ELNS1_11target_archE942ELNS1_3gpuE9ELNS1_3repE0EEENS1_30default_config_static_selectorELNS0_4arch9wavefront6targetE1EEEvT1_,@function
_ZN7rocprim17ROCPRIM_400000_NS6detail17trampoline_kernelINS0_14default_configENS1_20scan_config_selectorIN3c107complexIdEEEEZZNS1_9scan_implILNS1_25lookback_scan_determinismE0ELb0ELb0ES3_PKS7_PS7_S7_ZZZN2at6native31launch_logcumsumexp_cuda_kernelERKNSE_10TensorBaseESI_lENKUlvE_clEvENKUlvE1_clEvEUlS7_S7_E_S7_EEDaPvRmT3_T4_T5_mT6_P12ihipStream_tbENKUlT_T0_E_clISt17integral_constantIbLb1EESY_IbLb0EEEEDaSU_SV_EUlSU_E_NS1_11comp_targetILNS1_3genE5ELNS1_11target_archE942ELNS1_3gpuE9ELNS1_3repE0EEENS1_30default_config_static_selectorELNS0_4arch9wavefront6targetE1EEEvT1_: ; @_ZN7rocprim17ROCPRIM_400000_NS6detail17trampoline_kernelINS0_14default_configENS1_20scan_config_selectorIN3c107complexIdEEEEZZNS1_9scan_implILNS1_25lookback_scan_determinismE0ELb0ELb0ES3_PKS7_PS7_S7_ZZZN2at6native31launch_logcumsumexp_cuda_kernelERKNSE_10TensorBaseESI_lENKUlvE_clEvENKUlvE1_clEvEUlS7_S7_E_S7_EEDaPvRmT3_T4_T5_mT6_P12ihipStream_tbENKUlT_T0_E_clISt17integral_constantIbLb1EESY_IbLb0EEEEDaSU_SV_EUlSU_E_NS1_11comp_targetILNS1_3genE5ELNS1_11target_archE942ELNS1_3gpuE9ELNS1_3repE0EEENS1_30default_config_static_selectorELNS0_4arch9wavefront6targetE1EEEvT1_
; %bb.0:
	.section	.rodata,"a",@progbits
	.p2align	6, 0x0
	.amdhsa_kernel _ZN7rocprim17ROCPRIM_400000_NS6detail17trampoline_kernelINS0_14default_configENS1_20scan_config_selectorIN3c107complexIdEEEEZZNS1_9scan_implILNS1_25lookback_scan_determinismE0ELb0ELb0ES3_PKS7_PS7_S7_ZZZN2at6native31launch_logcumsumexp_cuda_kernelERKNSE_10TensorBaseESI_lENKUlvE_clEvENKUlvE1_clEvEUlS7_S7_E_S7_EEDaPvRmT3_T4_T5_mT6_P12ihipStream_tbENKUlT_T0_E_clISt17integral_constantIbLb1EESY_IbLb0EEEEDaSU_SV_EUlSU_E_NS1_11comp_targetILNS1_3genE5ELNS1_11target_archE942ELNS1_3gpuE9ELNS1_3repE0EEENS1_30default_config_static_selectorELNS0_4arch9wavefront6targetE1EEEvT1_
		.amdhsa_group_segment_fixed_size 0
		.amdhsa_private_segment_fixed_size 0
		.amdhsa_kernarg_size 128
		.amdhsa_user_sgpr_count 6
		.amdhsa_user_sgpr_private_segment_buffer 1
		.amdhsa_user_sgpr_dispatch_ptr 0
		.amdhsa_user_sgpr_queue_ptr 0
		.amdhsa_user_sgpr_kernarg_segment_ptr 1
		.amdhsa_user_sgpr_dispatch_id 0
		.amdhsa_user_sgpr_flat_scratch_init 0
		.amdhsa_user_sgpr_kernarg_preload_length 0
		.amdhsa_user_sgpr_kernarg_preload_offset 0
		.amdhsa_user_sgpr_private_segment_size 0
		.amdhsa_uses_dynamic_stack 0
		.amdhsa_system_sgpr_private_segment_wavefront_offset 0
		.amdhsa_system_sgpr_workgroup_id_x 1
		.amdhsa_system_sgpr_workgroup_id_y 0
		.amdhsa_system_sgpr_workgroup_id_z 0
		.amdhsa_system_sgpr_workgroup_info 0
		.amdhsa_system_vgpr_workitem_id 0
		.amdhsa_next_free_vgpr 1
		.amdhsa_next_free_sgpr 0
		.amdhsa_accum_offset 4
		.amdhsa_reserve_vcc 0
		.amdhsa_reserve_flat_scratch 0
		.amdhsa_float_round_mode_32 0
		.amdhsa_float_round_mode_16_64 0
		.amdhsa_float_denorm_mode_32 3
		.amdhsa_float_denorm_mode_16_64 3
		.amdhsa_dx10_clamp 1
		.amdhsa_ieee_mode 1
		.amdhsa_fp16_overflow 0
		.amdhsa_tg_split 0
		.amdhsa_exception_fp_ieee_invalid_op 0
		.amdhsa_exception_fp_denorm_src 0
		.amdhsa_exception_fp_ieee_div_zero 0
		.amdhsa_exception_fp_ieee_overflow 0
		.amdhsa_exception_fp_ieee_underflow 0
		.amdhsa_exception_fp_ieee_inexact 0
		.amdhsa_exception_int_div_zero 0
	.end_amdhsa_kernel
	.section	.text._ZN7rocprim17ROCPRIM_400000_NS6detail17trampoline_kernelINS0_14default_configENS1_20scan_config_selectorIN3c107complexIdEEEEZZNS1_9scan_implILNS1_25lookback_scan_determinismE0ELb0ELb0ES3_PKS7_PS7_S7_ZZZN2at6native31launch_logcumsumexp_cuda_kernelERKNSE_10TensorBaseESI_lENKUlvE_clEvENKUlvE1_clEvEUlS7_S7_E_S7_EEDaPvRmT3_T4_T5_mT6_P12ihipStream_tbENKUlT_T0_E_clISt17integral_constantIbLb1EESY_IbLb0EEEEDaSU_SV_EUlSU_E_NS1_11comp_targetILNS1_3genE5ELNS1_11target_archE942ELNS1_3gpuE9ELNS1_3repE0EEENS1_30default_config_static_selectorELNS0_4arch9wavefront6targetE1EEEvT1_,"axG",@progbits,_ZN7rocprim17ROCPRIM_400000_NS6detail17trampoline_kernelINS0_14default_configENS1_20scan_config_selectorIN3c107complexIdEEEEZZNS1_9scan_implILNS1_25lookback_scan_determinismE0ELb0ELb0ES3_PKS7_PS7_S7_ZZZN2at6native31launch_logcumsumexp_cuda_kernelERKNSE_10TensorBaseESI_lENKUlvE_clEvENKUlvE1_clEvEUlS7_S7_E_S7_EEDaPvRmT3_T4_T5_mT6_P12ihipStream_tbENKUlT_T0_E_clISt17integral_constantIbLb1EESY_IbLb0EEEEDaSU_SV_EUlSU_E_NS1_11comp_targetILNS1_3genE5ELNS1_11target_archE942ELNS1_3gpuE9ELNS1_3repE0EEENS1_30default_config_static_selectorELNS0_4arch9wavefront6targetE1EEEvT1_,comdat
.Lfunc_end223:
	.size	_ZN7rocprim17ROCPRIM_400000_NS6detail17trampoline_kernelINS0_14default_configENS1_20scan_config_selectorIN3c107complexIdEEEEZZNS1_9scan_implILNS1_25lookback_scan_determinismE0ELb0ELb0ES3_PKS7_PS7_S7_ZZZN2at6native31launch_logcumsumexp_cuda_kernelERKNSE_10TensorBaseESI_lENKUlvE_clEvENKUlvE1_clEvEUlS7_S7_E_S7_EEDaPvRmT3_T4_T5_mT6_P12ihipStream_tbENKUlT_T0_E_clISt17integral_constantIbLb1EESY_IbLb0EEEEDaSU_SV_EUlSU_E_NS1_11comp_targetILNS1_3genE5ELNS1_11target_archE942ELNS1_3gpuE9ELNS1_3repE0EEENS1_30default_config_static_selectorELNS0_4arch9wavefront6targetE1EEEvT1_, .Lfunc_end223-_ZN7rocprim17ROCPRIM_400000_NS6detail17trampoline_kernelINS0_14default_configENS1_20scan_config_selectorIN3c107complexIdEEEEZZNS1_9scan_implILNS1_25lookback_scan_determinismE0ELb0ELb0ES3_PKS7_PS7_S7_ZZZN2at6native31launch_logcumsumexp_cuda_kernelERKNSE_10TensorBaseESI_lENKUlvE_clEvENKUlvE1_clEvEUlS7_S7_E_S7_EEDaPvRmT3_T4_T5_mT6_P12ihipStream_tbENKUlT_T0_E_clISt17integral_constantIbLb1EESY_IbLb0EEEEDaSU_SV_EUlSU_E_NS1_11comp_targetILNS1_3genE5ELNS1_11target_archE942ELNS1_3gpuE9ELNS1_3repE0EEENS1_30default_config_static_selectorELNS0_4arch9wavefront6targetE1EEEvT1_
                                        ; -- End function
	.section	.AMDGPU.csdata,"",@progbits
; Kernel info:
; codeLenInByte = 0
; NumSgprs: 4
; NumVgprs: 0
; NumAgprs: 0
; TotalNumVgprs: 0
; ScratchSize: 0
; MemoryBound: 0
; FloatMode: 240
; IeeeMode: 1
; LDSByteSize: 0 bytes/workgroup (compile time only)
; SGPRBlocks: 0
; VGPRBlocks: 0
; NumSGPRsForWavesPerEU: 4
; NumVGPRsForWavesPerEU: 1
; AccumOffset: 4
; Occupancy: 8
; WaveLimiterHint : 0
; COMPUTE_PGM_RSRC2:SCRATCH_EN: 0
; COMPUTE_PGM_RSRC2:USER_SGPR: 6
; COMPUTE_PGM_RSRC2:TRAP_HANDLER: 0
; COMPUTE_PGM_RSRC2:TGID_X_EN: 1
; COMPUTE_PGM_RSRC2:TGID_Y_EN: 0
; COMPUTE_PGM_RSRC2:TGID_Z_EN: 0
; COMPUTE_PGM_RSRC2:TIDIG_COMP_CNT: 0
; COMPUTE_PGM_RSRC3_GFX90A:ACCUM_OFFSET: 0
; COMPUTE_PGM_RSRC3_GFX90A:TG_SPLIT: 0
	.section	.text._ZN7rocprim17ROCPRIM_400000_NS6detail17trampoline_kernelINS0_14default_configENS1_20scan_config_selectorIN3c107complexIdEEEEZZNS1_9scan_implILNS1_25lookback_scan_determinismE0ELb0ELb0ES3_PKS7_PS7_S7_ZZZN2at6native31launch_logcumsumexp_cuda_kernelERKNSE_10TensorBaseESI_lENKUlvE_clEvENKUlvE1_clEvEUlS7_S7_E_S7_EEDaPvRmT3_T4_T5_mT6_P12ihipStream_tbENKUlT_T0_E_clISt17integral_constantIbLb1EESY_IbLb0EEEEDaSU_SV_EUlSU_E_NS1_11comp_targetILNS1_3genE4ELNS1_11target_archE910ELNS1_3gpuE8ELNS1_3repE0EEENS1_30default_config_static_selectorELNS0_4arch9wavefront6targetE1EEEvT1_,"axG",@progbits,_ZN7rocprim17ROCPRIM_400000_NS6detail17trampoline_kernelINS0_14default_configENS1_20scan_config_selectorIN3c107complexIdEEEEZZNS1_9scan_implILNS1_25lookback_scan_determinismE0ELb0ELb0ES3_PKS7_PS7_S7_ZZZN2at6native31launch_logcumsumexp_cuda_kernelERKNSE_10TensorBaseESI_lENKUlvE_clEvENKUlvE1_clEvEUlS7_S7_E_S7_EEDaPvRmT3_T4_T5_mT6_P12ihipStream_tbENKUlT_T0_E_clISt17integral_constantIbLb1EESY_IbLb0EEEEDaSU_SV_EUlSU_E_NS1_11comp_targetILNS1_3genE4ELNS1_11target_archE910ELNS1_3gpuE8ELNS1_3repE0EEENS1_30default_config_static_selectorELNS0_4arch9wavefront6targetE1EEEvT1_,comdat
	.globl	_ZN7rocprim17ROCPRIM_400000_NS6detail17trampoline_kernelINS0_14default_configENS1_20scan_config_selectorIN3c107complexIdEEEEZZNS1_9scan_implILNS1_25lookback_scan_determinismE0ELb0ELb0ES3_PKS7_PS7_S7_ZZZN2at6native31launch_logcumsumexp_cuda_kernelERKNSE_10TensorBaseESI_lENKUlvE_clEvENKUlvE1_clEvEUlS7_S7_E_S7_EEDaPvRmT3_T4_T5_mT6_P12ihipStream_tbENKUlT_T0_E_clISt17integral_constantIbLb1EESY_IbLb0EEEEDaSU_SV_EUlSU_E_NS1_11comp_targetILNS1_3genE4ELNS1_11target_archE910ELNS1_3gpuE8ELNS1_3repE0EEENS1_30default_config_static_selectorELNS0_4arch9wavefront6targetE1EEEvT1_ ; -- Begin function _ZN7rocprim17ROCPRIM_400000_NS6detail17trampoline_kernelINS0_14default_configENS1_20scan_config_selectorIN3c107complexIdEEEEZZNS1_9scan_implILNS1_25lookback_scan_determinismE0ELb0ELb0ES3_PKS7_PS7_S7_ZZZN2at6native31launch_logcumsumexp_cuda_kernelERKNSE_10TensorBaseESI_lENKUlvE_clEvENKUlvE1_clEvEUlS7_S7_E_S7_EEDaPvRmT3_T4_T5_mT6_P12ihipStream_tbENKUlT_T0_E_clISt17integral_constantIbLb1EESY_IbLb0EEEEDaSU_SV_EUlSU_E_NS1_11comp_targetILNS1_3genE4ELNS1_11target_archE910ELNS1_3gpuE8ELNS1_3repE0EEENS1_30default_config_static_selectorELNS0_4arch9wavefront6targetE1EEEvT1_
	.p2align	8
	.type	_ZN7rocprim17ROCPRIM_400000_NS6detail17trampoline_kernelINS0_14default_configENS1_20scan_config_selectorIN3c107complexIdEEEEZZNS1_9scan_implILNS1_25lookback_scan_determinismE0ELb0ELb0ES3_PKS7_PS7_S7_ZZZN2at6native31launch_logcumsumexp_cuda_kernelERKNSE_10TensorBaseESI_lENKUlvE_clEvENKUlvE1_clEvEUlS7_S7_E_S7_EEDaPvRmT3_T4_T5_mT6_P12ihipStream_tbENKUlT_T0_E_clISt17integral_constantIbLb1EESY_IbLb0EEEEDaSU_SV_EUlSU_E_NS1_11comp_targetILNS1_3genE4ELNS1_11target_archE910ELNS1_3gpuE8ELNS1_3repE0EEENS1_30default_config_static_selectorELNS0_4arch9wavefront6targetE1EEEvT1_,@function
_ZN7rocprim17ROCPRIM_400000_NS6detail17trampoline_kernelINS0_14default_configENS1_20scan_config_selectorIN3c107complexIdEEEEZZNS1_9scan_implILNS1_25lookback_scan_determinismE0ELb0ELb0ES3_PKS7_PS7_S7_ZZZN2at6native31launch_logcumsumexp_cuda_kernelERKNSE_10TensorBaseESI_lENKUlvE_clEvENKUlvE1_clEvEUlS7_S7_E_S7_EEDaPvRmT3_T4_T5_mT6_P12ihipStream_tbENKUlT_T0_E_clISt17integral_constantIbLb1EESY_IbLb0EEEEDaSU_SV_EUlSU_E_NS1_11comp_targetILNS1_3genE4ELNS1_11target_archE910ELNS1_3gpuE8ELNS1_3repE0EEENS1_30default_config_static_selectorELNS0_4arch9wavefront6targetE1EEEvT1_: ; @_ZN7rocprim17ROCPRIM_400000_NS6detail17trampoline_kernelINS0_14default_configENS1_20scan_config_selectorIN3c107complexIdEEEEZZNS1_9scan_implILNS1_25lookback_scan_determinismE0ELb0ELb0ES3_PKS7_PS7_S7_ZZZN2at6native31launch_logcumsumexp_cuda_kernelERKNSE_10TensorBaseESI_lENKUlvE_clEvENKUlvE1_clEvEUlS7_S7_E_S7_EEDaPvRmT3_T4_T5_mT6_P12ihipStream_tbENKUlT_T0_E_clISt17integral_constantIbLb1EESY_IbLb0EEEEDaSU_SV_EUlSU_E_NS1_11comp_targetILNS1_3genE4ELNS1_11target_archE910ELNS1_3gpuE8ELNS1_3repE0EEENS1_30default_config_static_selectorELNS0_4arch9wavefront6targetE1EEEvT1_
; %bb.0:
	s_add_u32 flat_scratch_lo, s6, s9
	s_addc_u32 flat_scratch_hi, s7, 0
	s_mov_b64 s[38:39], s[4:5]
	s_load_dwordx8 s[40:47], s[4:5], 0x0
	s_nop 0
	s_load_dword s4, s[4:5], 0x50
	s_nop 0
	s_load_dwordx4 s[56:59], s[38:39], 0x38
	s_load_dwordx2 s[62:63], s[38:39], 0x48
	s_add_u32 s0, s0, s9
	s_addc_u32 s1, s1, 0
	s_waitcnt lgkmcnt(0)
	s_lshl_b64 s[42:43], s[42:43], 4
	s_add_u32 s6, s40, s42
	s_mov_b32 s33, s8
	s_addc_u32 s7, s41, s43
	s_add_i32 s8, s4, -1
	s_mul_i32 s9, s8, 0x3c0
	s_sub_u32 s37, s46, s9
	s_subb_u32 s64, s47, 0
	s_mov_b32 s5, 0
	s_mul_i32 s4, s33, 0x3c0
	s_cmp_lg_u32 s33, s8
	s_cselect_b64 s[46:47], -1, 0
	s_lshl_b64 s[60:61], s[4:5], 4
	v_mov_b32_e32 v46, v0
	s_add_u32 s6, s6, s60
	s_addc_u32 s7, s7, s61
	s_mov_b64 s[4:5], -1
	s_and_b64 vcc, exec, s[46:47]
	v_lshlrev_b32_e32 v168, 4, v46
	s_mov_b32 s32, 0
	s_cbranch_vccz .LBB224_2
; %bb.1:
	v_mov_b32_e32 v0, s7
	v_add_co_u32_e32 v47, vcc, s6, v168
	v_addc_co_u32_e32 v52, vcc, 0, v0, vcc
	v_add_co_u32_e32 v32, vcc, 0x1000, v47
	v_addc_co_u32_e32 v33, vcc, 0, v52, vcc
	;; [unrolled: 2-line block ×3, first 2 shown]
	global_load_dwordx4 v[0:3], v168, s[6:7]
	global_load_dwordx4 v[4:7], v168, s[6:7] offset:1024
	global_load_dwordx4 v[8:11], v168, s[6:7] offset:2048
	;; [unrolled: 1-line block ×3, first 2 shown]
	global_load_dwordx4 v[16:19], v[32:33], off
	global_load_dwordx4 v[20:23], v[32:33], off offset:1024
	global_load_dwordx4 v[24:27], v[32:33], off offset:2048
	global_load_dwordx4 v[28:31], v[32:33], off offset:3072
	s_nop 0
	global_load_dwordx4 v[32:35], v[44:45], off
	global_load_dwordx4 v[36:39], v[44:45], off offset:1024
	global_load_dwordx4 v[40:43], v[44:45], off offset:2048
	;; [unrolled: 1-line block ×3, first 2 shown]
	v_add_co_u32_e32 v44, vcc, 0x3000, v47
	v_addc_co_u32_e32 v45, vcc, 0, v52, vcc
	global_load_dwordx4 v[52:55], v[44:45], off
	global_load_dwordx4 v[56:59], v[44:45], off offset:1024
	global_load_dwordx4 v[60:63], v[44:45], off offset:2048
	s_mov_b64 s[4:5], 0
	s_waitcnt vmcnt(14)
	ds_write_b128 v168, v[0:3]
	s_waitcnt vmcnt(13)
	ds_write_b128 v168, v[4:7] offset:1024
	s_waitcnt vmcnt(12)
	ds_write_b128 v168, v[8:11] offset:2048
	;; [unrolled: 2-line block ×14, first 2 shown]
	s_waitcnt lgkmcnt(0)
	; wave barrier
.LBB224_2:
	s_andn2_b64 vcc, exec, s[4:5]
	v_cmp_gt_u32_e64 s[4:5], s37, v46
	s_cbranch_vccnz .LBB224_34
; %bb.3:
	s_load_dwordx4 s[8:11], s[6:7], 0x0
	s_waitcnt lgkmcnt(0)
	v_pk_mov_b32 v[2:3], s[10:11], s[10:11] op_sel:[0,1]
	v_pk_mov_b32 v[0:1], s[8:9], s[8:9] op_sel:[0,1]
	s_and_saveexec_b64 s[12:13], s[4:5]
	s_cbranch_execz .LBB224_5
; %bb.4:
	global_load_dwordx4 v[0:3], v168, s[6:7]
.LBB224_5:
	s_or_b64 exec, exec, s[12:13]
	v_or_b32_e32 v4, 64, v46
	v_cmp_gt_u32_e32 vcc, s37, v4
	v_pk_mov_b32 v[6:7], s[10:11], s[10:11] op_sel:[0,1]
	v_pk_mov_b32 v[4:5], s[8:9], s[8:9] op_sel:[0,1]
	s_and_saveexec_b64 s[4:5], vcc
	s_cbranch_execz .LBB224_7
; %bb.6:
	global_load_dwordx4 v[4:7], v168, s[6:7] offset:1024
.LBB224_7:
	s_or_b64 exec, exec, s[4:5]
	v_or_b32_e32 v8, 0x80, v46
	v_cmp_gt_u32_e32 vcc, s37, v8
	v_pk_mov_b32 v[10:11], s[10:11], s[10:11] op_sel:[0,1]
	v_pk_mov_b32 v[8:9], s[8:9], s[8:9] op_sel:[0,1]
	s_and_saveexec_b64 s[4:5], vcc
	s_cbranch_execz .LBB224_9
; %bb.8:
	global_load_dwordx4 v[8:11], v168, s[6:7] offset:2048
.LBB224_9:
	;; [unrolled: 10-line block ×3, first 2 shown]
	s_or_b64 exec, exec, s[4:5]
	v_or_b32_e32 v20, 0x100, v46
	v_cmp_gt_u32_e32 vcc, s37, v20
	v_pk_mov_b32 v[18:19], s[10:11], s[10:11] op_sel:[0,1]
	v_pk_mov_b32 v[16:17], s[8:9], s[8:9] op_sel:[0,1]
	s_and_saveexec_b64 s[4:5], vcc
	s_cbranch_execz .LBB224_13
; %bb.12:
	v_lshlrev_b32_e32 v16, 4, v20
	global_load_dwordx4 v[16:19], v16, s[6:7]
.LBB224_13:
	s_or_b64 exec, exec, s[4:5]
	v_or_b32_e32 v24, 0x140, v46
	v_cmp_gt_u32_e32 vcc, s37, v24
	v_pk_mov_b32 v[22:23], s[10:11], s[10:11] op_sel:[0,1]
	v_pk_mov_b32 v[20:21], s[8:9], s[8:9] op_sel:[0,1]
	s_and_saveexec_b64 s[4:5], vcc
	s_cbranch_execz .LBB224_15
; %bb.14:
	v_lshlrev_b32_e32 v20, 4, v24
	global_load_dwordx4 v[20:23], v20, s[6:7]
.LBB224_15:
	;; [unrolled: 11-line block ×11, first 2 shown]
	s_or_b64 exec, exec, s[4:5]
	s_waitcnt vmcnt(0)
	ds_write_b128 v168, v[0:3]
	ds_write_b128 v168, v[4:7] offset:1024
	ds_write_b128 v168, v[8:11] offset:2048
	;; [unrolled: 1-line block ×14, first 2 shown]
	s_waitcnt lgkmcnt(0)
	; wave barrier
.LBB224_34:
	v_mul_u32_u24_e32 v169, 15, v46
	v_lshlrev_b32_e32 v170, 4, v169
	s_waitcnt lgkmcnt(0)
	ds_read_b128 v[42:45], v170
	ds_read_b128 v[104:107], v170 offset:16
	ds_read_b128 v[100:103], v170 offset:32
	;; [unrolled: 1-line block ×14, first 2 shown]
	s_cmp_lg_u32 s33, 0
	s_waitcnt lgkmcnt(0)
	; wave barrier
	s_waitcnt lgkmcnt(0)
	s_cbranch_scc0 .LBB224_99
; %bb.35:
	v_mov_b32_e32 v0, v42
	v_mov_b32_e32 v1, v43
	v_mov_b32_e32 v2, v44
	v_mov_b32_e32 v3, v45
	v_mov_b32_e32 v4, v104
	v_mov_b32_e32 v5, v105
	v_mov_b32_e32 v6, v106
	v_mov_b32_e32 v7, v107
	s_getpc_b64 s[40:41]
	s_add_u32 s40, s40, _ZZZZN2at6native31launch_logcumsumexp_cuda_kernelERKNS_10TensorBaseES3_lENKUlvE_clEvENKUlvE1_clEvENKUlN3c107complexIdEES8_E_clES8_S8_@rel32@lo+4
	s_addc_u32 s41, s41, _ZZZZN2at6native31launch_logcumsumexp_cuda_kernelERKNS_10TensorBaseES3_lENKUlvE_clEvENKUlvE1_clEvENKUlN3c107complexIdEES8_E_clES8_S8_@rel32@hi+12
	s_swappc_b64 s[30:31], s[40:41]
	v_mov_b32_e32 v4, v100
	v_mov_b32_e32 v5, v101
	v_mov_b32_e32 v6, v102
	v_mov_b32_e32 v7, v103
	s_swappc_b64 s[30:31], s[40:41]
	v_mov_b32_e32 v4, v96
	v_mov_b32_e32 v5, v97
	v_mov_b32_e32 v6, v98
	v_mov_b32_e32 v7, v99
	;; [unrolled: 5-line block ×13, first 2 shown]
	s_swappc_b64 s[30:31], s[40:41]
	v_mov_b32_e32 v4, v0
	v_mbcnt_lo_u32_b32 v0, -1, 0
	v_mbcnt_hi_u32_b32 v112, -1, v0
	v_mov_b32_e32 v5, v1
	v_mov_b32_e32 v6, v2
	;; [unrolled: 1-line block ×3, first 2 shown]
	v_and_b32_e32 v41, 15, v112
	v_mov_b32_dpp v0, v4 row_shr:1 row_mask:0xf bank_mask:0xf
	v_mov_b32_dpp v1, v5 row_shr:1 row_mask:0xf bank_mask:0xf
	;; [unrolled: 1-line block ×4, first 2 shown]
	v_cmp_ne_u32_e32 vcc, 0, v41
	s_and_saveexec_b64 s[48:49], vcc
	s_cbranch_execz .LBB224_37
; %bb.36:
	s_swappc_b64 s[30:31], s[40:41]
	v_mov_b32_e32 v4, v0
	v_mov_b32_e32 v5, v1
	;; [unrolled: 1-line block ×4, first 2 shown]
.LBB224_37:
	s_or_b64 exec, exec, s[48:49]
	v_mov_b32_dpp v0, v4 row_shr:2 row_mask:0xf bank_mask:0xf
	v_mov_b32_dpp v1, v5 row_shr:2 row_mask:0xf bank_mask:0xf
	v_mov_b32_dpp v2, v6 row_shr:2 row_mask:0xf bank_mask:0xf
	v_mov_b32_dpp v3, v7 row_shr:2 row_mask:0xf bank_mask:0xf
	v_cmp_lt_u32_e32 vcc, 1, v41
	s_and_saveexec_b64 s[40:41], vcc
	s_cbranch_execz .LBB224_39
; %bb.38:
	s_getpc_b64 s[4:5]
	s_add_u32 s4, s4, _ZZZZN2at6native31launch_logcumsumexp_cuda_kernelERKNS_10TensorBaseES3_lENKUlvE_clEvENKUlvE1_clEvENKUlN3c107complexIdEES8_E_clES8_S8_@rel32@lo+4
	s_addc_u32 s5, s5, _ZZZZN2at6native31launch_logcumsumexp_cuda_kernelERKNS_10TensorBaseES3_lENKUlvE_clEvENKUlvE1_clEvENKUlN3c107complexIdEES8_E_clES8_S8_@rel32@hi+12
	s_swappc_b64 s[30:31], s[4:5]
	v_mov_b32_e32 v4, v0
	v_mov_b32_e32 v5, v1
	v_mov_b32_e32 v6, v2
	v_mov_b32_e32 v7, v3
.LBB224_39:
	s_or_b64 exec, exec, s[40:41]
	v_mov_b32_dpp v0, v4 row_shr:4 row_mask:0xf bank_mask:0xf
	v_mov_b32_dpp v1, v5 row_shr:4 row_mask:0xf bank_mask:0xf
	v_mov_b32_dpp v2, v6 row_shr:4 row_mask:0xf bank_mask:0xf
	v_mov_b32_dpp v3, v7 row_shr:4 row_mask:0xf bank_mask:0xf
	v_cmp_lt_u32_e32 vcc, 3, v41
	s_and_saveexec_b64 s[40:41], vcc
	s_cbranch_execz .LBB224_41
; %bb.40:
	s_getpc_b64 s[4:5]
	s_add_u32 s4, s4, _ZZZZN2at6native31launch_logcumsumexp_cuda_kernelERKNS_10TensorBaseES3_lENKUlvE_clEvENKUlvE1_clEvENKUlN3c107complexIdEES8_E_clES8_S8_@rel32@lo+4
	s_addc_u32 s5, s5, _ZZZZN2at6native31launch_logcumsumexp_cuda_kernelERKNS_10TensorBaseES3_lENKUlvE_clEvENKUlvE1_clEvENKUlN3c107complexIdEES8_E_clES8_S8_@rel32@hi+12
	s_swappc_b64 s[30:31], s[4:5]
	v_mov_b32_e32 v4, v0
	v_mov_b32_e32 v5, v1
	v_mov_b32_e32 v6, v2
	v_mov_b32_e32 v7, v3
.LBB224_41:
	s_or_b64 exec, exec, s[40:41]
	v_mov_b32_dpp v0, v4 row_shr:8 row_mask:0xf bank_mask:0xf
	v_mov_b32_dpp v1, v5 row_shr:8 row_mask:0xf bank_mask:0xf
	v_mov_b32_dpp v2, v6 row_shr:8 row_mask:0xf bank_mask:0xf
	v_mov_b32_dpp v3, v7 row_shr:8 row_mask:0xf bank_mask:0xf
	v_cmp_lt_u32_e32 vcc, 7, v41
	s_and_saveexec_b64 s[40:41], vcc
	s_cbranch_execz .LBB224_43
; %bb.42:
	s_getpc_b64 s[4:5]
	s_add_u32 s4, s4, _ZZZZN2at6native31launch_logcumsumexp_cuda_kernelERKNS_10TensorBaseES3_lENKUlvE_clEvENKUlvE1_clEvENKUlN3c107complexIdEES8_E_clES8_S8_@rel32@lo+4
	s_addc_u32 s5, s5, _ZZZZN2at6native31launch_logcumsumexp_cuda_kernelERKNS_10TensorBaseES3_lENKUlvE_clEvENKUlvE1_clEvENKUlN3c107complexIdEES8_E_clES8_S8_@rel32@hi+12
	s_swappc_b64 s[30:31], s[4:5]
	v_mov_b32_e32 v4, v0
	v_mov_b32_e32 v5, v1
	v_mov_b32_e32 v6, v2
	v_mov_b32_e32 v7, v3
.LBB224_43:
	s_or_b64 exec, exec, s[40:41]
	v_and_b32_e32 v8, 16, v112
	v_mov_b32_dpp v0, v4 row_bcast:15 row_mask:0xf bank_mask:0xf
	v_mov_b32_dpp v1, v5 row_bcast:15 row_mask:0xf bank_mask:0xf
	v_mov_b32_dpp v2, v6 row_bcast:15 row_mask:0xf bank_mask:0xf
	v_mov_b32_dpp v3, v7 row_bcast:15 row_mask:0xf bank_mask:0xf
	v_cmp_ne_u32_e32 vcc, 0, v8
	s_and_saveexec_b64 s[40:41], vcc
	s_cbranch_execz .LBB224_45
; %bb.44:
	s_getpc_b64 s[4:5]
	s_add_u32 s4, s4, _ZZZZN2at6native31launch_logcumsumexp_cuda_kernelERKNS_10TensorBaseES3_lENKUlvE_clEvENKUlvE1_clEvENKUlN3c107complexIdEES8_E_clES8_S8_@rel32@lo+4
	s_addc_u32 s5, s5, _ZZZZN2at6native31launch_logcumsumexp_cuda_kernelERKNS_10TensorBaseES3_lENKUlvE_clEvENKUlvE1_clEvENKUlN3c107complexIdEES8_E_clES8_S8_@rel32@hi+12
	s_swappc_b64 s[30:31], s[4:5]
	v_mov_b32_e32 v4, v0
	v_mov_b32_e32 v5, v1
	;; [unrolled: 1-line block ×4, first 2 shown]
.LBB224_45:
	s_or_b64 exec, exec, s[40:41]
	v_mov_b32_dpp v0, v4 row_bcast:31 row_mask:0xf bank_mask:0xf
	v_mov_b32_dpp v1, v5 row_bcast:31 row_mask:0xf bank_mask:0xf
	;; [unrolled: 1-line block ×4, first 2 shown]
	v_cmp_lt_u32_e32 vcc, 31, v112
	s_and_saveexec_b64 s[40:41], vcc
	s_cbranch_execz .LBB224_47
; %bb.46:
	s_getpc_b64 s[4:5]
	s_add_u32 s4, s4, _ZZZZN2at6native31launch_logcumsumexp_cuda_kernelERKNS_10TensorBaseES3_lENKUlvE_clEvENKUlvE1_clEvENKUlN3c107complexIdEES8_E_clES8_S8_@rel32@lo+4
	s_addc_u32 s5, s5, _ZZZZN2at6native31launch_logcumsumexp_cuda_kernelERKNS_10TensorBaseES3_lENKUlvE_clEvENKUlvE1_clEvENKUlN3c107complexIdEES8_E_clES8_S8_@rel32@hi+12
	s_swappc_b64 s[30:31], s[4:5]
	v_mov_b32_e32 v4, v0
	v_mov_b32_e32 v5, v1
	;; [unrolled: 1-line block ×4, first 2 shown]
.LBB224_47:
	s_or_b64 exec, exec, s[40:41]
	v_cmp_eq_u32_e32 vcc, 63, v46
	s_and_saveexec_b64 s[4:5], vcc
	s_cbranch_execz .LBB224_49
; %bb.48:
	v_mov_b32_e32 v0, 0
	ds_write_b128 v0, v[4:7]
.LBB224_49:
	s_or_b64 exec, exec, s[4:5]
	v_add_u32_e32 v0, -1, v112
	v_and_b32_e32 v1, 64, v112
	v_cmp_lt_i32_e32 vcc, v0, v1
	v_cndmask_b32_e32 v0, v0, v112, vcc
	v_lshlrev_b32_e32 v0, 2, v0
	ds_bpermute_b32 v41, v0, v4
	ds_bpermute_b32 v47, v0, v5
	;; [unrolled: 1-line block ×4, first 2 shown]
	v_cmp_gt_u32_e32 vcc, 64, v46
	s_waitcnt lgkmcnt(0)
	; wave barrier
	s_waitcnt lgkmcnt(0)
	s_and_saveexec_b64 s[48:49], vcc
	s_cbranch_execz .LBB224_96
; %bb.50:
	v_mov_b32_e32 v1, 0
	ds_read_b128 v[108:111], v1
	s_mov_b32 s7, 0
	v_cmp_eq_u32_e64 s[40:41], 0, v112
	s_and_saveexec_b64 s[4:5], s[40:41]
	s_cbranch_execz .LBB224_52
; %bb.51:
	s_add_i32 s6, s33, 64
	s_lshl_b64 s[8:9], s[6:7], 4
	s_add_u32 s8, s56, s8
	s_addc_u32 s9, s57, s9
	v_mov_b32_e32 v0, s6
	v_mov_b32_e32 v2, 1
	s_waitcnt lgkmcnt(0)
	global_store_dwordx4 v1, v[108:111], s[8:9]
	s_waitcnt vmcnt(0)
	buffer_wbinvl1_vol
	global_store_byte v0, v2, s[62:63]
.LBB224_52:
	s_or_b64 exec, exec, s[4:5]
	v_xad_u32 v118, v112, -1, s33
	v_add_u32_e32 v0, 64, v118
	global_load_ubyte v122, v0, s[62:63] glc
	s_waitcnt vmcnt(0)
	v_cmp_eq_u16_e32 vcc, 0, v122
	s_and_saveexec_b64 s[4:5], vcc
	s_cbranch_execz .LBB224_58
; %bb.53:
	v_mov_b32_e32 v3, s63
	v_add_co_u32_e32 v2, vcc, s62, v0
	v_addc_co_u32_e32 v3, vcc, 0, v3, vcc
	s_mov_b32 s8, 1
	s_mov_b64 s[6:7], 0
.LBB224_54:                             ; =>This Loop Header: Depth=1
                                        ;     Child Loop BB224_55 Depth 2
	s_max_u32 s9, s8, 1
.LBB224_55:                             ;   Parent Loop BB224_54 Depth=1
                                        ; =>  This Inner Loop Header: Depth=2
	s_add_i32 s9, s9, -1
	s_cmp_eq_u32 s9, 0
	s_sleep 1
	s_cbranch_scc0 .LBB224_55
; %bb.56:                               ;   in Loop: Header=BB224_54 Depth=1
	global_load_ubyte v122, v[2:3], off glc
	s_cmp_lt_u32 s8, 32
	s_cselect_b64 s[10:11], -1, 0
	s_cmp_lg_u64 s[10:11], 0
	s_addc_u32 s8, s8, 0
	s_waitcnt vmcnt(0)
	v_cmp_ne_u16_e32 vcc, 0, v122
	s_or_b64 s[6:7], vcc, s[6:7]
	s_andn2_b64 exec, exec, s[6:7]
	s_cbranch_execnz .LBB224_54
; %bb.57:
	s_or_b64 exec, exec, s[6:7]
.LBB224_58:
	s_or_b64 exec, exec, s[4:5]
	v_mov_b32_e32 v2, s59
	v_mov_b32_e32 v3, s57
	v_cmp_eq_u16_e32 vcc, 1, v122
	v_cndmask_b32_e32 v2, v2, v3, vcc
	v_mov_b32_e32 v3, s58
	v_mov_b32_e32 v4, s56
	v_cndmask_b32_e32 v3, v3, v4, vcc
	v_lshlrev_b64 v[0:1], 4, v[0:1]
	v_add_co_u32_e32 v0, vcc, v3, v0
	v_addc_co_u32_e32 v1, vcc, v2, v1, vcc
	s_waitcnt lgkmcnt(0)
	buffer_wbinvl1_vol
	global_load_dwordx4 v[4:7], v[0:1], off
	v_cmp_eq_u16_e32 vcc, 2, v122
	v_lshlrev_b64 v[120:121], v112, -1
	v_and_b32_e32 v123, 63, v112
	v_and_b32_e32 v0, vcc_hi, v121
	v_and_b32_e32 v8, vcc_lo, v120
	v_cmp_ne_u32_e32 vcc, 63, v123
	v_addc_co_u32_e32 v1, vcc, 0, v112, vcc
	v_or_b32_e32 v0, 0x80000000, v0
	v_lshlrev_b32_e32 v124, 2, v1
	v_ffbl_b32_e32 v9, v0
	v_add_u32_e32 v9, 32, v9
	v_ffbl_b32_e32 v8, v8
	v_min_u32_e32 v113, v8, v9
	v_cmp_lt_u32_e32 vcc, v123, v113
	s_waitcnt vmcnt(0)
	ds_bpermute_b32 v0, v124, v4
	ds_bpermute_b32 v1, v124, v5
	;; [unrolled: 1-line block ×4, first 2 shown]
	s_and_saveexec_b64 s[50:51], vcc
	s_cbranch_execz .LBB224_60
; %bb.59:
	s_getpc_b64 s[4:5]
	s_add_u32 s4, s4, _ZZZZN2at6native31launch_logcumsumexp_cuda_kernelERKNS_10TensorBaseES3_lENKUlvE_clEvENKUlvE1_clEvENKUlN3c107complexIdEES8_E_clES8_S8_@rel32@lo+4
	s_addc_u32 s5, s5, _ZZZZN2at6native31launch_logcumsumexp_cuda_kernelERKNS_10TensorBaseES3_lENKUlvE_clEvENKUlvE1_clEvENKUlN3c107complexIdEES8_E_clES8_S8_@rel32@hi+12
	s_swappc_b64 s[30:31], s[4:5]
	v_mov_b32_e32 v4, v0
	v_mov_b32_e32 v5, v1
	v_mov_b32_e32 v6, v2
	v_mov_b32_e32 v7, v3
.LBB224_60:
	s_or_b64 exec, exec, s[50:51]
	v_cmp_gt_u32_e32 vcc, 62, v123
	s_waitcnt lgkmcnt(3)
	v_cndmask_b32_e64 v0, 0, 1, vcc
	v_lshlrev_b32_e32 v0, 1, v0
	v_add_lshl_u32 v125, v0, v112, 2
	ds_bpermute_b32 v0, v125, v4
	s_waitcnt lgkmcnt(3)
	ds_bpermute_b32 v1, v125, v5
	s_waitcnt lgkmcnt(3)
	ds_bpermute_b32 v2, v125, v6
	s_waitcnt lgkmcnt(3)
	ds_bpermute_b32 v3, v125, v7
	v_add_u32_e32 v126, 2, v123
	v_cmp_le_u32_e32 vcc, v126, v113
	s_and_saveexec_b64 s[50:51], vcc
	s_cbranch_execz .LBB224_62
; %bb.61:
	s_getpc_b64 s[4:5]
	s_add_u32 s4, s4, _ZZZZN2at6native31launch_logcumsumexp_cuda_kernelERKNS_10TensorBaseES3_lENKUlvE_clEvENKUlvE1_clEvENKUlN3c107complexIdEES8_E_clES8_S8_@rel32@lo+4
	s_addc_u32 s5, s5, _ZZZZN2at6native31launch_logcumsumexp_cuda_kernelERKNS_10TensorBaseES3_lENKUlvE_clEvENKUlvE1_clEvENKUlN3c107complexIdEES8_E_clES8_S8_@rel32@hi+12
	s_swappc_b64 s[30:31], s[4:5]
	v_mov_b32_e32 v4, v0
	v_mov_b32_e32 v5, v1
	v_mov_b32_e32 v6, v2
	v_mov_b32_e32 v7, v3
.LBB224_62:
	s_or_b64 exec, exec, s[50:51]
	v_cmp_gt_u32_e32 vcc, 60, v123
	s_waitcnt lgkmcnt(3)
	v_cndmask_b32_e64 v0, 0, 1, vcc
	v_lshlrev_b32_e32 v0, 2, v0
	v_add_lshl_u32 v127, v0, v112, 2
	ds_bpermute_b32 v0, v127, v4
	s_waitcnt lgkmcnt(3)
	ds_bpermute_b32 v1, v127, v5
	s_waitcnt lgkmcnt(3)
	ds_bpermute_b32 v2, v127, v6
	s_waitcnt lgkmcnt(3)
	ds_bpermute_b32 v3, v127, v7
	v_add_u32_e32 v128, 4, v123
	v_cmp_le_u32_e32 vcc, v128, v113
	s_and_saveexec_b64 s[50:51], vcc
	s_cbranch_execz .LBB224_64
; %bb.63:
	s_getpc_b64 s[4:5]
	s_add_u32 s4, s4, _ZZZZN2at6native31launch_logcumsumexp_cuda_kernelERKNS_10TensorBaseES3_lENKUlvE_clEvENKUlvE1_clEvENKUlN3c107complexIdEES8_E_clES8_S8_@rel32@lo+4
	s_addc_u32 s5, s5, _ZZZZN2at6native31launch_logcumsumexp_cuda_kernelERKNS_10TensorBaseES3_lENKUlvE_clEvENKUlvE1_clEvENKUlN3c107complexIdEES8_E_clES8_S8_@rel32@hi+12
	s_swappc_b64 s[30:31], s[4:5]
	v_mov_b32_e32 v4, v0
	v_mov_b32_e32 v5, v1
	v_mov_b32_e32 v6, v2
	v_mov_b32_e32 v7, v3
.LBB224_64:
	s_or_b64 exec, exec, s[50:51]
	v_cmp_gt_u32_e32 vcc, 56, v123
	s_waitcnt lgkmcnt(3)
	v_cndmask_b32_e64 v0, 0, 1, vcc
	v_lshlrev_b32_e32 v0, 3, v0
	v_add_lshl_u32 v129, v0, v112, 2
	ds_bpermute_b32 v0, v129, v4
	s_waitcnt lgkmcnt(3)
	ds_bpermute_b32 v1, v129, v5
	s_waitcnt lgkmcnt(3)
	ds_bpermute_b32 v2, v129, v6
	s_waitcnt lgkmcnt(3)
	ds_bpermute_b32 v3, v129, v7
	v_add_u32_e32 v130, 8, v123
	v_cmp_le_u32_e32 vcc, v130, v113
	s_and_saveexec_b64 s[50:51], vcc
	s_cbranch_execz .LBB224_66
; %bb.65:
	s_getpc_b64 s[4:5]
	s_add_u32 s4, s4, _ZZZZN2at6native31launch_logcumsumexp_cuda_kernelERKNS_10TensorBaseES3_lENKUlvE_clEvENKUlvE1_clEvENKUlN3c107complexIdEES8_E_clES8_S8_@rel32@lo+4
	s_addc_u32 s5, s5, _ZZZZN2at6native31launch_logcumsumexp_cuda_kernelERKNS_10TensorBaseES3_lENKUlvE_clEvENKUlvE1_clEvENKUlN3c107complexIdEES8_E_clES8_S8_@rel32@hi+12
	s_swappc_b64 s[30:31], s[4:5]
	v_mov_b32_e32 v4, v0
	v_mov_b32_e32 v5, v1
	v_mov_b32_e32 v6, v2
	v_mov_b32_e32 v7, v3
.LBB224_66:
	s_or_b64 exec, exec, s[50:51]
	v_cmp_gt_u32_e32 vcc, 48, v123
	s_waitcnt lgkmcnt(3)
	v_cndmask_b32_e64 v0, 0, 1, vcc
	v_lshlrev_b32_e32 v0, 4, v0
	v_add_lshl_u32 v131, v0, v112, 2
	ds_bpermute_b32 v0, v131, v4
	s_waitcnt lgkmcnt(3)
	ds_bpermute_b32 v1, v131, v5
	s_waitcnt lgkmcnt(3)
	ds_bpermute_b32 v2, v131, v6
	s_waitcnt lgkmcnt(3)
	ds_bpermute_b32 v3, v131, v7
	v_add_u32_e32 v132, 16, v123
	v_cmp_le_u32_e32 vcc, v132, v113
	s_and_saveexec_b64 s[50:51], vcc
	s_cbranch_execz .LBB224_68
; %bb.67:
	s_getpc_b64 s[4:5]
	s_add_u32 s4, s4, _ZZZZN2at6native31launch_logcumsumexp_cuda_kernelERKNS_10TensorBaseES3_lENKUlvE_clEvENKUlvE1_clEvENKUlN3c107complexIdEES8_E_clES8_S8_@rel32@lo+4
	s_addc_u32 s5, s5, _ZZZZN2at6native31launch_logcumsumexp_cuda_kernelERKNS_10TensorBaseES3_lENKUlvE_clEvENKUlvE1_clEvENKUlN3c107complexIdEES8_E_clES8_S8_@rel32@hi+12
	s_swappc_b64 s[30:31], s[4:5]
	v_mov_b32_e32 v4, v0
	v_mov_b32_e32 v5, v1
	v_mov_b32_e32 v6, v2
	v_mov_b32_e32 v7, v3
.LBB224_68:
	s_or_b64 exec, exec, s[50:51]
	v_cmp_gt_u32_e32 vcc, 32, v123
	s_waitcnt lgkmcnt(3)
	v_cndmask_b32_e64 v0, 0, 1, vcc
	v_lshlrev_b32_e32 v0, 5, v0
	v_add_lshl_u32 v133, v0, v112, 2
	ds_bpermute_b32 v0, v133, v4
	s_waitcnt lgkmcnt(3)
	ds_bpermute_b32 v1, v133, v5
	s_waitcnt lgkmcnt(3)
	ds_bpermute_b32 v2, v133, v6
	s_waitcnt lgkmcnt(3)
	ds_bpermute_b32 v3, v133, v7
	v_add_u32_e32 v134, 32, v123
	v_cmp_le_u32_e32 vcc, v134, v113
	s_and_saveexec_b64 s[50:51], vcc
	s_cbranch_execz .LBB224_70
; %bb.69:
	s_getpc_b64 s[4:5]
	s_add_u32 s4, s4, _ZZZZN2at6native31launch_logcumsumexp_cuda_kernelERKNS_10TensorBaseES3_lENKUlvE_clEvENKUlvE1_clEvENKUlN3c107complexIdEES8_E_clES8_S8_@rel32@lo+4
	s_addc_u32 s5, s5, _ZZZZN2at6native31launch_logcumsumexp_cuda_kernelERKNS_10TensorBaseES3_lENKUlvE_clEvENKUlvE1_clEvENKUlN3c107complexIdEES8_E_clES8_S8_@rel32@hi+12
	s_swappc_b64 s[30:31], s[4:5]
	v_mov_b32_e32 v4, v0
	v_mov_b32_e32 v5, v1
	;; [unrolled: 1-line block ×4, first 2 shown]
.LBB224_70:
	s_or_b64 exec, exec, s[50:51]
	v_mov_b32_e32 v119, 0
	v_mov_b32_e32 v135, 2
	s_branch .LBB224_72
.LBB224_71:                             ;   in Loop: Header=BB224_72 Depth=1
	s_or_b64 exec, exec, s[50:51]
	s_waitcnt lgkmcnt(3)
	v_mov_b32_e32 v0, v4
	s_waitcnt lgkmcnt(2)
	v_mov_b32_e32 v1, v5
	;; [unrolled: 2-line block ×4, first 2 shown]
	v_mov_b32_e32 v4, v112
	v_mov_b32_e32 v5, v113
	;; [unrolled: 1-line block ×4, first 2 shown]
	v_subrev_u32_e32 v118, 64, v118
	s_getpc_b64 s[4:5]
	s_add_u32 s4, s4, _ZZZZN2at6native31launch_logcumsumexp_cuda_kernelERKNS_10TensorBaseES3_lENKUlvE_clEvENKUlvE1_clEvENKUlN3c107complexIdEES8_E_clES8_S8_@rel32@lo+4
	s_addc_u32 s5, s5, _ZZZZN2at6native31launch_logcumsumexp_cuda_kernelERKNS_10TensorBaseES3_lENKUlvE_clEvENKUlvE1_clEvENKUlN3c107complexIdEES8_E_clES8_S8_@rel32@hi+12
	s_swappc_b64 s[30:31], s[4:5]
	v_mov_b32_e32 v4, v0
	v_mov_b32_e32 v5, v1
	;; [unrolled: 1-line block ×4, first 2 shown]
.LBB224_72:                             ; =>This Loop Header: Depth=1
                                        ;     Child Loop BB224_75 Depth 2
                                        ;       Child Loop BB224_76 Depth 3
	v_cmp_ne_u16_sdwa s[4:5], v122, v135 src0_sel:BYTE_0 src1_sel:DWORD
	s_waitcnt lgkmcnt(3)
	v_cndmask_b32_e64 v0, 0, 1, s[4:5]
	;;#ASMSTART
	;;#ASMEND
	v_cmp_ne_u32_e32 vcc, 0, v0
	v_pk_mov_b32 v[114:115], v[6:7], v[6:7] op_sel:[0,1]
	s_cmp_lg_u64 vcc, exec
	v_pk_mov_b32 v[112:113], v[4:5], v[4:5] op_sel:[0,1]
	s_cbranch_scc1 .LBB224_91
; %bb.73:                               ;   in Loop: Header=BB224_72 Depth=1
	global_load_ubyte v122, v118, s[62:63] glc
	s_waitcnt vmcnt(0)
	v_cmp_eq_u16_e32 vcc, 0, v122
	s_and_saveexec_b64 s[4:5], vcc
	s_cbranch_execz .LBB224_79
; %bb.74:                               ;   in Loop: Header=BB224_72 Depth=1
	s_waitcnt lgkmcnt(2)
	v_mov_b32_e32 v1, s63
	v_add_co_u32_e32 v0, vcc, s62, v118
	v_addc_co_u32_e32 v1, vcc, 0, v1, vcc
	s_mov_b32 s8, 1
	s_mov_b64 s[6:7], 0
.LBB224_75:                             ;   Parent Loop BB224_72 Depth=1
                                        ; =>  This Loop Header: Depth=2
                                        ;       Child Loop BB224_76 Depth 3
	s_max_u32 s9, s8, 1
.LBB224_76:                             ;   Parent Loop BB224_72 Depth=1
                                        ;     Parent Loop BB224_75 Depth=2
                                        ; =>    This Inner Loop Header: Depth=3
	s_add_i32 s9, s9, -1
	s_cmp_eq_u32 s9, 0
	s_sleep 1
	s_cbranch_scc0 .LBB224_76
; %bb.77:                               ;   in Loop: Header=BB224_75 Depth=2
	global_load_ubyte v122, v[0:1], off glc
	s_cmp_lt_u32 s8, 32
	s_cselect_b64 s[10:11], -1, 0
	s_cmp_lg_u64 s[10:11], 0
	s_addc_u32 s8, s8, 0
	s_waitcnt vmcnt(0)
	v_cmp_ne_u16_e32 vcc, 0, v122
	s_or_b64 s[6:7], vcc, s[6:7]
	s_andn2_b64 exec, exec, s[6:7]
	s_cbranch_execnz .LBB224_75
; %bb.78:                               ;   in Loop: Header=BB224_72 Depth=1
	s_or_b64 exec, exec, s[6:7]
.LBB224_79:                             ;   in Loop: Header=BB224_72 Depth=1
	s_or_b64 exec, exec, s[4:5]
	v_mov_b32_e32 v0, s59
	s_waitcnt lgkmcnt(2)
	v_mov_b32_e32 v1, s57
	v_cmp_eq_u16_e32 vcc, 1, v122
	s_waitcnt lgkmcnt(1)
	v_cndmask_b32_e32 v2, v0, v1, vcc
	v_mov_b32_e32 v0, s58
	v_mov_b32_e32 v1, s56
	s_waitcnt lgkmcnt(0)
	v_cndmask_b32_e32 v3, v0, v1, vcc
	v_lshlrev_b64 v[0:1], 4, v[118:119]
	v_add_co_u32_e32 v0, vcc, v3, v0
	v_addc_co_u32_e32 v1, vcc, v2, v1, vcc
	buffer_wbinvl1_vol
	global_load_dwordx4 v[4:7], v[0:1], off
	v_cmp_eq_u16_e32 vcc, 2, v122
	v_and_b32_e32 v0, vcc_hi, v121
	v_or_b32_e32 v0, 0x80000000, v0
	v_ffbl_b32_e32 v9, v0
	v_and_b32_e32 v8, vcc_lo, v120
	v_add_u32_e32 v9, 32, v9
	v_ffbl_b32_e32 v8, v8
	v_min_u32_e32 v136, v8, v9
	v_cmp_lt_u32_e32 vcc, v123, v136
	s_waitcnt vmcnt(0)
	ds_bpermute_b32 v0, v124, v4
	ds_bpermute_b32 v1, v124, v5
	;; [unrolled: 1-line block ×4, first 2 shown]
	s_and_saveexec_b64 s[50:51], vcc
	s_cbranch_execz .LBB224_81
; %bb.80:                               ;   in Loop: Header=BB224_72 Depth=1
	s_getpc_b64 s[4:5]
	s_add_u32 s4, s4, _ZZZZN2at6native31launch_logcumsumexp_cuda_kernelERKNS_10TensorBaseES3_lENKUlvE_clEvENKUlvE1_clEvENKUlN3c107complexIdEES8_E_clES8_S8_@rel32@lo+4
	s_addc_u32 s5, s5, _ZZZZN2at6native31launch_logcumsumexp_cuda_kernelERKNS_10TensorBaseES3_lENKUlvE_clEvENKUlvE1_clEvENKUlN3c107complexIdEES8_E_clES8_S8_@rel32@hi+12
	s_swappc_b64 s[30:31], s[4:5]
	v_mov_b32_e32 v4, v0
	v_mov_b32_e32 v5, v1
	v_mov_b32_e32 v6, v2
	v_mov_b32_e32 v7, v3
.LBB224_81:                             ;   in Loop: Header=BB224_72 Depth=1
	s_or_b64 exec, exec, s[50:51]
	s_waitcnt lgkmcnt(3)
	ds_bpermute_b32 v0, v125, v4
	s_waitcnt lgkmcnt(3)
	ds_bpermute_b32 v1, v125, v5
	s_waitcnt lgkmcnt(3)
	ds_bpermute_b32 v2, v125, v6
	s_waitcnt lgkmcnt(3)
	ds_bpermute_b32 v3, v125, v7
	v_cmp_le_u32_e32 vcc, v126, v136
	s_and_saveexec_b64 s[50:51], vcc
	s_cbranch_execz .LBB224_83
; %bb.82:                               ;   in Loop: Header=BB224_72 Depth=1
	s_getpc_b64 s[4:5]
	s_add_u32 s4, s4, _ZZZZN2at6native31launch_logcumsumexp_cuda_kernelERKNS_10TensorBaseES3_lENKUlvE_clEvENKUlvE1_clEvENKUlN3c107complexIdEES8_E_clES8_S8_@rel32@lo+4
	s_addc_u32 s5, s5, _ZZZZN2at6native31launch_logcumsumexp_cuda_kernelERKNS_10TensorBaseES3_lENKUlvE_clEvENKUlvE1_clEvENKUlN3c107complexIdEES8_E_clES8_S8_@rel32@hi+12
	s_swappc_b64 s[30:31], s[4:5]
	v_mov_b32_e32 v4, v0
	v_mov_b32_e32 v5, v1
	v_mov_b32_e32 v6, v2
	v_mov_b32_e32 v7, v3
.LBB224_83:                             ;   in Loop: Header=BB224_72 Depth=1
	s_or_b64 exec, exec, s[50:51]
	s_waitcnt lgkmcnt(3)
	ds_bpermute_b32 v0, v127, v4
	s_waitcnt lgkmcnt(3)
	ds_bpermute_b32 v1, v127, v5
	s_waitcnt lgkmcnt(3)
	ds_bpermute_b32 v2, v127, v6
	s_waitcnt lgkmcnt(3)
	ds_bpermute_b32 v3, v127, v7
	v_cmp_le_u32_e32 vcc, v128, v136
	;; [unrolled: 22-line block ×5, first 2 shown]
	s_and_saveexec_b64 s[50:51], vcc
	s_cbranch_execz .LBB224_71
; %bb.90:                               ;   in Loop: Header=BB224_72 Depth=1
	s_getpc_b64 s[4:5]
	s_add_u32 s4, s4, _ZZZZN2at6native31launch_logcumsumexp_cuda_kernelERKNS_10TensorBaseES3_lENKUlvE_clEvENKUlvE1_clEvENKUlN3c107complexIdEES8_E_clES8_S8_@rel32@lo+4
	s_addc_u32 s5, s5, _ZZZZN2at6native31launch_logcumsumexp_cuda_kernelERKNS_10TensorBaseES3_lENKUlvE_clEvENKUlvE1_clEvENKUlN3c107complexIdEES8_E_clES8_S8_@rel32@hi+12
	s_swappc_b64 s[30:31], s[4:5]
	v_mov_b32_e32 v4, v0
	v_mov_b32_e32 v5, v1
	;; [unrolled: 1-line block ×4, first 2 shown]
	s_branch .LBB224_71
.LBB224_91:                             ;   in Loop: Header=BB224_72 Depth=1
                                        ; implicit-def: $vgpr6_vgpr7
                                        ; implicit-def: $vgpr122
	s_cbranch_execz .LBB224_72
; %bb.92:
	s_and_saveexec_b64 s[50:51], s[40:41]
	s_cbranch_execz .LBB224_94
; %bb.93:
	v_mov_b32_e32 v0, v112
	s_waitcnt lgkmcnt(2)
	v_mov_b32_e32 v1, v113
	s_waitcnt lgkmcnt(1)
	;; [unrolled: 2-line block ×3, first 2 shown]
	v_mov_b32_e32 v3, v115
	v_mov_b32_e32 v4, v108
	;; [unrolled: 1-line block ×5, first 2 shown]
	s_getpc_b64 s[4:5]
	s_add_u32 s4, s4, _ZZZZN2at6native31launch_logcumsumexp_cuda_kernelERKNS_10TensorBaseES3_lENKUlvE_clEvENKUlvE1_clEvENKUlN3c107complexIdEES8_E_clES8_S8_@rel32@lo+4
	s_addc_u32 s5, s5, _ZZZZN2at6native31launch_logcumsumexp_cuda_kernelERKNS_10TensorBaseES3_lENKUlvE_clEvENKUlvE1_clEvENKUlN3c107complexIdEES8_E_clES8_S8_@rel32@hi+12
	s_swappc_b64 s[30:31], s[4:5]
	s_add_i32 s4, s33, 64
	s_mov_b32 s5, 0
	s_lshl_b64 s[6:7], s[4:5], 4
	s_add_u32 s6, s58, s6
	s_addc_u32 s7, s59, s7
	v_mov_b32_e32 v4, 0
	global_store_dwordx4 v4, v[0:3], s[6:7]
	s_waitcnt vmcnt(0)
	buffer_wbinvl1_vol
	v_mov_b32_e32 v0, s4
	v_mov_b32_e32 v1, 2
	global_store_byte v0, v1, s[62:63]
.LBB224_94:
	s_or_b64 exec, exec, s[50:51]
	v_cmp_eq_u32_e32 vcc, 0, v46
	s_and_b64 exec, exec, vcc
	s_cbranch_execz .LBB224_96
; %bb.95:
	v_mov_b32_e32 v0, 0
	ds_write_b128 v0, v[112:115]
.LBB224_96:
	s_or_b64 exec, exec, s[48:49]
	v_mov_b32_e32 v0, 0
	s_waitcnt lgkmcnt(0)
	; wave barrier
	s_waitcnt lgkmcnt(0)
	ds_read_b128 v[108:111], v0
	v_cmp_ne_u32_e32 vcc, 0, v46
	v_pk_mov_b32 v[6:7], v[44:45], v[44:45] op_sel:[0,1]
	v_pk_mov_b32 v[4:5], v[42:43], v[42:43] op_sel:[0,1]
	s_and_saveexec_b64 s[40:41], vcc
	s_cbranch_execz .LBB224_98
; %bb.97:
	v_mov_b32_e32 v0, v41
	v_mov_b32_e32 v1, v47
	;; [unrolled: 1-line block ×8, first 2 shown]
	s_getpc_b64 s[4:5]
	s_add_u32 s4, s4, _ZZZZN2at6native31launch_logcumsumexp_cuda_kernelERKNS_10TensorBaseES3_lENKUlvE_clEvENKUlvE1_clEvENKUlN3c107complexIdEES8_E_clES8_S8_@rel32@lo+4
	s_addc_u32 s5, s5, _ZZZZN2at6native31launch_logcumsumexp_cuda_kernelERKNS_10TensorBaseES3_lENKUlvE_clEvENKUlvE1_clEvENKUlN3c107complexIdEES8_E_clES8_S8_@rel32@hi+12
	s_swappc_b64 s[30:31], s[4:5]
	v_mov_b32_e32 v4, v0
	v_mov_b32_e32 v5, v1
	;; [unrolled: 1-line block ×4, first 2 shown]
.LBB224_98:
	s_or_b64 exec, exec, s[40:41]
	s_waitcnt lgkmcnt(0)
	v_mov_b32_e32 v0, v108
	v_mov_b32_e32 v1, v109
	;; [unrolled: 1-line block ×4, first 2 shown]
	s_getpc_b64 s[40:41]
	s_add_u32 s40, s40, _ZZZZN2at6native31launch_logcumsumexp_cuda_kernelERKNS_10TensorBaseES3_lENKUlvE_clEvENKUlvE1_clEvENKUlN3c107complexIdEES8_E_clES8_S8_@rel32@lo+4
	s_addc_u32 s41, s41, _ZZZZN2at6native31launch_logcumsumexp_cuda_kernelERKNS_10TensorBaseES3_lENKUlvE_clEvENKUlvE1_clEvENKUlN3c107complexIdEES8_E_clES8_S8_@rel32@hi+12
	s_swappc_b64 s[30:31], s[40:41]
	v_mov_b32_e32 v4, v104
	v_mov_b32_e32 v5, v105
	v_mov_b32_e32 v6, v106
	v_mov_b32_e32 v7, v107
	v_mov_b32_e32 v164, v0
	v_mov_b32_e32 v165, v1
	v_mov_b32_e32 v166, v2
	v_mov_b32_e32 v167, v3
	s_swappc_b64 s[30:31], s[40:41]
	v_mov_b32_e32 v4, v100
	v_mov_b32_e32 v5, v101
	v_mov_b32_e32 v6, v102
	v_mov_b32_e32 v7, v103
	v_mov_b32_e32 v108, v0
	v_mov_b32_e32 v109, v1
	v_mov_b32_e32 v110, v2
	v_mov_b32_e32 v111, v3
	;; [unrolled: 9-line block ×14, first 2 shown]
	s_swappc_b64 s[30:31], s[40:41]
	v_mov_b32_e32 v160, v0
	v_mov_b32_e32 v161, v1
	;; [unrolled: 1-line block ×4, first 2 shown]
	s_load_dwordx8 s[48:55], s[38:39], 0x58
	s_branch .LBB224_121
.LBB224_99:
                                        ; implicit-def: $vgpr164_vgpr165
                                        ; implicit-def: $vgpr108_vgpr109
                                        ; implicit-def: $vgpr112_vgpr113
                                        ; implicit-def: $vgpr116_vgpr117
                                        ; implicit-def: $vgpr120_vgpr121
                                        ; implicit-def: $vgpr124_vgpr125
                                        ; implicit-def: $vgpr128_vgpr129
                                        ; implicit-def: $vgpr132_vgpr133
                                        ; implicit-def: $vgpr136_vgpr137
                                        ; implicit-def: $vgpr140_vgpr141
                                        ; implicit-def: $vgpr144_vgpr145
                                        ; implicit-def: $vgpr148_vgpr149
                                        ; implicit-def: $vgpr152_vgpr153
                                        ; implicit-def: $vgpr156_vgpr157
                                        ; implicit-def: $vgpr160_vgpr161
	s_load_dwordx8 s[48:55], s[38:39], 0x58
	s_cbranch_execz .LBB224_121
; %bb.100:
	s_waitcnt lgkmcnt(0)
	s_cmp_lg_u64 s[52:53], 0
	s_cselect_b64 s[4:5], -1, 0
	v_cmp_eq_u32_e32 vcc, 0, v46
	v_cmp_ne_u32_e64 s[38:39], 0, v46
	s_and_b64 s[4:5], vcc, s[4:5]
	s_and_saveexec_b64 s[40:41], s[4:5]
	s_cbranch_execz .LBB224_102
; %bb.101:
	v_mov_b32_e32 v0, 0
	global_load_dwordx4 v[0:3], v0, s[48:49]
	v_mov_b32_e32 v4, v42
	v_mov_b32_e32 v5, v43
	;; [unrolled: 1-line block ×4, first 2 shown]
	s_getpc_b64 s[4:5]
	s_add_u32 s4, s4, _ZZZZN2at6native31launch_logcumsumexp_cuda_kernelERKNS_10TensorBaseES3_lENKUlvE_clEvENKUlvE1_clEvENKUlN3c107complexIdEES8_E_clES8_S8_@rel32@lo+4
	s_addc_u32 s5, s5, _ZZZZN2at6native31launch_logcumsumexp_cuda_kernelERKNS_10TensorBaseES3_lENKUlvE_clEvENKUlvE1_clEvENKUlN3c107complexIdEES8_E_clES8_S8_@rel32@hi+12
	s_swappc_b64 s[30:31], s[4:5]
	v_mov_b32_e32 v42, v0
	v_mov_b32_e32 v43, v1
	;; [unrolled: 1-line block ×4, first 2 shown]
.LBB224_102:
	s_or_b64 exec, exec, s[40:41]
	v_mov_b32_e32 v0, v42
	v_mov_b32_e32 v1, v43
	;; [unrolled: 1-line block ×8, first 2 shown]
	s_getpc_b64 s[40:41]
	s_add_u32 s40, s40, _ZZZZN2at6native31launch_logcumsumexp_cuda_kernelERKNS_10TensorBaseES3_lENKUlvE_clEvENKUlvE1_clEvENKUlN3c107complexIdEES8_E_clES8_S8_@rel32@lo+4
	s_addc_u32 s41, s41, _ZZZZN2at6native31launch_logcumsumexp_cuda_kernelERKNS_10TensorBaseES3_lENKUlvE_clEvENKUlvE1_clEvENKUlN3c107complexIdEES8_E_clES8_S8_@rel32@hi+12
	s_swappc_b64 s[30:31], s[40:41]
	v_mov_b32_e32 v4, v100
	v_mov_b32_e32 v5, v101
	v_mov_b32_e32 v6, v102
	v_mov_b32_e32 v7, v103
	v_mov_b32_e32 v108, v0
	v_mov_b32_e32 v109, v1
	v_mov_b32_e32 v110, v2
	v_mov_b32_e32 v111, v3
	s_swappc_b64 s[30:31], s[40:41]
	v_mov_b32_e32 v4, v96
	v_mov_b32_e32 v5, v97
	v_mov_b32_e32 v6, v98
	v_mov_b32_e32 v7, v99
	v_mov_b32_e32 v112, v0
	v_mov_b32_e32 v113, v1
	v_mov_b32_e32 v114, v2
	v_mov_b32_e32 v115, v3
	;; [unrolled: 9-line block ×13, first 2 shown]
	s_swappc_b64 s[30:31], s[40:41]
	v_mov_b32_e32 v160, v0
	v_mbcnt_lo_u32_b32 v0, -1, 0
	v_mbcnt_hi_u32_b32 v41, -1, v0
	v_mov_b32_e32 v161, v1
	v_mov_b32_e32 v162, v2
	;; [unrolled: 1-line block ×3, first 2 shown]
	v_and_b32_e32 v47, 15, v41
	v_mov_b32_dpp v8, v160 row_shr:1 row_mask:0xf bank_mask:0xf
	v_mov_b32_dpp v9, v161 row_shr:1 row_mask:0xf bank_mask:0xf
	;; [unrolled: 1-line block ×4, first 2 shown]
	v_cmp_ne_u32_e32 vcc, 0, v47
	v_pk_mov_b32 v[4:5], v[160:161], v[160:161] op_sel:[0,1]
	v_pk_mov_b32 v[6:7], v[162:163], v[162:163] op_sel:[0,1]
	v_mov_b32_e32 v0, v160
	s_and_saveexec_b64 s[48:49], vcc
	s_cbranch_execz .LBB224_104
; %bb.103:
	v_mov_b32_e32 v0, v8
	v_mov_b32_e32 v1, v9
	;; [unrolled: 1-line block ×8, first 2 shown]
	s_swappc_b64 s[30:31], s[40:41]
	v_mov_b32_e32 v4, v0
	v_mov_b32_e32 v5, v1
	;; [unrolled: 1-line block ×4, first 2 shown]
.LBB224_104:
	s_or_b64 exec, exec, s[48:49]
	v_mov_b32_dpp v8, v0 row_shr:2 row_mask:0xf bank_mask:0xf
	v_mov_b32_dpp v9, v1 row_shr:2 row_mask:0xf bank_mask:0xf
	v_mov_b32_dpp v10, v2 row_shr:2 row_mask:0xf bank_mask:0xf
	v_mov_b32_dpp v11, v3 row_shr:2 row_mask:0xf bank_mask:0xf
	v_cmp_lt_u32_e32 vcc, 1, v47
	s_and_saveexec_b64 s[40:41], vcc
	s_cbranch_execz .LBB224_106
; %bb.105:
	v_mov_b32_e32 v0, v8
	v_mov_b32_e32 v1, v9
	v_mov_b32_e32 v2, v10
	v_mov_b32_e32 v3, v11
	s_getpc_b64 s[4:5]
	s_add_u32 s4, s4, _ZZZZN2at6native31launch_logcumsumexp_cuda_kernelERKNS_10TensorBaseES3_lENKUlvE_clEvENKUlvE1_clEvENKUlN3c107complexIdEES8_E_clES8_S8_@rel32@lo+4
	s_addc_u32 s5, s5, _ZZZZN2at6native31launch_logcumsumexp_cuda_kernelERKNS_10TensorBaseES3_lENKUlvE_clEvENKUlvE1_clEvENKUlN3c107complexIdEES8_E_clES8_S8_@rel32@hi+12
	s_swappc_b64 s[30:31], s[4:5]
	v_pk_mov_b32 v[6:7], v[2:3], v[2:3] op_sel:[0,1]
	v_pk_mov_b32 v[4:5], v[0:1], v[0:1] op_sel:[0,1]
.LBB224_106:
	s_or_b64 exec, exec, s[40:41]
	v_mov_b32_dpp v8, v0 row_shr:4 row_mask:0xf bank_mask:0xf
	v_mov_b32_dpp v9, v1 row_shr:4 row_mask:0xf bank_mask:0xf
	v_mov_b32_dpp v10, v2 row_shr:4 row_mask:0xf bank_mask:0xf
	v_mov_b32_dpp v11, v3 row_shr:4 row_mask:0xf bank_mask:0xf
	v_cmp_lt_u32_e32 vcc, 3, v47
	s_and_saveexec_b64 s[40:41], vcc
	s_cbranch_execz .LBB224_108
; %bb.107:
	v_mov_b32_e32 v0, v8
	v_mov_b32_e32 v1, v9
	v_mov_b32_e32 v2, v10
	v_mov_b32_e32 v3, v11
	s_getpc_b64 s[4:5]
	s_add_u32 s4, s4, _ZZZZN2at6native31launch_logcumsumexp_cuda_kernelERKNS_10TensorBaseES3_lENKUlvE_clEvENKUlvE1_clEvENKUlN3c107complexIdEES8_E_clES8_S8_@rel32@lo+4
	s_addc_u32 s5, s5, _ZZZZN2at6native31launch_logcumsumexp_cuda_kernelERKNS_10TensorBaseES3_lENKUlvE_clEvENKUlvE1_clEvENKUlN3c107complexIdEES8_E_clES8_S8_@rel32@hi+12
	s_swappc_b64 s[30:31], s[4:5]
	v_pk_mov_b32 v[6:7], v[2:3], v[2:3] op_sel:[0,1]
	v_pk_mov_b32 v[4:5], v[0:1], v[0:1] op_sel:[0,1]
.LBB224_108:
	s_or_b64 exec, exec, s[40:41]
	v_mov_b32_dpp v8, v0 row_shr:8 row_mask:0xf bank_mask:0xf
	v_mov_b32_dpp v9, v1 row_shr:8 row_mask:0xf bank_mask:0xf
	v_mov_b32_dpp v10, v2 row_shr:8 row_mask:0xf bank_mask:0xf
	v_mov_b32_dpp v11, v3 row_shr:8 row_mask:0xf bank_mask:0xf
	v_cmp_lt_u32_e32 vcc, 7, v47
	s_and_saveexec_b64 s[40:41], vcc
	s_cbranch_execz .LBB224_110
; %bb.109:
	v_mov_b32_e32 v0, v8
	v_mov_b32_e32 v1, v9
	v_mov_b32_e32 v2, v10
	v_mov_b32_e32 v3, v11
	s_getpc_b64 s[4:5]
	s_add_u32 s4, s4, _ZZZZN2at6native31launch_logcumsumexp_cuda_kernelERKNS_10TensorBaseES3_lENKUlvE_clEvENKUlvE1_clEvENKUlN3c107complexIdEES8_E_clES8_S8_@rel32@lo+4
	s_addc_u32 s5, s5, _ZZZZN2at6native31launch_logcumsumexp_cuda_kernelERKNS_10TensorBaseES3_lENKUlvE_clEvENKUlvE1_clEvENKUlN3c107complexIdEES8_E_clES8_S8_@rel32@hi+12
	s_swappc_b64 s[30:31], s[4:5]
	v_pk_mov_b32 v[6:7], v[2:3], v[2:3] op_sel:[0,1]
	v_pk_mov_b32 v[4:5], v[0:1], v[0:1] op_sel:[0,1]
.LBB224_110:
	s_or_b64 exec, exec, s[40:41]
	v_and_b32_e32 v12, 16, v41
	v_mov_b32_dpp v8, v0 row_bcast:15 row_mask:0xf bank_mask:0xf
	v_mov_b32_dpp v9, v1 row_bcast:15 row_mask:0xf bank_mask:0xf
	;; [unrolled: 1-line block ×4, first 2 shown]
	v_cmp_ne_u32_e32 vcc, 0, v12
	s_and_saveexec_b64 s[40:41], vcc
	s_cbranch_execz .LBB224_112
; %bb.111:
	v_mov_b32_e32 v0, v8
	v_mov_b32_e32 v1, v9
	;; [unrolled: 1-line block ×4, first 2 shown]
	s_getpc_b64 s[4:5]
	s_add_u32 s4, s4, _ZZZZN2at6native31launch_logcumsumexp_cuda_kernelERKNS_10TensorBaseES3_lENKUlvE_clEvENKUlvE1_clEvENKUlN3c107complexIdEES8_E_clES8_S8_@rel32@lo+4
	s_addc_u32 s5, s5, _ZZZZN2at6native31launch_logcumsumexp_cuda_kernelERKNS_10TensorBaseES3_lENKUlvE_clEvENKUlvE1_clEvENKUlN3c107complexIdEES8_E_clES8_S8_@rel32@hi+12
	s_swappc_b64 s[30:31], s[4:5]
	v_mov_b32_e32 v4, v0
	v_mov_b32_e32 v5, v1
	;; [unrolled: 1-line block ×4, first 2 shown]
.LBB224_112:
	s_or_b64 exec, exec, s[40:41]
	v_mov_b32_dpp v0, v0 row_bcast:31 row_mask:0xf bank_mask:0xf
	v_mov_b32_dpp v1, v1 row_bcast:31 row_mask:0xf bank_mask:0xf
	;; [unrolled: 1-line block ×4, first 2 shown]
	v_cmp_lt_u32_e32 vcc, 31, v41
	s_and_saveexec_b64 s[40:41], vcc
	s_cbranch_execz .LBB224_114
; %bb.113:
	s_getpc_b64 s[4:5]
	s_add_u32 s4, s4, _ZZZZN2at6native31launch_logcumsumexp_cuda_kernelERKNS_10TensorBaseES3_lENKUlvE_clEvENKUlvE1_clEvENKUlN3c107complexIdEES8_E_clES8_S8_@rel32@lo+4
	s_addc_u32 s5, s5, _ZZZZN2at6native31launch_logcumsumexp_cuda_kernelERKNS_10TensorBaseES3_lENKUlvE_clEvENKUlvE1_clEvENKUlN3c107complexIdEES8_E_clES8_S8_@rel32@hi+12
	s_swappc_b64 s[30:31], s[4:5]
	v_mov_b32_e32 v4, v0
	v_mov_b32_e32 v5, v1
	;; [unrolled: 1-line block ×4, first 2 shown]
.LBB224_114:
	s_or_b64 exec, exec, s[40:41]
	v_cmp_eq_u32_e64 s[40:41], 63, v46
	s_and_saveexec_b64 s[4:5], s[40:41]
	s_cbranch_execz .LBB224_116
; %bb.115:
	v_mov_b32_e32 v0, 0
	ds_write_b128 v0, v[4:7]
.LBB224_116:
	s_or_b64 exec, exec, s[4:5]
	v_add_u32_e32 v0, -1, v41
	v_and_b32_e32 v1, 64, v41
	v_cmp_lt_i32_e32 vcc, v0, v1
	v_cndmask_b32_e32 v0, v0, v41, vcc
	v_lshlrev_b32_e32 v3, 2, v0
	ds_bpermute_b32 v0, v3, v4
	ds_bpermute_b32 v1, v3, v5
	;; [unrolled: 1-line block ×4, first 2 shown]
	s_waitcnt lgkmcnt(0)
	; wave barrier
	s_waitcnt lgkmcnt(0)
	s_and_saveexec_b64 s[48:49], s[38:39]
	s_cbranch_execz .LBB224_118
; %bb.117:
	v_mov_b32_e32 v4, v42
	v_mov_b32_e32 v5, v43
	;; [unrolled: 1-line block ×4, first 2 shown]
	s_getpc_b64 s[38:39]
	s_add_u32 s38, s38, _ZZZZN2at6native31launch_logcumsumexp_cuda_kernelERKNS_10TensorBaseES3_lENKUlvE_clEvENKUlvE1_clEvENKUlN3c107complexIdEES8_E_clES8_S8_@rel32@lo+4
	s_addc_u32 s39, s39, _ZZZZN2at6native31launch_logcumsumexp_cuda_kernelERKNS_10TensorBaseES3_lENKUlvE_clEvENKUlvE1_clEvENKUlN3c107complexIdEES8_E_clES8_S8_@rel32@hi+12
	s_swappc_b64 s[30:31], s[38:39]
	v_mov_b32_e32 v4, v104
	v_mov_b32_e32 v5, v105
	;; [unrolled: 1-line block ×8, first 2 shown]
	;;#ASMSTART
	;;#ASMEND
	s_swappc_b64 s[30:31], s[38:39]
	v_mov_b32_e32 v4, v100
	v_mov_b32_e32 v5, v101
	v_mov_b32_e32 v6, v102
	v_mov_b32_e32 v7, v103
	v_mov_b32_e32 v108, v0
	v_mov_b32_e32 v109, v1
	v_mov_b32_e32 v110, v2
	v_mov_b32_e32 v111, v3
	s_swappc_b64 s[30:31], s[38:39]
	v_mov_b32_e32 v4, v96
	v_mov_b32_e32 v5, v97
	v_mov_b32_e32 v6, v98
	v_mov_b32_e32 v7, v99
	v_mov_b32_e32 v112, v0
	v_mov_b32_e32 v113, v1
	v_mov_b32_e32 v114, v2
	v_mov_b32_e32 v115, v3
	;; [unrolled: 9-line block ×13, first 2 shown]
	s_swappc_b64 s[30:31], s[38:39]
	v_mov_b32_e32 v160, v0
	v_mov_b32_e32 v161, v1
	v_mov_b32_e32 v162, v2
	v_mov_b32_e32 v163, v3
.LBB224_118:
	s_or_b64 exec, exec, s[48:49]
	s_and_saveexec_b64 s[4:5], s[40:41]
	s_cbranch_execz .LBB224_120
; %bb.119:
	v_mov_b32_e32 v0, 0
	v_mov_b32_e32 v1, 2
	global_store_dwordx4 v0, v[160:163], s[58:59] offset:1024
	s_waitcnt vmcnt(0)
	buffer_wbinvl1_vol
	global_store_byte v0, v1, s[62:63] offset:64
.LBB224_120:
	s_or_b64 exec, exec, s[4:5]
	v_pk_mov_b32 v[164:165], v[42:43], v[42:43] op_sel:[0,1]
	v_pk_mov_b32 v[166:167], v[44:45], v[44:45] op_sel:[0,1]
.LBB224_121:
	s_add_u32 s4, s44, s42
	s_addc_u32 s5, s45, s43
	s_add_u32 s4, s4, s60
	s_addc_u32 s5, s5, s61
	s_mov_b64 s[6:7], -1
	s_and_b64 vcc, exec, s[46:47]
	s_waitcnt lgkmcnt(0)
	; wave barrier
	s_waitcnt lgkmcnt(0)
	s_cbranch_vccz .LBB224_123
; %bb.122:
	v_mul_u32_u24_e32 v0, 0xf0, v46
	s_movk_i32 s6, 0xf0
	ds_write_b128 v0, v[164:167]
	ds_write_b128 v0, v[108:111] offset:16
	ds_write_b128 v0, v[112:115] offset:32
	;; [unrolled: 1-line block ×14, first 2 shown]
	v_mul_i32_i24_e32 v0, 0xffffff20, v46
	v_mad_u32_u24 v44, v46, s6, v0
	s_waitcnt lgkmcnt(0)
	; wave barrier
	s_waitcnt lgkmcnt(0)
	ds_read_b128 v[0:3], v44
	ds_read_b128 v[4:7], v44 offset:1024
	ds_read_b128 v[8:11], v44 offset:2048
	;; [unrolled: 1-line block ×14, first 2 shown]
	v_mov_b32_e32 v44, s5
	v_add_co_u32_e32 v45, vcc, s4, v168
	v_addc_co_u32_e32 v44, vcc, 0, v44, vcc
	s_movk_i32 s6, 0x1000
	s_waitcnt lgkmcnt(14)
	global_store_dwordx4 v168, v[0:3], s[4:5]
	s_waitcnt lgkmcnt(13)
	global_store_dwordx4 v168, v[4:7], s[4:5] offset:1024
	s_waitcnt lgkmcnt(12)
	global_store_dwordx4 v168, v[8:11], s[4:5] offset:2048
	;; [unrolled: 2-line block ×3, first 2 shown]
	v_add_co_u32_e32 v0, vcc, s6, v45
	v_addc_co_u32_e32 v1, vcc, 0, v44, vcc
	s_waitcnt lgkmcnt(10)
	global_store_dwordx4 v[0:1], v[16:19], off
	s_waitcnt lgkmcnt(9)
	global_store_dwordx4 v[0:1], v[20:23], off offset:1024
	s_waitcnt lgkmcnt(8)
	global_store_dwordx4 v[0:1], v[24:27], off offset:2048
	;; [unrolled: 2-line block ×3, first 2 shown]
	v_add_co_u32_e32 v0, vcc, 0x2000, v45
	v_addc_co_u32_e32 v1, vcc, 0, v44, vcc
	s_waitcnt lgkmcnt(6)
	global_store_dwordx4 v[0:1], v[32:35], off
	s_waitcnt lgkmcnt(5)
	global_store_dwordx4 v[0:1], v[36:39], off offset:1024
	s_waitcnt lgkmcnt(4)
	global_store_dwordx4 v[0:1], v[40:43], off offset:2048
	;; [unrolled: 2-line block ×3, first 2 shown]
	v_add_co_u32_e32 v0, vcc, 0x3000, v45
	v_addc_co_u32_e32 v1, vcc, 0, v44, vcc
	s_waitcnt lgkmcnt(2)
	global_store_dwordx4 v[0:1], v[52:55], off
	s_waitcnt lgkmcnt(1)
	global_store_dwordx4 v[0:1], v[56:59], off offset:1024
	s_waitcnt lgkmcnt(0)
	global_store_dwordx4 v[0:1], v[60:63], off offset:2048
	s_mov_b64 s[6:7], 0
.LBB224_123:
	s_andn2_b64 vcc, exec, s[6:7]
	s_cbranch_vccnz .LBB224_209
; %bb.124:
	s_movk_i32 s6, 0xff20
	v_mad_i32_i24 v44, v46, s6, v170
	ds_write_b128 v170, v[164:167]
	ds_write_b128 v170, v[108:111] offset:16
	ds_write_b128 v170, v[112:115] offset:32
	;; [unrolled: 1-line block ×14, first 2 shown]
	s_waitcnt lgkmcnt(0)
	; wave barrier
	s_waitcnt lgkmcnt(0)
	ds_read_b128 v[8:11], v44
	ds_read_b128 v[0:3], v44 offset:1024
	ds_read_b128 v[4:7], v44 offset:2048
	;; [unrolled: 1-line block ×14, first 2 shown]
	v_mov_b32_e32 v45, s5
	v_add_co_u32_e32 v44, vcc, s4, v168
	v_addc_co_u32_e32 v45, vcc, 0, v45, vcc
	v_mov_b32_e32 v47, 0
	v_cmp_gt_u32_e32 vcc, s37, v46
	s_and_saveexec_b64 s[4:5], vcc
	s_cbranch_execz .LBB224_126
; %bb.125:
	s_waitcnt lgkmcnt(14)
	global_store_dwordx4 v[44:45], v[8:11], off
.LBB224_126:
	s_or_b64 exec, exec, s[4:5]
	v_or_b32_e32 v64, 64, v46
	v_cmp_gt_u32_e32 vcc, s37, v64
	s_and_saveexec_b64 s[4:5], vcc
	s_cbranch_execz .LBB224_128
; %bb.127:
	s_waitcnt lgkmcnt(13)
	global_store_dwordx4 v[44:45], v[0:3], off offset:1024
.LBB224_128:
	s_or_b64 exec, exec, s[4:5]
	v_or_b32_e32 v64, 0x80, v46
	v_cmp_gt_u32_e32 vcc, s37, v64
	s_and_saveexec_b64 s[4:5], vcc
	s_cbranch_execz .LBB224_130
; %bb.129:
	s_waitcnt lgkmcnt(12)
	global_store_dwordx4 v[44:45], v[4:7], off offset:2048
.LBB224_130:
	;; [unrolled: 9-line block ×3, first 2 shown]
	s_or_b64 exec, exec, s[4:5]
	v_or_b32_e32 v64, 0x100, v46
	v_cmp_gt_u32_e32 vcc, s37, v64
	s_and_saveexec_b64 s[4:5], vcc
	s_cbranch_execz .LBB224_134
; %bb.133:
	v_add_co_u32_e32 v64, vcc, 0x1000, v44
	v_addc_co_u32_e32 v65, vcc, 0, v45, vcc
	s_waitcnt lgkmcnt(10)
	global_store_dwordx4 v[64:65], v[12:15], off
.LBB224_134:
	s_or_b64 exec, exec, s[4:5]
	v_or_b32_e32 v64, 0x140, v46
	v_cmp_gt_u32_e32 vcc, s37, v64
	s_and_saveexec_b64 s[4:5], vcc
	s_cbranch_execz .LBB224_136
; %bb.135:
	v_add_co_u32_e32 v64, vcc, 0x1000, v44
	v_addc_co_u32_e32 v65, vcc, 0, v45, vcc
	s_waitcnt lgkmcnt(9)
	global_store_dwordx4 v[64:65], v[20:23], off offset:1024
.LBB224_136:
	s_or_b64 exec, exec, s[4:5]
	v_or_b32_e32 v64, 0x180, v46
	v_cmp_gt_u32_e32 vcc, s37, v64
	s_and_saveexec_b64 s[4:5], vcc
	s_cbranch_execz .LBB224_138
; %bb.137:
	v_add_co_u32_e32 v64, vcc, 0x1000, v44
	v_addc_co_u32_e32 v65, vcc, 0, v45, vcc
	s_waitcnt lgkmcnt(8)
	global_store_dwordx4 v[64:65], v[24:27], off offset:2048
.LBB224_138:
	;; [unrolled: 11-line block ×3, first 2 shown]
	s_or_b64 exec, exec, s[4:5]
	v_or_b32_e32 v64, 0x200, v46
	v_cmp_gt_u32_e32 vcc, s37, v64
	s_and_saveexec_b64 s[4:5], vcc
	s_cbranch_execz .LBB224_142
; %bb.141:
	v_add_co_u32_e32 v64, vcc, 0x2000, v44
	v_addc_co_u32_e32 v65, vcc, 0, v45, vcc
	s_waitcnt lgkmcnt(6)
	global_store_dwordx4 v[64:65], v[40:43], off
.LBB224_142:
	s_or_b64 exec, exec, s[4:5]
	v_or_b32_e32 v64, 0x240, v46
	v_cmp_gt_u32_e32 vcc, s37, v64
	s_and_saveexec_b64 s[4:5], vcc
	s_cbranch_execz .LBB224_144
; %bb.143:
	v_add_co_u32_e32 v64, vcc, 0x2000, v44
	v_addc_co_u32_e32 v65, vcc, 0, v45, vcc
	s_waitcnt lgkmcnt(5)
	global_store_dwordx4 v[64:65], v[36:39], off offset:1024
.LBB224_144:
	s_or_b64 exec, exec, s[4:5]
	v_or_b32_e32 v64, 0x280, v46
	v_cmp_gt_u32_e32 vcc, s37, v64
	s_and_saveexec_b64 s[4:5], vcc
	s_cbranch_execz .LBB224_146
; %bb.145:
	v_add_co_u32_e32 v64, vcc, 0x2000, v44
	v_addc_co_u32_e32 v65, vcc, 0, v45, vcc
	s_waitcnt lgkmcnt(4)
	global_store_dwordx4 v[64:65], v[48:51], off offset:2048
.LBB224_146:
	;; [unrolled: 11-line block ×3, first 2 shown]
	s_or_b64 exec, exec, s[4:5]
	v_or_b32_e32 v64, 0x300, v46
	v_cmp_gt_u32_e32 vcc, s37, v64
	s_and_saveexec_b64 s[4:5], vcc
	s_cbranch_execz .LBB224_150
; %bb.149:
	v_add_co_u32_e32 v64, vcc, 0x3000, v44
	v_addc_co_u32_e32 v65, vcc, 0, v45, vcc
	s_waitcnt lgkmcnt(2)
	global_store_dwordx4 v[64:65], v[52:55], off
.LBB224_150:
	s_or_b64 exec, exec, s[4:5]
	v_or_b32_e32 v64, 0x340, v46
	v_cmp_gt_u32_e32 vcc, s37, v64
	s_and_saveexec_b64 s[4:5], vcc
	s_cbranch_execz .LBB224_152
; %bb.151:
	v_add_co_u32_e32 v64, vcc, 0x3000, v44
	v_addc_co_u32_e32 v65, vcc, 0, v45, vcc
	s_waitcnt lgkmcnt(1)
	global_store_dwordx4 v[64:65], v[56:59], off offset:1024
.LBB224_152:
	s_or_b64 exec, exec, s[4:5]
	v_or_b32_e32 v64, 0x380, v46
	v_cmp_gt_u32_e32 vcc, s37, v64
	s_and_saveexec_b64 s[4:5], vcc
	s_cbranch_execz .LBB224_154
; %bb.153:
	v_add_co_u32_e32 v44, vcc, 0x3000, v44
	v_addc_co_u32_e32 v45, vcc, 0, v45, vcc
	s_waitcnt lgkmcnt(0)
	global_store_dwordx4 v[44:45], v[60:63], off offset:2048
.LBB224_154:
	s_or_b64 exec, exec, s[4:5]
	v_cmp_lt_u64_e64 s[4:5], s[54:55], 2
	s_and_b64 vcc, exec, s[4:5]
	s_cbranch_vccnz .LBB224_209
; %bb.155:
	s_add_u32 s4, s37, -1
	s_addc_u32 s5, s64, -1
	s_add_u32 s6, 0, 0x11108400
	s_addc_u32 s7, 0, 49
	s_add_i32 s7, s7, 0x111110e0
	s_mul_hi_u32 s11, s6, -15
	s_sub_i32 s11, s11, s6
	s_mul_i32 s12, s7, -15
	s_mul_i32 s8, s6, -15
	s_add_i32 s11, s11, s12
	s_mul_hi_u32 s9, s7, s8
	s_mul_i32 s10, s7, s8
	s_mul_i32 s13, s6, s11
	s_mul_hi_u32 s8, s6, s8
	s_mul_hi_u32 s12, s6, s11
	s_add_u32 s8, s8, s13
	s_addc_u32 s12, 0, s12
	s_add_u32 s8, s8, s10
	s_mul_hi_u32 s13, s7, s11
	s_addc_u32 s8, s12, s9
	s_addc_u32 s9, s13, 0
	s_mul_i32 s10, s7, s11
	s_add_u32 s8, s8, s10
	v_mov_b32_e32 v44, s8
	s_addc_u32 s9, 0, s9
	v_add_co_u32_e32 v44, vcc, s6, v44
	s_cmp_lg_u64 vcc, 0
	s_addc_u32 s6, s7, s9
	v_readfirstlane_b32 s9, v44
	s_mul_i32 s8, s4, s6
	s_mul_hi_u32 s10, s4, s9
	s_mul_hi_u32 s7, s4, s6
	s_add_u32 s8, s10, s8
	s_addc_u32 s7, 0, s7
	s_mul_hi_u32 s11, s5, s9
	s_mul_i32 s9, s5, s9
	s_add_u32 s8, s8, s9
	s_mul_hi_u32 s10, s5, s6
	s_addc_u32 s7, s7, s11
	s_addc_u32 s8, s10, 0
	s_mul_i32 s6, s5, s6
	s_add_u32 s6, s7, s6
	s_addc_u32 s7, 0, s8
	s_add_u32 s8, s6, 1
	s_addc_u32 s9, s7, 0
	s_add_u32 s10, s6, 2
	s_mul_i32 s12, s7, 15
	s_mul_hi_u32 s13, s6, 15
	s_addc_u32 s11, s7, 0
	s_add_i32 s13, s13, s12
	s_mul_i32 s12, s6, 15
	v_mov_b32_e32 v44, s12
	v_sub_co_u32_e32 v44, vcc, s4, v44
	s_cmp_lg_u64 vcc, 0
	s_subb_u32 s12, s5, s13
	v_subrev_co_u32_e32 v45, vcc, 15, v44
	s_cmp_lg_u64 vcc, 0
	s_subb_u32 s13, s12, 0
	v_readfirstlane_b32 s14, v45
	s_cmp_gt_u32 s14, 14
	s_cselect_b32 s14, -1, 0
	s_cmp_eq_u32 s13, 0
	s_cselect_b32 s13, s14, -1
	s_cmp_lg_u32 s13, 0
	s_cselect_b32 s8, s10, s8
	v_readfirstlane_b32 s10, v44
	s_cselect_b32 s9, s11, s9
	s_cmp_gt_u32 s10, 14
	s_cselect_b32 s10, -1, 0
	s_cmp_eq_u32 s12, 0
	s_cselect_b32 s10, s10, -1
	s_cmp_lg_u32 s10, 0
	s_cselect_b32 s7, s9, s7
	s_cselect_b32 s6, s8, s6
	v_cmp_eq_u64_e32 vcc, s[6:7], v[46:47]
	s_and_saveexec_b64 s[6:7], vcc
	s_cbranch_execz .LBB224_209
; %bb.156:
	v_mul_hi_u32_u24_e32 v45, 15, v46
	v_mov_b32_e32 v46, s5
	v_sub_co_u32_e32 v44, vcc, s4, v169
	v_subb_co_u32_e32 v45, vcc, v46, v45, vcc
	v_cmp_lt_i64_e32 vcc, 7, v[44:45]
	s_and_saveexec_b64 s[4:5], vcc
	s_xor_b64 s[4:5], exec, s[4:5]
	s_cbranch_execz .LBB224_182
; %bb.157:
	v_cmp_lt_i64_e32 vcc, 10, v[44:45]
	s_and_saveexec_b64 s[6:7], vcc
	s_xor_b64 s[6:7], exec, s[6:7]
	s_cbranch_execz .LBB224_171
; %bb.158:
	;; [unrolled: 5-line block ×4, first 2 shown]
	s_waitcnt lgkmcnt(13)
	v_mov_b32_e32 v0, 0
	s_waitcnt lgkmcnt(0)
	global_store_dwordx4 v0, v[60:63], s[50:51]
                                        ; implicit-def: $vgpr56_vgpr57_vgpr58_vgpr59
.LBB224_161:
	s_andn2_saveexec_b64 s[10:11], s[10:11]
	s_cbranch_execz .LBB224_163
; %bb.162:
	s_waitcnt lgkmcnt(13)
	v_mov_b32_e32 v0, 0
	s_waitcnt lgkmcnt(1)
	global_store_dwordx4 v0, v[56:59], s[50:51]
.LBB224_163:
	s_or_b64 exec, exec, s[10:11]
                                        ; implicit-def: $vgpr32_vgpr33_vgpr34_vgpr35
                                        ; implicit-def: $vgpr44_vgpr45
                                        ; implicit-def: $vgpr52_vgpr53_vgpr54_vgpr55
.LBB224_164:
	s_andn2_saveexec_b64 s[8:9], s[8:9]
	s_cbranch_execz .LBB224_170
; %bb.165:
	v_cmp_lt_i64_e32 vcc, 11, v[44:45]
	s_and_saveexec_b64 s[10:11], vcc
	s_xor_b64 s[10:11], exec, s[10:11]
	s_cbranch_execz .LBB224_167
; %bb.166:
	s_waitcnt lgkmcnt(13)
	v_mov_b32_e32 v0, 0
	s_waitcnt lgkmcnt(2)
	global_store_dwordx4 v0, v[52:55], s[50:51]
                                        ; implicit-def: $vgpr32_vgpr33_vgpr34_vgpr35
.LBB224_167:
	s_andn2_saveexec_b64 s[10:11], s[10:11]
	s_cbranch_execz .LBB224_169
; %bb.168:
	s_waitcnt lgkmcnt(13)
	v_mov_b32_e32 v0, 0
	s_waitcnt lgkmcnt(3)
	global_store_dwordx4 v0, v[32:35], s[50:51]
.LBB224_169:
	s_or_b64 exec, exec, s[10:11]
.LBB224_170:
	s_or_b64 exec, exec, s[8:9]
                                        ; implicit-def: $vgpr40_vgpr41_vgpr42_vgpr43
                                        ; implicit-def: $vgpr44_vgpr45
                                        ; implicit-def: $vgpr36_vgpr37_vgpr38_vgpr39
                                        ; implicit-def: $vgpr48_vgpr49_vgpr50_vgpr51
.LBB224_171:
	s_andn2_saveexec_b64 s[6:7], s[6:7]
	s_cbranch_execz .LBB224_181
; %bb.172:
	v_cmp_lt_i64_e32 vcc, 8, v[44:45]
	s_and_saveexec_b64 s[8:9], vcc
	s_xor_b64 s[8:9], exec, s[8:9]
	s_cbranch_execz .LBB224_178
; %bb.173:
	v_cmp_lt_i64_e32 vcc, 9, v[44:45]
	s_and_saveexec_b64 s[10:11], vcc
	s_xor_b64 s[10:11], exec, s[10:11]
	s_cbranch_execz .LBB224_175
; %bb.174:
	s_waitcnt lgkmcnt(13)
	v_mov_b32_e32 v0, 0
	s_waitcnt lgkmcnt(4)
	global_store_dwordx4 v0, v[48:51], s[50:51]
                                        ; implicit-def: $vgpr36_vgpr37_vgpr38_vgpr39
.LBB224_175:
	s_andn2_saveexec_b64 s[10:11], s[10:11]
	s_cbranch_execz .LBB224_177
; %bb.176:
	s_waitcnt lgkmcnt(13)
	v_mov_b32_e32 v0, 0
	s_waitcnt lgkmcnt(5)
	global_store_dwordx4 v0, v[36:39], s[50:51]
.LBB224_177:
	s_or_b64 exec, exec, s[10:11]
                                        ; implicit-def: $vgpr40_vgpr41_vgpr42_vgpr43
.LBB224_178:
	s_andn2_saveexec_b64 s[8:9], s[8:9]
	s_cbranch_execz .LBB224_180
; %bb.179:
	s_waitcnt lgkmcnt(13)
	v_mov_b32_e32 v0, 0
	s_waitcnt lgkmcnt(6)
	global_store_dwordx4 v0, v[40:43], s[50:51]
.LBB224_180:
	s_or_b64 exec, exec, s[8:9]
.LBB224_181:
	s_or_b64 exec, exec, s[6:7]
                                        ; implicit-def: $vgpr0_vgpr1_vgpr2_vgpr3
                                        ; implicit-def: $vgpr4_vgpr5_vgpr6_vgpr7
                                        ; implicit-def: $vgpr16_vgpr17_vgpr18_vgpr19
                                        ; implicit-def: $vgpr12_vgpr13_vgpr14_vgpr15
                                        ; implicit-def: $vgpr20_vgpr21_vgpr22_vgpr23
                                        ; implicit-def: $vgpr24_vgpr25_vgpr26_vgpr27
                                        ; implicit-def: $vgpr28_vgpr29_vgpr30_vgpr31
                                        ; implicit-def: $vgpr44_vgpr45
                                        ; implicit-def: $vgpr8_vgpr9_vgpr10_vgpr11
.LBB224_182:
	s_andn2_saveexec_b64 s[4:5], s[4:5]
	s_cbranch_execz .LBB224_209
; %bb.183:
	v_cmp_lt_i64_e32 vcc, 3, v[44:45]
	s_and_saveexec_b64 s[4:5], vcc
	s_xor_b64 s[4:5], exec, s[4:5]
	s_cbranch_execz .LBB224_197
; %bb.184:
	v_cmp_lt_i64_e32 vcc, 5, v[44:45]
	s_and_saveexec_b64 s[6:7], vcc
	s_xor_b64 s[6:7], exec, s[6:7]
	;; [unrolled: 5-line block ×3, first 2 shown]
	s_cbranch_execz .LBB224_187
; %bb.186:
	s_waitcnt lgkmcnt(13)
	v_mov_b32_e32 v0, 0
	s_waitcnt lgkmcnt(7)
	global_store_dwordx4 v0, v[28:31], s[50:51]
                                        ; implicit-def: $vgpr24_vgpr25_vgpr26_vgpr27
.LBB224_187:
	s_andn2_saveexec_b64 s[8:9], s[8:9]
	s_cbranch_execz .LBB224_189
; %bb.188:
	s_waitcnt lgkmcnt(13)
	v_mov_b32_e32 v0, 0
	s_waitcnt lgkmcnt(8)
	global_store_dwordx4 v0, v[24:27], s[50:51]
.LBB224_189:
	s_or_b64 exec, exec, s[8:9]
                                        ; implicit-def: $vgpr12_vgpr13_vgpr14_vgpr15
                                        ; implicit-def: $vgpr44_vgpr45
                                        ; implicit-def: $vgpr20_vgpr21_vgpr22_vgpr23
.LBB224_190:
	s_andn2_saveexec_b64 s[6:7], s[6:7]
	s_cbranch_execz .LBB224_196
; %bb.191:
	v_cmp_lt_i64_e32 vcc, 4, v[44:45]
	s_and_saveexec_b64 s[8:9], vcc
	s_xor_b64 s[8:9], exec, s[8:9]
	s_cbranch_execz .LBB224_193
; %bb.192:
	s_waitcnt lgkmcnt(13)
	v_mov_b32_e32 v0, 0
	s_waitcnt lgkmcnt(9)
	global_store_dwordx4 v0, v[20:23], s[50:51]
                                        ; implicit-def: $vgpr12_vgpr13_vgpr14_vgpr15
.LBB224_193:
	s_andn2_saveexec_b64 s[8:9], s[8:9]
	s_cbranch_execz .LBB224_195
; %bb.194:
	s_waitcnt lgkmcnt(13)
	v_mov_b32_e32 v0, 0
	s_waitcnt lgkmcnt(10)
	global_store_dwordx4 v0, v[12:15], s[50:51]
.LBB224_195:
	s_or_b64 exec, exec, s[8:9]
.LBB224_196:
	s_or_b64 exec, exec, s[6:7]
                                        ; implicit-def: $vgpr44_vgpr45
                                        ; implicit-def: $vgpr0_vgpr1_vgpr2_vgpr3
                                        ; implicit-def: $vgpr4_vgpr5_vgpr6_vgpr7
                                        ; implicit-def: $vgpr8_vgpr9_vgpr10_vgpr11
                                        ; implicit-def: $vgpr16_vgpr17_vgpr18_vgpr19
.LBB224_197:
	s_andn2_saveexec_b64 s[4:5], s[4:5]
	s_cbranch_execz .LBB224_209
; %bb.198:
	v_cmp_lt_i64_e32 vcc, 1, v[44:45]
	s_and_saveexec_b64 s[4:5], vcc
	s_xor_b64 s[4:5], exec, s[4:5]
	s_cbranch_execz .LBB224_204
; %bb.199:
	v_cmp_lt_i64_e32 vcc, 2, v[44:45]
	s_and_saveexec_b64 s[6:7], vcc
	s_xor_b64 s[6:7], exec, s[6:7]
	s_cbranch_execz .LBB224_201
; %bb.200:
	s_waitcnt lgkmcnt(13)
	v_mov_b32_e32 v0, 0
	s_waitcnt lgkmcnt(11)
	global_store_dwordx4 v0, v[16:19], s[50:51]
                                        ; implicit-def: $vgpr4_vgpr5_vgpr6_vgpr7
.LBB224_201:
	s_andn2_saveexec_b64 s[6:7], s[6:7]
	s_cbranch_execz .LBB224_203
; %bb.202:
	s_waitcnt lgkmcnt(13)
	v_mov_b32_e32 v0, 0
	s_waitcnt lgkmcnt(12)
	global_store_dwordx4 v0, v[4:7], s[50:51]
.LBB224_203:
	s_or_b64 exec, exec, s[6:7]
                                        ; implicit-def: $vgpr0_vgpr1_vgpr2_vgpr3
                                        ; implicit-def: $vgpr44_vgpr45
                                        ; implicit-def: $vgpr8_vgpr9_vgpr10_vgpr11
.LBB224_204:
	s_andn2_saveexec_b64 s[4:5], s[4:5]
	s_cbranch_execz .LBB224_209
; %bb.205:
	v_cmp_ne_u64_e32 vcc, 1, v[44:45]
	s_and_saveexec_b64 s[4:5], vcc
	s_xor_b64 s[4:5], exec, s[4:5]
	s_cbranch_execz .LBB224_207
; %bb.206:
	s_waitcnt lgkmcnt(13)
	v_mov_b32_e32 v0, 0
	global_store_dwordx4 v0, v[8:11], s[50:51]
                                        ; implicit-def: $vgpr0_vgpr1_vgpr2_vgpr3
.LBB224_207:
	s_andn2_saveexec_b64 s[4:5], s[4:5]
	s_cbranch_execz .LBB224_209
; %bb.208:
	s_waitcnt lgkmcnt(12)
	v_mov_b32_e32 v4, 0
	global_store_dwordx4 v4, v[0:3], s[50:51]
.LBB224_209:
	s_endpgm
	.section	.rodata,"a",@progbits
	.p2align	6, 0x0
	.amdhsa_kernel _ZN7rocprim17ROCPRIM_400000_NS6detail17trampoline_kernelINS0_14default_configENS1_20scan_config_selectorIN3c107complexIdEEEEZZNS1_9scan_implILNS1_25lookback_scan_determinismE0ELb0ELb0ES3_PKS7_PS7_S7_ZZZN2at6native31launch_logcumsumexp_cuda_kernelERKNSE_10TensorBaseESI_lENKUlvE_clEvENKUlvE1_clEvEUlS7_S7_E_S7_EEDaPvRmT3_T4_T5_mT6_P12ihipStream_tbENKUlT_T0_E_clISt17integral_constantIbLb1EESY_IbLb0EEEEDaSU_SV_EUlSU_E_NS1_11comp_targetILNS1_3genE4ELNS1_11target_archE910ELNS1_3gpuE8ELNS1_3repE0EEENS1_30default_config_static_selectorELNS0_4arch9wavefront6targetE1EEEvT1_
		.amdhsa_group_segment_fixed_size 15360
		.amdhsa_private_segment_fixed_size 8
		.amdhsa_kernarg_size 128
		.amdhsa_user_sgpr_count 8
		.amdhsa_user_sgpr_private_segment_buffer 1
		.amdhsa_user_sgpr_dispatch_ptr 0
		.amdhsa_user_sgpr_queue_ptr 0
		.amdhsa_user_sgpr_kernarg_segment_ptr 1
		.amdhsa_user_sgpr_dispatch_id 0
		.amdhsa_user_sgpr_flat_scratch_init 1
		.amdhsa_user_sgpr_kernarg_preload_length 0
		.amdhsa_user_sgpr_kernarg_preload_offset 0
		.amdhsa_user_sgpr_private_segment_size 0
		.amdhsa_uses_dynamic_stack 0
		.amdhsa_system_sgpr_private_segment_wavefront_offset 1
		.amdhsa_system_sgpr_workgroup_id_x 1
		.amdhsa_system_sgpr_workgroup_id_y 0
		.amdhsa_system_sgpr_workgroup_id_z 0
		.amdhsa_system_sgpr_workgroup_info 0
		.amdhsa_system_vgpr_workitem_id 0
		.amdhsa_next_free_vgpr 171
		.amdhsa_next_free_sgpr 65
		.amdhsa_accum_offset 172
		.amdhsa_reserve_vcc 1
		.amdhsa_reserve_flat_scratch 1
		.amdhsa_float_round_mode_32 0
		.amdhsa_float_round_mode_16_64 0
		.amdhsa_float_denorm_mode_32 3
		.amdhsa_float_denorm_mode_16_64 3
		.amdhsa_dx10_clamp 1
		.amdhsa_ieee_mode 1
		.amdhsa_fp16_overflow 0
		.amdhsa_tg_split 0
		.amdhsa_exception_fp_ieee_invalid_op 0
		.amdhsa_exception_fp_denorm_src 0
		.amdhsa_exception_fp_ieee_div_zero 0
		.amdhsa_exception_fp_ieee_overflow 0
		.amdhsa_exception_fp_ieee_underflow 0
		.amdhsa_exception_fp_ieee_inexact 0
		.amdhsa_exception_int_div_zero 0
	.end_amdhsa_kernel
	.section	.text._ZN7rocprim17ROCPRIM_400000_NS6detail17trampoline_kernelINS0_14default_configENS1_20scan_config_selectorIN3c107complexIdEEEEZZNS1_9scan_implILNS1_25lookback_scan_determinismE0ELb0ELb0ES3_PKS7_PS7_S7_ZZZN2at6native31launch_logcumsumexp_cuda_kernelERKNSE_10TensorBaseESI_lENKUlvE_clEvENKUlvE1_clEvEUlS7_S7_E_S7_EEDaPvRmT3_T4_T5_mT6_P12ihipStream_tbENKUlT_T0_E_clISt17integral_constantIbLb1EESY_IbLb0EEEEDaSU_SV_EUlSU_E_NS1_11comp_targetILNS1_3genE4ELNS1_11target_archE910ELNS1_3gpuE8ELNS1_3repE0EEENS1_30default_config_static_selectorELNS0_4arch9wavefront6targetE1EEEvT1_,"axG",@progbits,_ZN7rocprim17ROCPRIM_400000_NS6detail17trampoline_kernelINS0_14default_configENS1_20scan_config_selectorIN3c107complexIdEEEEZZNS1_9scan_implILNS1_25lookback_scan_determinismE0ELb0ELb0ES3_PKS7_PS7_S7_ZZZN2at6native31launch_logcumsumexp_cuda_kernelERKNSE_10TensorBaseESI_lENKUlvE_clEvENKUlvE1_clEvEUlS7_S7_E_S7_EEDaPvRmT3_T4_T5_mT6_P12ihipStream_tbENKUlT_T0_E_clISt17integral_constantIbLb1EESY_IbLb0EEEEDaSU_SV_EUlSU_E_NS1_11comp_targetILNS1_3genE4ELNS1_11target_archE910ELNS1_3gpuE8ELNS1_3repE0EEENS1_30default_config_static_selectorELNS0_4arch9wavefront6targetE1EEEvT1_,comdat
.Lfunc_end224:
	.size	_ZN7rocprim17ROCPRIM_400000_NS6detail17trampoline_kernelINS0_14default_configENS1_20scan_config_selectorIN3c107complexIdEEEEZZNS1_9scan_implILNS1_25lookback_scan_determinismE0ELb0ELb0ES3_PKS7_PS7_S7_ZZZN2at6native31launch_logcumsumexp_cuda_kernelERKNSE_10TensorBaseESI_lENKUlvE_clEvENKUlvE1_clEvEUlS7_S7_E_S7_EEDaPvRmT3_T4_T5_mT6_P12ihipStream_tbENKUlT_T0_E_clISt17integral_constantIbLb1EESY_IbLb0EEEEDaSU_SV_EUlSU_E_NS1_11comp_targetILNS1_3genE4ELNS1_11target_archE910ELNS1_3gpuE8ELNS1_3repE0EEENS1_30default_config_static_selectorELNS0_4arch9wavefront6targetE1EEEvT1_, .Lfunc_end224-_ZN7rocprim17ROCPRIM_400000_NS6detail17trampoline_kernelINS0_14default_configENS1_20scan_config_selectorIN3c107complexIdEEEEZZNS1_9scan_implILNS1_25lookback_scan_determinismE0ELb0ELb0ES3_PKS7_PS7_S7_ZZZN2at6native31launch_logcumsumexp_cuda_kernelERKNSE_10TensorBaseESI_lENKUlvE_clEvENKUlvE1_clEvEUlS7_S7_E_S7_EEDaPvRmT3_T4_T5_mT6_P12ihipStream_tbENKUlT_T0_E_clISt17integral_constantIbLb1EESY_IbLb0EEEEDaSU_SV_EUlSU_E_NS1_11comp_targetILNS1_3genE4ELNS1_11target_archE910ELNS1_3gpuE8ELNS1_3repE0EEENS1_30default_config_static_selectorELNS0_4arch9wavefront6targetE1EEEvT1_
                                        ; -- End function
	.section	.AMDGPU.csdata,"",@progbits
; Kernel info:
; codeLenInByte = 10040
; NumSgprs: 71
; NumVgprs: 171
; NumAgprs: 0
; TotalNumVgprs: 171
; ScratchSize: 8
; MemoryBound: 1
; FloatMode: 240
; IeeeMode: 1
; LDSByteSize: 15360 bytes/workgroup (compile time only)
; SGPRBlocks: 8
; VGPRBlocks: 21
; NumSGPRsForWavesPerEU: 71
; NumVGPRsForWavesPerEU: 171
; AccumOffset: 172
; Occupancy: 1
; WaveLimiterHint : 1
; COMPUTE_PGM_RSRC2:SCRATCH_EN: 1
; COMPUTE_PGM_RSRC2:USER_SGPR: 8
; COMPUTE_PGM_RSRC2:TRAP_HANDLER: 0
; COMPUTE_PGM_RSRC2:TGID_X_EN: 1
; COMPUTE_PGM_RSRC2:TGID_Y_EN: 0
; COMPUTE_PGM_RSRC2:TGID_Z_EN: 0
; COMPUTE_PGM_RSRC2:TIDIG_COMP_CNT: 0
; COMPUTE_PGM_RSRC3_GFX90A:ACCUM_OFFSET: 42
; COMPUTE_PGM_RSRC3_GFX90A:TG_SPLIT: 0
	.section	.text._ZN7rocprim17ROCPRIM_400000_NS6detail17trampoline_kernelINS0_14default_configENS1_20scan_config_selectorIN3c107complexIdEEEEZZNS1_9scan_implILNS1_25lookback_scan_determinismE0ELb0ELb0ES3_PKS7_PS7_S7_ZZZN2at6native31launch_logcumsumexp_cuda_kernelERKNSE_10TensorBaseESI_lENKUlvE_clEvENKUlvE1_clEvEUlS7_S7_E_S7_EEDaPvRmT3_T4_T5_mT6_P12ihipStream_tbENKUlT_T0_E_clISt17integral_constantIbLb1EESY_IbLb0EEEEDaSU_SV_EUlSU_E_NS1_11comp_targetILNS1_3genE3ELNS1_11target_archE908ELNS1_3gpuE7ELNS1_3repE0EEENS1_30default_config_static_selectorELNS0_4arch9wavefront6targetE1EEEvT1_,"axG",@progbits,_ZN7rocprim17ROCPRIM_400000_NS6detail17trampoline_kernelINS0_14default_configENS1_20scan_config_selectorIN3c107complexIdEEEEZZNS1_9scan_implILNS1_25lookback_scan_determinismE0ELb0ELb0ES3_PKS7_PS7_S7_ZZZN2at6native31launch_logcumsumexp_cuda_kernelERKNSE_10TensorBaseESI_lENKUlvE_clEvENKUlvE1_clEvEUlS7_S7_E_S7_EEDaPvRmT3_T4_T5_mT6_P12ihipStream_tbENKUlT_T0_E_clISt17integral_constantIbLb1EESY_IbLb0EEEEDaSU_SV_EUlSU_E_NS1_11comp_targetILNS1_3genE3ELNS1_11target_archE908ELNS1_3gpuE7ELNS1_3repE0EEENS1_30default_config_static_selectorELNS0_4arch9wavefront6targetE1EEEvT1_,comdat
	.globl	_ZN7rocprim17ROCPRIM_400000_NS6detail17trampoline_kernelINS0_14default_configENS1_20scan_config_selectorIN3c107complexIdEEEEZZNS1_9scan_implILNS1_25lookback_scan_determinismE0ELb0ELb0ES3_PKS7_PS7_S7_ZZZN2at6native31launch_logcumsumexp_cuda_kernelERKNSE_10TensorBaseESI_lENKUlvE_clEvENKUlvE1_clEvEUlS7_S7_E_S7_EEDaPvRmT3_T4_T5_mT6_P12ihipStream_tbENKUlT_T0_E_clISt17integral_constantIbLb1EESY_IbLb0EEEEDaSU_SV_EUlSU_E_NS1_11comp_targetILNS1_3genE3ELNS1_11target_archE908ELNS1_3gpuE7ELNS1_3repE0EEENS1_30default_config_static_selectorELNS0_4arch9wavefront6targetE1EEEvT1_ ; -- Begin function _ZN7rocprim17ROCPRIM_400000_NS6detail17trampoline_kernelINS0_14default_configENS1_20scan_config_selectorIN3c107complexIdEEEEZZNS1_9scan_implILNS1_25lookback_scan_determinismE0ELb0ELb0ES3_PKS7_PS7_S7_ZZZN2at6native31launch_logcumsumexp_cuda_kernelERKNSE_10TensorBaseESI_lENKUlvE_clEvENKUlvE1_clEvEUlS7_S7_E_S7_EEDaPvRmT3_T4_T5_mT6_P12ihipStream_tbENKUlT_T0_E_clISt17integral_constantIbLb1EESY_IbLb0EEEEDaSU_SV_EUlSU_E_NS1_11comp_targetILNS1_3genE3ELNS1_11target_archE908ELNS1_3gpuE7ELNS1_3repE0EEENS1_30default_config_static_selectorELNS0_4arch9wavefront6targetE1EEEvT1_
	.p2align	8
	.type	_ZN7rocprim17ROCPRIM_400000_NS6detail17trampoline_kernelINS0_14default_configENS1_20scan_config_selectorIN3c107complexIdEEEEZZNS1_9scan_implILNS1_25lookback_scan_determinismE0ELb0ELb0ES3_PKS7_PS7_S7_ZZZN2at6native31launch_logcumsumexp_cuda_kernelERKNSE_10TensorBaseESI_lENKUlvE_clEvENKUlvE1_clEvEUlS7_S7_E_S7_EEDaPvRmT3_T4_T5_mT6_P12ihipStream_tbENKUlT_T0_E_clISt17integral_constantIbLb1EESY_IbLb0EEEEDaSU_SV_EUlSU_E_NS1_11comp_targetILNS1_3genE3ELNS1_11target_archE908ELNS1_3gpuE7ELNS1_3repE0EEENS1_30default_config_static_selectorELNS0_4arch9wavefront6targetE1EEEvT1_,@function
_ZN7rocprim17ROCPRIM_400000_NS6detail17trampoline_kernelINS0_14default_configENS1_20scan_config_selectorIN3c107complexIdEEEEZZNS1_9scan_implILNS1_25lookback_scan_determinismE0ELb0ELb0ES3_PKS7_PS7_S7_ZZZN2at6native31launch_logcumsumexp_cuda_kernelERKNSE_10TensorBaseESI_lENKUlvE_clEvENKUlvE1_clEvEUlS7_S7_E_S7_EEDaPvRmT3_T4_T5_mT6_P12ihipStream_tbENKUlT_T0_E_clISt17integral_constantIbLb1EESY_IbLb0EEEEDaSU_SV_EUlSU_E_NS1_11comp_targetILNS1_3genE3ELNS1_11target_archE908ELNS1_3gpuE7ELNS1_3repE0EEENS1_30default_config_static_selectorELNS0_4arch9wavefront6targetE1EEEvT1_: ; @_ZN7rocprim17ROCPRIM_400000_NS6detail17trampoline_kernelINS0_14default_configENS1_20scan_config_selectorIN3c107complexIdEEEEZZNS1_9scan_implILNS1_25lookback_scan_determinismE0ELb0ELb0ES3_PKS7_PS7_S7_ZZZN2at6native31launch_logcumsumexp_cuda_kernelERKNSE_10TensorBaseESI_lENKUlvE_clEvENKUlvE1_clEvEUlS7_S7_E_S7_EEDaPvRmT3_T4_T5_mT6_P12ihipStream_tbENKUlT_T0_E_clISt17integral_constantIbLb1EESY_IbLb0EEEEDaSU_SV_EUlSU_E_NS1_11comp_targetILNS1_3genE3ELNS1_11target_archE908ELNS1_3gpuE7ELNS1_3repE0EEENS1_30default_config_static_selectorELNS0_4arch9wavefront6targetE1EEEvT1_
; %bb.0:
	.section	.rodata,"a",@progbits
	.p2align	6, 0x0
	.amdhsa_kernel _ZN7rocprim17ROCPRIM_400000_NS6detail17trampoline_kernelINS0_14default_configENS1_20scan_config_selectorIN3c107complexIdEEEEZZNS1_9scan_implILNS1_25lookback_scan_determinismE0ELb0ELb0ES3_PKS7_PS7_S7_ZZZN2at6native31launch_logcumsumexp_cuda_kernelERKNSE_10TensorBaseESI_lENKUlvE_clEvENKUlvE1_clEvEUlS7_S7_E_S7_EEDaPvRmT3_T4_T5_mT6_P12ihipStream_tbENKUlT_T0_E_clISt17integral_constantIbLb1EESY_IbLb0EEEEDaSU_SV_EUlSU_E_NS1_11comp_targetILNS1_3genE3ELNS1_11target_archE908ELNS1_3gpuE7ELNS1_3repE0EEENS1_30default_config_static_selectorELNS0_4arch9wavefront6targetE1EEEvT1_
		.amdhsa_group_segment_fixed_size 0
		.amdhsa_private_segment_fixed_size 0
		.amdhsa_kernarg_size 128
		.amdhsa_user_sgpr_count 6
		.amdhsa_user_sgpr_private_segment_buffer 1
		.amdhsa_user_sgpr_dispatch_ptr 0
		.amdhsa_user_sgpr_queue_ptr 0
		.amdhsa_user_sgpr_kernarg_segment_ptr 1
		.amdhsa_user_sgpr_dispatch_id 0
		.amdhsa_user_sgpr_flat_scratch_init 0
		.amdhsa_user_sgpr_kernarg_preload_length 0
		.amdhsa_user_sgpr_kernarg_preload_offset 0
		.amdhsa_user_sgpr_private_segment_size 0
		.amdhsa_uses_dynamic_stack 0
		.amdhsa_system_sgpr_private_segment_wavefront_offset 0
		.amdhsa_system_sgpr_workgroup_id_x 1
		.amdhsa_system_sgpr_workgroup_id_y 0
		.amdhsa_system_sgpr_workgroup_id_z 0
		.amdhsa_system_sgpr_workgroup_info 0
		.amdhsa_system_vgpr_workitem_id 0
		.amdhsa_next_free_vgpr 1
		.amdhsa_next_free_sgpr 0
		.amdhsa_accum_offset 4
		.amdhsa_reserve_vcc 0
		.amdhsa_reserve_flat_scratch 0
		.amdhsa_float_round_mode_32 0
		.amdhsa_float_round_mode_16_64 0
		.amdhsa_float_denorm_mode_32 3
		.amdhsa_float_denorm_mode_16_64 3
		.amdhsa_dx10_clamp 1
		.amdhsa_ieee_mode 1
		.amdhsa_fp16_overflow 0
		.amdhsa_tg_split 0
		.amdhsa_exception_fp_ieee_invalid_op 0
		.amdhsa_exception_fp_denorm_src 0
		.amdhsa_exception_fp_ieee_div_zero 0
		.amdhsa_exception_fp_ieee_overflow 0
		.amdhsa_exception_fp_ieee_underflow 0
		.amdhsa_exception_fp_ieee_inexact 0
		.amdhsa_exception_int_div_zero 0
	.end_amdhsa_kernel
	.section	.text._ZN7rocprim17ROCPRIM_400000_NS6detail17trampoline_kernelINS0_14default_configENS1_20scan_config_selectorIN3c107complexIdEEEEZZNS1_9scan_implILNS1_25lookback_scan_determinismE0ELb0ELb0ES3_PKS7_PS7_S7_ZZZN2at6native31launch_logcumsumexp_cuda_kernelERKNSE_10TensorBaseESI_lENKUlvE_clEvENKUlvE1_clEvEUlS7_S7_E_S7_EEDaPvRmT3_T4_T5_mT6_P12ihipStream_tbENKUlT_T0_E_clISt17integral_constantIbLb1EESY_IbLb0EEEEDaSU_SV_EUlSU_E_NS1_11comp_targetILNS1_3genE3ELNS1_11target_archE908ELNS1_3gpuE7ELNS1_3repE0EEENS1_30default_config_static_selectorELNS0_4arch9wavefront6targetE1EEEvT1_,"axG",@progbits,_ZN7rocprim17ROCPRIM_400000_NS6detail17trampoline_kernelINS0_14default_configENS1_20scan_config_selectorIN3c107complexIdEEEEZZNS1_9scan_implILNS1_25lookback_scan_determinismE0ELb0ELb0ES3_PKS7_PS7_S7_ZZZN2at6native31launch_logcumsumexp_cuda_kernelERKNSE_10TensorBaseESI_lENKUlvE_clEvENKUlvE1_clEvEUlS7_S7_E_S7_EEDaPvRmT3_T4_T5_mT6_P12ihipStream_tbENKUlT_T0_E_clISt17integral_constantIbLb1EESY_IbLb0EEEEDaSU_SV_EUlSU_E_NS1_11comp_targetILNS1_3genE3ELNS1_11target_archE908ELNS1_3gpuE7ELNS1_3repE0EEENS1_30default_config_static_selectorELNS0_4arch9wavefront6targetE1EEEvT1_,comdat
.Lfunc_end225:
	.size	_ZN7rocprim17ROCPRIM_400000_NS6detail17trampoline_kernelINS0_14default_configENS1_20scan_config_selectorIN3c107complexIdEEEEZZNS1_9scan_implILNS1_25lookback_scan_determinismE0ELb0ELb0ES3_PKS7_PS7_S7_ZZZN2at6native31launch_logcumsumexp_cuda_kernelERKNSE_10TensorBaseESI_lENKUlvE_clEvENKUlvE1_clEvEUlS7_S7_E_S7_EEDaPvRmT3_T4_T5_mT6_P12ihipStream_tbENKUlT_T0_E_clISt17integral_constantIbLb1EESY_IbLb0EEEEDaSU_SV_EUlSU_E_NS1_11comp_targetILNS1_3genE3ELNS1_11target_archE908ELNS1_3gpuE7ELNS1_3repE0EEENS1_30default_config_static_selectorELNS0_4arch9wavefront6targetE1EEEvT1_, .Lfunc_end225-_ZN7rocprim17ROCPRIM_400000_NS6detail17trampoline_kernelINS0_14default_configENS1_20scan_config_selectorIN3c107complexIdEEEEZZNS1_9scan_implILNS1_25lookback_scan_determinismE0ELb0ELb0ES3_PKS7_PS7_S7_ZZZN2at6native31launch_logcumsumexp_cuda_kernelERKNSE_10TensorBaseESI_lENKUlvE_clEvENKUlvE1_clEvEUlS7_S7_E_S7_EEDaPvRmT3_T4_T5_mT6_P12ihipStream_tbENKUlT_T0_E_clISt17integral_constantIbLb1EESY_IbLb0EEEEDaSU_SV_EUlSU_E_NS1_11comp_targetILNS1_3genE3ELNS1_11target_archE908ELNS1_3gpuE7ELNS1_3repE0EEENS1_30default_config_static_selectorELNS0_4arch9wavefront6targetE1EEEvT1_
                                        ; -- End function
	.section	.AMDGPU.csdata,"",@progbits
; Kernel info:
; codeLenInByte = 0
; NumSgprs: 4
; NumVgprs: 0
; NumAgprs: 0
; TotalNumVgprs: 0
; ScratchSize: 0
; MemoryBound: 0
; FloatMode: 240
; IeeeMode: 1
; LDSByteSize: 0 bytes/workgroup (compile time only)
; SGPRBlocks: 0
; VGPRBlocks: 0
; NumSGPRsForWavesPerEU: 4
; NumVGPRsForWavesPerEU: 1
; AccumOffset: 4
; Occupancy: 8
; WaveLimiterHint : 0
; COMPUTE_PGM_RSRC2:SCRATCH_EN: 0
; COMPUTE_PGM_RSRC2:USER_SGPR: 6
; COMPUTE_PGM_RSRC2:TRAP_HANDLER: 0
; COMPUTE_PGM_RSRC2:TGID_X_EN: 1
; COMPUTE_PGM_RSRC2:TGID_Y_EN: 0
; COMPUTE_PGM_RSRC2:TGID_Z_EN: 0
; COMPUTE_PGM_RSRC2:TIDIG_COMP_CNT: 0
; COMPUTE_PGM_RSRC3_GFX90A:ACCUM_OFFSET: 0
; COMPUTE_PGM_RSRC3_GFX90A:TG_SPLIT: 0
	.section	.text._ZN7rocprim17ROCPRIM_400000_NS6detail17trampoline_kernelINS0_14default_configENS1_20scan_config_selectorIN3c107complexIdEEEEZZNS1_9scan_implILNS1_25lookback_scan_determinismE0ELb0ELb0ES3_PKS7_PS7_S7_ZZZN2at6native31launch_logcumsumexp_cuda_kernelERKNSE_10TensorBaseESI_lENKUlvE_clEvENKUlvE1_clEvEUlS7_S7_E_S7_EEDaPvRmT3_T4_T5_mT6_P12ihipStream_tbENKUlT_T0_E_clISt17integral_constantIbLb1EESY_IbLb0EEEEDaSU_SV_EUlSU_E_NS1_11comp_targetILNS1_3genE2ELNS1_11target_archE906ELNS1_3gpuE6ELNS1_3repE0EEENS1_30default_config_static_selectorELNS0_4arch9wavefront6targetE1EEEvT1_,"axG",@progbits,_ZN7rocprim17ROCPRIM_400000_NS6detail17trampoline_kernelINS0_14default_configENS1_20scan_config_selectorIN3c107complexIdEEEEZZNS1_9scan_implILNS1_25lookback_scan_determinismE0ELb0ELb0ES3_PKS7_PS7_S7_ZZZN2at6native31launch_logcumsumexp_cuda_kernelERKNSE_10TensorBaseESI_lENKUlvE_clEvENKUlvE1_clEvEUlS7_S7_E_S7_EEDaPvRmT3_T4_T5_mT6_P12ihipStream_tbENKUlT_T0_E_clISt17integral_constantIbLb1EESY_IbLb0EEEEDaSU_SV_EUlSU_E_NS1_11comp_targetILNS1_3genE2ELNS1_11target_archE906ELNS1_3gpuE6ELNS1_3repE0EEENS1_30default_config_static_selectorELNS0_4arch9wavefront6targetE1EEEvT1_,comdat
	.globl	_ZN7rocprim17ROCPRIM_400000_NS6detail17trampoline_kernelINS0_14default_configENS1_20scan_config_selectorIN3c107complexIdEEEEZZNS1_9scan_implILNS1_25lookback_scan_determinismE0ELb0ELb0ES3_PKS7_PS7_S7_ZZZN2at6native31launch_logcumsumexp_cuda_kernelERKNSE_10TensorBaseESI_lENKUlvE_clEvENKUlvE1_clEvEUlS7_S7_E_S7_EEDaPvRmT3_T4_T5_mT6_P12ihipStream_tbENKUlT_T0_E_clISt17integral_constantIbLb1EESY_IbLb0EEEEDaSU_SV_EUlSU_E_NS1_11comp_targetILNS1_3genE2ELNS1_11target_archE906ELNS1_3gpuE6ELNS1_3repE0EEENS1_30default_config_static_selectorELNS0_4arch9wavefront6targetE1EEEvT1_ ; -- Begin function _ZN7rocprim17ROCPRIM_400000_NS6detail17trampoline_kernelINS0_14default_configENS1_20scan_config_selectorIN3c107complexIdEEEEZZNS1_9scan_implILNS1_25lookback_scan_determinismE0ELb0ELb0ES3_PKS7_PS7_S7_ZZZN2at6native31launch_logcumsumexp_cuda_kernelERKNSE_10TensorBaseESI_lENKUlvE_clEvENKUlvE1_clEvEUlS7_S7_E_S7_EEDaPvRmT3_T4_T5_mT6_P12ihipStream_tbENKUlT_T0_E_clISt17integral_constantIbLb1EESY_IbLb0EEEEDaSU_SV_EUlSU_E_NS1_11comp_targetILNS1_3genE2ELNS1_11target_archE906ELNS1_3gpuE6ELNS1_3repE0EEENS1_30default_config_static_selectorELNS0_4arch9wavefront6targetE1EEEvT1_
	.p2align	8
	.type	_ZN7rocprim17ROCPRIM_400000_NS6detail17trampoline_kernelINS0_14default_configENS1_20scan_config_selectorIN3c107complexIdEEEEZZNS1_9scan_implILNS1_25lookback_scan_determinismE0ELb0ELb0ES3_PKS7_PS7_S7_ZZZN2at6native31launch_logcumsumexp_cuda_kernelERKNSE_10TensorBaseESI_lENKUlvE_clEvENKUlvE1_clEvEUlS7_S7_E_S7_EEDaPvRmT3_T4_T5_mT6_P12ihipStream_tbENKUlT_T0_E_clISt17integral_constantIbLb1EESY_IbLb0EEEEDaSU_SV_EUlSU_E_NS1_11comp_targetILNS1_3genE2ELNS1_11target_archE906ELNS1_3gpuE6ELNS1_3repE0EEENS1_30default_config_static_selectorELNS0_4arch9wavefront6targetE1EEEvT1_,@function
_ZN7rocprim17ROCPRIM_400000_NS6detail17trampoline_kernelINS0_14default_configENS1_20scan_config_selectorIN3c107complexIdEEEEZZNS1_9scan_implILNS1_25lookback_scan_determinismE0ELb0ELb0ES3_PKS7_PS7_S7_ZZZN2at6native31launch_logcumsumexp_cuda_kernelERKNSE_10TensorBaseESI_lENKUlvE_clEvENKUlvE1_clEvEUlS7_S7_E_S7_EEDaPvRmT3_T4_T5_mT6_P12ihipStream_tbENKUlT_T0_E_clISt17integral_constantIbLb1EESY_IbLb0EEEEDaSU_SV_EUlSU_E_NS1_11comp_targetILNS1_3genE2ELNS1_11target_archE906ELNS1_3gpuE6ELNS1_3repE0EEENS1_30default_config_static_selectorELNS0_4arch9wavefront6targetE1EEEvT1_: ; @_ZN7rocprim17ROCPRIM_400000_NS6detail17trampoline_kernelINS0_14default_configENS1_20scan_config_selectorIN3c107complexIdEEEEZZNS1_9scan_implILNS1_25lookback_scan_determinismE0ELb0ELb0ES3_PKS7_PS7_S7_ZZZN2at6native31launch_logcumsumexp_cuda_kernelERKNSE_10TensorBaseESI_lENKUlvE_clEvENKUlvE1_clEvEUlS7_S7_E_S7_EEDaPvRmT3_T4_T5_mT6_P12ihipStream_tbENKUlT_T0_E_clISt17integral_constantIbLb1EESY_IbLb0EEEEDaSU_SV_EUlSU_E_NS1_11comp_targetILNS1_3genE2ELNS1_11target_archE906ELNS1_3gpuE6ELNS1_3repE0EEENS1_30default_config_static_selectorELNS0_4arch9wavefront6targetE1EEEvT1_
; %bb.0:
	.section	.rodata,"a",@progbits
	.p2align	6, 0x0
	.amdhsa_kernel _ZN7rocprim17ROCPRIM_400000_NS6detail17trampoline_kernelINS0_14default_configENS1_20scan_config_selectorIN3c107complexIdEEEEZZNS1_9scan_implILNS1_25lookback_scan_determinismE0ELb0ELb0ES3_PKS7_PS7_S7_ZZZN2at6native31launch_logcumsumexp_cuda_kernelERKNSE_10TensorBaseESI_lENKUlvE_clEvENKUlvE1_clEvEUlS7_S7_E_S7_EEDaPvRmT3_T4_T5_mT6_P12ihipStream_tbENKUlT_T0_E_clISt17integral_constantIbLb1EESY_IbLb0EEEEDaSU_SV_EUlSU_E_NS1_11comp_targetILNS1_3genE2ELNS1_11target_archE906ELNS1_3gpuE6ELNS1_3repE0EEENS1_30default_config_static_selectorELNS0_4arch9wavefront6targetE1EEEvT1_
		.amdhsa_group_segment_fixed_size 0
		.amdhsa_private_segment_fixed_size 0
		.amdhsa_kernarg_size 128
		.amdhsa_user_sgpr_count 6
		.amdhsa_user_sgpr_private_segment_buffer 1
		.amdhsa_user_sgpr_dispatch_ptr 0
		.amdhsa_user_sgpr_queue_ptr 0
		.amdhsa_user_sgpr_kernarg_segment_ptr 1
		.amdhsa_user_sgpr_dispatch_id 0
		.amdhsa_user_sgpr_flat_scratch_init 0
		.amdhsa_user_sgpr_kernarg_preload_length 0
		.amdhsa_user_sgpr_kernarg_preload_offset 0
		.amdhsa_user_sgpr_private_segment_size 0
		.amdhsa_uses_dynamic_stack 0
		.amdhsa_system_sgpr_private_segment_wavefront_offset 0
		.amdhsa_system_sgpr_workgroup_id_x 1
		.amdhsa_system_sgpr_workgroup_id_y 0
		.amdhsa_system_sgpr_workgroup_id_z 0
		.amdhsa_system_sgpr_workgroup_info 0
		.amdhsa_system_vgpr_workitem_id 0
		.amdhsa_next_free_vgpr 1
		.amdhsa_next_free_sgpr 0
		.amdhsa_accum_offset 4
		.amdhsa_reserve_vcc 0
		.amdhsa_reserve_flat_scratch 0
		.amdhsa_float_round_mode_32 0
		.amdhsa_float_round_mode_16_64 0
		.amdhsa_float_denorm_mode_32 3
		.amdhsa_float_denorm_mode_16_64 3
		.amdhsa_dx10_clamp 1
		.amdhsa_ieee_mode 1
		.amdhsa_fp16_overflow 0
		.amdhsa_tg_split 0
		.amdhsa_exception_fp_ieee_invalid_op 0
		.amdhsa_exception_fp_denorm_src 0
		.amdhsa_exception_fp_ieee_div_zero 0
		.amdhsa_exception_fp_ieee_overflow 0
		.amdhsa_exception_fp_ieee_underflow 0
		.amdhsa_exception_fp_ieee_inexact 0
		.amdhsa_exception_int_div_zero 0
	.end_amdhsa_kernel
	.section	.text._ZN7rocprim17ROCPRIM_400000_NS6detail17trampoline_kernelINS0_14default_configENS1_20scan_config_selectorIN3c107complexIdEEEEZZNS1_9scan_implILNS1_25lookback_scan_determinismE0ELb0ELb0ES3_PKS7_PS7_S7_ZZZN2at6native31launch_logcumsumexp_cuda_kernelERKNSE_10TensorBaseESI_lENKUlvE_clEvENKUlvE1_clEvEUlS7_S7_E_S7_EEDaPvRmT3_T4_T5_mT6_P12ihipStream_tbENKUlT_T0_E_clISt17integral_constantIbLb1EESY_IbLb0EEEEDaSU_SV_EUlSU_E_NS1_11comp_targetILNS1_3genE2ELNS1_11target_archE906ELNS1_3gpuE6ELNS1_3repE0EEENS1_30default_config_static_selectorELNS0_4arch9wavefront6targetE1EEEvT1_,"axG",@progbits,_ZN7rocprim17ROCPRIM_400000_NS6detail17trampoline_kernelINS0_14default_configENS1_20scan_config_selectorIN3c107complexIdEEEEZZNS1_9scan_implILNS1_25lookback_scan_determinismE0ELb0ELb0ES3_PKS7_PS7_S7_ZZZN2at6native31launch_logcumsumexp_cuda_kernelERKNSE_10TensorBaseESI_lENKUlvE_clEvENKUlvE1_clEvEUlS7_S7_E_S7_EEDaPvRmT3_T4_T5_mT6_P12ihipStream_tbENKUlT_T0_E_clISt17integral_constantIbLb1EESY_IbLb0EEEEDaSU_SV_EUlSU_E_NS1_11comp_targetILNS1_3genE2ELNS1_11target_archE906ELNS1_3gpuE6ELNS1_3repE0EEENS1_30default_config_static_selectorELNS0_4arch9wavefront6targetE1EEEvT1_,comdat
.Lfunc_end226:
	.size	_ZN7rocprim17ROCPRIM_400000_NS6detail17trampoline_kernelINS0_14default_configENS1_20scan_config_selectorIN3c107complexIdEEEEZZNS1_9scan_implILNS1_25lookback_scan_determinismE0ELb0ELb0ES3_PKS7_PS7_S7_ZZZN2at6native31launch_logcumsumexp_cuda_kernelERKNSE_10TensorBaseESI_lENKUlvE_clEvENKUlvE1_clEvEUlS7_S7_E_S7_EEDaPvRmT3_T4_T5_mT6_P12ihipStream_tbENKUlT_T0_E_clISt17integral_constantIbLb1EESY_IbLb0EEEEDaSU_SV_EUlSU_E_NS1_11comp_targetILNS1_3genE2ELNS1_11target_archE906ELNS1_3gpuE6ELNS1_3repE0EEENS1_30default_config_static_selectorELNS0_4arch9wavefront6targetE1EEEvT1_, .Lfunc_end226-_ZN7rocprim17ROCPRIM_400000_NS6detail17trampoline_kernelINS0_14default_configENS1_20scan_config_selectorIN3c107complexIdEEEEZZNS1_9scan_implILNS1_25lookback_scan_determinismE0ELb0ELb0ES3_PKS7_PS7_S7_ZZZN2at6native31launch_logcumsumexp_cuda_kernelERKNSE_10TensorBaseESI_lENKUlvE_clEvENKUlvE1_clEvEUlS7_S7_E_S7_EEDaPvRmT3_T4_T5_mT6_P12ihipStream_tbENKUlT_T0_E_clISt17integral_constantIbLb1EESY_IbLb0EEEEDaSU_SV_EUlSU_E_NS1_11comp_targetILNS1_3genE2ELNS1_11target_archE906ELNS1_3gpuE6ELNS1_3repE0EEENS1_30default_config_static_selectorELNS0_4arch9wavefront6targetE1EEEvT1_
                                        ; -- End function
	.section	.AMDGPU.csdata,"",@progbits
; Kernel info:
; codeLenInByte = 0
; NumSgprs: 4
; NumVgprs: 0
; NumAgprs: 0
; TotalNumVgprs: 0
; ScratchSize: 0
; MemoryBound: 0
; FloatMode: 240
; IeeeMode: 1
; LDSByteSize: 0 bytes/workgroup (compile time only)
; SGPRBlocks: 0
; VGPRBlocks: 0
; NumSGPRsForWavesPerEU: 4
; NumVGPRsForWavesPerEU: 1
; AccumOffset: 4
; Occupancy: 8
; WaveLimiterHint : 0
; COMPUTE_PGM_RSRC2:SCRATCH_EN: 0
; COMPUTE_PGM_RSRC2:USER_SGPR: 6
; COMPUTE_PGM_RSRC2:TRAP_HANDLER: 0
; COMPUTE_PGM_RSRC2:TGID_X_EN: 1
; COMPUTE_PGM_RSRC2:TGID_Y_EN: 0
; COMPUTE_PGM_RSRC2:TGID_Z_EN: 0
; COMPUTE_PGM_RSRC2:TIDIG_COMP_CNT: 0
; COMPUTE_PGM_RSRC3_GFX90A:ACCUM_OFFSET: 0
; COMPUTE_PGM_RSRC3_GFX90A:TG_SPLIT: 0
	.section	.text._ZN7rocprim17ROCPRIM_400000_NS6detail17trampoline_kernelINS0_14default_configENS1_20scan_config_selectorIN3c107complexIdEEEEZZNS1_9scan_implILNS1_25lookback_scan_determinismE0ELb0ELb0ES3_PKS7_PS7_S7_ZZZN2at6native31launch_logcumsumexp_cuda_kernelERKNSE_10TensorBaseESI_lENKUlvE_clEvENKUlvE1_clEvEUlS7_S7_E_S7_EEDaPvRmT3_T4_T5_mT6_P12ihipStream_tbENKUlT_T0_E_clISt17integral_constantIbLb1EESY_IbLb0EEEEDaSU_SV_EUlSU_E_NS1_11comp_targetILNS1_3genE10ELNS1_11target_archE1201ELNS1_3gpuE5ELNS1_3repE0EEENS1_30default_config_static_selectorELNS0_4arch9wavefront6targetE1EEEvT1_,"axG",@progbits,_ZN7rocprim17ROCPRIM_400000_NS6detail17trampoline_kernelINS0_14default_configENS1_20scan_config_selectorIN3c107complexIdEEEEZZNS1_9scan_implILNS1_25lookback_scan_determinismE0ELb0ELb0ES3_PKS7_PS7_S7_ZZZN2at6native31launch_logcumsumexp_cuda_kernelERKNSE_10TensorBaseESI_lENKUlvE_clEvENKUlvE1_clEvEUlS7_S7_E_S7_EEDaPvRmT3_T4_T5_mT6_P12ihipStream_tbENKUlT_T0_E_clISt17integral_constantIbLb1EESY_IbLb0EEEEDaSU_SV_EUlSU_E_NS1_11comp_targetILNS1_3genE10ELNS1_11target_archE1201ELNS1_3gpuE5ELNS1_3repE0EEENS1_30default_config_static_selectorELNS0_4arch9wavefront6targetE1EEEvT1_,comdat
	.globl	_ZN7rocprim17ROCPRIM_400000_NS6detail17trampoline_kernelINS0_14default_configENS1_20scan_config_selectorIN3c107complexIdEEEEZZNS1_9scan_implILNS1_25lookback_scan_determinismE0ELb0ELb0ES3_PKS7_PS7_S7_ZZZN2at6native31launch_logcumsumexp_cuda_kernelERKNSE_10TensorBaseESI_lENKUlvE_clEvENKUlvE1_clEvEUlS7_S7_E_S7_EEDaPvRmT3_T4_T5_mT6_P12ihipStream_tbENKUlT_T0_E_clISt17integral_constantIbLb1EESY_IbLb0EEEEDaSU_SV_EUlSU_E_NS1_11comp_targetILNS1_3genE10ELNS1_11target_archE1201ELNS1_3gpuE5ELNS1_3repE0EEENS1_30default_config_static_selectorELNS0_4arch9wavefront6targetE1EEEvT1_ ; -- Begin function _ZN7rocprim17ROCPRIM_400000_NS6detail17trampoline_kernelINS0_14default_configENS1_20scan_config_selectorIN3c107complexIdEEEEZZNS1_9scan_implILNS1_25lookback_scan_determinismE0ELb0ELb0ES3_PKS7_PS7_S7_ZZZN2at6native31launch_logcumsumexp_cuda_kernelERKNSE_10TensorBaseESI_lENKUlvE_clEvENKUlvE1_clEvEUlS7_S7_E_S7_EEDaPvRmT3_T4_T5_mT6_P12ihipStream_tbENKUlT_T0_E_clISt17integral_constantIbLb1EESY_IbLb0EEEEDaSU_SV_EUlSU_E_NS1_11comp_targetILNS1_3genE10ELNS1_11target_archE1201ELNS1_3gpuE5ELNS1_3repE0EEENS1_30default_config_static_selectorELNS0_4arch9wavefront6targetE1EEEvT1_
	.p2align	8
	.type	_ZN7rocprim17ROCPRIM_400000_NS6detail17trampoline_kernelINS0_14default_configENS1_20scan_config_selectorIN3c107complexIdEEEEZZNS1_9scan_implILNS1_25lookback_scan_determinismE0ELb0ELb0ES3_PKS7_PS7_S7_ZZZN2at6native31launch_logcumsumexp_cuda_kernelERKNSE_10TensorBaseESI_lENKUlvE_clEvENKUlvE1_clEvEUlS7_S7_E_S7_EEDaPvRmT3_T4_T5_mT6_P12ihipStream_tbENKUlT_T0_E_clISt17integral_constantIbLb1EESY_IbLb0EEEEDaSU_SV_EUlSU_E_NS1_11comp_targetILNS1_3genE10ELNS1_11target_archE1201ELNS1_3gpuE5ELNS1_3repE0EEENS1_30default_config_static_selectorELNS0_4arch9wavefront6targetE1EEEvT1_,@function
_ZN7rocprim17ROCPRIM_400000_NS6detail17trampoline_kernelINS0_14default_configENS1_20scan_config_selectorIN3c107complexIdEEEEZZNS1_9scan_implILNS1_25lookback_scan_determinismE0ELb0ELb0ES3_PKS7_PS7_S7_ZZZN2at6native31launch_logcumsumexp_cuda_kernelERKNSE_10TensorBaseESI_lENKUlvE_clEvENKUlvE1_clEvEUlS7_S7_E_S7_EEDaPvRmT3_T4_T5_mT6_P12ihipStream_tbENKUlT_T0_E_clISt17integral_constantIbLb1EESY_IbLb0EEEEDaSU_SV_EUlSU_E_NS1_11comp_targetILNS1_3genE10ELNS1_11target_archE1201ELNS1_3gpuE5ELNS1_3repE0EEENS1_30default_config_static_selectorELNS0_4arch9wavefront6targetE1EEEvT1_: ; @_ZN7rocprim17ROCPRIM_400000_NS6detail17trampoline_kernelINS0_14default_configENS1_20scan_config_selectorIN3c107complexIdEEEEZZNS1_9scan_implILNS1_25lookback_scan_determinismE0ELb0ELb0ES3_PKS7_PS7_S7_ZZZN2at6native31launch_logcumsumexp_cuda_kernelERKNSE_10TensorBaseESI_lENKUlvE_clEvENKUlvE1_clEvEUlS7_S7_E_S7_EEDaPvRmT3_T4_T5_mT6_P12ihipStream_tbENKUlT_T0_E_clISt17integral_constantIbLb1EESY_IbLb0EEEEDaSU_SV_EUlSU_E_NS1_11comp_targetILNS1_3genE10ELNS1_11target_archE1201ELNS1_3gpuE5ELNS1_3repE0EEENS1_30default_config_static_selectorELNS0_4arch9wavefront6targetE1EEEvT1_
; %bb.0:
	.section	.rodata,"a",@progbits
	.p2align	6, 0x0
	.amdhsa_kernel _ZN7rocprim17ROCPRIM_400000_NS6detail17trampoline_kernelINS0_14default_configENS1_20scan_config_selectorIN3c107complexIdEEEEZZNS1_9scan_implILNS1_25lookback_scan_determinismE0ELb0ELb0ES3_PKS7_PS7_S7_ZZZN2at6native31launch_logcumsumexp_cuda_kernelERKNSE_10TensorBaseESI_lENKUlvE_clEvENKUlvE1_clEvEUlS7_S7_E_S7_EEDaPvRmT3_T4_T5_mT6_P12ihipStream_tbENKUlT_T0_E_clISt17integral_constantIbLb1EESY_IbLb0EEEEDaSU_SV_EUlSU_E_NS1_11comp_targetILNS1_3genE10ELNS1_11target_archE1201ELNS1_3gpuE5ELNS1_3repE0EEENS1_30default_config_static_selectorELNS0_4arch9wavefront6targetE1EEEvT1_
		.amdhsa_group_segment_fixed_size 0
		.amdhsa_private_segment_fixed_size 0
		.amdhsa_kernarg_size 128
		.amdhsa_user_sgpr_count 6
		.amdhsa_user_sgpr_private_segment_buffer 1
		.amdhsa_user_sgpr_dispatch_ptr 0
		.amdhsa_user_sgpr_queue_ptr 0
		.amdhsa_user_sgpr_kernarg_segment_ptr 1
		.amdhsa_user_sgpr_dispatch_id 0
		.amdhsa_user_sgpr_flat_scratch_init 0
		.amdhsa_user_sgpr_kernarg_preload_length 0
		.amdhsa_user_sgpr_kernarg_preload_offset 0
		.amdhsa_user_sgpr_private_segment_size 0
		.amdhsa_uses_dynamic_stack 0
		.amdhsa_system_sgpr_private_segment_wavefront_offset 0
		.amdhsa_system_sgpr_workgroup_id_x 1
		.amdhsa_system_sgpr_workgroup_id_y 0
		.amdhsa_system_sgpr_workgroup_id_z 0
		.amdhsa_system_sgpr_workgroup_info 0
		.amdhsa_system_vgpr_workitem_id 0
		.amdhsa_next_free_vgpr 1
		.amdhsa_next_free_sgpr 0
		.amdhsa_accum_offset 4
		.amdhsa_reserve_vcc 0
		.amdhsa_reserve_flat_scratch 0
		.amdhsa_float_round_mode_32 0
		.amdhsa_float_round_mode_16_64 0
		.amdhsa_float_denorm_mode_32 3
		.amdhsa_float_denorm_mode_16_64 3
		.amdhsa_dx10_clamp 1
		.amdhsa_ieee_mode 1
		.amdhsa_fp16_overflow 0
		.amdhsa_tg_split 0
		.amdhsa_exception_fp_ieee_invalid_op 0
		.amdhsa_exception_fp_denorm_src 0
		.amdhsa_exception_fp_ieee_div_zero 0
		.amdhsa_exception_fp_ieee_overflow 0
		.amdhsa_exception_fp_ieee_underflow 0
		.amdhsa_exception_fp_ieee_inexact 0
		.amdhsa_exception_int_div_zero 0
	.end_amdhsa_kernel
	.section	.text._ZN7rocprim17ROCPRIM_400000_NS6detail17trampoline_kernelINS0_14default_configENS1_20scan_config_selectorIN3c107complexIdEEEEZZNS1_9scan_implILNS1_25lookback_scan_determinismE0ELb0ELb0ES3_PKS7_PS7_S7_ZZZN2at6native31launch_logcumsumexp_cuda_kernelERKNSE_10TensorBaseESI_lENKUlvE_clEvENKUlvE1_clEvEUlS7_S7_E_S7_EEDaPvRmT3_T4_T5_mT6_P12ihipStream_tbENKUlT_T0_E_clISt17integral_constantIbLb1EESY_IbLb0EEEEDaSU_SV_EUlSU_E_NS1_11comp_targetILNS1_3genE10ELNS1_11target_archE1201ELNS1_3gpuE5ELNS1_3repE0EEENS1_30default_config_static_selectorELNS0_4arch9wavefront6targetE1EEEvT1_,"axG",@progbits,_ZN7rocprim17ROCPRIM_400000_NS6detail17trampoline_kernelINS0_14default_configENS1_20scan_config_selectorIN3c107complexIdEEEEZZNS1_9scan_implILNS1_25lookback_scan_determinismE0ELb0ELb0ES3_PKS7_PS7_S7_ZZZN2at6native31launch_logcumsumexp_cuda_kernelERKNSE_10TensorBaseESI_lENKUlvE_clEvENKUlvE1_clEvEUlS7_S7_E_S7_EEDaPvRmT3_T4_T5_mT6_P12ihipStream_tbENKUlT_T0_E_clISt17integral_constantIbLb1EESY_IbLb0EEEEDaSU_SV_EUlSU_E_NS1_11comp_targetILNS1_3genE10ELNS1_11target_archE1201ELNS1_3gpuE5ELNS1_3repE0EEENS1_30default_config_static_selectorELNS0_4arch9wavefront6targetE1EEEvT1_,comdat
.Lfunc_end227:
	.size	_ZN7rocprim17ROCPRIM_400000_NS6detail17trampoline_kernelINS0_14default_configENS1_20scan_config_selectorIN3c107complexIdEEEEZZNS1_9scan_implILNS1_25lookback_scan_determinismE0ELb0ELb0ES3_PKS7_PS7_S7_ZZZN2at6native31launch_logcumsumexp_cuda_kernelERKNSE_10TensorBaseESI_lENKUlvE_clEvENKUlvE1_clEvEUlS7_S7_E_S7_EEDaPvRmT3_T4_T5_mT6_P12ihipStream_tbENKUlT_T0_E_clISt17integral_constantIbLb1EESY_IbLb0EEEEDaSU_SV_EUlSU_E_NS1_11comp_targetILNS1_3genE10ELNS1_11target_archE1201ELNS1_3gpuE5ELNS1_3repE0EEENS1_30default_config_static_selectorELNS0_4arch9wavefront6targetE1EEEvT1_, .Lfunc_end227-_ZN7rocprim17ROCPRIM_400000_NS6detail17trampoline_kernelINS0_14default_configENS1_20scan_config_selectorIN3c107complexIdEEEEZZNS1_9scan_implILNS1_25lookback_scan_determinismE0ELb0ELb0ES3_PKS7_PS7_S7_ZZZN2at6native31launch_logcumsumexp_cuda_kernelERKNSE_10TensorBaseESI_lENKUlvE_clEvENKUlvE1_clEvEUlS7_S7_E_S7_EEDaPvRmT3_T4_T5_mT6_P12ihipStream_tbENKUlT_T0_E_clISt17integral_constantIbLb1EESY_IbLb0EEEEDaSU_SV_EUlSU_E_NS1_11comp_targetILNS1_3genE10ELNS1_11target_archE1201ELNS1_3gpuE5ELNS1_3repE0EEENS1_30default_config_static_selectorELNS0_4arch9wavefront6targetE1EEEvT1_
                                        ; -- End function
	.section	.AMDGPU.csdata,"",@progbits
; Kernel info:
; codeLenInByte = 0
; NumSgprs: 4
; NumVgprs: 0
; NumAgprs: 0
; TotalNumVgprs: 0
; ScratchSize: 0
; MemoryBound: 0
; FloatMode: 240
; IeeeMode: 1
; LDSByteSize: 0 bytes/workgroup (compile time only)
; SGPRBlocks: 0
; VGPRBlocks: 0
; NumSGPRsForWavesPerEU: 4
; NumVGPRsForWavesPerEU: 1
; AccumOffset: 4
; Occupancy: 8
; WaveLimiterHint : 0
; COMPUTE_PGM_RSRC2:SCRATCH_EN: 0
; COMPUTE_PGM_RSRC2:USER_SGPR: 6
; COMPUTE_PGM_RSRC2:TRAP_HANDLER: 0
; COMPUTE_PGM_RSRC2:TGID_X_EN: 1
; COMPUTE_PGM_RSRC2:TGID_Y_EN: 0
; COMPUTE_PGM_RSRC2:TGID_Z_EN: 0
; COMPUTE_PGM_RSRC2:TIDIG_COMP_CNT: 0
; COMPUTE_PGM_RSRC3_GFX90A:ACCUM_OFFSET: 0
; COMPUTE_PGM_RSRC3_GFX90A:TG_SPLIT: 0
	.section	.text._ZN7rocprim17ROCPRIM_400000_NS6detail17trampoline_kernelINS0_14default_configENS1_20scan_config_selectorIN3c107complexIdEEEEZZNS1_9scan_implILNS1_25lookback_scan_determinismE0ELb0ELb0ES3_PKS7_PS7_S7_ZZZN2at6native31launch_logcumsumexp_cuda_kernelERKNSE_10TensorBaseESI_lENKUlvE_clEvENKUlvE1_clEvEUlS7_S7_E_S7_EEDaPvRmT3_T4_T5_mT6_P12ihipStream_tbENKUlT_T0_E_clISt17integral_constantIbLb1EESY_IbLb0EEEEDaSU_SV_EUlSU_E_NS1_11comp_targetILNS1_3genE10ELNS1_11target_archE1200ELNS1_3gpuE4ELNS1_3repE0EEENS1_30default_config_static_selectorELNS0_4arch9wavefront6targetE1EEEvT1_,"axG",@progbits,_ZN7rocprim17ROCPRIM_400000_NS6detail17trampoline_kernelINS0_14default_configENS1_20scan_config_selectorIN3c107complexIdEEEEZZNS1_9scan_implILNS1_25lookback_scan_determinismE0ELb0ELb0ES3_PKS7_PS7_S7_ZZZN2at6native31launch_logcumsumexp_cuda_kernelERKNSE_10TensorBaseESI_lENKUlvE_clEvENKUlvE1_clEvEUlS7_S7_E_S7_EEDaPvRmT3_T4_T5_mT6_P12ihipStream_tbENKUlT_T0_E_clISt17integral_constantIbLb1EESY_IbLb0EEEEDaSU_SV_EUlSU_E_NS1_11comp_targetILNS1_3genE10ELNS1_11target_archE1200ELNS1_3gpuE4ELNS1_3repE0EEENS1_30default_config_static_selectorELNS0_4arch9wavefront6targetE1EEEvT1_,comdat
	.globl	_ZN7rocprim17ROCPRIM_400000_NS6detail17trampoline_kernelINS0_14default_configENS1_20scan_config_selectorIN3c107complexIdEEEEZZNS1_9scan_implILNS1_25lookback_scan_determinismE0ELb0ELb0ES3_PKS7_PS7_S7_ZZZN2at6native31launch_logcumsumexp_cuda_kernelERKNSE_10TensorBaseESI_lENKUlvE_clEvENKUlvE1_clEvEUlS7_S7_E_S7_EEDaPvRmT3_T4_T5_mT6_P12ihipStream_tbENKUlT_T0_E_clISt17integral_constantIbLb1EESY_IbLb0EEEEDaSU_SV_EUlSU_E_NS1_11comp_targetILNS1_3genE10ELNS1_11target_archE1200ELNS1_3gpuE4ELNS1_3repE0EEENS1_30default_config_static_selectorELNS0_4arch9wavefront6targetE1EEEvT1_ ; -- Begin function _ZN7rocprim17ROCPRIM_400000_NS6detail17trampoline_kernelINS0_14default_configENS1_20scan_config_selectorIN3c107complexIdEEEEZZNS1_9scan_implILNS1_25lookback_scan_determinismE0ELb0ELb0ES3_PKS7_PS7_S7_ZZZN2at6native31launch_logcumsumexp_cuda_kernelERKNSE_10TensorBaseESI_lENKUlvE_clEvENKUlvE1_clEvEUlS7_S7_E_S7_EEDaPvRmT3_T4_T5_mT6_P12ihipStream_tbENKUlT_T0_E_clISt17integral_constantIbLb1EESY_IbLb0EEEEDaSU_SV_EUlSU_E_NS1_11comp_targetILNS1_3genE10ELNS1_11target_archE1200ELNS1_3gpuE4ELNS1_3repE0EEENS1_30default_config_static_selectorELNS0_4arch9wavefront6targetE1EEEvT1_
	.p2align	8
	.type	_ZN7rocprim17ROCPRIM_400000_NS6detail17trampoline_kernelINS0_14default_configENS1_20scan_config_selectorIN3c107complexIdEEEEZZNS1_9scan_implILNS1_25lookback_scan_determinismE0ELb0ELb0ES3_PKS7_PS7_S7_ZZZN2at6native31launch_logcumsumexp_cuda_kernelERKNSE_10TensorBaseESI_lENKUlvE_clEvENKUlvE1_clEvEUlS7_S7_E_S7_EEDaPvRmT3_T4_T5_mT6_P12ihipStream_tbENKUlT_T0_E_clISt17integral_constantIbLb1EESY_IbLb0EEEEDaSU_SV_EUlSU_E_NS1_11comp_targetILNS1_3genE10ELNS1_11target_archE1200ELNS1_3gpuE4ELNS1_3repE0EEENS1_30default_config_static_selectorELNS0_4arch9wavefront6targetE1EEEvT1_,@function
_ZN7rocprim17ROCPRIM_400000_NS6detail17trampoline_kernelINS0_14default_configENS1_20scan_config_selectorIN3c107complexIdEEEEZZNS1_9scan_implILNS1_25lookback_scan_determinismE0ELb0ELb0ES3_PKS7_PS7_S7_ZZZN2at6native31launch_logcumsumexp_cuda_kernelERKNSE_10TensorBaseESI_lENKUlvE_clEvENKUlvE1_clEvEUlS7_S7_E_S7_EEDaPvRmT3_T4_T5_mT6_P12ihipStream_tbENKUlT_T0_E_clISt17integral_constantIbLb1EESY_IbLb0EEEEDaSU_SV_EUlSU_E_NS1_11comp_targetILNS1_3genE10ELNS1_11target_archE1200ELNS1_3gpuE4ELNS1_3repE0EEENS1_30default_config_static_selectorELNS0_4arch9wavefront6targetE1EEEvT1_: ; @_ZN7rocprim17ROCPRIM_400000_NS6detail17trampoline_kernelINS0_14default_configENS1_20scan_config_selectorIN3c107complexIdEEEEZZNS1_9scan_implILNS1_25lookback_scan_determinismE0ELb0ELb0ES3_PKS7_PS7_S7_ZZZN2at6native31launch_logcumsumexp_cuda_kernelERKNSE_10TensorBaseESI_lENKUlvE_clEvENKUlvE1_clEvEUlS7_S7_E_S7_EEDaPvRmT3_T4_T5_mT6_P12ihipStream_tbENKUlT_T0_E_clISt17integral_constantIbLb1EESY_IbLb0EEEEDaSU_SV_EUlSU_E_NS1_11comp_targetILNS1_3genE10ELNS1_11target_archE1200ELNS1_3gpuE4ELNS1_3repE0EEENS1_30default_config_static_selectorELNS0_4arch9wavefront6targetE1EEEvT1_
; %bb.0:
	.section	.rodata,"a",@progbits
	.p2align	6, 0x0
	.amdhsa_kernel _ZN7rocprim17ROCPRIM_400000_NS6detail17trampoline_kernelINS0_14default_configENS1_20scan_config_selectorIN3c107complexIdEEEEZZNS1_9scan_implILNS1_25lookback_scan_determinismE0ELb0ELb0ES3_PKS7_PS7_S7_ZZZN2at6native31launch_logcumsumexp_cuda_kernelERKNSE_10TensorBaseESI_lENKUlvE_clEvENKUlvE1_clEvEUlS7_S7_E_S7_EEDaPvRmT3_T4_T5_mT6_P12ihipStream_tbENKUlT_T0_E_clISt17integral_constantIbLb1EESY_IbLb0EEEEDaSU_SV_EUlSU_E_NS1_11comp_targetILNS1_3genE10ELNS1_11target_archE1200ELNS1_3gpuE4ELNS1_3repE0EEENS1_30default_config_static_selectorELNS0_4arch9wavefront6targetE1EEEvT1_
		.amdhsa_group_segment_fixed_size 0
		.amdhsa_private_segment_fixed_size 0
		.amdhsa_kernarg_size 128
		.amdhsa_user_sgpr_count 6
		.amdhsa_user_sgpr_private_segment_buffer 1
		.amdhsa_user_sgpr_dispatch_ptr 0
		.amdhsa_user_sgpr_queue_ptr 0
		.amdhsa_user_sgpr_kernarg_segment_ptr 1
		.amdhsa_user_sgpr_dispatch_id 0
		.amdhsa_user_sgpr_flat_scratch_init 0
		.amdhsa_user_sgpr_kernarg_preload_length 0
		.amdhsa_user_sgpr_kernarg_preload_offset 0
		.amdhsa_user_sgpr_private_segment_size 0
		.amdhsa_uses_dynamic_stack 0
		.amdhsa_system_sgpr_private_segment_wavefront_offset 0
		.amdhsa_system_sgpr_workgroup_id_x 1
		.amdhsa_system_sgpr_workgroup_id_y 0
		.amdhsa_system_sgpr_workgroup_id_z 0
		.amdhsa_system_sgpr_workgroup_info 0
		.amdhsa_system_vgpr_workitem_id 0
		.amdhsa_next_free_vgpr 1
		.amdhsa_next_free_sgpr 0
		.amdhsa_accum_offset 4
		.amdhsa_reserve_vcc 0
		.amdhsa_reserve_flat_scratch 0
		.amdhsa_float_round_mode_32 0
		.amdhsa_float_round_mode_16_64 0
		.amdhsa_float_denorm_mode_32 3
		.amdhsa_float_denorm_mode_16_64 3
		.amdhsa_dx10_clamp 1
		.amdhsa_ieee_mode 1
		.amdhsa_fp16_overflow 0
		.amdhsa_tg_split 0
		.amdhsa_exception_fp_ieee_invalid_op 0
		.amdhsa_exception_fp_denorm_src 0
		.amdhsa_exception_fp_ieee_div_zero 0
		.amdhsa_exception_fp_ieee_overflow 0
		.amdhsa_exception_fp_ieee_underflow 0
		.amdhsa_exception_fp_ieee_inexact 0
		.amdhsa_exception_int_div_zero 0
	.end_amdhsa_kernel
	.section	.text._ZN7rocprim17ROCPRIM_400000_NS6detail17trampoline_kernelINS0_14default_configENS1_20scan_config_selectorIN3c107complexIdEEEEZZNS1_9scan_implILNS1_25lookback_scan_determinismE0ELb0ELb0ES3_PKS7_PS7_S7_ZZZN2at6native31launch_logcumsumexp_cuda_kernelERKNSE_10TensorBaseESI_lENKUlvE_clEvENKUlvE1_clEvEUlS7_S7_E_S7_EEDaPvRmT3_T4_T5_mT6_P12ihipStream_tbENKUlT_T0_E_clISt17integral_constantIbLb1EESY_IbLb0EEEEDaSU_SV_EUlSU_E_NS1_11comp_targetILNS1_3genE10ELNS1_11target_archE1200ELNS1_3gpuE4ELNS1_3repE0EEENS1_30default_config_static_selectorELNS0_4arch9wavefront6targetE1EEEvT1_,"axG",@progbits,_ZN7rocprim17ROCPRIM_400000_NS6detail17trampoline_kernelINS0_14default_configENS1_20scan_config_selectorIN3c107complexIdEEEEZZNS1_9scan_implILNS1_25lookback_scan_determinismE0ELb0ELb0ES3_PKS7_PS7_S7_ZZZN2at6native31launch_logcumsumexp_cuda_kernelERKNSE_10TensorBaseESI_lENKUlvE_clEvENKUlvE1_clEvEUlS7_S7_E_S7_EEDaPvRmT3_T4_T5_mT6_P12ihipStream_tbENKUlT_T0_E_clISt17integral_constantIbLb1EESY_IbLb0EEEEDaSU_SV_EUlSU_E_NS1_11comp_targetILNS1_3genE10ELNS1_11target_archE1200ELNS1_3gpuE4ELNS1_3repE0EEENS1_30default_config_static_selectorELNS0_4arch9wavefront6targetE1EEEvT1_,comdat
.Lfunc_end228:
	.size	_ZN7rocprim17ROCPRIM_400000_NS6detail17trampoline_kernelINS0_14default_configENS1_20scan_config_selectorIN3c107complexIdEEEEZZNS1_9scan_implILNS1_25lookback_scan_determinismE0ELb0ELb0ES3_PKS7_PS7_S7_ZZZN2at6native31launch_logcumsumexp_cuda_kernelERKNSE_10TensorBaseESI_lENKUlvE_clEvENKUlvE1_clEvEUlS7_S7_E_S7_EEDaPvRmT3_T4_T5_mT6_P12ihipStream_tbENKUlT_T0_E_clISt17integral_constantIbLb1EESY_IbLb0EEEEDaSU_SV_EUlSU_E_NS1_11comp_targetILNS1_3genE10ELNS1_11target_archE1200ELNS1_3gpuE4ELNS1_3repE0EEENS1_30default_config_static_selectorELNS0_4arch9wavefront6targetE1EEEvT1_, .Lfunc_end228-_ZN7rocprim17ROCPRIM_400000_NS6detail17trampoline_kernelINS0_14default_configENS1_20scan_config_selectorIN3c107complexIdEEEEZZNS1_9scan_implILNS1_25lookback_scan_determinismE0ELb0ELb0ES3_PKS7_PS7_S7_ZZZN2at6native31launch_logcumsumexp_cuda_kernelERKNSE_10TensorBaseESI_lENKUlvE_clEvENKUlvE1_clEvEUlS7_S7_E_S7_EEDaPvRmT3_T4_T5_mT6_P12ihipStream_tbENKUlT_T0_E_clISt17integral_constantIbLb1EESY_IbLb0EEEEDaSU_SV_EUlSU_E_NS1_11comp_targetILNS1_3genE10ELNS1_11target_archE1200ELNS1_3gpuE4ELNS1_3repE0EEENS1_30default_config_static_selectorELNS0_4arch9wavefront6targetE1EEEvT1_
                                        ; -- End function
	.section	.AMDGPU.csdata,"",@progbits
; Kernel info:
; codeLenInByte = 0
; NumSgprs: 4
; NumVgprs: 0
; NumAgprs: 0
; TotalNumVgprs: 0
; ScratchSize: 0
; MemoryBound: 0
; FloatMode: 240
; IeeeMode: 1
; LDSByteSize: 0 bytes/workgroup (compile time only)
; SGPRBlocks: 0
; VGPRBlocks: 0
; NumSGPRsForWavesPerEU: 4
; NumVGPRsForWavesPerEU: 1
; AccumOffset: 4
; Occupancy: 8
; WaveLimiterHint : 0
; COMPUTE_PGM_RSRC2:SCRATCH_EN: 0
; COMPUTE_PGM_RSRC2:USER_SGPR: 6
; COMPUTE_PGM_RSRC2:TRAP_HANDLER: 0
; COMPUTE_PGM_RSRC2:TGID_X_EN: 1
; COMPUTE_PGM_RSRC2:TGID_Y_EN: 0
; COMPUTE_PGM_RSRC2:TGID_Z_EN: 0
; COMPUTE_PGM_RSRC2:TIDIG_COMP_CNT: 0
; COMPUTE_PGM_RSRC3_GFX90A:ACCUM_OFFSET: 0
; COMPUTE_PGM_RSRC3_GFX90A:TG_SPLIT: 0
	.section	.text._ZN7rocprim17ROCPRIM_400000_NS6detail17trampoline_kernelINS0_14default_configENS1_20scan_config_selectorIN3c107complexIdEEEEZZNS1_9scan_implILNS1_25lookback_scan_determinismE0ELb0ELb0ES3_PKS7_PS7_S7_ZZZN2at6native31launch_logcumsumexp_cuda_kernelERKNSE_10TensorBaseESI_lENKUlvE_clEvENKUlvE1_clEvEUlS7_S7_E_S7_EEDaPvRmT3_T4_T5_mT6_P12ihipStream_tbENKUlT_T0_E_clISt17integral_constantIbLb1EESY_IbLb0EEEEDaSU_SV_EUlSU_E_NS1_11comp_targetILNS1_3genE9ELNS1_11target_archE1100ELNS1_3gpuE3ELNS1_3repE0EEENS1_30default_config_static_selectorELNS0_4arch9wavefront6targetE1EEEvT1_,"axG",@progbits,_ZN7rocprim17ROCPRIM_400000_NS6detail17trampoline_kernelINS0_14default_configENS1_20scan_config_selectorIN3c107complexIdEEEEZZNS1_9scan_implILNS1_25lookback_scan_determinismE0ELb0ELb0ES3_PKS7_PS7_S7_ZZZN2at6native31launch_logcumsumexp_cuda_kernelERKNSE_10TensorBaseESI_lENKUlvE_clEvENKUlvE1_clEvEUlS7_S7_E_S7_EEDaPvRmT3_T4_T5_mT6_P12ihipStream_tbENKUlT_T0_E_clISt17integral_constantIbLb1EESY_IbLb0EEEEDaSU_SV_EUlSU_E_NS1_11comp_targetILNS1_3genE9ELNS1_11target_archE1100ELNS1_3gpuE3ELNS1_3repE0EEENS1_30default_config_static_selectorELNS0_4arch9wavefront6targetE1EEEvT1_,comdat
	.globl	_ZN7rocprim17ROCPRIM_400000_NS6detail17trampoline_kernelINS0_14default_configENS1_20scan_config_selectorIN3c107complexIdEEEEZZNS1_9scan_implILNS1_25lookback_scan_determinismE0ELb0ELb0ES3_PKS7_PS7_S7_ZZZN2at6native31launch_logcumsumexp_cuda_kernelERKNSE_10TensorBaseESI_lENKUlvE_clEvENKUlvE1_clEvEUlS7_S7_E_S7_EEDaPvRmT3_T4_T5_mT6_P12ihipStream_tbENKUlT_T0_E_clISt17integral_constantIbLb1EESY_IbLb0EEEEDaSU_SV_EUlSU_E_NS1_11comp_targetILNS1_3genE9ELNS1_11target_archE1100ELNS1_3gpuE3ELNS1_3repE0EEENS1_30default_config_static_selectorELNS0_4arch9wavefront6targetE1EEEvT1_ ; -- Begin function _ZN7rocprim17ROCPRIM_400000_NS6detail17trampoline_kernelINS0_14default_configENS1_20scan_config_selectorIN3c107complexIdEEEEZZNS1_9scan_implILNS1_25lookback_scan_determinismE0ELb0ELb0ES3_PKS7_PS7_S7_ZZZN2at6native31launch_logcumsumexp_cuda_kernelERKNSE_10TensorBaseESI_lENKUlvE_clEvENKUlvE1_clEvEUlS7_S7_E_S7_EEDaPvRmT3_T4_T5_mT6_P12ihipStream_tbENKUlT_T0_E_clISt17integral_constantIbLb1EESY_IbLb0EEEEDaSU_SV_EUlSU_E_NS1_11comp_targetILNS1_3genE9ELNS1_11target_archE1100ELNS1_3gpuE3ELNS1_3repE0EEENS1_30default_config_static_selectorELNS0_4arch9wavefront6targetE1EEEvT1_
	.p2align	8
	.type	_ZN7rocprim17ROCPRIM_400000_NS6detail17trampoline_kernelINS0_14default_configENS1_20scan_config_selectorIN3c107complexIdEEEEZZNS1_9scan_implILNS1_25lookback_scan_determinismE0ELb0ELb0ES3_PKS7_PS7_S7_ZZZN2at6native31launch_logcumsumexp_cuda_kernelERKNSE_10TensorBaseESI_lENKUlvE_clEvENKUlvE1_clEvEUlS7_S7_E_S7_EEDaPvRmT3_T4_T5_mT6_P12ihipStream_tbENKUlT_T0_E_clISt17integral_constantIbLb1EESY_IbLb0EEEEDaSU_SV_EUlSU_E_NS1_11comp_targetILNS1_3genE9ELNS1_11target_archE1100ELNS1_3gpuE3ELNS1_3repE0EEENS1_30default_config_static_selectorELNS0_4arch9wavefront6targetE1EEEvT1_,@function
_ZN7rocprim17ROCPRIM_400000_NS6detail17trampoline_kernelINS0_14default_configENS1_20scan_config_selectorIN3c107complexIdEEEEZZNS1_9scan_implILNS1_25lookback_scan_determinismE0ELb0ELb0ES3_PKS7_PS7_S7_ZZZN2at6native31launch_logcumsumexp_cuda_kernelERKNSE_10TensorBaseESI_lENKUlvE_clEvENKUlvE1_clEvEUlS7_S7_E_S7_EEDaPvRmT3_T4_T5_mT6_P12ihipStream_tbENKUlT_T0_E_clISt17integral_constantIbLb1EESY_IbLb0EEEEDaSU_SV_EUlSU_E_NS1_11comp_targetILNS1_3genE9ELNS1_11target_archE1100ELNS1_3gpuE3ELNS1_3repE0EEENS1_30default_config_static_selectorELNS0_4arch9wavefront6targetE1EEEvT1_: ; @_ZN7rocprim17ROCPRIM_400000_NS6detail17trampoline_kernelINS0_14default_configENS1_20scan_config_selectorIN3c107complexIdEEEEZZNS1_9scan_implILNS1_25lookback_scan_determinismE0ELb0ELb0ES3_PKS7_PS7_S7_ZZZN2at6native31launch_logcumsumexp_cuda_kernelERKNSE_10TensorBaseESI_lENKUlvE_clEvENKUlvE1_clEvEUlS7_S7_E_S7_EEDaPvRmT3_T4_T5_mT6_P12ihipStream_tbENKUlT_T0_E_clISt17integral_constantIbLb1EESY_IbLb0EEEEDaSU_SV_EUlSU_E_NS1_11comp_targetILNS1_3genE9ELNS1_11target_archE1100ELNS1_3gpuE3ELNS1_3repE0EEENS1_30default_config_static_selectorELNS0_4arch9wavefront6targetE1EEEvT1_
; %bb.0:
	.section	.rodata,"a",@progbits
	.p2align	6, 0x0
	.amdhsa_kernel _ZN7rocprim17ROCPRIM_400000_NS6detail17trampoline_kernelINS0_14default_configENS1_20scan_config_selectorIN3c107complexIdEEEEZZNS1_9scan_implILNS1_25lookback_scan_determinismE0ELb0ELb0ES3_PKS7_PS7_S7_ZZZN2at6native31launch_logcumsumexp_cuda_kernelERKNSE_10TensorBaseESI_lENKUlvE_clEvENKUlvE1_clEvEUlS7_S7_E_S7_EEDaPvRmT3_T4_T5_mT6_P12ihipStream_tbENKUlT_T0_E_clISt17integral_constantIbLb1EESY_IbLb0EEEEDaSU_SV_EUlSU_E_NS1_11comp_targetILNS1_3genE9ELNS1_11target_archE1100ELNS1_3gpuE3ELNS1_3repE0EEENS1_30default_config_static_selectorELNS0_4arch9wavefront6targetE1EEEvT1_
		.amdhsa_group_segment_fixed_size 0
		.amdhsa_private_segment_fixed_size 0
		.amdhsa_kernarg_size 128
		.amdhsa_user_sgpr_count 6
		.amdhsa_user_sgpr_private_segment_buffer 1
		.amdhsa_user_sgpr_dispatch_ptr 0
		.amdhsa_user_sgpr_queue_ptr 0
		.amdhsa_user_sgpr_kernarg_segment_ptr 1
		.amdhsa_user_sgpr_dispatch_id 0
		.amdhsa_user_sgpr_flat_scratch_init 0
		.amdhsa_user_sgpr_kernarg_preload_length 0
		.amdhsa_user_sgpr_kernarg_preload_offset 0
		.amdhsa_user_sgpr_private_segment_size 0
		.amdhsa_uses_dynamic_stack 0
		.amdhsa_system_sgpr_private_segment_wavefront_offset 0
		.amdhsa_system_sgpr_workgroup_id_x 1
		.amdhsa_system_sgpr_workgroup_id_y 0
		.amdhsa_system_sgpr_workgroup_id_z 0
		.amdhsa_system_sgpr_workgroup_info 0
		.amdhsa_system_vgpr_workitem_id 0
		.amdhsa_next_free_vgpr 1
		.amdhsa_next_free_sgpr 0
		.amdhsa_accum_offset 4
		.amdhsa_reserve_vcc 0
		.amdhsa_reserve_flat_scratch 0
		.amdhsa_float_round_mode_32 0
		.amdhsa_float_round_mode_16_64 0
		.amdhsa_float_denorm_mode_32 3
		.amdhsa_float_denorm_mode_16_64 3
		.amdhsa_dx10_clamp 1
		.amdhsa_ieee_mode 1
		.amdhsa_fp16_overflow 0
		.amdhsa_tg_split 0
		.amdhsa_exception_fp_ieee_invalid_op 0
		.amdhsa_exception_fp_denorm_src 0
		.amdhsa_exception_fp_ieee_div_zero 0
		.amdhsa_exception_fp_ieee_overflow 0
		.amdhsa_exception_fp_ieee_underflow 0
		.amdhsa_exception_fp_ieee_inexact 0
		.amdhsa_exception_int_div_zero 0
	.end_amdhsa_kernel
	.section	.text._ZN7rocprim17ROCPRIM_400000_NS6detail17trampoline_kernelINS0_14default_configENS1_20scan_config_selectorIN3c107complexIdEEEEZZNS1_9scan_implILNS1_25lookback_scan_determinismE0ELb0ELb0ES3_PKS7_PS7_S7_ZZZN2at6native31launch_logcumsumexp_cuda_kernelERKNSE_10TensorBaseESI_lENKUlvE_clEvENKUlvE1_clEvEUlS7_S7_E_S7_EEDaPvRmT3_T4_T5_mT6_P12ihipStream_tbENKUlT_T0_E_clISt17integral_constantIbLb1EESY_IbLb0EEEEDaSU_SV_EUlSU_E_NS1_11comp_targetILNS1_3genE9ELNS1_11target_archE1100ELNS1_3gpuE3ELNS1_3repE0EEENS1_30default_config_static_selectorELNS0_4arch9wavefront6targetE1EEEvT1_,"axG",@progbits,_ZN7rocprim17ROCPRIM_400000_NS6detail17trampoline_kernelINS0_14default_configENS1_20scan_config_selectorIN3c107complexIdEEEEZZNS1_9scan_implILNS1_25lookback_scan_determinismE0ELb0ELb0ES3_PKS7_PS7_S7_ZZZN2at6native31launch_logcumsumexp_cuda_kernelERKNSE_10TensorBaseESI_lENKUlvE_clEvENKUlvE1_clEvEUlS7_S7_E_S7_EEDaPvRmT3_T4_T5_mT6_P12ihipStream_tbENKUlT_T0_E_clISt17integral_constantIbLb1EESY_IbLb0EEEEDaSU_SV_EUlSU_E_NS1_11comp_targetILNS1_3genE9ELNS1_11target_archE1100ELNS1_3gpuE3ELNS1_3repE0EEENS1_30default_config_static_selectorELNS0_4arch9wavefront6targetE1EEEvT1_,comdat
.Lfunc_end229:
	.size	_ZN7rocprim17ROCPRIM_400000_NS6detail17trampoline_kernelINS0_14default_configENS1_20scan_config_selectorIN3c107complexIdEEEEZZNS1_9scan_implILNS1_25lookback_scan_determinismE0ELb0ELb0ES3_PKS7_PS7_S7_ZZZN2at6native31launch_logcumsumexp_cuda_kernelERKNSE_10TensorBaseESI_lENKUlvE_clEvENKUlvE1_clEvEUlS7_S7_E_S7_EEDaPvRmT3_T4_T5_mT6_P12ihipStream_tbENKUlT_T0_E_clISt17integral_constantIbLb1EESY_IbLb0EEEEDaSU_SV_EUlSU_E_NS1_11comp_targetILNS1_3genE9ELNS1_11target_archE1100ELNS1_3gpuE3ELNS1_3repE0EEENS1_30default_config_static_selectorELNS0_4arch9wavefront6targetE1EEEvT1_, .Lfunc_end229-_ZN7rocprim17ROCPRIM_400000_NS6detail17trampoline_kernelINS0_14default_configENS1_20scan_config_selectorIN3c107complexIdEEEEZZNS1_9scan_implILNS1_25lookback_scan_determinismE0ELb0ELb0ES3_PKS7_PS7_S7_ZZZN2at6native31launch_logcumsumexp_cuda_kernelERKNSE_10TensorBaseESI_lENKUlvE_clEvENKUlvE1_clEvEUlS7_S7_E_S7_EEDaPvRmT3_T4_T5_mT6_P12ihipStream_tbENKUlT_T0_E_clISt17integral_constantIbLb1EESY_IbLb0EEEEDaSU_SV_EUlSU_E_NS1_11comp_targetILNS1_3genE9ELNS1_11target_archE1100ELNS1_3gpuE3ELNS1_3repE0EEENS1_30default_config_static_selectorELNS0_4arch9wavefront6targetE1EEEvT1_
                                        ; -- End function
	.section	.AMDGPU.csdata,"",@progbits
; Kernel info:
; codeLenInByte = 0
; NumSgprs: 4
; NumVgprs: 0
; NumAgprs: 0
; TotalNumVgprs: 0
; ScratchSize: 0
; MemoryBound: 0
; FloatMode: 240
; IeeeMode: 1
; LDSByteSize: 0 bytes/workgroup (compile time only)
; SGPRBlocks: 0
; VGPRBlocks: 0
; NumSGPRsForWavesPerEU: 4
; NumVGPRsForWavesPerEU: 1
; AccumOffset: 4
; Occupancy: 8
; WaveLimiterHint : 0
; COMPUTE_PGM_RSRC2:SCRATCH_EN: 0
; COMPUTE_PGM_RSRC2:USER_SGPR: 6
; COMPUTE_PGM_RSRC2:TRAP_HANDLER: 0
; COMPUTE_PGM_RSRC2:TGID_X_EN: 1
; COMPUTE_PGM_RSRC2:TGID_Y_EN: 0
; COMPUTE_PGM_RSRC2:TGID_Z_EN: 0
; COMPUTE_PGM_RSRC2:TIDIG_COMP_CNT: 0
; COMPUTE_PGM_RSRC3_GFX90A:ACCUM_OFFSET: 0
; COMPUTE_PGM_RSRC3_GFX90A:TG_SPLIT: 0
	.section	.text._ZN7rocprim17ROCPRIM_400000_NS6detail17trampoline_kernelINS0_14default_configENS1_20scan_config_selectorIN3c107complexIdEEEEZZNS1_9scan_implILNS1_25lookback_scan_determinismE0ELb0ELb0ES3_PKS7_PS7_S7_ZZZN2at6native31launch_logcumsumexp_cuda_kernelERKNSE_10TensorBaseESI_lENKUlvE_clEvENKUlvE1_clEvEUlS7_S7_E_S7_EEDaPvRmT3_T4_T5_mT6_P12ihipStream_tbENKUlT_T0_E_clISt17integral_constantIbLb1EESY_IbLb0EEEEDaSU_SV_EUlSU_E_NS1_11comp_targetILNS1_3genE8ELNS1_11target_archE1030ELNS1_3gpuE2ELNS1_3repE0EEENS1_30default_config_static_selectorELNS0_4arch9wavefront6targetE1EEEvT1_,"axG",@progbits,_ZN7rocprim17ROCPRIM_400000_NS6detail17trampoline_kernelINS0_14default_configENS1_20scan_config_selectorIN3c107complexIdEEEEZZNS1_9scan_implILNS1_25lookback_scan_determinismE0ELb0ELb0ES3_PKS7_PS7_S7_ZZZN2at6native31launch_logcumsumexp_cuda_kernelERKNSE_10TensorBaseESI_lENKUlvE_clEvENKUlvE1_clEvEUlS7_S7_E_S7_EEDaPvRmT3_T4_T5_mT6_P12ihipStream_tbENKUlT_T0_E_clISt17integral_constantIbLb1EESY_IbLb0EEEEDaSU_SV_EUlSU_E_NS1_11comp_targetILNS1_3genE8ELNS1_11target_archE1030ELNS1_3gpuE2ELNS1_3repE0EEENS1_30default_config_static_selectorELNS0_4arch9wavefront6targetE1EEEvT1_,comdat
	.globl	_ZN7rocprim17ROCPRIM_400000_NS6detail17trampoline_kernelINS0_14default_configENS1_20scan_config_selectorIN3c107complexIdEEEEZZNS1_9scan_implILNS1_25lookback_scan_determinismE0ELb0ELb0ES3_PKS7_PS7_S7_ZZZN2at6native31launch_logcumsumexp_cuda_kernelERKNSE_10TensorBaseESI_lENKUlvE_clEvENKUlvE1_clEvEUlS7_S7_E_S7_EEDaPvRmT3_T4_T5_mT6_P12ihipStream_tbENKUlT_T0_E_clISt17integral_constantIbLb1EESY_IbLb0EEEEDaSU_SV_EUlSU_E_NS1_11comp_targetILNS1_3genE8ELNS1_11target_archE1030ELNS1_3gpuE2ELNS1_3repE0EEENS1_30default_config_static_selectorELNS0_4arch9wavefront6targetE1EEEvT1_ ; -- Begin function _ZN7rocprim17ROCPRIM_400000_NS6detail17trampoline_kernelINS0_14default_configENS1_20scan_config_selectorIN3c107complexIdEEEEZZNS1_9scan_implILNS1_25lookback_scan_determinismE0ELb0ELb0ES3_PKS7_PS7_S7_ZZZN2at6native31launch_logcumsumexp_cuda_kernelERKNSE_10TensorBaseESI_lENKUlvE_clEvENKUlvE1_clEvEUlS7_S7_E_S7_EEDaPvRmT3_T4_T5_mT6_P12ihipStream_tbENKUlT_T0_E_clISt17integral_constantIbLb1EESY_IbLb0EEEEDaSU_SV_EUlSU_E_NS1_11comp_targetILNS1_3genE8ELNS1_11target_archE1030ELNS1_3gpuE2ELNS1_3repE0EEENS1_30default_config_static_selectorELNS0_4arch9wavefront6targetE1EEEvT1_
	.p2align	8
	.type	_ZN7rocprim17ROCPRIM_400000_NS6detail17trampoline_kernelINS0_14default_configENS1_20scan_config_selectorIN3c107complexIdEEEEZZNS1_9scan_implILNS1_25lookback_scan_determinismE0ELb0ELb0ES3_PKS7_PS7_S7_ZZZN2at6native31launch_logcumsumexp_cuda_kernelERKNSE_10TensorBaseESI_lENKUlvE_clEvENKUlvE1_clEvEUlS7_S7_E_S7_EEDaPvRmT3_T4_T5_mT6_P12ihipStream_tbENKUlT_T0_E_clISt17integral_constantIbLb1EESY_IbLb0EEEEDaSU_SV_EUlSU_E_NS1_11comp_targetILNS1_3genE8ELNS1_11target_archE1030ELNS1_3gpuE2ELNS1_3repE0EEENS1_30default_config_static_selectorELNS0_4arch9wavefront6targetE1EEEvT1_,@function
_ZN7rocprim17ROCPRIM_400000_NS6detail17trampoline_kernelINS0_14default_configENS1_20scan_config_selectorIN3c107complexIdEEEEZZNS1_9scan_implILNS1_25lookback_scan_determinismE0ELb0ELb0ES3_PKS7_PS7_S7_ZZZN2at6native31launch_logcumsumexp_cuda_kernelERKNSE_10TensorBaseESI_lENKUlvE_clEvENKUlvE1_clEvEUlS7_S7_E_S7_EEDaPvRmT3_T4_T5_mT6_P12ihipStream_tbENKUlT_T0_E_clISt17integral_constantIbLb1EESY_IbLb0EEEEDaSU_SV_EUlSU_E_NS1_11comp_targetILNS1_3genE8ELNS1_11target_archE1030ELNS1_3gpuE2ELNS1_3repE0EEENS1_30default_config_static_selectorELNS0_4arch9wavefront6targetE1EEEvT1_: ; @_ZN7rocprim17ROCPRIM_400000_NS6detail17trampoline_kernelINS0_14default_configENS1_20scan_config_selectorIN3c107complexIdEEEEZZNS1_9scan_implILNS1_25lookback_scan_determinismE0ELb0ELb0ES3_PKS7_PS7_S7_ZZZN2at6native31launch_logcumsumexp_cuda_kernelERKNSE_10TensorBaseESI_lENKUlvE_clEvENKUlvE1_clEvEUlS7_S7_E_S7_EEDaPvRmT3_T4_T5_mT6_P12ihipStream_tbENKUlT_T0_E_clISt17integral_constantIbLb1EESY_IbLb0EEEEDaSU_SV_EUlSU_E_NS1_11comp_targetILNS1_3genE8ELNS1_11target_archE1030ELNS1_3gpuE2ELNS1_3repE0EEENS1_30default_config_static_selectorELNS0_4arch9wavefront6targetE1EEEvT1_
; %bb.0:
	.section	.rodata,"a",@progbits
	.p2align	6, 0x0
	.amdhsa_kernel _ZN7rocprim17ROCPRIM_400000_NS6detail17trampoline_kernelINS0_14default_configENS1_20scan_config_selectorIN3c107complexIdEEEEZZNS1_9scan_implILNS1_25lookback_scan_determinismE0ELb0ELb0ES3_PKS7_PS7_S7_ZZZN2at6native31launch_logcumsumexp_cuda_kernelERKNSE_10TensorBaseESI_lENKUlvE_clEvENKUlvE1_clEvEUlS7_S7_E_S7_EEDaPvRmT3_T4_T5_mT6_P12ihipStream_tbENKUlT_T0_E_clISt17integral_constantIbLb1EESY_IbLb0EEEEDaSU_SV_EUlSU_E_NS1_11comp_targetILNS1_3genE8ELNS1_11target_archE1030ELNS1_3gpuE2ELNS1_3repE0EEENS1_30default_config_static_selectorELNS0_4arch9wavefront6targetE1EEEvT1_
		.amdhsa_group_segment_fixed_size 0
		.amdhsa_private_segment_fixed_size 0
		.amdhsa_kernarg_size 128
		.amdhsa_user_sgpr_count 6
		.amdhsa_user_sgpr_private_segment_buffer 1
		.amdhsa_user_sgpr_dispatch_ptr 0
		.amdhsa_user_sgpr_queue_ptr 0
		.amdhsa_user_sgpr_kernarg_segment_ptr 1
		.amdhsa_user_sgpr_dispatch_id 0
		.amdhsa_user_sgpr_flat_scratch_init 0
		.amdhsa_user_sgpr_kernarg_preload_length 0
		.amdhsa_user_sgpr_kernarg_preload_offset 0
		.amdhsa_user_sgpr_private_segment_size 0
		.amdhsa_uses_dynamic_stack 0
		.amdhsa_system_sgpr_private_segment_wavefront_offset 0
		.amdhsa_system_sgpr_workgroup_id_x 1
		.amdhsa_system_sgpr_workgroup_id_y 0
		.amdhsa_system_sgpr_workgroup_id_z 0
		.amdhsa_system_sgpr_workgroup_info 0
		.amdhsa_system_vgpr_workitem_id 0
		.amdhsa_next_free_vgpr 1
		.amdhsa_next_free_sgpr 0
		.amdhsa_accum_offset 4
		.amdhsa_reserve_vcc 0
		.amdhsa_reserve_flat_scratch 0
		.amdhsa_float_round_mode_32 0
		.amdhsa_float_round_mode_16_64 0
		.amdhsa_float_denorm_mode_32 3
		.amdhsa_float_denorm_mode_16_64 3
		.amdhsa_dx10_clamp 1
		.amdhsa_ieee_mode 1
		.amdhsa_fp16_overflow 0
		.amdhsa_tg_split 0
		.amdhsa_exception_fp_ieee_invalid_op 0
		.amdhsa_exception_fp_denorm_src 0
		.amdhsa_exception_fp_ieee_div_zero 0
		.amdhsa_exception_fp_ieee_overflow 0
		.amdhsa_exception_fp_ieee_underflow 0
		.amdhsa_exception_fp_ieee_inexact 0
		.amdhsa_exception_int_div_zero 0
	.end_amdhsa_kernel
	.section	.text._ZN7rocprim17ROCPRIM_400000_NS6detail17trampoline_kernelINS0_14default_configENS1_20scan_config_selectorIN3c107complexIdEEEEZZNS1_9scan_implILNS1_25lookback_scan_determinismE0ELb0ELb0ES3_PKS7_PS7_S7_ZZZN2at6native31launch_logcumsumexp_cuda_kernelERKNSE_10TensorBaseESI_lENKUlvE_clEvENKUlvE1_clEvEUlS7_S7_E_S7_EEDaPvRmT3_T4_T5_mT6_P12ihipStream_tbENKUlT_T0_E_clISt17integral_constantIbLb1EESY_IbLb0EEEEDaSU_SV_EUlSU_E_NS1_11comp_targetILNS1_3genE8ELNS1_11target_archE1030ELNS1_3gpuE2ELNS1_3repE0EEENS1_30default_config_static_selectorELNS0_4arch9wavefront6targetE1EEEvT1_,"axG",@progbits,_ZN7rocprim17ROCPRIM_400000_NS6detail17trampoline_kernelINS0_14default_configENS1_20scan_config_selectorIN3c107complexIdEEEEZZNS1_9scan_implILNS1_25lookback_scan_determinismE0ELb0ELb0ES3_PKS7_PS7_S7_ZZZN2at6native31launch_logcumsumexp_cuda_kernelERKNSE_10TensorBaseESI_lENKUlvE_clEvENKUlvE1_clEvEUlS7_S7_E_S7_EEDaPvRmT3_T4_T5_mT6_P12ihipStream_tbENKUlT_T0_E_clISt17integral_constantIbLb1EESY_IbLb0EEEEDaSU_SV_EUlSU_E_NS1_11comp_targetILNS1_3genE8ELNS1_11target_archE1030ELNS1_3gpuE2ELNS1_3repE0EEENS1_30default_config_static_selectorELNS0_4arch9wavefront6targetE1EEEvT1_,comdat
.Lfunc_end230:
	.size	_ZN7rocprim17ROCPRIM_400000_NS6detail17trampoline_kernelINS0_14default_configENS1_20scan_config_selectorIN3c107complexIdEEEEZZNS1_9scan_implILNS1_25lookback_scan_determinismE0ELb0ELb0ES3_PKS7_PS7_S7_ZZZN2at6native31launch_logcumsumexp_cuda_kernelERKNSE_10TensorBaseESI_lENKUlvE_clEvENKUlvE1_clEvEUlS7_S7_E_S7_EEDaPvRmT3_T4_T5_mT6_P12ihipStream_tbENKUlT_T0_E_clISt17integral_constantIbLb1EESY_IbLb0EEEEDaSU_SV_EUlSU_E_NS1_11comp_targetILNS1_3genE8ELNS1_11target_archE1030ELNS1_3gpuE2ELNS1_3repE0EEENS1_30default_config_static_selectorELNS0_4arch9wavefront6targetE1EEEvT1_, .Lfunc_end230-_ZN7rocprim17ROCPRIM_400000_NS6detail17trampoline_kernelINS0_14default_configENS1_20scan_config_selectorIN3c107complexIdEEEEZZNS1_9scan_implILNS1_25lookback_scan_determinismE0ELb0ELb0ES3_PKS7_PS7_S7_ZZZN2at6native31launch_logcumsumexp_cuda_kernelERKNSE_10TensorBaseESI_lENKUlvE_clEvENKUlvE1_clEvEUlS7_S7_E_S7_EEDaPvRmT3_T4_T5_mT6_P12ihipStream_tbENKUlT_T0_E_clISt17integral_constantIbLb1EESY_IbLb0EEEEDaSU_SV_EUlSU_E_NS1_11comp_targetILNS1_3genE8ELNS1_11target_archE1030ELNS1_3gpuE2ELNS1_3repE0EEENS1_30default_config_static_selectorELNS0_4arch9wavefront6targetE1EEEvT1_
                                        ; -- End function
	.section	.AMDGPU.csdata,"",@progbits
; Kernel info:
; codeLenInByte = 0
; NumSgprs: 4
; NumVgprs: 0
; NumAgprs: 0
; TotalNumVgprs: 0
; ScratchSize: 0
; MemoryBound: 0
; FloatMode: 240
; IeeeMode: 1
; LDSByteSize: 0 bytes/workgroup (compile time only)
; SGPRBlocks: 0
; VGPRBlocks: 0
; NumSGPRsForWavesPerEU: 4
; NumVGPRsForWavesPerEU: 1
; AccumOffset: 4
; Occupancy: 8
; WaveLimiterHint : 0
; COMPUTE_PGM_RSRC2:SCRATCH_EN: 0
; COMPUTE_PGM_RSRC2:USER_SGPR: 6
; COMPUTE_PGM_RSRC2:TRAP_HANDLER: 0
; COMPUTE_PGM_RSRC2:TGID_X_EN: 1
; COMPUTE_PGM_RSRC2:TGID_Y_EN: 0
; COMPUTE_PGM_RSRC2:TGID_Z_EN: 0
; COMPUTE_PGM_RSRC2:TIDIG_COMP_CNT: 0
; COMPUTE_PGM_RSRC3_GFX90A:ACCUM_OFFSET: 0
; COMPUTE_PGM_RSRC3_GFX90A:TG_SPLIT: 0
	.section	.text._ZN7rocprim17ROCPRIM_400000_NS6detail17trampoline_kernelINS0_14default_configENS1_20scan_config_selectorIN3c107complexIdEEEEZZNS1_9scan_implILNS1_25lookback_scan_determinismE0ELb0ELb0ES3_PKS7_PS7_S7_ZZZN2at6native31launch_logcumsumexp_cuda_kernelERKNSE_10TensorBaseESI_lENKUlvE_clEvENKUlvE1_clEvEUlS7_S7_E_S7_EEDaPvRmT3_T4_T5_mT6_P12ihipStream_tbENKUlT_T0_E_clISt17integral_constantIbLb1EESY_IbLb0EEEEDaSU_SV_EUlSU_E0_NS1_11comp_targetILNS1_3genE0ELNS1_11target_archE4294967295ELNS1_3gpuE0ELNS1_3repE0EEENS1_30default_config_static_selectorELNS0_4arch9wavefront6targetE1EEEvT1_,"axG",@progbits,_ZN7rocprim17ROCPRIM_400000_NS6detail17trampoline_kernelINS0_14default_configENS1_20scan_config_selectorIN3c107complexIdEEEEZZNS1_9scan_implILNS1_25lookback_scan_determinismE0ELb0ELb0ES3_PKS7_PS7_S7_ZZZN2at6native31launch_logcumsumexp_cuda_kernelERKNSE_10TensorBaseESI_lENKUlvE_clEvENKUlvE1_clEvEUlS7_S7_E_S7_EEDaPvRmT3_T4_T5_mT6_P12ihipStream_tbENKUlT_T0_E_clISt17integral_constantIbLb1EESY_IbLb0EEEEDaSU_SV_EUlSU_E0_NS1_11comp_targetILNS1_3genE0ELNS1_11target_archE4294967295ELNS1_3gpuE0ELNS1_3repE0EEENS1_30default_config_static_selectorELNS0_4arch9wavefront6targetE1EEEvT1_,comdat
	.globl	_ZN7rocprim17ROCPRIM_400000_NS6detail17trampoline_kernelINS0_14default_configENS1_20scan_config_selectorIN3c107complexIdEEEEZZNS1_9scan_implILNS1_25lookback_scan_determinismE0ELb0ELb0ES3_PKS7_PS7_S7_ZZZN2at6native31launch_logcumsumexp_cuda_kernelERKNSE_10TensorBaseESI_lENKUlvE_clEvENKUlvE1_clEvEUlS7_S7_E_S7_EEDaPvRmT3_T4_T5_mT6_P12ihipStream_tbENKUlT_T0_E_clISt17integral_constantIbLb1EESY_IbLb0EEEEDaSU_SV_EUlSU_E0_NS1_11comp_targetILNS1_3genE0ELNS1_11target_archE4294967295ELNS1_3gpuE0ELNS1_3repE0EEENS1_30default_config_static_selectorELNS0_4arch9wavefront6targetE1EEEvT1_ ; -- Begin function _ZN7rocprim17ROCPRIM_400000_NS6detail17trampoline_kernelINS0_14default_configENS1_20scan_config_selectorIN3c107complexIdEEEEZZNS1_9scan_implILNS1_25lookback_scan_determinismE0ELb0ELb0ES3_PKS7_PS7_S7_ZZZN2at6native31launch_logcumsumexp_cuda_kernelERKNSE_10TensorBaseESI_lENKUlvE_clEvENKUlvE1_clEvEUlS7_S7_E_S7_EEDaPvRmT3_T4_T5_mT6_P12ihipStream_tbENKUlT_T0_E_clISt17integral_constantIbLb1EESY_IbLb0EEEEDaSU_SV_EUlSU_E0_NS1_11comp_targetILNS1_3genE0ELNS1_11target_archE4294967295ELNS1_3gpuE0ELNS1_3repE0EEENS1_30default_config_static_selectorELNS0_4arch9wavefront6targetE1EEEvT1_
	.p2align	8
	.type	_ZN7rocprim17ROCPRIM_400000_NS6detail17trampoline_kernelINS0_14default_configENS1_20scan_config_selectorIN3c107complexIdEEEEZZNS1_9scan_implILNS1_25lookback_scan_determinismE0ELb0ELb0ES3_PKS7_PS7_S7_ZZZN2at6native31launch_logcumsumexp_cuda_kernelERKNSE_10TensorBaseESI_lENKUlvE_clEvENKUlvE1_clEvEUlS7_S7_E_S7_EEDaPvRmT3_T4_T5_mT6_P12ihipStream_tbENKUlT_T0_E_clISt17integral_constantIbLb1EESY_IbLb0EEEEDaSU_SV_EUlSU_E0_NS1_11comp_targetILNS1_3genE0ELNS1_11target_archE4294967295ELNS1_3gpuE0ELNS1_3repE0EEENS1_30default_config_static_selectorELNS0_4arch9wavefront6targetE1EEEvT1_,@function
_ZN7rocprim17ROCPRIM_400000_NS6detail17trampoline_kernelINS0_14default_configENS1_20scan_config_selectorIN3c107complexIdEEEEZZNS1_9scan_implILNS1_25lookback_scan_determinismE0ELb0ELb0ES3_PKS7_PS7_S7_ZZZN2at6native31launch_logcumsumexp_cuda_kernelERKNSE_10TensorBaseESI_lENKUlvE_clEvENKUlvE1_clEvEUlS7_S7_E_S7_EEDaPvRmT3_T4_T5_mT6_P12ihipStream_tbENKUlT_T0_E_clISt17integral_constantIbLb1EESY_IbLb0EEEEDaSU_SV_EUlSU_E0_NS1_11comp_targetILNS1_3genE0ELNS1_11target_archE4294967295ELNS1_3gpuE0ELNS1_3repE0EEENS1_30default_config_static_selectorELNS0_4arch9wavefront6targetE1EEEvT1_: ; @_ZN7rocprim17ROCPRIM_400000_NS6detail17trampoline_kernelINS0_14default_configENS1_20scan_config_selectorIN3c107complexIdEEEEZZNS1_9scan_implILNS1_25lookback_scan_determinismE0ELb0ELb0ES3_PKS7_PS7_S7_ZZZN2at6native31launch_logcumsumexp_cuda_kernelERKNSE_10TensorBaseESI_lENKUlvE_clEvENKUlvE1_clEvEUlS7_S7_E_S7_EEDaPvRmT3_T4_T5_mT6_P12ihipStream_tbENKUlT_T0_E_clISt17integral_constantIbLb1EESY_IbLb0EEEEDaSU_SV_EUlSU_E0_NS1_11comp_targetILNS1_3genE0ELNS1_11target_archE4294967295ELNS1_3gpuE0ELNS1_3repE0EEENS1_30default_config_static_selectorELNS0_4arch9wavefront6targetE1EEEvT1_
; %bb.0:
	.section	.rodata,"a",@progbits
	.p2align	6, 0x0
	.amdhsa_kernel _ZN7rocprim17ROCPRIM_400000_NS6detail17trampoline_kernelINS0_14default_configENS1_20scan_config_selectorIN3c107complexIdEEEEZZNS1_9scan_implILNS1_25lookback_scan_determinismE0ELb0ELb0ES3_PKS7_PS7_S7_ZZZN2at6native31launch_logcumsumexp_cuda_kernelERKNSE_10TensorBaseESI_lENKUlvE_clEvENKUlvE1_clEvEUlS7_S7_E_S7_EEDaPvRmT3_T4_T5_mT6_P12ihipStream_tbENKUlT_T0_E_clISt17integral_constantIbLb1EESY_IbLb0EEEEDaSU_SV_EUlSU_E0_NS1_11comp_targetILNS1_3genE0ELNS1_11target_archE4294967295ELNS1_3gpuE0ELNS1_3repE0EEENS1_30default_config_static_selectorELNS0_4arch9wavefront6targetE1EEEvT1_
		.amdhsa_group_segment_fixed_size 0
		.amdhsa_private_segment_fixed_size 0
		.amdhsa_kernarg_size 48
		.amdhsa_user_sgpr_count 6
		.amdhsa_user_sgpr_private_segment_buffer 1
		.amdhsa_user_sgpr_dispatch_ptr 0
		.amdhsa_user_sgpr_queue_ptr 0
		.amdhsa_user_sgpr_kernarg_segment_ptr 1
		.amdhsa_user_sgpr_dispatch_id 0
		.amdhsa_user_sgpr_flat_scratch_init 0
		.amdhsa_user_sgpr_kernarg_preload_length 0
		.amdhsa_user_sgpr_kernarg_preload_offset 0
		.amdhsa_user_sgpr_private_segment_size 0
		.amdhsa_uses_dynamic_stack 0
		.amdhsa_system_sgpr_private_segment_wavefront_offset 0
		.amdhsa_system_sgpr_workgroup_id_x 1
		.amdhsa_system_sgpr_workgroup_id_y 0
		.amdhsa_system_sgpr_workgroup_id_z 0
		.amdhsa_system_sgpr_workgroup_info 0
		.amdhsa_system_vgpr_workitem_id 0
		.amdhsa_next_free_vgpr 1
		.amdhsa_next_free_sgpr 0
		.amdhsa_accum_offset 4
		.amdhsa_reserve_vcc 0
		.amdhsa_reserve_flat_scratch 0
		.amdhsa_float_round_mode_32 0
		.amdhsa_float_round_mode_16_64 0
		.amdhsa_float_denorm_mode_32 3
		.amdhsa_float_denorm_mode_16_64 3
		.amdhsa_dx10_clamp 1
		.amdhsa_ieee_mode 1
		.amdhsa_fp16_overflow 0
		.amdhsa_tg_split 0
		.amdhsa_exception_fp_ieee_invalid_op 0
		.amdhsa_exception_fp_denorm_src 0
		.amdhsa_exception_fp_ieee_div_zero 0
		.amdhsa_exception_fp_ieee_overflow 0
		.amdhsa_exception_fp_ieee_underflow 0
		.amdhsa_exception_fp_ieee_inexact 0
		.amdhsa_exception_int_div_zero 0
	.end_amdhsa_kernel
	.section	.text._ZN7rocprim17ROCPRIM_400000_NS6detail17trampoline_kernelINS0_14default_configENS1_20scan_config_selectorIN3c107complexIdEEEEZZNS1_9scan_implILNS1_25lookback_scan_determinismE0ELb0ELb0ES3_PKS7_PS7_S7_ZZZN2at6native31launch_logcumsumexp_cuda_kernelERKNSE_10TensorBaseESI_lENKUlvE_clEvENKUlvE1_clEvEUlS7_S7_E_S7_EEDaPvRmT3_T4_T5_mT6_P12ihipStream_tbENKUlT_T0_E_clISt17integral_constantIbLb1EESY_IbLb0EEEEDaSU_SV_EUlSU_E0_NS1_11comp_targetILNS1_3genE0ELNS1_11target_archE4294967295ELNS1_3gpuE0ELNS1_3repE0EEENS1_30default_config_static_selectorELNS0_4arch9wavefront6targetE1EEEvT1_,"axG",@progbits,_ZN7rocprim17ROCPRIM_400000_NS6detail17trampoline_kernelINS0_14default_configENS1_20scan_config_selectorIN3c107complexIdEEEEZZNS1_9scan_implILNS1_25lookback_scan_determinismE0ELb0ELb0ES3_PKS7_PS7_S7_ZZZN2at6native31launch_logcumsumexp_cuda_kernelERKNSE_10TensorBaseESI_lENKUlvE_clEvENKUlvE1_clEvEUlS7_S7_E_S7_EEDaPvRmT3_T4_T5_mT6_P12ihipStream_tbENKUlT_T0_E_clISt17integral_constantIbLb1EESY_IbLb0EEEEDaSU_SV_EUlSU_E0_NS1_11comp_targetILNS1_3genE0ELNS1_11target_archE4294967295ELNS1_3gpuE0ELNS1_3repE0EEENS1_30default_config_static_selectorELNS0_4arch9wavefront6targetE1EEEvT1_,comdat
.Lfunc_end231:
	.size	_ZN7rocprim17ROCPRIM_400000_NS6detail17trampoline_kernelINS0_14default_configENS1_20scan_config_selectorIN3c107complexIdEEEEZZNS1_9scan_implILNS1_25lookback_scan_determinismE0ELb0ELb0ES3_PKS7_PS7_S7_ZZZN2at6native31launch_logcumsumexp_cuda_kernelERKNSE_10TensorBaseESI_lENKUlvE_clEvENKUlvE1_clEvEUlS7_S7_E_S7_EEDaPvRmT3_T4_T5_mT6_P12ihipStream_tbENKUlT_T0_E_clISt17integral_constantIbLb1EESY_IbLb0EEEEDaSU_SV_EUlSU_E0_NS1_11comp_targetILNS1_3genE0ELNS1_11target_archE4294967295ELNS1_3gpuE0ELNS1_3repE0EEENS1_30default_config_static_selectorELNS0_4arch9wavefront6targetE1EEEvT1_, .Lfunc_end231-_ZN7rocprim17ROCPRIM_400000_NS6detail17trampoline_kernelINS0_14default_configENS1_20scan_config_selectorIN3c107complexIdEEEEZZNS1_9scan_implILNS1_25lookback_scan_determinismE0ELb0ELb0ES3_PKS7_PS7_S7_ZZZN2at6native31launch_logcumsumexp_cuda_kernelERKNSE_10TensorBaseESI_lENKUlvE_clEvENKUlvE1_clEvEUlS7_S7_E_S7_EEDaPvRmT3_T4_T5_mT6_P12ihipStream_tbENKUlT_T0_E_clISt17integral_constantIbLb1EESY_IbLb0EEEEDaSU_SV_EUlSU_E0_NS1_11comp_targetILNS1_3genE0ELNS1_11target_archE4294967295ELNS1_3gpuE0ELNS1_3repE0EEENS1_30default_config_static_selectorELNS0_4arch9wavefront6targetE1EEEvT1_
                                        ; -- End function
	.section	.AMDGPU.csdata,"",@progbits
; Kernel info:
; codeLenInByte = 0
; NumSgprs: 4
; NumVgprs: 0
; NumAgprs: 0
; TotalNumVgprs: 0
; ScratchSize: 0
; MemoryBound: 0
; FloatMode: 240
; IeeeMode: 1
; LDSByteSize: 0 bytes/workgroup (compile time only)
; SGPRBlocks: 0
; VGPRBlocks: 0
; NumSGPRsForWavesPerEU: 4
; NumVGPRsForWavesPerEU: 1
; AccumOffset: 4
; Occupancy: 8
; WaveLimiterHint : 0
; COMPUTE_PGM_RSRC2:SCRATCH_EN: 0
; COMPUTE_PGM_RSRC2:USER_SGPR: 6
; COMPUTE_PGM_RSRC2:TRAP_HANDLER: 0
; COMPUTE_PGM_RSRC2:TGID_X_EN: 1
; COMPUTE_PGM_RSRC2:TGID_Y_EN: 0
; COMPUTE_PGM_RSRC2:TGID_Z_EN: 0
; COMPUTE_PGM_RSRC2:TIDIG_COMP_CNT: 0
; COMPUTE_PGM_RSRC3_GFX90A:ACCUM_OFFSET: 0
; COMPUTE_PGM_RSRC3_GFX90A:TG_SPLIT: 0
	.section	.text._ZN7rocprim17ROCPRIM_400000_NS6detail17trampoline_kernelINS0_14default_configENS1_20scan_config_selectorIN3c107complexIdEEEEZZNS1_9scan_implILNS1_25lookback_scan_determinismE0ELb0ELb0ES3_PKS7_PS7_S7_ZZZN2at6native31launch_logcumsumexp_cuda_kernelERKNSE_10TensorBaseESI_lENKUlvE_clEvENKUlvE1_clEvEUlS7_S7_E_S7_EEDaPvRmT3_T4_T5_mT6_P12ihipStream_tbENKUlT_T0_E_clISt17integral_constantIbLb1EESY_IbLb0EEEEDaSU_SV_EUlSU_E0_NS1_11comp_targetILNS1_3genE5ELNS1_11target_archE942ELNS1_3gpuE9ELNS1_3repE0EEENS1_30default_config_static_selectorELNS0_4arch9wavefront6targetE1EEEvT1_,"axG",@progbits,_ZN7rocprim17ROCPRIM_400000_NS6detail17trampoline_kernelINS0_14default_configENS1_20scan_config_selectorIN3c107complexIdEEEEZZNS1_9scan_implILNS1_25lookback_scan_determinismE0ELb0ELb0ES3_PKS7_PS7_S7_ZZZN2at6native31launch_logcumsumexp_cuda_kernelERKNSE_10TensorBaseESI_lENKUlvE_clEvENKUlvE1_clEvEUlS7_S7_E_S7_EEDaPvRmT3_T4_T5_mT6_P12ihipStream_tbENKUlT_T0_E_clISt17integral_constantIbLb1EESY_IbLb0EEEEDaSU_SV_EUlSU_E0_NS1_11comp_targetILNS1_3genE5ELNS1_11target_archE942ELNS1_3gpuE9ELNS1_3repE0EEENS1_30default_config_static_selectorELNS0_4arch9wavefront6targetE1EEEvT1_,comdat
	.globl	_ZN7rocprim17ROCPRIM_400000_NS6detail17trampoline_kernelINS0_14default_configENS1_20scan_config_selectorIN3c107complexIdEEEEZZNS1_9scan_implILNS1_25lookback_scan_determinismE0ELb0ELb0ES3_PKS7_PS7_S7_ZZZN2at6native31launch_logcumsumexp_cuda_kernelERKNSE_10TensorBaseESI_lENKUlvE_clEvENKUlvE1_clEvEUlS7_S7_E_S7_EEDaPvRmT3_T4_T5_mT6_P12ihipStream_tbENKUlT_T0_E_clISt17integral_constantIbLb1EESY_IbLb0EEEEDaSU_SV_EUlSU_E0_NS1_11comp_targetILNS1_3genE5ELNS1_11target_archE942ELNS1_3gpuE9ELNS1_3repE0EEENS1_30default_config_static_selectorELNS0_4arch9wavefront6targetE1EEEvT1_ ; -- Begin function _ZN7rocprim17ROCPRIM_400000_NS6detail17trampoline_kernelINS0_14default_configENS1_20scan_config_selectorIN3c107complexIdEEEEZZNS1_9scan_implILNS1_25lookback_scan_determinismE0ELb0ELb0ES3_PKS7_PS7_S7_ZZZN2at6native31launch_logcumsumexp_cuda_kernelERKNSE_10TensorBaseESI_lENKUlvE_clEvENKUlvE1_clEvEUlS7_S7_E_S7_EEDaPvRmT3_T4_T5_mT6_P12ihipStream_tbENKUlT_T0_E_clISt17integral_constantIbLb1EESY_IbLb0EEEEDaSU_SV_EUlSU_E0_NS1_11comp_targetILNS1_3genE5ELNS1_11target_archE942ELNS1_3gpuE9ELNS1_3repE0EEENS1_30default_config_static_selectorELNS0_4arch9wavefront6targetE1EEEvT1_
	.p2align	8
	.type	_ZN7rocprim17ROCPRIM_400000_NS6detail17trampoline_kernelINS0_14default_configENS1_20scan_config_selectorIN3c107complexIdEEEEZZNS1_9scan_implILNS1_25lookback_scan_determinismE0ELb0ELb0ES3_PKS7_PS7_S7_ZZZN2at6native31launch_logcumsumexp_cuda_kernelERKNSE_10TensorBaseESI_lENKUlvE_clEvENKUlvE1_clEvEUlS7_S7_E_S7_EEDaPvRmT3_T4_T5_mT6_P12ihipStream_tbENKUlT_T0_E_clISt17integral_constantIbLb1EESY_IbLb0EEEEDaSU_SV_EUlSU_E0_NS1_11comp_targetILNS1_3genE5ELNS1_11target_archE942ELNS1_3gpuE9ELNS1_3repE0EEENS1_30default_config_static_selectorELNS0_4arch9wavefront6targetE1EEEvT1_,@function
_ZN7rocprim17ROCPRIM_400000_NS6detail17trampoline_kernelINS0_14default_configENS1_20scan_config_selectorIN3c107complexIdEEEEZZNS1_9scan_implILNS1_25lookback_scan_determinismE0ELb0ELb0ES3_PKS7_PS7_S7_ZZZN2at6native31launch_logcumsumexp_cuda_kernelERKNSE_10TensorBaseESI_lENKUlvE_clEvENKUlvE1_clEvEUlS7_S7_E_S7_EEDaPvRmT3_T4_T5_mT6_P12ihipStream_tbENKUlT_T0_E_clISt17integral_constantIbLb1EESY_IbLb0EEEEDaSU_SV_EUlSU_E0_NS1_11comp_targetILNS1_3genE5ELNS1_11target_archE942ELNS1_3gpuE9ELNS1_3repE0EEENS1_30default_config_static_selectorELNS0_4arch9wavefront6targetE1EEEvT1_: ; @_ZN7rocprim17ROCPRIM_400000_NS6detail17trampoline_kernelINS0_14default_configENS1_20scan_config_selectorIN3c107complexIdEEEEZZNS1_9scan_implILNS1_25lookback_scan_determinismE0ELb0ELb0ES3_PKS7_PS7_S7_ZZZN2at6native31launch_logcumsumexp_cuda_kernelERKNSE_10TensorBaseESI_lENKUlvE_clEvENKUlvE1_clEvEUlS7_S7_E_S7_EEDaPvRmT3_T4_T5_mT6_P12ihipStream_tbENKUlT_T0_E_clISt17integral_constantIbLb1EESY_IbLb0EEEEDaSU_SV_EUlSU_E0_NS1_11comp_targetILNS1_3genE5ELNS1_11target_archE942ELNS1_3gpuE9ELNS1_3repE0EEENS1_30default_config_static_selectorELNS0_4arch9wavefront6targetE1EEEvT1_
; %bb.0:
	.section	.rodata,"a",@progbits
	.p2align	6, 0x0
	.amdhsa_kernel _ZN7rocprim17ROCPRIM_400000_NS6detail17trampoline_kernelINS0_14default_configENS1_20scan_config_selectorIN3c107complexIdEEEEZZNS1_9scan_implILNS1_25lookback_scan_determinismE0ELb0ELb0ES3_PKS7_PS7_S7_ZZZN2at6native31launch_logcumsumexp_cuda_kernelERKNSE_10TensorBaseESI_lENKUlvE_clEvENKUlvE1_clEvEUlS7_S7_E_S7_EEDaPvRmT3_T4_T5_mT6_P12ihipStream_tbENKUlT_T0_E_clISt17integral_constantIbLb1EESY_IbLb0EEEEDaSU_SV_EUlSU_E0_NS1_11comp_targetILNS1_3genE5ELNS1_11target_archE942ELNS1_3gpuE9ELNS1_3repE0EEENS1_30default_config_static_selectorELNS0_4arch9wavefront6targetE1EEEvT1_
		.amdhsa_group_segment_fixed_size 0
		.amdhsa_private_segment_fixed_size 0
		.amdhsa_kernarg_size 48
		.amdhsa_user_sgpr_count 6
		.amdhsa_user_sgpr_private_segment_buffer 1
		.amdhsa_user_sgpr_dispatch_ptr 0
		.amdhsa_user_sgpr_queue_ptr 0
		.amdhsa_user_sgpr_kernarg_segment_ptr 1
		.amdhsa_user_sgpr_dispatch_id 0
		.amdhsa_user_sgpr_flat_scratch_init 0
		.amdhsa_user_sgpr_kernarg_preload_length 0
		.amdhsa_user_sgpr_kernarg_preload_offset 0
		.amdhsa_user_sgpr_private_segment_size 0
		.amdhsa_uses_dynamic_stack 0
		.amdhsa_system_sgpr_private_segment_wavefront_offset 0
		.amdhsa_system_sgpr_workgroup_id_x 1
		.amdhsa_system_sgpr_workgroup_id_y 0
		.amdhsa_system_sgpr_workgroup_id_z 0
		.amdhsa_system_sgpr_workgroup_info 0
		.amdhsa_system_vgpr_workitem_id 0
		.amdhsa_next_free_vgpr 1
		.amdhsa_next_free_sgpr 0
		.amdhsa_accum_offset 4
		.amdhsa_reserve_vcc 0
		.amdhsa_reserve_flat_scratch 0
		.amdhsa_float_round_mode_32 0
		.amdhsa_float_round_mode_16_64 0
		.amdhsa_float_denorm_mode_32 3
		.amdhsa_float_denorm_mode_16_64 3
		.amdhsa_dx10_clamp 1
		.amdhsa_ieee_mode 1
		.amdhsa_fp16_overflow 0
		.amdhsa_tg_split 0
		.amdhsa_exception_fp_ieee_invalid_op 0
		.amdhsa_exception_fp_denorm_src 0
		.amdhsa_exception_fp_ieee_div_zero 0
		.amdhsa_exception_fp_ieee_overflow 0
		.amdhsa_exception_fp_ieee_underflow 0
		.amdhsa_exception_fp_ieee_inexact 0
		.amdhsa_exception_int_div_zero 0
	.end_amdhsa_kernel
	.section	.text._ZN7rocprim17ROCPRIM_400000_NS6detail17trampoline_kernelINS0_14default_configENS1_20scan_config_selectorIN3c107complexIdEEEEZZNS1_9scan_implILNS1_25lookback_scan_determinismE0ELb0ELb0ES3_PKS7_PS7_S7_ZZZN2at6native31launch_logcumsumexp_cuda_kernelERKNSE_10TensorBaseESI_lENKUlvE_clEvENKUlvE1_clEvEUlS7_S7_E_S7_EEDaPvRmT3_T4_T5_mT6_P12ihipStream_tbENKUlT_T0_E_clISt17integral_constantIbLb1EESY_IbLb0EEEEDaSU_SV_EUlSU_E0_NS1_11comp_targetILNS1_3genE5ELNS1_11target_archE942ELNS1_3gpuE9ELNS1_3repE0EEENS1_30default_config_static_selectorELNS0_4arch9wavefront6targetE1EEEvT1_,"axG",@progbits,_ZN7rocprim17ROCPRIM_400000_NS6detail17trampoline_kernelINS0_14default_configENS1_20scan_config_selectorIN3c107complexIdEEEEZZNS1_9scan_implILNS1_25lookback_scan_determinismE0ELb0ELb0ES3_PKS7_PS7_S7_ZZZN2at6native31launch_logcumsumexp_cuda_kernelERKNSE_10TensorBaseESI_lENKUlvE_clEvENKUlvE1_clEvEUlS7_S7_E_S7_EEDaPvRmT3_T4_T5_mT6_P12ihipStream_tbENKUlT_T0_E_clISt17integral_constantIbLb1EESY_IbLb0EEEEDaSU_SV_EUlSU_E0_NS1_11comp_targetILNS1_3genE5ELNS1_11target_archE942ELNS1_3gpuE9ELNS1_3repE0EEENS1_30default_config_static_selectorELNS0_4arch9wavefront6targetE1EEEvT1_,comdat
.Lfunc_end232:
	.size	_ZN7rocprim17ROCPRIM_400000_NS6detail17trampoline_kernelINS0_14default_configENS1_20scan_config_selectorIN3c107complexIdEEEEZZNS1_9scan_implILNS1_25lookback_scan_determinismE0ELb0ELb0ES3_PKS7_PS7_S7_ZZZN2at6native31launch_logcumsumexp_cuda_kernelERKNSE_10TensorBaseESI_lENKUlvE_clEvENKUlvE1_clEvEUlS7_S7_E_S7_EEDaPvRmT3_T4_T5_mT6_P12ihipStream_tbENKUlT_T0_E_clISt17integral_constantIbLb1EESY_IbLb0EEEEDaSU_SV_EUlSU_E0_NS1_11comp_targetILNS1_3genE5ELNS1_11target_archE942ELNS1_3gpuE9ELNS1_3repE0EEENS1_30default_config_static_selectorELNS0_4arch9wavefront6targetE1EEEvT1_, .Lfunc_end232-_ZN7rocprim17ROCPRIM_400000_NS6detail17trampoline_kernelINS0_14default_configENS1_20scan_config_selectorIN3c107complexIdEEEEZZNS1_9scan_implILNS1_25lookback_scan_determinismE0ELb0ELb0ES3_PKS7_PS7_S7_ZZZN2at6native31launch_logcumsumexp_cuda_kernelERKNSE_10TensorBaseESI_lENKUlvE_clEvENKUlvE1_clEvEUlS7_S7_E_S7_EEDaPvRmT3_T4_T5_mT6_P12ihipStream_tbENKUlT_T0_E_clISt17integral_constantIbLb1EESY_IbLb0EEEEDaSU_SV_EUlSU_E0_NS1_11comp_targetILNS1_3genE5ELNS1_11target_archE942ELNS1_3gpuE9ELNS1_3repE0EEENS1_30default_config_static_selectorELNS0_4arch9wavefront6targetE1EEEvT1_
                                        ; -- End function
	.section	.AMDGPU.csdata,"",@progbits
; Kernel info:
; codeLenInByte = 0
; NumSgprs: 4
; NumVgprs: 0
; NumAgprs: 0
; TotalNumVgprs: 0
; ScratchSize: 0
; MemoryBound: 0
; FloatMode: 240
; IeeeMode: 1
; LDSByteSize: 0 bytes/workgroup (compile time only)
; SGPRBlocks: 0
; VGPRBlocks: 0
; NumSGPRsForWavesPerEU: 4
; NumVGPRsForWavesPerEU: 1
; AccumOffset: 4
; Occupancy: 8
; WaveLimiterHint : 0
; COMPUTE_PGM_RSRC2:SCRATCH_EN: 0
; COMPUTE_PGM_RSRC2:USER_SGPR: 6
; COMPUTE_PGM_RSRC2:TRAP_HANDLER: 0
; COMPUTE_PGM_RSRC2:TGID_X_EN: 1
; COMPUTE_PGM_RSRC2:TGID_Y_EN: 0
; COMPUTE_PGM_RSRC2:TGID_Z_EN: 0
; COMPUTE_PGM_RSRC2:TIDIG_COMP_CNT: 0
; COMPUTE_PGM_RSRC3_GFX90A:ACCUM_OFFSET: 0
; COMPUTE_PGM_RSRC3_GFX90A:TG_SPLIT: 0
	.section	.text._ZN7rocprim17ROCPRIM_400000_NS6detail17trampoline_kernelINS0_14default_configENS1_20scan_config_selectorIN3c107complexIdEEEEZZNS1_9scan_implILNS1_25lookback_scan_determinismE0ELb0ELb0ES3_PKS7_PS7_S7_ZZZN2at6native31launch_logcumsumexp_cuda_kernelERKNSE_10TensorBaseESI_lENKUlvE_clEvENKUlvE1_clEvEUlS7_S7_E_S7_EEDaPvRmT3_T4_T5_mT6_P12ihipStream_tbENKUlT_T0_E_clISt17integral_constantIbLb1EESY_IbLb0EEEEDaSU_SV_EUlSU_E0_NS1_11comp_targetILNS1_3genE4ELNS1_11target_archE910ELNS1_3gpuE8ELNS1_3repE0EEENS1_30default_config_static_selectorELNS0_4arch9wavefront6targetE1EEEvT1_,"axG",@progbits,_ZN7rocprim17ROCPRIM_400000_NS6detail17trampoline_kernelINS0_14default_configENS1_20scan_config_selectorIN3c107complexIdEEEEZZNS1_9scan_implILNS1_25lookback_scan_determinismE0ELb0ELb0ES3_PKS7_PS7_S7_ZZZN2at6native31launch_logcumsumexp_cuda_kernelERKNSE_10TensorBaseESI_lENKUlvE_clEvENKUlvE1_clEvEUlS7_S7_E_S7_EEDaPvRmT3_T4_T5_mT6_P12ihipStream_tbENKUlT_T0_E_clISt17integral_constantIbLb1EESY_IbLb0EEEEDaSU_SV_EUlSU_E0_NS1_11comp_targetILNS1_3genE4ELNS1_11target_archE910ELNS1_3gpuE8ELNS1_3repE0EEENS1_30default_config_static_selectorELNS0_4arch9wavefront6targetE1EEEvT1_,comdat
	.globl	_ZN7rocprim17ROCPRIM_400000_NS6detail17trampoline_kernelINS0_14default_configENS1_20scan_config_selectorIN3c107complexIdEEEEZZNS1_9scan_implILNS1_25lookback_scan_determinismE0ELb0ELb0ES3_PKS7_PS7_S7_ZZZN2at6native31launch_logcumsumexp_cuda_kernelERKNSE_10TensorBaseESI_lENKUlvE_clEvENKUlvE1_clEvEUlS7_S7_E_S7_EEDaPvRmT3_T4_T5_mT6_P12ihipStream_tbENKUlT_T0_E_clISt17integral_constantIbLb1EESY_IbLb0EEEEDaSU_SV_EUlSU_E0_NS1_11comp_targetILNS1_3genE4ELNS1_11target_archE910ELNS1_3gpuE8ELNS1_3repE0EEENS1_30default_config_static_selectorELNS0_4arch9wavefront6targetE1EEEvT1_ ; -- Begin function _ZN7rocprim17ROCPRIM_400000_NS6detail17trampoline_kernelINS0_14default_configENS1_20scan_config_selectorIN3c107complexIdEEEEZZNS1_9scan_implILNS1_25lookback_scan_determinismE0ELb0ELb0ES3_PKS7_PS7_S7_ZZZN2at6native31launch_logcumsumexp_cuda_kernelERKNSE_10TensorBaseESI_lENKUlvE_clEvENKUlvE1_clEvEUlS7_S7_E_S7_EEDaPvRmT3_T4_T5_mT6_P12ihipStream_tbENKUlT_T0_E_clISt17integral_constantIbLb1EESY_IbLb0EEEEDaSU_SV_EUlSU_E0_NS1_11comp_targetILNS1_3genE4ELNS1_11target_archE910ELNS1_3gpuE8ELNS1_3repE0EEENS1_30default_config_static_selectorELNS0_4arch9wavefront6targetE1EEEvT1_
	.p2align	8
	.type	_ZN7rocprim17ROCPRIM_400000_NS6detail17trampoline_kernelINS0_14default_configENS1_20scan_config_selectorIN3c107complexIdEEEEZZNS1_9scan_implILNS1_25lookback_scan_determinismE0ELb0ELb0ES3_PKS7_PS7_S7_ZZZN2at6native31launch_logcumsumexp_cuda_kernelERKNSE_10TensorBaseESI_lENKUlvE_clEvENKUlvE1_clEvEUlS7_S7_E_S7_EEDaPvRmT3_T4_T5_mT6_P12ihipStream_tbENKUlT_T0_E_clISt17integral_constantIbLb1EESY_IbLb0EEEEDaSU_SV_EUlSU_E0_NS1_11comp_targetILNS1_3genE4ELNS1_11target_archE910ELNS1_3gpuE8ELNS1_3repE0EEENS1_30default_config_static_selectorELNS0_4arch9wavefront6targetE1EEEvT1_,@function
_ZN7rocprim17ROCPRIM_400000_NS6detail17trampoline_kernelINS0_14default_configENS1_20scan_config_selectorIN3c107complexIdEEEEZZNS1_9scan_implILNS1_25lookback_scan_determinismE0ELb0ELb0ES3_PKS7_PS7_S7_ZZZN2at6native31launch_logcumsumexp_cuda_kernelERKNSE_10TensorBaseESI_lENKUlvE_clEvENKUlvE1_clEvEUlS7_S7_E_S7_EEDaPvRmT3_T4_T5_mT6_P12ihipStream_tbENKUlT_T0_E_clISt17integral_constantIbLb1EESY_IbLb0EEEEDaSU_SV_EUlSU_E0_NS1_11comp_targetILNS1_3genE4ELNS1_11target_archE910ELNS1_3gpuE8ELNS1_3repE0EEENS1_30default_config_static_selectorELNS0_4arch9wavefront6targetE1EEEvT1_: ; @_ZN7rocprim17ROCPRIM_400000_NS6detail17trampoline_kernelINS0_14default_configENS1_20scan_config_selectorIN3c107complexIdEEEEZZNS1_9scan_implILNS1_25lookback_scan_determinismE0ELb0ELb0ES3_PKS7_PS7_S7_ZZZN2at6native31launch_logcumsumexp_cuda_kernelERKNSE_10TensorBaseESI_lENKUlvE_clEvENKUlvE1_clEvEUlS7_S7_E_S7_EEDaPvRmT3_T4_T5_mT6_P12ihipStream_tbENKUlT_T0_E_clISt17integral_constantIbLb1EESY_IbLb0EEEEDaSU_SV_EUlSU_E0_NS1_11comp_targetILNS1_3genE4ELNS1_11target_archE910ELNS1_3gpuE8ELNS1_3repE0EEENS1_30default_config_static_selectorELNS0_4arch9wavefront6targetE1EEEvT1_
; %bb.0:
	s_add_u32 flat_scratch_lo, s6, s9
	s_addc_u32 flat_scratch_hi, s7, 0
	s_mov_b64 s[68:69], s[4:5]
	s_load_dwordx4 s[4:7], s[4:5], 0x0
	s_add_u32 s0, s0, s9
	v_mov_b32_e32 v41, v0
	s_addc_u32 s1, s1, 0
	v_lshlrev_b32_e32 v164, 4, v41
	s_waitcnt lgkmcnt(0)
	s_load_dwordx4 s[8:11], s[4:5], 0x0
	v_cmp_gt_u32_e64 s[38:39], s6, v41
	s_mov_b32 s32, 0
	s_waitcnt lgkmcnt(0)
	v_pk_mov_b32 v[2:3], s[10:11], s[10:11] op_sel:[0,1]
	v_pk_mov_b32 v[0:1], s[8:9], s[8:9] op_sel:[0,1]
	s_and_saveexec_b64 s[12:13], s[38:39]
	s_cbranch_execz .LBB233_2
; %bb.1:
	global_load_dwordx4 v[0:3], v164, s[4:5]
.LBB233_2:
	s_or_b64 exec, exec, s[12:13]
	v_or_b32_e32 v4, 64, v41
	v_cmp_gt_u32_e64 s[40:41], s6, v4
	v_pk_mov_b32 v[6:7], s[10:11], s[10:11] op_sel:[0,1]
	v_pk_mov_b32 v[4:5], s[8:9], s[8:9] op_sel:[0,1]
	s_and_saveexec_b64 s[12:13], s[40:41]
	s_cbranch_execz .LBB233_4
; %bb.3:
	global_load_dwordx4 v[4:7], v164, s[4:5] offset:1024
.LBB233_4:
	s_or_b64 exec, exec, s[12:13]
	v_or_b32_e32 v8, 0x80, v41
	v_cmp_gt_u32_e64 s[42:43], s6, v8
	v_pk_mov_b32 v[10:11], s[10:11], s[10:11] op_sel:[0,1]
	v_pk_mov_b32 v[8:9], s[8:9], s[8:9] op_sel:[0,1]
	s_and_saveexec_b64 s[12:13], s[42:43]
	s_cbranch_execz .LBB233_6
; %bb.5:
	global_load_dwordx4 v[8:11], v164, s[4:5] offset:2048
.LBB233_6:
	;; [unrolled: 10-line block ×3, first 2 shown]
	s_or_b64 exec, exec, s[12:13]
	v_or_b32_e32 v20, 0x100, v41
	v_cmp_gt_u32_e64 s[46:47], s6, v20
	v_pk_mov_b32 v[18:19], s[10:11], s[10:11] op_sel:[0,1]
	v_pk_mov_b32 v[16:17], s[8:9], s[8:9] op_sel:[0,1]
	s_and_saveexec_b64 s[12:13], s[46:47]
	s_cbranch_execz .LBB233_10
; %bb.9:
	v_lshlrev_b32_e32 v16, 4, v20
	global_load_dwordx4 v[16:19], v16, s[4:5]
.LBB233_10:
	s_or_b64 exec, exec, s[12:13]
	v_or_b32_e32 v24, 0x140, v41
	v_cmp_gt_u32_e64 s[48:49], s6, v24
	v_pk_mov_b32 v[22:23], s[10:11], s[10:11] op_sel:[0,1]
	v_pk_mov_b32 v[20:21], s[8:9], s[8:9] op_sel:[0,1]
	s_and_saveexec_b64 s[12:13], s[48:49]
	s_cbranch_execz .LBB233_12
; %bb.11:
	v_lshlrev_b32_e32 v20, 4, v24
	global_load_dwordx4 v[20:23], v20, s[4:5]
.LBB233_12:
	;; [unrolled: 11-line block ×11, first 2 shown]
	s_or_b64 exec, exec, s[6:7]
	s_movk_i32 s4, 0xe0
	s_waitcnt vmcnt(0)
	ds_write_b128 v164, v[0:3]
	ds_write_b128 v164, v[4:7] offset:1024
	ds_write_b128 v164, v[8:11] offset:2048
	;; [unrolled: 1-line block ×14, first 2 shown]
	v_mad_u32_u24 v46, v41, s4, v164
	s_waitcnt lgkmcnt(0)
	; wave barrier
	s_waitcnt lgkmcnt(0)
	ds_read_b128 v[42:45], v46
	ds_read_b128 v[136:139], v46 offset:16
	ds_read_b128 v[132:135], v46 offset:32
	;; [unrolled: 1-line block ×14, first 2 shown]
	s_waitcnt lgkmcnt(14)
	v_mov_b32_e32 v0, v42
	v_mov_b32_e32 v1, v43
	v_mov_b32_e32 v2, v44
	v_mov_b32_e32 v3, v45
	s_waitcnt lgkmcnt(13)
	v_mov_b32_e32 v4, v136
	v_mov_b32_e32 v5, v137
	v_mov_b32_e32 v6, v138
	v_mov_b32_e32 v7, v139
	s_waitcnt lgkmcnt(0)
	; wave barrier
	s_waitcnt lgkmcnt(0)
	s_getpc_b64 s[70:71]
	s_add_u32 s70, s70, _ZZZZN2at6native31launch_logcumsumexp_cuda_kernelERKNS_10TensorBaseES3_lENKUlvE_clEvENKUlvE1_clEvENKUlN3c107complexIdEES8_E_clES8_S8_@rel32@lo+4
	s_addc_u32 s71, s71, _ZZZZN2at6native31launch_logcumsumexp_cuda_kernelERKNS_10TensorBaseES3_lENKUlvE_clEvENKUlvE1_clEvENKUlN3c107complexIdEES8_E_clES8_S8_@rel32@hi+12
	s_swappc_b64 s[30:31], s[70:71]
	v_mov_b32_e32 v4, v132
	v_mov_b32_e32 v5, v133
	v_mov_b32_e32 v6, v134
	v_mov_b32_e32 v7, v135
	v_mov_b32_e32 v52, v0
	v_mov_b32_e32 v53, v1
	v_mov_b32_e32 v54, v2
	v_mov_b32_e32 v55, v3
	s_swappc_b64 s[30:31], s[70:71]
	v_mov_b32_e32 v4, v124
	v_mov_b32_e32 v5, v125
	v_mov_b32_e32 v6, v126
	v_mov_b32_e32 v7, v127
	v_mov_b32_e32 v60, v0
	v_mov_b32_e32 v61, v1
	v_mov_b32_e32 v62, v2
	v_mov_b32_e32 v63, v3
	;; [unrolled: 9-line block ×13, first 2 shown]
	s_swappc_b64 s[30:31], s[70:71]
	v_mov_b32_e32 v160, v0
	v_mbcnt_lo_u32_b32 v0, -1, 0
	v_mbcnt_hi_u32_b32 v47, -1, v0
	v_mov_b32_e32 v161, v1
	v_mov_b32_e32 v162, v2
	;; [unrolled: 1-line block ×3, first 2 shown]
	v_and_b32_e32 v165, 15, v47
	v_mov_b32_dpp v8, v160 row_shr:1 row_mask:0xf bank_mask:0xf
	v_mov_b32_dpp v9, v161 row_shr:1 row_mask:0xf bank_mask:0xf
	;; [unrolled: 1-line block ×4, first 2 shown]
	v_cmp_ne_u32_e32 vcc, 0, v165
	v_pk_mov_b32 v[4:5], v[160:161], v[160:161] op_sel:[0,1]
	v_pk_mov_b32 v[6:7], v[162:163], v[162:163] op_sel:[0,1]
	v_mov_b32_e32 v0, v160
	s_and_saveexec_b64 s[72:73], vcc
	s_cbranch_execz .LBB233_32
; %bb.31:
	v_mov_b32_e32 v0, v8
	v_mov_b32_e32 v1, v9
	;; [unrolled: 1-line block ×8, first 2 shown]
	s_swappc_b64 s[30:31], s[70:71]
	v_mov_b32_e32 v4, v0
	v_mov_b32_e32 v5, v1
	;; [unrolled: 1-line block ×4, first 2 shown]
.LBB233_32:
	s_or_b64 exec, exec, s[72:73]
	v_mov_b32_dpp v8, v0 row_shr:2 row_mask:0xf bank_mask:0xf
	v_mov_b32_dpp v9, v1 row_shr:2 row_mask:0xf bank_mask:0xf
	v_mov_b32_dpp v10, v2 row_shr:2 row_mask:0xf bank_mask:0xf
	v_mov_b32_dpp v11, v3 row_shr:2 row_mask:0xf bank_mask:0xf
	v_cmp_lt_u32_e32 vcc, 1, v165
	s_and_saveexec_b64 s[70:71], vcc
	s_cbranch_execz .LBB233_34
; %bb.33:
	v_mov_b32_e32 v0, v8
	v_mov_b32_e32 v1, v9
	v_mov_b32_e32 v2, v10
	v_mov_b32_e32 v3, v11
	s_getpc_b64 s[4:5]
	s_add_u32 s4, s4, _ZZZZN2at6native31launch_logcumsumexp_cuda_kernelERKNS_10TensorBaseES3_lENKUlvE_clEvENKUlvE1_clEvENKUlN3c107complexIdEES8_E_clES8_S8_@rel32@lo+4
	s_addc_u32 s5, s5, _ZZZZN2at6native31launch_logcumsumexp_cuda_kernelERKNS_10TensorBaseES3_lENKUlvE_clEvENKUlvE1_clEvENKUlN3c107complexIdEES8_E_clES8_S8_@rel32@hi+12
	s_swappc_b64 s[30:31], s[4:5]
	v_pk_mov_b32 v[6:7], v[2:3], v[2:3] op_sel:[0,1]
	v_pk_mov_b32 v[4:5], v[0:1], v[0:1] op_sel:[0,1]
.LBB233_34:
	s_or_b64 exec, exec, s[70:71]
	v_mov_b32_dpp v8, v0 row_shr:4 row_mask:0xf bank_mask:0xf
	v_mov_b32_dpp v9, v1 row_shr:4 row_mask:0xf bank_mask:0xf
	v_mov_b32_dpp v10, v2 row_shr:4 row_mask:0xf bank_mask:0xf
	v_mov_b32_dpp v11, v3 row_shr:4 row_mask:0xf bank_mask:0xf
	v_cmp_lt_u32_e32 vcc, 3, v165
	s_and_saveexec_b64 s[70:71], vcc
	s_cbranch_execz .LBB233_36
; %bb.35:
	v_mov_b32_e32 v0, v8
	v_mov_b32_e32 v1, v9
	v_mov_b32_e32 v2, v10
	v_mov_b32_e32 v3, v11
	s_getpc_b64 s[4:5]
	s_add_u32 s4, s4, _ZZZZN2at6native31launch_logcumsumexp_cuda_kernelERKNS_10TensorBaseES3_lENKUlvE_clEvENKUlvE1_clEvENKUlN3c107complexIdEES8_E_clES8_S8_@rel32@lo+4
	s_addc_u32 s5, s5, _ZZZZN2at6native31launch_logcumsumexp_cuda_kernelERKNS_10TensorBaseES3_lENKUlvE_clEvENKUlvE1_clEvENKUlN3c107complexIdEES8_E_clES8_S8_@rel32@hi+12
	s_swappc_b64 s[30:31], s[4:5]
	v_pk_mov_b32 v[6:7], v[2:3], v[2:3] op_sel:[0,1]
	v_pk_mov_b32 v[4:5], v[0:1], v[0:1] op_sel:[0,1]
.LBB233_36:
	;; [unrolled: 20-line block ×3, first 2 shown]
	s_or_b64 exec, exec, s[70:71]
	v_and_b32_e32 v12, 16, v47
	v_mov_b32_dpp v8, v0 row_bcast:15 row_mask:0xf bank_mask:0xf
	v_mov_b32_dpp v9, v1 row_bcast:15 row_mask:0xf bank_mask:0xf
	;; [unrolled: 1-line block ×4, first 2 shown]
	v_cmp_ne_u32_e32 vcc, 0, v12
	s_and_saveexec_b64 s[70:71], vcc
	s_cbranch_execz .LBB233_40
; %bb.39:
	v_mov_b32_e32 v0, v8
	v_mov_b32_e32 v1, v9
	;; [unrolled: 1-line block ×4, first 2 shown]
	s_getpc_b64 s[4:5]
	s_add_u32 s4, s4, _ZZZZN2at6native31launch_logcumsumexp_cuda_kernelERKNS_10TensorBaseES3_lENKUlvE_clEvENKUlvE1_clEvENKUlN3c107complexIdEES8_E_clES8_S8_@rel32@lo+4
	s_addc_u32 s5, s5, _ZZZZN2at6native31launch_logcumsumexp_cuda_kernelERKNS_10TensorBaseES3_lENKUlvE_clEvENKUlvE1_clEvENKUlN3c107complexIdEES8_E_clES8_S8_@rel32@hi+12
	s_swappc_b64 s[30:31], s[4:5]
	v_mov_b32_e32 v4, v0
	v_mov_b32_e32 v5, v1
	;; [unrolled: 1-line block ×4, first 2 shown]
.LBB233_40:
	s_or_b64 exec, exec, s[70:71]
	v_mov_b32_dpp v0, v0 row_bcast:31 row_mask:0xf bank_mask:0xf
	v_mov_b32_dpp v1, v1 row_bcast:31 row_mask:0xf bank_mask:0xf
	;; [unrolled: 1-line block ×4, first 2 shown]
	v_cmp_lt_u32_e32 vcc, 31, v47
	s_and_saveexec_b64 s[70:71], vcc
	s_cbranch_execz .LBB233_42
; %bb.41:
	s_getpc_b64 s[4:5]
	s_add_u32 s4, s4, _ZZZZN2at6native31launch_logcumsumexp_cuda_kernelERKNS_10TensorBaseES3_lENKUlvE_clEvENKUlvE1_clEvENKUlN3c107complexIdEES8_E_clES8_S8_@rel32@lo+4
	s_addc_u32 s5, s5, _ZZZZN2at6native31launch_logcumsumexp_cuda_kernelERKNS_10TensorBaseES3_lENKUlvE_clEvENKUlvE1_clEvENKUlN3c107complexIdEES8_E_clES8_S8_@rel32@hi+12
	s_swappc_b64 s[30:31], s[4:5]
	v_mov_b32_e32 v4, v0
	v_mov_b32_e32 v5, v1
	v_mov_b32_e32 v6, v2
	v_mov_b32_e32 v7, v3
.LBB233_42:
	s_or_b64 exec, exec, s[70:71]
	s_load_dwordx2 s[68:69], s[68:69], 0x28
	v_cmp_eq_u32_e32 vcc, 63, v41
	s_and_saveexec_b64 s[4:5], vcc
	s_cbranch_execz .LBB233_44
; %bb.43:
	v_mov_b32_e32 v0, 0
	ds_write_b128 v0, v[4:7]
.LBB233_44:
	s_or_b64 exec, exec, s[4:5]
	v_add_u32_e32 v0, -1, v47
	v_and_b32_e32 v1, 64, v47
	v_cmp_lt_i32_e32 vcc, v0, v1
	v_cndmask_b32_e32 v0, v0, v47, vcc
	v_lshlrev_b32_e32 v3, 2, v0
	ds_bpermute_b32 v0, v3, v4
	ds_bpermute_b32 v1, v3, v5
	ds_bpermute_b32 v2, v3, v6
	ds_bpermute_b32 v3, v3, v7
	v_cmp_ne_u32_e32 vcc, 0, v41
	s_waitcnt lgkmcnt(0)
	; wave barrier
	s_waitcnt lgkmcnt(0)
	s_and_saveexec_b64 s[70:71], vcc
	s_cbranch_execz .LBB233_46
; %bb.45:
	v_mov_b32_e32 v4, v42
	v_mov_b32_e32 v5, v43
	;; [unrolled: 1-line block ×4, first 2 shown]
	s_getpc_b64 s[72:73]
	s_add_u32 s72, s72, _ZZZZN2at6native31launch_logcumsumexp_cuda_kernelERKNS_10TensorBaseES3_lENKUlvE_clEvENKUlvE1_clEvENKUlN3c107complexIdEES8_E_clES8_S8_@rel32@lo+4
	s_addc_u32 s73, s73, _ZZZZN2at6native31launch_logcumsumexp_cuda_kernelERKNS_10TensorBaseES3_lENKUlvE_clEvENKUlvE1_clEvENKUlN3c107complexIdEES8_E_clES8_S8_@rel32@hi+12
	s_swappc_b64 s[30:31], s[72:73]
	v_mov_b32_e32 v4, v136
	v_mov_b32_e32 v5, v137
	;; [unrolled: 1-line block ×8, first 2 shown]
	;;#ASMSTART
	;;#ASMEND
	s_swappc_b64 s[30:31], s[72:73]
	v_mov_b32_e32 v4, v132
	v_mov_b32_e32 v5, v133
	v_mov_b32_e32 v6, v134
	v_mov_b32_e32 v7, v135
	v_mov_b32_e32 v52, v0
	v_mov_b32_e32 v53, v1
	v_mov_b32_e32 v54, v2
	v_mov_b32_e32 v55, v3
	s_swappc_b64 s[30:31], s[72:73]
	v_mov_b32_e32 v4, v124
	v_mov_b32_e32 v5, v125
	v_mov_b32_e32 v6, v126
	v_mov_b32_e32 v7, v127
	v_mov_b32_e32 v60, v0
	v_mov_b32_e32 v61, v1
	v_mov_b32_e32 v62, v2
	v_mov_b32_e32 v63, v3
	;; [unrolled: 9-line block ×13, first 2 shown]
	s_swappc_b64 s[30:31], s[72:73]
	v_mov_b32_e32 v160, v0
	v_mov_b32_e32 v161, v1
	;; [unrolled: 1-line block ×4, first 2 shown]
.LBB233_46:
	s_or_b64 exec, exec, s[70:71]
	s_movk_i32 s4, 0xff20
	v_mad_i32_i24 v0, v41, s4, v46
	s_waitcnt lgkmcnt(0)
	; wave barrier
	ds_write_b128 v46, v[42:45]
	ds_write_b128 v46, v[52:55] offset:16
	ds_write_b128 v46, v[60:63] offset:32
	ds_write_b128 v46, v[72:75] offset:48
	ds_write_b128 v46, v[84:87] offset:64
	ds_write_b128 v46, v[96:99] offset:80
	ds_write_b128 v46, v[108:111] offset:96
	ds_write_b128 v46, v[116:119] offset:112
	ds_write_b128 v46, v[128:131] offset:128
	ds_write_b128 v46, v[140:143] offset:144
	ds_write_b128 v46, v[144:147] offset:160
	ds_write_b128 v46, v[148:151] offset:176
	ds_write_b128 v46, v[152:155] offset:192
	ds_write_b128 v46, v[156:159] offset:208
	ds_write_b128 v46, v[160:163] offset:224
	s_waitcnt lgkmcnt(0)
	; wave barrier
	s_waitcnt lgkmcnt(0)
	ds_read_b128 v[52:55], v0 offset:1024
	ds_read_b128 v[48:51], v0 offset:2048
	ds_read_b128 v[44:47], v0 offset:3072
	ds_read_b128 v[40:43], v0 offset:4096
	ds_read_b128 v[36:39], v0 offset:5120
	ds_read_b128 v[32:35], v0 offset:6144
	ds_read_b128 v[28:31], v0 offset:7168
	ds_read_b128 v[24:27], v0 offset:8192
	ds_read_b128 v[20:23], v0 offset:9216
	ds_read_b128 v[16:19], v0 offset:10240
	ds_read_b128 v[12:15], v0 offset:11264
	ds_read_b128 v[8:11], v0 offset:12288
	ds_read_b128 v[4:7], v0 offset:13312
	ds_read_b128 v[0:3], v0 offset:14336
	v_mov_b32_e32 v57, s69
	v_add_co_u32_e32 v56, vcc, s68, v164
	v_addc_co_u32_e32 v57, vcc, 0, v57, vcc
	s_and_saveexec_b64 s[4:5], s[38:39]
	s_cbranch_execnz .LBB233_62
; %bb.47:
	s_or_b64 exec, exec, s[4:5]
	s_and_saveexec_b64 s[4:5], s[40:41]
	s_cbranch_execnz .LBB233_63
.LBB233_48:
	s_or_b64 exec, exec, s[4:5]
	s_and_saveexec_b64 s[4:5], s[42:43]
	s_cbranch_execnz .LBB233_64
.LBB233_49:
	s_or_b64 exec, exec, s[4:5]
	s_and_saveexec_b64 s[4:5], s[44:45]
	s_cbranch_execnz .LBB233_65
.LBB233_50:
	s_or_b64 exec, exec, s[4:5]
	s_and_saveexec_b64 s[4:5], s[46:47]
	s_cbranch_execnz .LBB233_66
.LBB233_51:
	s_or_b64 exec, exec, s[4:5]
	s_and_saveexec_b64 s[4:5], s[48:49]
	s_cbranch_execnz .LBB233_67
.LBB233_52:
	s_or_b64 exec, exec, s[4:5]
	s_and_saveexec_b64 s[4:5], s[50:51]
	s_cbranch_execnz .LBB233_68
.LBB233_53:
	s_or_b64 exec, exec, s[4:5]
	s_and_saveexec_b64 s[4:5], s[52:53]
	s_cbranch_execnz .LBB233_69
.LBB233_54:
	s_or_b64 exec, exec, s[4:5]
	s_and_saveexec_b64 s[4:5], s[54:55]
	s_cbranch_execnz .LBB233_70
.LBB233_55:
	s_or_b64 exec, exec, s[4:5]
	s_and_saveexec_b64 s[4:5], s[56:57]
	s_cbranch_execnz .LBB233_71
.LBB233_56:
	s_or_b64 exec, exec, s[4:5]
	s_and_saveexec_b64 s[4:5], s[58:59]
	s_cbranch_execnz .LBB233_72
.LBB233_57:
	s_or_b64 exec, exec, s[4:5]
	s_and_saveexec_b64 s[4:5], s[60:61]
	s_cbranch_execnz .LBB233_73
.LBB233_58:
	s_or_b64 exec, exec, s[4:5]
	s_and_saveexec_b64 s[4:5], s[62:63]
	s_cbranch_execnz .LBB233_74
.LBB233_59:
	s_or_b64 exec, exec, s[4:5]
	s_and_saveexec_b64 s[4:5], s[64:65]
	s_cbranch_execnz .LBB233_75
.LBB233_60:
	s_or_b64 exec, exec, s[4:5]
	s_and_saveexec_b64 s[4:5], s[66:67]
	s_cbranch_execnz .LBB233_76
.LBB233_61:
	s_endpgm
.LBB233_62:
	ds_read_b128 v[58:61], v164
	s_waitcnt lgkmcnt(0)
	global_store_dwordx4 v[56:57], v[58:61], off
	s_or_b64 exec, exec, s[4:5]
	s_and_saveexec_b64 s[4:5], s[40:41]
	s_cbranch_execz .LBB233_48
.LBB233_63:
	s_waitcnt lgkmcnt(13)
	global_store_dwordx4 v[56:57], v[52:55], off offset:1024
	s_or_b64 exec, exec, s[4:5]
	s_and_saveexec_b64 s[4:5], s[42:43]
	s_cbranch_execz .LBB233_49
.LBB233_64:
	s_waitcnt lgkmcnt(12)
	global_store_dwordx4 v[56:57], v[48:51], off offset:2048
	s_or_b64 exec, exec, s[4:5]
	s_and_saveexec_b64 s[4:5], s[44:45]
	s_cbranch_execz .LBB233_50
.LBB233_65:
	s_waitcnt lgkmcnt(11)
	global_store_dwordx4 v[56:57], v[44:47], off offset:3072
	s_or_b64 exec, exec, s[4:5]
	s_and_saveexec_b64 s[4:5], s[46:47]
	s_cbranch_execz .LBB233_51
.LBB233_66:
	s_waitcnt lgkmcnt(11)
	v_add_co_u32_e32 v44, vcc, 0x1000, v56
	v_addc_co_u32_e32 v45, vcc, 0, v57, vcc
	s_waitcnt lgkmcnt(10)
	global_store_dwordx4 v[44:45], v[40:43], off
	s_or_b64 exec, exec, s[4:5]
	s_and_saveexec_b64 s[4:5], s[48:49]
	s_cbranch_execz .LBB233_52
.LBB233_67:
	s_waitcnt lgkmcnt(10)
	v_add_co_u32_e32 v40, vcc, 0x1000, v56
	v_addc_co_u32_e32 v41, vcc, 0, v57, vcc
	s_waitcnt lgkmcnt(9)
	global_store_dwordx4 v[40:41], v[36:39], off offset:1024
	s_or_b64 exec, exec, s[4:5]
	s_and_saveexec_b64 s[4:5], s[50:51]
	s_cbranch_execz .LBB233_53
.LBB233_68:
	s_waitcnt lgkmcnt(9)
	v_add_co_u32_e32 v36, vcc, 0x1000, v56
	v_addc_co_u32_e32 v37, vcc, 0, v57, vcc
	s_waitcnt lgkmcnt(8)
	global_store_dwordx4 v[36:37], v[32:35], off offset:2048
	s_or_b64 exec, exec, s[4:5]
	s_and_saveexec_b64 s[4:5], s[52:53]
	s_cbranch_execz .LBB233_54
.LBB233_69:
	s_waitcnt lgkmcnt(8)
	v_add_co_u32_e32 v32, vcc, 0x1000, v56
	v_addc_co_u32_e32 v33, vcc, 0, v57, vcc
	s_waitcnt lgkmcnt(7)
	global_store_dwordx4 v[32:33], v[28:31], off offset:3072
	s_or_b64 exec, exec, s[4:5]
	s_and_saveexec_b64 s[4:5], s[54:55]
	s_cbranch_execz .LBB233_55
.LBB233_70:
	s_waitcnt lgkmcnt(7)
	v_add_co_u32_e32 v28, vcc, 0x2000, v56
	v_addc_co_u32_e32 v29, vcc, 0, v57, vcc
	s_waitcnt lgkmcnt(6)
	global_store_dwordx4 v[28:29], v[24:27], off
	s_or_b64 exec, exec, s[4:5]
	s_and_saveexec_b64 s[4:5], s[56:57]
	s_cbranch_execz .LBB233_56
.LBB233_71:
	s_waitcnt lgkmcnt(6)
	v_add_co_u32_e32 v24, vcc, 0x2000, v56
	v_addc_co_u32_e32 v25, vcc, 0, v57, vcc
	s_waitcnt lgkmcnt(5)
	global_store_dwordx4 v[24:25], v[20:23], off offset:1024
	s_or_b64 exec, exec, s[4:5]
	s_and_saveexec_b64 s[4:5], s[58:59]
	s_cbranch_execz .LBB233_57
.LBB233_72:
	s_waitcnt lgkmcnt(5)
	v_add_co_u32_e32 v20, vcc, 0x2000, v56
	v_addc_co_u32_e32 v21, vcc, 0, v57, vcc
	s_waitcnt lgkmcnt(4)
	global_store_dwordx4 v[20:21], v[16:19], off offset:2048
	s_or_b64 exec, exec, s[4:5]
	s_and_saveexec_b64 s[4:5], s[60:61]
	s_cbranch_execz .LBB233_58
.LBB233_73:
	s_waitcnt lgkmcnt(4)
	v_add_co_u32_e32 v16, vcc, 0x2000, v56
	v_addc_co_u32_e32 v17, vcc, 0, v57, vcc
	s_waitcnt lgkmcnt(3)
	global_store_dwordx4 v[16:17], v[12:15], off offset:3072
	s_or_b64 exec, exec, s[4:5]
	s_and_saveexec_b64 s[4:5], s[62:63]
	s_cbranch_execz .LBB233_59
.LBB233_74:
	s_waitcnt lgkmcnt(3)
	v_add_co_u32_e32 v12, vcc, 0x3000, v56
	v_addc_co_u32_e32 v13, vcc, 0, v57, vcc
	s_waitcnt lgkmcnt(2)
	global_store_dwordx4 v[12:13], v[8:11], off
	s_or_b64 exec, exec, s[4:5]
	s_and_saveexec_b64 s[4:5], s[64:65]
	s_cbranch_execz .LBB233_60
.LBB233_75:
	s_waitcnt lgkmcnt(2)
	v_add_co_u32_e32 v8, vcc, 0x3000, v56
	v_addc_co_u32_e32 v9, vcc, 0, v57, vcc
	s_waitcnt lgkmcnt(1)
	global_store_dwordx4 v[8:9], v[4:7], off offset:1024
	s_or_b64 exec, exec, s[4:5]
	s_and_saveexec_b64 s[4:5], s[66:67]
	s_cbranch_execz .LBB233_61
.LBB233_76:
	s_waitcnt lgkmcnt(1)
	v_add_co_u32_e32 v4, vcc, 0x3000, v56
	v_addc_co_u32_e32 v5, vcc, 0, v57, vcc
	s_waitcnt lgkmcnt(0)
	global_store_dwordx4 v[4:5], v[0:3], off offset:2048
	s_endpgm
	.section	.rodata,"a",@progbits
	.p2align	6, 0x0
	.amdhsa_kernel _ZN7rocprim17ROCPRIM_400000_NS6detail17trampoline_kernelINS0_14default_configENS1_20scan_config_selectorIN3c107complexIdEEEEZZNS1_9scan_implILNS1_25lookback_scan_determinismE0ELb0ELb0ES3_PKS7_PS7_S7_ZZZN2at6native31launch_logcumsumexp_cuda_kernelERKNSE_10TensorBaseESI_lENKUlvE_clEvENKUlvE1_clEvEUlS7_S7_E_S7_EEDaPvRmT3_T4_T5_mT6_P12ihipStream_tbENKUlT_T0_E_clISt17integral_constantIbLb1EESY_IbLb0EEEEDaSU_SV_EUlSU_E0_NS1_11comp_targetILNS1_3genE4ELNS1_11target_archE910ELNS1_3gpuE8ELNS1_3repE0EEENS1_30default_config_static_selectorELNS0_4arch9wavefront6targetE1EEEvT1_
		.amdhsa_group_segment_fixed_size 15360
		.amdhsa_private_segment_fixed_size 8
		.amdhsa_kernarg_size 48
		.amdhsa_user_sgpr_count 8
		.amdhsa_user_sgpr_private_segment_buffer 1
		.amdhsa_user_sgpr_dispatch_ptr 0
		.amdhsa_user_sgpr_queue_ptr 0
		.amdhsa_user_sgpr_kernarg_segment_ptr 1
		.amdhsa_user_sgpr_dispatch_id 0
		.amdhsa_user_sgpr_flat_scratch_init 1
		.amdhsa_user_sgpr_kernarg_preload_length 0
		.amdhsa_user_sgpr_kernarg_preload_offset 0
		.amdhsa_user_sgpr_private_segment_size 0
		.amdhsa_uses_dynamic_stack 0
		.amdhsa_system_sgpr_private_segment_wavefront_offset 1
		.amdhsa_system_sgpr_workgroup_id_x 1
		.amdhsa_system_sgpr_workgroup_id_y 0
		.amdhsa_system_sgpr_workgroup_id_z 0
		.amdhsa_system_sgpr_workgroup_info 0
		.amdhsa_system_vgpr_workitem_id 0
		.amdhsa_next_free_vgpr 166
		.amdhsa_next_free_sgpr 74
		.amdhsa_accum_offset 168
		.amdhsa_reserve_vcc 1
		.amdhsa_reserve_flat_scratch 1
		.amdhsa_float_round_mode_32 0
		.amdhsa_float_round_mode_16_64 0
		.amdhsa_float_denorm_mode_32 3
		.amdhsa_float_denorm_mode_16_64 3
		.amdhsa_dx10_clamp 1
		.amdhsa_ieee_mode 1
		.amdhsa_fp16_overflow 0
		.amdhsa_tg_split 0
		.amdhsa_exception_fp_ieee_invalid_op 0
		.amdhsa_exception_fp_denorm_src 0
		.amdhsa_exception_fp_ieee_div_zero 0
		.amdhsa_exception_fp_ieee_overflow 0
		.amdhsa_exception_fp_ieee_underflow 0
		.amdhsa_exception_fp_ieee_inexact 0
		.amdhsa_exception_int_div_zero 0
	.end_amdhsa_kernel
	.section	.text._ZN7rocprim17ROCPRIM_400000_NS6detail17trampoline_kernelINS0_14default_configENS1_20scan_config_selectorIN3c107complexIdEEEEZZNS1_9scan_implILNS1_25lookback_scan_determinismE0ELb0ELb0ES3_PKS7_PS7_S7_ZZZN2at6native31launch_logcumsumexp_cuda_kernelERKNSE_10TensorBaseESI_lENKUlvE_clEvENKUlvE1_clEvEUlS7_S7_E_S7_EEDaPvRmT3_T4_T5_mT6_P12ihipStream_tbENKUlT_T0_E_clISt17integral_constantIbLb1EESY_IbLb0EEEEDaSU_SV_EUlSU_E0_NS1_11comp_targetILNS1_3genE4ELNS1_11target_archE910ELNS1_3gpuE8ELNS1_3repE0EEENS1_30default_config_static_selectorELNS0_4arch9wavefront6targetE1EEEvT1_,"axG",@progbits,_ZN7rocprim17ROCPRIM_400000_NS6detail17trampoline_kernelINS0_14default_configENS1_20scan_config_selectorIN3c107complexIdEEEEZZNS1_9scan_implILNS1_25lookback_scan_determinismE0ELb0ELb0ES3_PKS7_PS7_S7_ZZZN2at6native31launch_logcumsumexp_cuda_kernelERKNSE_10TensorBaseESI_lENKUlvE_clEvENKUlvE1_clEvEUlS7_S7_E_S7_EEDaPvRmT3_T4_T5_mT6_P12ihipStream_tbENKUlT_T0_E_clISt17integral_constantIbLb1EESY_IbLb0EEEEDaSU_SV_EUlSU_E0_NS1_11comp_targetILNS1_3genE4ELNS1_11target_archE910ELNS1_3gpuE8ELNS1_3repE0EEENS1_30default_config_static_selectorELNS0_4arch9wavefront6targetE1EEEvT1_,comdat
.Lfunc_end233:
	.size	_ZN7rocprim17ROCPRIM_400000_NS6detail17trampoline_kernelINS0_14default_configENS1_20scan_config_selectorIN3c107complexIdEEEEZZNS1_9scan_implILNS1_25lookback_scan_determinismE0ELb0ELb0ES3_PKS7_PS7_S7_ZZZN2at6native31launch_logcumsumexp_cuda_kernelERKNSE_10TensorBaseESI_lENKUlvE_clEvENKUlvE1_clEvEUlS7_S7_E_S7_EEDaPvRmT3_T4_T5_mT6_P12ihipStream_tbENKUlT_T0_E_clISt17integral_constantIbLb1EESY_IbLb0EEEEDaSU_SV_EUlSU_E0_NS1_11comp_targetILNS1_3genE4ELNS1_11target_archE910ELNS1_3gpuE8ELNS1_3repE0EEENS1_30default_config_static_selectorELNS0_4arch9wavefront6targetE1EEEvT1_, .Lfunc_end233-_ZN7rocprim17ROCPRIM_400000_NS6detail17trampoline_kernelINS0_14default_configENS1_20scan_config_selectorIN3c107complexIdEEEEZZNS1_9scan_implILNS1_25lookback_scan_determinismE0ELb0ELb0ES3_PKS7_PS7_S7_ZZZN2at6native31launch_logcumsumexp_cuda_kernelERKNSE_10TensorBaseESI_lENKUlvE_clEvENKUlvE1_clEvEUlS7_S7_E_S7_EEDaPvRmT3_T4_T5_mT6_P12ihipStream_tbENKUlT_T0_E_clISt17integral_constantIbLb1EESY_IbLb0EEEEDaSU_SV_EUlSU_E0_NS1_11comp_targetILNS1_3genE4ELNS1_11target_archE910ELNS1_3gpuE8ELNS1_3repE0EEENS1_30default_config_static_selectorELNS0_4arch9wavefront6targetE1EEEvT1_
                                        ; -- End function
	.section	.AMDGPU.csdata,"",@progbits
; Kernel info:
; codeLenInByte = 3992
; NumSgprs: 80
; NumVgprs: 166
; NumAgprs: 0
; TotalNumVgprs: 166
; ScratchSize: 8
; MemoryBound: 1
; FloatMode: 240
; IeeeMode: 1
; LDSByteSize: 15360 bytes/workgroup (compile time only)
; SGPRBlocks: 9
; VGPRBlocks: 20
; NumSGPRsForWavesPerEU: 80
; NumVGPRsForWavesPerEU: 166
; AccumOffset: 168
; Occupancy: 1
; WaveLimiterHint : 0
; COMPUTE_PGM_RSRC2:SCRATCH_EN: 1
; COMPUTE_PGM_RSRC2:USER_SGPR: 8
; COMPUTE_PGM_RSRC2:TRAP_HANDLER: 0
; COMPUTE_PGM_RSRC2:TGID_X_EN: 1
; COMPUTE_PGM_RSRC2:TGID_Y_EN: 0
; COMPUTE_PGM_RSRC2:TGID_Z_EN: 0
; COMPUTE_PGM_RSRC2:TIDIG_COMP_CNT: 0
; COMPUTE_PGM_RSRC3_GFX90A:ACCUM_OFFSET: 41
; COMPUTE_PGM_RSRC3_GFX90A:TG_SPLIT: 0
	.section	.text._ZN7rocprim17ROCPRIM_400000_NS6detail17trampoline_kernelINS0_14default_configENS1_20scan_config_selectorIN3c107complexIdEEEEZZNS1_9scan_implILNS1_25lookback_scan_determinismE0ELb0ELb0ES3_PKS7_PS7_S7_ZZZN2at6native31launch_logcumsumexp_cuda_kernelERKNSE_10TensorBaseESI_lENKUlvE_clEvENKUlvE1_clEvEUlS7_S7_E_S7_EEDaPvRmT3_T4_T5_mT6_P12ihipStream_tbENKUlT_T0_E_clISt17integral_constantIbLb1EESY_IbLb0EEEEDaSU_SV_EUlSU_E0_NS1_11comp_targetILNS1_3genE3ELNS1_11target_archE908ELNS1_3gpuE7ELNS1_3repE0EEENS1_30default_config_static_selectorELNS0_4arch9wavefront6targetE1EEEvT1_,"axG",@progbits,_ZN7rocprim17ROCPRIM_400000_NS6detail17trampoline_kernelINS0_14default_configENS1_20scan_config_selectorIN3c107complexIdEEEEZZNS1_9scan_implILNS1_25lookback_scan_determinismE0ELb0ELb0ES3_PKS7_PS7_S7_ZZZN2at6native31launch_logcumsumexp_cuda_kernelERKNSE_10TensorBaseESI_lENKUlvE_clEvENKUlvE1_clEvEUlS7_S7_E_S7_EEDaPvRmT3_T4_T5_mT6_P12ihipStream_tbENKUlT_T0_E_clISt17integral_constantIbLb1EESY_IbLb0EEEEDaSU_SV_EUlSU_E0_NS1_11comp_targetILNS1_3genE3ELNS1_11target_archE908ELNS1_3gpuE7ELNS1_3repE0EEENS1_30default_config_static_selectorELNS0_4arch9wavefront6targetE1EEEvT1_,comdat
	.globl	_ZN7rocprim17ROCPRIM_400000_NS6detail17trampoline_kernelINS0_14default_configENS1_20scan_config_selectorIN3c107complexIdEEEEZZNS1_9scan_implILNS1_25lookback_scan_determinismE0ELb0ELb0ES3_PKS7_PS7_S7_ZZZN2at6native31launch_logcumsumexp_cuda_kernelERKNSE_10TensorBaseESI_lENKUlvE_clEvENKUlvE1_clEvEUlS7_S7_E_S7_EEDaPvRmT3_T4_T5_mT6_P12ihipStream_tbENKUlT_T0_E_clISt17integral_constantIbLb1EESY_IbLb0EEEEDaSU_SV_EUlSU_E0_NS1_11comp_targetILNS1_3genE3ELNS1_11target_archE908ELNS1_3gpuE7ELNS1_3repE0EEENS1_30default_config_static_selectorELNS0_4arch9wavefront6targetE1EEEvT1_ ; -- Begin function _ZN7rocprim17ROCPRIM_400000_NS6detail17trampoline_kernelINS0_14default_configENS1_20scan_config_selectorIN3c107complexIdEEEEZZNS1_9scan_implILNS1_25lookback_scan_determinismE0ELb0ELb0ES3_PKS7_PS7_S7_ZZZN2at6native31launch_logcumsumexp_cuda_kernelERKNSE_10TensorBaseESI_lENKUlvE_clEvENKUlvE1_clEvEUlS7_S7_E_S7_EEDaPvRmT3_T4_T5_mT6_P12ihipStream_tbENKUlT_T0_E_clISt17integral_constantIbLb1EESY_IbLb0EEEEDaSU_SV_EUlSU_E0_NS1_11comp_targetILNS1_3genE3ELNS1_11target_archE908ELNS1_3gpuE7ELNS1_3repE0EEENS1_30default_config_static_selectorELNS0_4arch9wavefront6targetE1EEEvT1_
	.p2align	8
	.type	_ZN7rocprim17ROCPRIM_400000_NS6detail17trampoline_kernelINS0_14default_configENS1_20scan_config_selectorIN3c107complexIdEEEEZZNS1_9scan_implILNS1_25lookback_scan_determinismE0ELb0ELb0ES3_PKS7_PS7_S7_ZZZN2at6native31launch_logcumsumexp_cuda_kernelERKNSE_10TensorBaseESI_lENKUlvE_clEvENKUlvE1_clEvEUlS7_S7_E_S7_EEDaPvRmT3_T4_T5_mT6_P12ihipStream_tbENKUlT_T0_E_clISt17integral_constantIbLb1EESY_IbLb0EEEEDaSU_SV_EUlSU_E0_NS1_11comp_targetILNS1_3genE3ELNS1_11target_archE908ELNS1_3gpuE7ELNS1_3repE0EEENS1_30default_config_static_selectorELNS0_4arch9wavefront6targetE1EEEvT1_,@function
_ZN7rocprim17ROCPRIM_400000_NS6detail17trampoline_kernelINS0_14default_configENS1_20scan_config_selectorIN3c107complexIdEEEEZZNS1_9scan_implILNS1_25lookback_scan_determinismE0ELb0ELb0ES3_PKS7_PS7_S7_ZZZN2at6native31launch_logcumsumexp_cuda_kernelERKNSE_10TensorBaseESI_lENKUlvE_clEvENKUlvE1_clEvEUlS7_S7_E_S7_EEDaPvRmT3_T4_T5_mT6_P12ihipStream_tbENKUlT_T0_E_clISt17integral_constantIbLb1EESY_IbLb0EEEEDaSU_SV_EUlSU_E0_NS1_11comp_targetILNS1_3genE3ELNS1_11target_archE908ELNS1_3gpuE7ELNS1_3repE0EEENS1_30default_config_static_selectorELNS0_4arch9wavefront6targetE1EEEvT1_: ; @_ZN7rocprim17ROCPRIM_400000_NS6detail17trampoline_kernelINS0_14default_configENS1_20scan_config_selectorIN3c107complexIdEEEEZZNS1_9scan_implILNS1_25lookback_scan_determinismE0ELb0ELb0ES3_PKS7_PS7_S7_ZZZN2at6native31launch_logcumsumexp_cuda_kernelERKNSE_10TensorBaseESI_lENKUlvE_clEvENKUlvE1_clEvEUlS7_S7_E_S7_EEDaPvRmT3_T4_T5_mT6_P12ihipStream_tbENKUlT_T0_E_clISt17integral_constantIbLb1EESY_IbLb0EEEEDaSU_SV_EUlSU_E0_NS1_11comp_targetILNS1_3genE3ELNS1_11target_archE908ELNS1_3gpuE7ELNS1_3repE0EEENS1_30default_config_static_selectorELNS0_4arch9wavefront6targetE1EEEvT1_
; %bb.0:
	.section	.rodata,"a",@progbits
	.p2align	6, 0x0
	.amdhsa_kernel _ZN7rocprim17ROCPRIM_400000_NS6detail17trampoline_kernelINS0_14default_configENS1_20scan_config_selectorIN3c107complexIdEEEEZZNS1_9scan_implILNS1_25lookback_scan_determinismE0ELb0ELb0ES3_PKS7_PS7_S7_ZZZN2at6native31launch_logcumsumexp_cuda_kernelERKNSE_10TensorBaseESI_lENKUlvE_clEvENKUlvE1_clEvEUlS7_S7_E_S7_EEDaPvRmT3_T4_T5_mT6_P12ihipStream_tbENKUlT_T0_E_clISt17integral_constantIbLb1EESY_IbLb0EEEEDaSU_SV_EUlSU_E0_NS1_11comp_targetILNS1_3genE3ELNS1_11target_archE908ELNS1_3gpuE7ELNS1_3repE0EEENS1_30default_config_static_selectorELNS0_4arch9wavefront6targetE1EEEvT1_
		.amdhsa_group_segment_fixed_size 0
		.amdhsa_private_segment_fixed_size 0
		.amdhsa_kernarg_size 48
		.amdhsa_user_sgpr_count 6
		.amdhsa_user_sgpr_private_segment_buffer 1
		.amdhsa_user_sgpr_dispatch_ptr 0
		.amdhsa_user_sgpr_queue_ptr 0
		.amdhsa_user_sgpr_kernarg_segment_ptr 1
		.amdhsa_user_sgpr_dispatch_id 0
		.amdhsa_user_sgpr_flat_scratch_init 0
		.amdhsa_user_sgpr_kernarg_preload_length 0
		.amdhsa_user_sgpr_kernarg_preload_offset 0
		.amdhsa_user_sgpr_private_segment_size 0
		.amdhsa_uses_dynamic_stack 0
		.amdhsa_system_sgpr_private_segment_wavefront_offset 0
		.amdhsa_system_sgpr_workgroup_id_x 1
		.amdhsa_system_sgpr_workgroup_id_y 0
		.amdhsa_system_sgpr_workgroup_id_z 0
		.amdhsa_system_sgpr_workgroup_info 0
		.amdhsa_system_vgpr_workitem_id 0
		.amdhsa_next_free_vgpr 1
		.amdhsa_next_free_sgpr 0
		.amdhsa_accum_offset 4
		.amdhsa_reserve_vcc 0
		.amdhsa_reserve_flat_scratch 0
		.amdhsa_float_round_mode_32 0
		.amdhsa_float_round_mode_16_64 0
		.amdhsa_float_denorm_mode_32 3
		.amdhsa_float_denorm_mode_16_64 3
		.amdhsa_dx10_clamp 1
		.amdhsa_ieee_mode 1
		.amdhsa_fp16_overflow 0
		.amdhsa_tg_split 0
		.amdhsa_exception_fp_ieee_invalid_op 0
		.amdhsa_exception_fp_denorm_src 0
		.amdhsa_exception_fp_ieee_div_zero 0
		.amdhsa_exception_fp_ieee_overflow 0
		.amdhsa_exception_fp_ieee_underflow 0
		.amdhsa_exception_fp_ieee_inexact 0
		.amdhsa_exception_int_div_zero 0
	.end_amdhsa_kernel
	.section	.text._ZN7rocprim17ROCPRIM_400000_NS6detail17trampoline_kernelINS0_14default_configENS1_20scan_config_selectorIN3c107complexIdEEEEZZNS1_9scan_implILNS1_25lookback_scan_determinismE0ELb0ELb0ES3_PKS7_PS7_S7_ZZZN2at6native31launch_logcumsumexp_cuda_kernelERKNSE_10TensorBaseESI_lENKUlvE_clEvENKUlvE1_clEvEUlS7_S7_E_S7_EEDaPvRmT3_T4_T5_mT6_P12ihipStream_tbENKUlT_T0_E_clISt17integral_constantIbLb1EESY_IbLb0EEEEDaSU_SV_EUlSU_E0_NS1_11comp_targetILNS1_3genE3ELNS1_11target_archE908ELNS1_3gpuE7ELNS1_3repE0EEENS1_30default_config_static_selectorELNS0_4arch9wavefront6targetE1EEEvT1_,"axG",@progbits,_ZN7rocprim17ROCPRIM_400000_NS6detail17trampoline_kernelINS0_14default_configENS1_20scan_config_selectorIN3c107complexIdEEEEZZNS1_9scan_implILNS1_25lookback_scan_determinismE0ELb0ELb0ES3_PKS7_PS7_S7_ZZZN2at6native31launch_logcumsumexp_cuda_kernelERKNSE_10TensorBaseESI_lENKUlvE_clEvENKUlvE1_clEvEUlS7_S7_E_S7_EEDaPvRmT3_T4_T5_mT6_P12ihipStream_tbENKUlT_T0_E_clISt17integral_constantIbLb1EESY_IbLb0EEEEDaSU_SV_EUlSU_E0_NS1_11comp_targetILNS1_3genE3ELNS1_11target_archE908ELNS1_3gpuE7ELNS1_3repE0EEENS1_30default_config_static_selectorELNS0_4arch9wavefront6targetE1EEEvT1_,comdat
.Lfunc_end234:
	.size	_ZN7rocprim17ROCPRIM_400000_NS6detail17trampoline_kernelINS0_14default_configENS1_20scan_config_selectorIN3c107complexIdEEEEZZNS1_9scan_implILNS1_25lookback_scan_determinismE0ELb0ELb0ES3_PKS7_PS7_S7_ZZZN2at6native31launch_logcumsumexp_cuda_kernelERKNSE_10TensorBaseESI_lENKUlvE_clEvENKUlvE1_clEvEUlS7_S7_E_S7_EEDaPvRmT3_T4_T5_mT6_P12ihipStream_tbENKUlT_T0_E_clISt17integral_constantIbLb1EESY_IbLb0EEEEDaSU_SV_EUlSU_E0_NS1_11comp_targetILNS1_3genE3ELNS1_11target_archE908ELNS1_3gpuE7ELNS1_3repE0EEENS1_30default_config_static_selectorELNS0_4arch9wavefront6targetE1EEEvT1_, .Lfunc_end234-_ZN7rocprim17ROCPRIM_400000_NS6detail17trampoline_kernelINS0_14default_configENS1_20scan_config_selectorIN3c107complexIdEEEEZZNS1_9scan_implILNS1_25lookback_scan_determinismE0ELb0ELb0ES3_PKS7_PS7_S7_ZZZN2at6native31launch_logcumsumexp_cuda_kernelERKNSE_10TensorBaseESI_lENKUlvE_clEvENKUlvE1_clEvEUlS7_S7_E_S7_EEDaPvRmT3_T4_T5_mT6_P12ihipStream_tbENKUlT_T0_E_clISt17integral_constantIbLb1EESY_IbLb0EEEEDaSU_SV_EUlSU_E0_NS1_11comp_targetILNS1_3genE3ELNS1_11target_archE908ELNS1_3gpuE7ELNS1_3repE0EEENS1_30default_config_static_selectorELNS0_4arch9wavefront6targetE1EEEvT1_
                                        ; -- End function
	.section	.AMDGPU.csdata,"",@progbits
; Kernel info:
; codeLenInByte = 0
; NumSgprs: 4
; NumVgprs: 0
; NumAgprs: 0
; TotalNumVgprs: 0
; ScratchSize: 0
; MemoryBound: 0
; FloatMode: 240
; IeeeMode: 1
; LDSByteSize: 0 bytes/workgroup (compile time only)
; SGPRBlocks: 0
; VGPRBlocks: 0
; NumSGPRsForWavesPerEU: 4
; NumVGPRsForWavesPerEU: 1
; AccumOffset: 4
; Occupancy: 8
; WaveLimiterHint : 0
; COMPUTE_PGM_RSRC2:SCRATCH_EN: 0
; COMPUTE_PGM_RSRC2:USER_SGPR: 6
; COMPUTE_PGM_RSRC2:TRAP_HANDLER: 0
; COMPUTE_PGM_RSRC2:TGID_X_EN: 1
; COMPUTE_PGM_RSRC2:TGID_Y_EN: 0
; COMPUTE_PGM_RSRC2:TGID_Z_EN: 0
; COMPUTE_PGM_RSRC2:TIDIG_COMP_CNT: 0
; COMPUTE_PGM_RSRC3_GFX90A:ACCUM_OFFSET: 0
; COMPUTE_PGM_RSRC3_GFX90A:TG_SPLIT: 0
	.section	.text._ZN7rocprim17ROCPRIM_400000_NS6detail17trampoline_kernelINS0_14default_configENS1_20scan_config_selectorIN3c107complexIdEEEEZZNS1_9scan_implILNS1_25lookback_scan_determinismE0ELb0ELb0ES3_PKS7_PS7_S7_ZZZN2at6native31launch_logcumsumexp_cuda_kernelERKNSE_10TensorBaseESI_lENKUlvE_clEvENKUlvE1_clEvEUlS7_S7_E_S7_EEDaPvRmT3_T4_T5_mT6_P12ihipStream_tbENKUlT_T0_E_clISt17integral_constantIbLb1EESY_IbLb0EEEEDaSU_SV_EUlSU_E0_NS1_11comp_targetILNS1_3genE2ELNS1_11target_archE906ELNS1_3gpuE6ELNS1_3repE0EEENS1_30default_config_static_selectorELNS0_4arch9wavefront6targetE1EEEvT1_,"axG",@progbits,_ZN7rocprim17ROCPRIM_400000_NS6detail17trampoline_kernelINS0_14default_configENS1_20scan_config_selectorIN3c107complexIdEEEEZZNS1_9scan_implILNS1_25lookback_scan_determinismE0ELb0ELb0ES3_PKS7_PS7_S7_ZZZN2at6native31launch_logcumsumexp_cuda_kernelERKNSE_10TensorBaseESI_lENKUlvE_clEvENKUlvE1_clEvEUlS7_S7_E_S7_EEDaPvRmT3_T4_T5_mT6_P12ihipStream_tbENKUlT_T0_E_clISt17integral_constantIbLb1EESY_IbLb0EEEEDaSU_SV_EUlSU_E0_NS1_11comp_targetILNS1_3genE2ELNS1_11target_archE906ELNS1_3gpuE6ELNS1_3repE0EEENS1_30default_config_static_selectorELNS0_4arch9wavefront6targetE1EEEvT1_,comdat
	.globl	_ZN7rocprim17ROCPRIM_400000_NS6detail17trampoline_kernelINS0_14default_configENS1_20scan_config_selectorIN3c107complexIdEEEEZZNS1_9scan_implILNS1_25lookback_scan_determinismE0ELb0ELb0ES3_PKS7_PS7_S7_ZZZN2at6native31launch_logcumsumexp_cuda_kernelERKNSE_10TensorBaseESI_lENKUlvE_clEvENKUlvE1_clEvEUlS7_S7_E_S7_EEDaPvRmT3_T4_T5_mT6_P12ihipStream_tbENKUlT_T0_E_clISt17integral_constantIbLb1EESY_IbLb0EEEEDaSU_SV_EUlSU_E0_NS1_11comp_targetILNS1_3genE2ELNS1_11target_archE906ELNS1_3gpuE6ELNS1_3repE0EEENS1_30default_config_static_selectorELNS0_4arch9wavefront6targetE1EEEvT1_ ; -- Begin function _ZN7rocprim17ROCPRIM_400000_NS6detail17trampoline_kernelINS0_14default_configENS1_20scan_config_selectorIN3c107complexIdEEEEZZNS1_9scan_implILNS1_25lookback_scan_determinismE0ELb0ELb0ES3_PKS7_PS7_S7_ZZZN2at6native31launch_logcumsumexp_cuda_kernelERKNSE_10TensorBaseESI_lENKUlvE_clEvENKUlvE1_clEvEUlS7_S7_E_S7_EEDaPvRmT3_T4_T5_mT6_P12ihipStream_tbENKUlT_T0_E_clISt17integral_constantIbLb1EESY_IbLb0EEEEDaSU_SV_EUlSU_E0_NS1_11comp_targetILNS1_3genE2ELNS1_11target_archE906ELNS1_3gpuE6ELNS1_3repE0EEENS1_30default_config_static_selectorELNS0_4arch9wavefront6targetE1EEEvT1_
	.p2align	8
	.type	_ZN7rocprim17ROCPRIM_400000_NS6detail17trampoline_kernelINS0_14default_configENS1_20scan_config_selectorIN3c107complexIdEEEEZZNS1_9scan_implILNS1_25lookback_scan_determinismE0ELb0ELb0ES3_PKS7_PS7_S7_ZZZN2at6native31launch_logcumsumexp_cuda_kernelERKNSE_10TensorBaseESI_lENKUlvE_clEvENKUlvE1_clEvEUlS7_S7_E_S7_EEDaPvRmT3_T4_T5_mT6_P12ihipStream_tbENKUlT_T0_E_clISt17integral_constantIbLb1EESY_IbLb0EEEEDaSU_SV_EUlSU_E0_NS1_11comp_targetILNS1_3genE2ELNS1_11target_archE906ELNS1_3gpuE6ELNS1_3repE0EEENS1_30default_config_static_selectorELNS0_4arch9wavefront6targetE1EEEvT1_,@function
_ZN7rocprim17ROCPRIM_400000_NS6detail17trampoline_kernelINS0_14default_configENS1_20scan_config_selectorIN3c107complexIdEEEEZZNS1_9scan_implILNS1_25lookback_scan_determinismE0ELb0ELb0ES3_PKS7_PS7_S7_ZZZN2at6native31launch_logcumsumexp_cuda_kernelERKNSE_10TensorBaseESI_lENKUlvE_clEvENKUlvE1_clEvEUlS7_S7_E_S7_EEDaPvRmT3_T4_T5_mT6_P12ihipStream_tbENKUlT_T0_E_clISt17integral_constantIbLb1EESY_IbLb0EEEEDaSU_SV_EUlSU_E0_NS1_11comp_targetILNS1_3genE2ELNS1_11target_archE906ELNS1_3gpuE6ELNS1_3repE0EEENS1_30default_config_static_selectorELNS0_4arch9wavefront6targetE1EEEvT1_: ; @_ZN7rocprim17ROCPRIM_400000_NS6detail17trampoline_kernelINS0_14default_configENS1_20scan_config_selectorIN3c107complexIdEEEEZZNS1_9scan_implILNS1_25lookback_scan_determinismE0ELb0ELb0ES3_PKS7_PS7_S7_ZZZN2at6native31launch_logcumsumexp_cuda_kernelERKNSE_10TensorBaseESI_lENKUlvE_clEvENKUlvE1_clEvEUlS7_S7_E_S7_EEDaPvRmT3_T4_T5_mT6_P12ihipStream_tbENKUlT_T0_E_clISt17integral_constantIbLb1EESY_IbLb0EEEEDaSU_SV_EUlSU_E0_NS1_11comp_targetILNS1_3genE2ELNS1_11target_archE906ELNS1_3gpuE6ELNS1_3repE0EEENS1_30default_config_static_selectorELNS0_4arch9wavefront6targetE1EEEvT1_
; %bb.0:
	.section	.rodata,"a",@progbits
	.p2align	6, 0x0
	.amdhsa_kernel _ZN7rocprim17ROCPRIM_400000_NS6detail17trampoline_kernelINS0_14default_configENS1_20scan_config_selectorIN3c107complexIdEEEEZZNS1_9scan_implILNS1_25lookback_scan_determinismE0ELb0ELb0ES3_PKS7_PS7_S7_ZZZN2at6native31launch_logcumsumexp_cuda_kernelERKNSE_10TensorBaseESI_lENKUlvE_clEvENKUlvE1_clEvEUlS7_S7_E_S7_EEDaPvRmT3_T4_T5_mT6_P12ihipStream_tbENKUlT_T0_E_clISt17integral_constantIbLb1EESY_IbLb0EEEEDaSU_SV_EUlSU_E0_NS1_11comp_targetILNS1_3genE2ELNS1_11target_archE906ELNS1_3gpuE6ELNS1_3repE0EEENS1_30default_config_static_selectorELNS0_4arch9wavefront6targetE1EEEvT1_
		.amdhsa_group_segment_fixed_size 0
		.amdhsa_private_segment_fixed_size 0
		.amdhsa_kernarg_size 48
		.amdhsa_user_sgpr_count 6
		.amdhsa_user_sgpr_private_segment_buffer 1
		.amdhsa_user_sgpr_dispatch_ptr 0
		.amdhsa_user_sgpr_queue_ptr 0
		.amdhsa_user_sgpr_kernarg_segment_ptr 1
		.amdhsa_user_sgpr_dispatch_id 0
		.amdhsa_user_sgpr_flat_scratch_init 0
		.amdhsa_user_sgpr_kernarg_preload_length 0
		.amdhsa_user_sgpr_kernarg_preload_offset 0
		.amdhsa_user_sgpr_private_segment_size 0
		.amdhsa_uses_dynamic_stack 0
		.amdhsa_system_sgpr_private_segment_wavefront_offset 0
		.amdhsa_system_sgpr_workgroup_id_x 1
		.amdhsa_system_sgpr_workgroup_id_y 0
		.amdhsa_system_sgpr_workgroup_id_z 0
		.amdhsa_system_sgpr_workgroup_info 0
		.amdhsa_system_vgpr_workitem_id 0
		.amdhsa_next_free_vgpr 1
		.amdhsa_next_free_sgpr 0
		.amdhsa_accum_offset 4
		.amdhsa_reserve_vcc 0
		.amdhsa_reserve_flat_scratch 0
		.amdhsa_float_round_mode_32 0
		.amdhsa_float_round_mode_16_64 0
		.amdhsa_float_denorm_mode_32 3
		.amdhsa_float_denorm_mode_16_64 3
		.amdhsa_dx10_clamp 1
		.amdhsa_ieee_mode 1
		.amdhsa_fp16_overflow 0
		.amdhsa_tg_split 0
		.amdhsa_exception_fp_ieee_invalid_op 0
		.amdhsa_exception_fp_denorm_src 0
		.amdhsa_exception_fp_ieee_div_zero 0
		.amdhsa_exception_fp_ieee_overflow 0
		.amdhsa_exception_fp_ieee_underflow 0
		.amdhsa_exception_fp_ieee_inexact 0
		.amdhsa_exception_int_div_zero 0
	.end_amdhsa_kernel
	.section	.text._ZN7rocprim17ROCPRIM_400000_NS6detail17trampoline_kernelINS0_14default_configENS1_20scan_config_selectorIN3c107complexIdEEEEZZNS1_9scan_implILNS1_25lookback_scan_determinismE0ELb0ELb0ES3_PKS7_PS7_S7_ZZZN2at6native31launch_logcumsumexp_cuda_kernelERKNSE_10TensorBaseESI_lENKUlvE_clEvENKUlvE1_clEvEUlS7_S7_E_S7_EEDaPvRmT3_T4_T5_mT6_P12ihipStream_tbENKUlT_T0_E_clISt17integral_constantIbLb1EESY_IbLb0EEEEDaSU_SV_EUlSU_E0_NS1_11comp_targetILNS1_3genE2ELNS1_11target_archE906ELNS1_3gpuE6ELNS1_3repE0EEENS1_30default_config_static_selectorELNS0_4arch9wavefront6targetE1EEEvT1_,"axG",@progbits,_ZN7rocprim17ROCPRIM_400000_NS6detail17trampoline_kernelINS0_14default_configENS1_20scan_config_selectorIN3c107complexIdEEEEZZNS1_9scan_implILNS1_25lookback_scan_determinismE0ELb0ELb0ES3_PKS7_PS7_S7_ZZZN2at6native31launch_logcumsumexp_cuda_kernelERKNSE_10TensorBaseESI_lENKUlvE_clEvENKUlvE1_clEvEUlS7_S7_E_S7_EEDaPvRmT3_T4_T5_mT6_P12ihipStream_tbENKUlT_T0_E_clISt17integral_constantIbLb1EESY_IbLb0EEEEDaSU_SV_EUlSU_E0_NS1_11comp_targetILNS1_3genE2ELNS1_11target_archE906ELNS1_3gpuE6ELNS1_3repE0EEENS1_30default_config_static_selectorELNS0_4arch9wavefront6targetE1EEEvT1_,comdat
.Lfunc_end235:
	.size	_ZN7rocprim17ROCPRIM_400000_NS6detail17trampoline_kernelINS0_14default_configENS1_20scan_config_selectorIN3c107complexIdEEEEZZNS1_9scan_implILNS1_25lookback_scan_determinismE0ELb0ELb0ES3_PKS7_PS7_S7_ZZZN2at6native31launch_logcumsumexp_cuda_kernelERKNSE_10TensorBaseESI_lENKUlvE_clEvENKUlvE1_clEvEUlS7_S7_E_S7_EEDaPvRmT3_T4_T5_mT6_P12ihipStream_tbENKUlT_T0_E_clISt17integral_constantIbLb1EESY_IbLb0EEEEDaSU_SV_EUlSU_E0_NS1_11comp_targetILNS1_3genE2ELNS1_11target_archE906ELNS1_3gpuE6ELNS1_3repE0EEENS1_30default_config_static_selectorELNS0_4arch9wavefront6targetE1EEEvT1_, .Lfunc_end235-_ZN7rocprim17ROCPRIM_400000_NS6detail17trampoline_kernelINS0_14default_configENS1_20scan_config_selectorIN3c107complexIdEEEEZZNS1_9scan_implILNS1_25lookback_scan_determinismE0ELb0ELb0ES3_PKS7_PS7_S7_ZZZN2at6native31launch_logcumsumexp_cuda_kernelERKNSE_10TensorBaseESI_lENKUlvE_clEvENKUlvE1_clEvEUlS7_S7_E_S7_EEDaPvRmT3_T4_T5_mT6_P12ihipStream_tbENKUlT_T0_E_clISt17integral_constantIbLb1EESY_IbLb0EEEEDaSU_SV_EUlSU_E0_NS1_11comp_targetILNS1_3genE2ELNS1_11target_archE906ELNS1_3gpuE6ELNS1_3repE0EEENS1_30default_config_static_selectorELNS0_4arch9wavefront6targetE1EEEvT1_
                                        ; -- End function
	.section	.AMDGPU.csdata,"",@progbits
; Kernel info:
; codeLenInByte = 0
; NumSgprs: 4
; NumVgprs: 0
; NumAgprs: 0
; TotalNumVgprs: 0
; ScratchSize: 0
; MemoryBound: 0
; FloatMode: 240
; IeeeMode: 1
; LDSByteSize: 0 bytes/workgroup (compile time only)
; SGPRBlocks: 0
; VGPRBlocks: 0
; NumSGPRsForWavesPerEU: 4
; NumVGPRsForWavesPerEU: 1
; AccumOffset: 4
; Occupancy: 8
; WaveLimiterHint : 0
; COMPUTE_PGM_RSRC2:SCRATCH_EN: 0
; COMPUTE_PGM_RSRC2:USER_SGPR: 6
; COMPUTE_PGM_RSRC2:TRAP_HANDLER: 0
; COMPUTE_PGM_RSRC2:TGID_X_EN: 1
; COMPUTE_PGM_RSRC2:TGID_Y_EN: 0
; COMPUTE_PGM_RSRC2:TGID_Z_EN: 0
; COMPUTE_PGM_RSRC2:TIDIG_COMP_CNT: 0
; COMPUTE_PGM_RSRC3_GFX90A:ACCUM_OFFSET: 0
; COMPUTE_PGM_RSRC3_GFX90A:TG_SPLIT: 0
	.section	.text._ZN7rocprim17ROCPRIM_400000_NS6detail17trampoline_kernelINS0_14default_configENS1_20scan_config_selectorIN3c107complexIdEEEEZZNS1_9scan_implILNS1_25lookback_scan_determinismE0ELb0ELb0ES3_PKS7_PS7_S7_ZZZN2at6native31launch_logcumsumexp_cuda_kernelERKNSE_10TensorBaseESI_lENKUlvE_clEvENKUlvE1_clEvEUlS7_S7_E_S7_EEDaPvRmT3_T4_T5_mT6_P12ihipStream_tbENKUlT_T0_E_clISt17integral_constantIbLb1EESY_IbLb0EEEEDaSU_SV_EUlSU_E0_NS1_11comp_targetILNS1_3genE10ELNS1_11target_archE1201ELNS1_3gpuE5ELNS1_3repE0EEENS1_30default_config_static_selectorELNS0_4arch9wavefront6targetE1EEEvT1_,"axG",@progbits,_ZN7rocprim17ROCPRIM_400000_NS6detail17trampoline_kernelINS0_14default_configENS1_20scan_config_selectorIN3c107complexIdEEEEZZNS1_9scan_implILNS1_25lookback_scan_determinismE0ELb0ELb0ES3_PKS7_PS7_S7_ZZZN2at6native31launch_logcumsumexp_cuda_kernelERKNSE_10TensorBaseESI_lENKUlvE_clEvENKUlvE1_clEvEUlS7_S7_E_S7_EEDaPvRmT3_T4_T5_mT6_P12ihipStream_tbENKUlT_T0_E_clISt17integral_constantIbLb1EESY_IbLb0EEEEDaSU_SV_EUlSU_E0_NS1_11comp_targetILNS1_3genE10ELNS1_11target_archE1201ELNS1_3gpuE5ELNS1_3repE0EEENS1_30default_config_static_selectorELNS0_4arch9wavefront6targetE1EEEvT1_,comdat
	.globl	_ZN7rocprim17ROCPRIM_400000_NS6detail17trampoline_kernelINS0_14default_configENS1_20scan_config_selectorIN3c107complexIdEEEEZZNS1_9scan_implILNS1_25lookback_scan_determinismE0ELb0ELb0ES3_PKS7_PS7_S7_ZZZN2at6native31launch_logcumsumexp_cuda_kernelERKNSE_10TensorBaseESI_lENKUlvE_clEvENKUlvE1_clEvEUlS7_S7_E_S7_EEDaPvRmT3_T4_T5_mT6_P12ihipStream_tbENKUlT_T0_E_clISt17integral_constantIbLb1EESY_IbLb0EEEEDaSU_SV_EUlSU_E0_NS1_11comp_targetILNS1_3genE10ELNS1_11target_archE1201ELNS1_3gpuE5ELNS1_3repE0EEENS1_30default_config_static_selectorELNS0_4arch9wavefront6targetE1EEEvT1_ ; -- Begin function _ZN7rocprim17ROCPRIM_400000_NS6detail17trampoline_kernelINS0_14default_configENS1_20scan_config_selectorIN3c107complexIdEEEEZZNS1_9scan_implILNS1_25lookback_scan_determinismE0ELb0ELb0ES3_PKS7_PS7_S7_ZZZN2at6native31launch_logcumsumexp_cuda_kernelERKNSE_10TensorBaseESI_lENKUlvE_clEvENKUlvE1_clEvEUlS7_S7_E_S7_EEDaPvRmT3_T4_T5_mT6_P12ihipStream_tbENKUlT_T0_E_clISt17integral_constantIbLb1EESY_IbLb0EEEEDaSU_SV_EUlSU_E0_NS1_11comp_targetILNS1_3genE10ELNS1_11target_archE1201ELNS1_3gpuE5ELNS1_3repE0EEENS1_30default_config_static_selectorELNS0_4arch9wavefront6targetE1EEEvT1_
	.p2align	8
	.type	_ZN7rocprim17ROCPRIM_400000_NS6detail17trampoline_kernelINS0_14default_configENS1_20scan_config_selectorIN3c107complexIdEEEEZZNS1_9scan_implILNS1_25lookback_scan_determinismE0ELb0ELb0ES3_PKS7_PS7_S7_ZZZN2at6native31launch_logcumsumexp_cuda_kernelERKNSE_10TensorBaseESI_lENKUlvE_clEvENKUlvE1_clEvEUlS7_S7_E_S7_EEDaPvRmT3_T4_T5_mT6_P12ihipStream_tbENKUlT_T0_E_clISt17integral_constantIbLb1EESY_IbLb0EEEEDaSU_SV_EUlSU_E0_NS1_11comp_targetILNS1_3genE10ELNS1_11target_archE1201ELNS1_3gpuE5ELNS1_3repE0EEENS1_30default_config_static_selectorELNS0_4arch9wavefront6targetE1EEEvT1_,@function
_ZN7rocprim17ROCPRIM_400000_NS6detail17trampoline_kernelINS0_14default_configENS1_20scan_config_selectorIN3c107complexIdEEEEZZNS1_9scan_implILNS1_25lookback_scan_determinismE0ELb0ELb0ES3_PKS7_PS7_S7_ZZZN2at6native31launch_logcumsumexp_cuda_kernelERKNSE_10TensorBaseESI_lENKUlvE_clEvENKUlvE1_clEvEUlS7_S7_E_S7_EEDaPvRmT3_T4_T5_mT6_P12ihipStream_tbENKUlT_T0_E_clISt17integral_constantIbLb1EESY_IbLb0EEEEDaSU_SV_EUlSU_E0_NS1_11comp_targetILNS1_3genE10ELNS1_11target_archE1201ELNS1_3gpuE5ELNS1_3repE0EEENS1_30default_config_static_selectorELNS0_4arch9wavefront6targetE1EEEvT1_: ; @_ZN7rocprim17ROCPRIM_400000_NS6detail17trampoline_kernelINS0_14default_configENS1_20scan_config_selectorIN3c107complexIdEEEEZZNS1_9scan_implILNS1_25lookback_scan_determinismE0ELb0ELb0ES3_PKS7_PS7_S7_ZZZN2at6native31launch_logcumsumexp_cuda_kernelERKNSE_10TensorBaseESI_lENKUlvE_clEvENKUlvE1_clEvEUlS7_S7_E_S7_EEDaPvRmT3_T4_T5_mT6_P12ihipStream_tbENKUlT_T0_E_clISt17integral_constantIbLb1EESY_IbLb0EEEEDaSU_SV_EUlSU_E0_NS1_11comp_targetILNS1_3genE10ELNS1_11target_archE1201ELNS1_3gpuE5ELNS1_3repE0EEENS1_30default_config_static_selectorELNS0_4arch9wavefront6targetE1EEEvT1_
; %bb.0:
	.section	.rodata,"a",@progbits
	.p2align	6, 0x0
	.amdhsa_kernel _ZN7rocprim17ROCPRIM_400000_NS6detail17trampoline_kernelINS0_14default_configENS1_20scan_config_selectorIN3c107complexIdEEEEZZNS1_9scan_implILNS1_25lookback_scan_determinismE0ELb0ELb0ES3_PKS7_PS7_S7_ZZZN2at6native31launch_logcumsumexp_cuda_kernelERKNSE_10TensorBaseESI_lENKUlvE_clEvENKUlvE1_clEvEUlS7_S7_E_S7_EEDaPvRmT3_T4_T5_mT6_P12ihipStream_tbENKUlT_T0_E_clISt17integral_constantIbLb1EESY_IbLb0EEEEDaSU_SV_EUlSU_E0_NS1_11comp_targetILNS1_3genE10ELNS1_11target_archE1201ELNS1_3gpuE5ELNS1_3repE0EEENS1_30default_config_static_selectorELNS0_4arch9wavefront6targetE1EEEvT1_
		.amdhsa_group_segment_fixed_size 0
		.amdhsa_private_segment_fixed_size 0
		.amdhsa_kernarg_size 48
		.amdhsa_user_sgpr_count 6
		.amdhsa_user_sgpr_private_segment_buffer 1
		.amdhsa_user_sgpr_dispatch_ptr 0
		.amdhsa_user_sgpr_queue_ptr 0
		.amdhsa_user_sgpr_kernarg_segment_ptr 1
		.amdhsa_user_sgpr_dispatch_id 0
		.amdhsa_user_sgpr_flat_scratch_init 0
		.amdhsa_user_sgpr_kernarg_preload_length 0
		.amdhsa_user_sgpr_kernarg_preload_offset 0
		.amdhsa_user_sgpr_private_segment_size 0
		.amdhsa_uses_dynamic_stack 0
		.amdhsa_system_sgpr_private_segment_wavefront_offset 0
		.amdhsa_system_sgpr_workgroup_id_x 1
		.amdhsa_system_sgpr_workgroup_id_y 0
		.amdhsa_system_sgpr_workgroup_id_z 0
		.amdhsa_system_sgpr_workgroup_info 0
		.amdhsa_system_vgpr_workitem_id 0
		.amdhsa_next_free_vgpr 1
		.amdhsa_next_free_sgpr 0
		.amdhsa_accum_offset 4
		.amdhsa_reserve_vcc 0
		.amdhsa_reserve_flat_scratch 0
		.amdhsa_float_round_mode_32 0
		.amdhsa_float_round_mode_16_64 0
		.amdhsa_float_denorm_mode_32 3
		.amdhsa_float_denorm_mode_16_64 3
		.amdhsa_dx10_clamp 1
		.amdhsa_ieee_mode 1
		.amdhsa_fp16_overflow 0
		.amdhsa_tg_split 0
		.amdhsa_exception_fp_ieee_invalid_op 0
		.amdhsa_exception_fp_denorm_src 0
		.amdhsa_exception_fp_ieee_div_zero 0
		.amdhsa_exception_fp_ieee_overflow 0
		.amdhsa_exception_fp_ieee_underflow 0
		.amdhsa_exception_fp_ieee_inexact 0
		.amdhsa_exception_int_div_zero 0
	.end_amdhsa_kernel
	.section	.text._ZN7rocprim17ROCPRIM_400000_NS6detail17trampoline_kernelINS0_14default_configENS1_20scan_config_selectorIN3c107complexIdEEEEZZNS1_9scan_implILNS1_25lookback_scan_determinismE0ELb0ELb0ES3_PKS7_PS7_S7_ZZZN2at6native31launch_logcumsumexp_cuda_kernelERKNSE_10TensorBaseESI_lENKUlvE_clEvENKUlvE1_clEvEUlS7_S7_E_S7_EEDaPvRmT3_T4_T5_mT6_P12ihipStream_tbENKUlT_T0_E_clISt17integral_constantIbLb1EESY_IbLb0EEEEDaSU_SV_EUlSU_E0_NS1_11comp_targetILNS1_3genE10ELNS1_11target_archE1201ELNS1_3gpuE5ELNS1_3repE0EEENS1_30default_config_static_selectorELNS0_4arch9wavefront6targetE1EEEvT1_,"axG",@progbits,_ZN7rocprim17ROCPRIM_400000_NS6detail17trampoline_kernelINS0_14default_configENS1_20scan_config_selectorIN3c107complexIdEEEEZZNS1_9scan_implILNS1_25lookback_scan_determinismE0ELb0ELb0ES3_PKS7_PS7_S7_ZZZN2at6native31launch_logcumsumexp_cuda_kernelERKNSE_10TensorBaseESI_lENKUlvE_clEvENKUlvE1_clEvEUlS7_S7_E_S7_EEDaPvRmT3_T4_T5_mT6_P12ihipStream_tbENKUlT_T0_E_clISt17integral_constantIbLb1EESY_IbLb0EEEEDaSU_SV_EUlSU_E0_NS1_11comp_targetILNS1_3genE10ELNS1_11target_archE1201ELNS1_3gpuE5ELNS1_3repE0EEENS1_30default_config_static_selectorELNS0_4arch9wavefront6targetE1EEEvT1_,comdat
.Lfunc_end236:
	.size	_ZN7rocprim17ROCPRIM_400000_NS6detail17trampoline_kernelINS0_14default_configENS1_20scan_config_selectorIN3c107complexIdEEEEZZNS1_9scan_implILNS1_25lookback_scan_determinismE0ELb0ELb0ES3_PKS7_PS7_S7_ZZZN2at6native31launch_logcumsumexp_cuda_kernelERKNSE_10TensorBaseESI_lENKUlvE_clEvENKUlvE1_clEvEUlS7_S7_E_S7_EEDaPvRmT3_T4_T5_mT6_P12ihipStream_tbENKUlT_T0_E_clISt17integral_constantIbLb1EESY_IbLb0EEEEDaSU_SV_EUlSU_E0_NS1_11comp_targetILNS1_3genE10ELNS1_11target_archE1201ELNS1_3gpuE5ELNS1_3repE0EEENS1_30default_config_static_selectorELNS0_4arch9wavefront6targetE1EEEvT1_, .Lfunc_end236-_ZN7rocprim17ROCPRIM_400000_NS6detail17trampoline_kernelINS0_14default_configENS1_20scan_config_selectorIN3c107complexIdEEEEZZNS1_9scan_implILNS1_25lookback_scan_determinismE0ELb0ELb0ES3_PKS7_PS7_S7_ZZZN2at6native31launch_logcumsumexp_cuda_kernelERKNSE_10TensorBaseESI_lENKUlvE_clEvENKUlvE1_clEvEUlS7_S7_E_S7_EEDaPvRmT3_T4_T5_mT6_P12ihipStream_tbENKUlT_T0_E_clISt17integral_constantIbLb1EESY_IbLb0EEEEDaSU_SV_EUlSU_E0_NS1_11comp_targetILNS1_3genE10ELNS1_11target_archE1201ELNS1_3gpuE5ELNS1_3repE0EEENS1_30default_config_static_selectorELNS0_4arch9wavefront6targetE1EEEvT1_
                                        ; -- End function
	.section	.AMDGPU.csdata,"",@progbits
; Kernel info:
; codeLenInByte = 0
; NumSgprs: 4
; NumVgprs: 0
; NumAgprs: 0
; TotalNumVgprs: 0
; ScratchSize: 0
; MemoryBound: 0
; FloatMode: 240
; IeeeMode: 1
; LDSByteSize: 0 bytes/workgroup (compile time only)
; SGPRBlocks: 0
; VGPRBlocks: 0
; NumSGPRsForWavesPerEU: 4
; NumVGPRsForWavesPerEU: 1
; AccumOffset: 4
; Occupancy: 8
; WaveLimiterHint : 0
; COMPUTE_PGM_RSRC2:SCRATCH_EN: 0
; COMPUTE_PGM_RSRC2:USER_SGPR: 6
; COMPUTE_PGM_RSRC2:TRAP_HANDLER: 0
; COMPUTE_PGM_RSRC2:TGID_X_EN: 1
; COMPUTE_PGM_RSRC2:TGID_Y_EN: 0
; COMPUTE_PGM_RSRC2:TGID_Z_EN: 0
; COMPUTE_PGM_RSRC2:TIDIG_COMP_CNT: 0
; COMPUTE_PGM_RSRC3_GFX90A:ACCUM_OFFSET: 0
; COMPUTE_PGM_RSRC3_GFX90A:TG_SPLIT: 0
	.section	.text._ZN7rocprim17ROCPRIM_400000_NS6detail17trampoline_kernelINS0_14default_configENS1_20scan_config_selectorIN3c107complexIdEEEEZZNS1_9scan_implILNS1_25lookback_scan_determinismE0ELb0ELb0ES3_PKS7_PS7_S7_ZZZN2at6native31launch_logcumsumexp_cuda_kernelERKNSE_10TensorBaseESI_lENKUlvE_clEvENKUlvE1_clEvEUlS7_S7_E_S7_EEDaPvRmT3_T4_T5_mT6_P12ihipStream_tbENKUlT_T0_E_clISt17integral_constantIbLb1EESY_IbLb0EEEEDaSU_SV_EUlSU_E0_NS1_11comp_targetILNS1_3genE10ELNS1_11target_archE1200ELNS1_3gpuE4ELNS1_3repE0EEENS1_30default_config_static_selectorELNS0_4arch9wavefront6targetE1EEEvT1_,"axG",@progbits,_ZN7rocprim17ROCPRIM_400000_NS6detail17trampoline_kernelINS0_14default_configENS1_20scan_config_selectorIN3c107complexIdEEEEZZNS1_9scan_implILNS1_25lookback_scan_determinismE0ELb0ELb0ES3_PKS7_PS7_S7_ZZZN2at6native31launch_logcumsumexp_cuda_kernelERKNSE_10TensorBaseESI_lENKUlvE_clEvENKUlvE1_clEvEUlS7_S7_E_S7_EEDaPvRmT3_T4_T5_mT6_P12ihipStream_tbENKUlT_T0_E_clISt17integral_constantIbLb1EESY_IbLb0EEEEDaSU_SV_EUlSU_E0_NS1_11comp_targetILNS1_3genE10ELNS1_11target_archE1200ELNS1_3gpuE4ELNS1_3repE0EEENS1_30default_config_static_selectorELNS0_4arch9wavefront6targetE1EEEvT1_,comdat
	.globl	_ZN7rocprim17ROCPRIM_400000_NS6detail17trampoline_kernelINS0_14default_configENS1_20scan_config_selectorIN3c107complexIdEEEEZZNS1_9scan_implILNS1_25lookback_scan_determinismE0ELb0ELb0ES3_PKS7_PS7_S7_ZZZN2at6native31launch_logcumsumexp_cuda_kernelERKNSE_10TensorBaseESI_lENKUlvE_clEvENKUlvE1_clEvEUlS7_S7_E_S7_EEDaPvRmT3_T4_T5_mT6_P12ihipStream_tbENKUlT_T0_E_clISt17integral_constantIbLb1EESY_IbLb0EEEEDaSU_SV_EUlSU_E0_NS1_11comp_targetILNS1_3genE10ELNS1_11target_archE1200ELNS1_3gpuE4ELNS1_3repE0EEENS1_30default_config_static_selectorELNS0_4arch9wavefront6targetE1EEEvT1_ ; -- Begin function _ZN7rocprim17ROCPRIM_400000_NS6detail17trampoline_kernelINS0_14default_configENS1_20scan_config_selectorIN3c107complexIdEEEEZZNS1_9scan_implILNS1_25lookback_scan_determinismE0ELb0ELb0ES3_PKS7_PS7_S7_ZZZN2at6native31launch_logcumsumexp_cuda_kernelERKNSE_10TensorBaseESI_lENKUlvE_clEvENKUlvE1_clEvEUlS7_S7_E_S7_EEDaPvRmT3_T4_T5_mT6_P12ihipStream_tbENKUlT_T0_E_clISt17integral_constantIbLb1EESY_IbLb0EEEEDaSU_SV_EUlSU_E0_NS1_11comp_targetILNS1_3genE10ELNS1_11target_archE1200ELNS1_3gpuE4ELNS1_3repE0EEENS1_30default_config_static_selectorELNS0_4arch9wavefront6targetE1EEEvT1_
	.p2align	8
	.type	_ZN7rocprim17ROCPRIM_400000_NS6detail17trampoline_kernelINS0_14default_configENS1_20scan_config_selectorIN3c107complexIdEEEEZZNS1_9scan_implILNS1_25lookback_scan_determinismE0ELb0ELb0ES3_PKS7_PS7_S7_ZZZN2at6native31launch_logcumsumexp_cuda_kernelERKNSE_10TensorBaseESI_lENKUlvE_clEvENKUlvE1_clEvEUlS7_S7_E_S7_EEDaPvRmT3_T4_T5_mT6_P12ihipStream_tbENKUlT_T0_E_clISt17integral_constantIbLb1EESY_IbLb0EEEEDaSU_SV_EUlSU_E0_NS1_11comp_targetILNS1_3genE10ELNS1_11target_archE1200ELNS1_3gpuE4ELNS1_3repE0EEENS1_30default_config_static_selectorELNS0_4arch9wavefront6targetE1EEEvT1_,@function
_ZN7rocprim17ROCPRIM_400000_NS6detail17trampoline_kernelINS0_14default_configENS1_20scan_config_selectorIN3c107complexIdEEEEZZNS1_9scan_implILNS1_25lookback_scan_determinismE0ELb0ELb0ES3_PKS7_PS7_S7_ZZZN2at6native31launch_logcumsumexp_cuda_kernelERKNSE_10TensorBaseESI_lENKUlvE_clEvENKUlvE1_clEvEUlS7_S7_E_S7_EEDaPvRmT3_T4_T5_mT6_P12ihipStream_tbENKUlT_T0_E_clISt17integral_constantIbLb1EESY_IbLb0EEEEDaSU_SV_EUlSU_E0_NS1_11comp_targetILNS1_3genE10ELNS1_11target_archE1200ELNS1_3gpuE4ELNS1_3repE0EEENS1_30default_config_static_selectorELNS0_4arch9wavefront6targetE1EEEvT1_: ; @_ZN7rocprim17ROCPRIM_400000_NS6detail17trampoline_kernelINS0_14default_configENS1_20scan_config_selectorIN3c107complexIdEEEEZZNS1_9scan_implILNS1_25lookback_scan_determinismE0ELb0ELb0ES3_PKS7_PS7_S7_ZZZN2at6native31launch_logcumsumexp_cuda_kernelERKNSE_10TensorBaseESI_lENKUlvE_clEvENKUlvE1_clEvEUlS7_S7_E_S7_EEDaPvRmT3_T4_T5_mT6_P12ihipStream_tbENKUlT_T0_E_clISt17integral_constantIbLb1EESY_IbLb0EEEEDaSU_SV_EUlSU_E0_NS1_11comp_targetILNS1_3genE10ELNS1_11target_archE1200ELNS1_3gpuE4ELNS1_3repE0EEENS1_30default_config_static_selectorELNS0_4arch9wavefront6targetE1EEEvT1_
; %bb.0:
	.section	.rodata,"a",@progbits
	.p2align	6, 0x0
	.amdhsa_kernel _ZN7rocprim17ROCPRIM_400000_NS6detail17trampoline_kernelINS0_14default_configENS1_20scan_config_selectorIN3c107complexIdEEEEZZNS1_9scan_implILNS1_25lookback_scan_determinismE0ELb0ELb0ES3_PKS7_PS7_S7_ZZZN2at6native31launch_logcumsumexp_cuda_kernelERKNSE_10TensorBaseESI_lENKUlvE_clEvENKUlvE1_clEvEUlS7_S7_E_S7_EEDaPvRmT3_T4_T5_mT6_P12ihipStream_tbENKUlT_T0_E_clISt17integral_constantIbLb1EESY_IbLb0EEEEDaSU_SV_EUlSU_E0_NS1_11comp_targetILNS1_3genE10ELNS1_11target_archE1200ELNS1_3gpuE4ELNS1_3repE0EEENS1_30default_config_static_selectorELNS0_4arch9wavefront6targetE1EEEvT1_
		.amdhsa_group_segment_fixed_size 0
		.amdhsa_private_segment_fixed_size 0
		.amdhsa_kernarg_size 48
		.amdhsa_user_sgpr_count 6
		.amdhsa_user_sgpr_private_segment_buffer 1
		.amdhsa_user_sgpr_dispatch_ptr 0
		.amdhsa_user_sgpr_queue_ptr 0
		.amdhsa_user_sgpr_kernarg_segment_ptr 1
		.amdhsa_user_sgpr_dispatch_id 0
		.amdhsa_user_sgpr_flat_scratch_init 0
		.amdhsa_user_sgpr_kernarg_preload_length 0
		.amdhsa_user_sgpr_kernarg_preload_offset 0
		.amdhsa_user_sgpr_private_segment_size 0
		.amdhsa_uses_dynamic_stack 0
		.amdhsa_system_sgpr_private_segment_wavefront_offset 0
		.amdhsa_system_sgpr_workgroup_id_x 1
		.amdhsa_system_sgpr_workgroup_id_y 0
		.amdhsa_system_sgpr_workgroup_id_z 0
		.amdhsa_system_sgpr_workgroup_info 0
		.amdhsa_system_vgpr_workitem_id 0
		.amdhsa_next_free_vgpr 1
		.amdhsa_next_free_sgpr 0
		.amdhsa_accum_offset 4
		.amdhsa_reserve_vcc 0
		.amdhsa_reserve_flat_scratch 0
		.amdhsa_float_round_mode_32 0
		.amdhsa_float_round_mode_16_64 0
		.amdhsa_float_denorm_mode_32 3
		.amdhsa_float_denorm_mode_16_64 3
		.amdhsa_dx10_clamp 1
		.amdhsa_ieee_mode 1
		.amdhsa_fp16_overflow 0
		.amdhsa_tg_split 0
		.amdhsa_exception_fp_ieee_invalid_op 0
		.amdhsa_exception_fp_denorm_src 0
		.amdhsa_exception_fp_ieee_div_zero 0
		.amdhsa_exception_fp_ieee_overflow 0
		.amdhsa_exception_fp_ieee_underflow 0
		.amdhsa_exception_fp_ieee_inexact 0
		.amdhsa_exception_int_div_zero 0
	.end_amdhsa_kernel
	.section	.text._ZN7rocprim17ROCPRIM_400000_NS6detail17trampoline_kernelINS0_14default_configENS1_20scan_config_selectorIN3c107complexIdEEEEZZNS1_9scan_implILNS1_25lookback_scan_determinismE0ELb0ELb0ES3_PKS7_PS7_S7_ZZZN2at6native31launch_logcumsumexp_cuda_kernelERKNSE_10TensorBaseESI_lENKUlvE_clEvENKUlvE1_clEvEUlS7_S7_E_S7_EEDaPvRmT3_T4_T5_mT6_P12ihipStream_tbENKUlT_T0_E_clISt17integral_constantIbLb1EESY_IbLb0EEEEDaSU_SV_EUlSU_E0_NS1_11comp_targetILNS1_3genE10ELNS1_11target_archE1200ELNS1_3gpuE4ELNS1_3repE0EEENS1_30default_config_static_selectorELNS0_4arch9wavefront6targetE1EEEvT1_,"axG",@progbits,_ZN7rocprim17ROCPRIM_400000_NS6detail17trampoline_kernelINS0_14default_configENS1_20scan_config_selectorIN3c107complexIdEEEEZZNS1_9scan_implILNS1_25lookback_scan_determinismE0ELb0ELb0ES3_PKS7_PS7_S7_ZZZN2at6native31launch_logcumsumexp_cuda_kernelERKNSE_10TensorBaseESI_lENKUlvE_clEvENKUlvE1_clEvEUlS7_S7_E_S7_EEDaPvRmT3_T4_T5_mT6_P12ihipStream_tbENKUlT_T0_E_clISt17integral_constantIbLb1EESY_IbLb0EEEEDaSU_SV_EUlSU_E0_NS1_11comp_targetILNS1_3genE10ELNS1_11target_archE1200ELNS1_3gpuE4ELNS1_3repE0EEENS1_30default_config_static_selectorELNS0_4arch9wavefront6targetE1EEEvT1_,comdat
.Lfunc_end237:
	.size	_ZN7rocprim17ROCPRIM_400000_NS6detail17trampoline_kernelINS0_14default_configENS1_20scan_config_selectorIN3c107complexIdEEEEZZNS1_9scan_implILNS1_25lookback_scan_determinismE0ELb0ELb0ES3_PKS7_PS7_S7_ZZZN2at6native31launch_logcumsumexp_cuda_kernelERKNSE_10TensorBaseESI_lENKUlvE_clEvENKUlvE1_clEvEUlS7_S7_E_S7_EEDaPvRmT3_T4_T5_mT6_P12ihipStream_tbENKUlT_T0_E_clISt17integral_constantIbLb1EESY_IbLb0EEEEDaSU_SV_EUlSU_E0_NS1_11comp_targetILNS1_3genE10ELNS1_11target_archE1200ELNS1_3gpuE4ELNS1_3repE0EEENS1_30default_config_static_selectorELNS0_4arch9wavefront6targetE1EEEvT1_, .Lfunc_end237-_ZN7rocprim17ROCPRIM_400000_NS6detail17trampoline_kernelINS0_14default_configENS1_20scan_config_selectorIN3c107complexIdEEEEZZNS1_9scan_implILNS1_25lookback_scan_determinismE0ELb0ELb0ES3_PKS7_PS7_S7_ZZZN2at6native31launch_logcumsumexp_cuda_kernelERKNSE_10TensorBaseESI_lENKUlvE_clEvENKUlvE1_clEvEUlS7_S7_E_S7_EEDaPvRmT3_T4_T5_mT6_P12ihipStream_tbENKUlT_T0_E_clISt17integral_constantIbLb1EESY_IbLb0EEEEDaSU_SV_EUlSU_E0_NS1_11comp_targetILNS1_3genE10ELNS1_11target_archE1200ELNS1_3gpuE4ELNS1_3repE0EEENS1_30default_config_static_selectorELNS0_4arch9wavefront6targetE1EEEvT1_
                                        ; -- End function
	.section	.AMDGPU.csdata,"",@progbits
; Kernel info:
; codeLenInByte = 0
; NumSgprs: 4
; NumVgprs: 0
; NumAgprs: 0
; TotalNumVgprs: 0
; ScratchSize: 0
; MemoryBound: 0
; FloatMode: 240
; IeeeMode: 1
; LDSByteSize: 0 bytes/workgroup (compile time only)
; SGPRBlocks: 0
; VGPRBlocks: 0
; NumSGPRsForWavesPerEU: 4
; NumVGPRsForWavesPerEU: 1
; AccumOffset: 4
; Occupancy: 8
; WaveLimiterHint : 0
; COMPUTE_PGM_RSRC2:SCRATCH_EN: 0
; COMPUTE_PGM_RSRC2:USER_SGPR: 6
; COMPUTE_PGM_RSRC2:TRAP_HANDLER: 0
; COMPUTE_PGM_RSRC2:TGID_X_EN: 1
; COMPUTE_PGM_RSRC2:TGID_Y_EN: 0
; COMPUTE_PGM_RSRC2:TGID_Z_EN: 0
; COMPUTE_PGM_RSRC2:TIDIG_COMP_CNT: 0
; COMPUTE_PGM_RSRC3_GFX90A:ACCUM_OFFSET: 0
; COMPUTE_PGM_RSRC3_GFX90A:TG_SPLIT: 0
	.section	.text._ZN7rocprim17ROCPRIM_400000_NS6detail17trampoline_kernelINS0_14default_configENS1_20scan_config_selectorIN3c107complexIdEEEEZZNS1_9scan_implILNS1_25lookback_scan_determinismE0ELb0ELb0ES3_PKS7_PS7_S7_ZZZN2at6native31launch_logcumsumexp_cuda_kernelERKNSE_10TensorBaseESI_lENKUlvE_clEvENKUlvE1_clEvEUlS7_S7_E_S7_EEDaPvRmT3_T4_T5_mT6_P12ihipStream_tbENKUlT_T0_E_clISt17integral_constantIbLb1EESY_IbLb0EEEEDaSU_SV_EUlSU_E0_NS1_11comp_targetILNS1_3genE9ELNS1_11target_archE1100ELNS1_3gpuE3ELNS1_3repE0EEENS1_30default_config_static_selectorELNS0_4arch9wavefront6targetE1EEEvT1_,"axG",@progbits,_ZN7rocprim17ROCPRIM_400000_NS6detail17trampoline_kernelINS0_14default_configENS1_20scan_config_selectorIN3c107complexIdEEEEZZNS1_9scan_implILNS1_25lookback_scan_determinismE0ELb0ELb0ES3_PKS7_PS7_S7_ZZZN2at6native31launch_logcumsumexp_cuda_kernelERKNSE_10TensorBaseESI_lENKUlvE_clEvENKUlvE1_clEvEUlS7_S7_E_S7_EEDaPvRmT3_T4_T5_mT6_P12ihipStream_tbENKUlT_T0_E_clISt17integral_constantIbLb1EESY_IbLb0EEEEDaSU_SV_EUlSU_E0_NS1_11comp_targetILNS1_3genE9ELNS1_11target_archE1100ELNS1_3gpuE3ELNS1_3repE0EEENS1_30default_config_static_selectorELNS0_4arch9wavefront6targetE1EEEvT1_,comdat
	.globl	_ZN7rocprim17ROCPRIM_400000_NS6detail17trampoline_kernelINS0_14default_configENS1_20scan_config_selectorIN3c107complexIdEEEEZZNS1_9scan_implILNS1_25lookback_scan_determinismE0ELb0ELb0ES3_PKS7_PS7_S7_ZZZN2at6native31launch_logcumsumexp_cuda_kernelERKNSE_10TensorBaseESI_lENKUlvE_clEvENKUlvE1_clEvEUlS7_S7_E_S7_EEDaPvRmT3_T4_T5_mT6_P12ihipStream_tbENKUlT_T0_E_clISt17integral_constantIbLb1EESY_IbLb0EEEEDaSU_SV_EUlSU_E0_NS1_11comp_targetILNS1_3genE9ELNS1_11target_archE1100ELNS1_3gpuE3ELNS1_3repE0EEENS1_30default_config_static_selectorELNS0_4arch9wavefront6targetE1EEEvT1_ ; -- Begin function _ZN7rocprim17ROCPRIM_400000_NS6detail17trampoline_kernelINS0_14default_configENS1_20scan_config_selectorIN3c107complexIdEEEEZZNS1_9scan_implILNS1_25lookback_scan_determinismE0ELb0ELb0ES3_PKS7_PS7_S7_ZZZN2at6native31launch_logcumsumexp_cuda_kernelERKNSE_10TensorBaseESI_lENKUlvE_clEvENKUlvE1_clEvEUlS7_S7_E_S7_EEDaPvRmT3_T4_T5_mT6_P12ihipStream_tbENKUlT_T0_E_clISt17integral_constantIbLb1EESY_IbLb0EEEEDaSU_SV_EUlSU_E0_NS1_11comp_targetILNS1_3genE9ELNS1_11target_archE1100ELNS1_3gpuE3ELNS1_3repE0EEENS1_30default_config_static_selectorELNS0_4arch9wavefront6targetE1EEEvT1_
	.p2align	8
	.type	_ZN7rocprim17ROCPRIM_400000_NS6detail17trampoline_kernelINS0_14default_configENS1_20scan_config_selectorIN3c107complexIdEEEEZZNS1_9scan_implILNS1_25lookback_scan_determinismE0ELb0ELb0ES3_PKS7_PS7_S7_ZZZN2at6native31launch_logcumsumexp_cuda_kernelERKNSE_10TensorBaseESI_lENKUlvE_clEvENKUlvE1_clEvEUlS7_S7_E_S7_EEDaPvRmT3_T4_T5_mT6_P12ihipStream_tbENKUlT_T0_E_clISt17integral_constantIbLb1EESY_IbLb0EEEEDaSU_SV_EUlSU_E0_NS1_11comp_targetILNS1_3genE9ELNS1_11target_archE1100ELNS1_3gpuE3ELNS1_3repE0EEENS1_30default_config_static_selectorELNS0_4arch9wavefront6targetE1EEEvT1_,@function
_ZN7rocprim17ROCPRIM_400000_NS6detail17trampoline_kernelINS0_14default_configENS1_20scan_config_selectorIN3c107complexIdEEEEZZNS1_9scan_implILNS1_25lookback_scan_determinismE0ELb0ELb0ES3_PKS7_PS7_S7_ZZZN2at6native31launch_logcumsumexp_cuda_kernelERKNSE_10TensorBaseESI_lENKUlvE_clEvENKUlvE1_clEvEUlS7_S7_E_S7_EEDaPvRmT3_T4_T5_mT6_P12ihipStream_tbENKUlT_T0_E_clISt17integral_constantIbLb1EESY_IbLb0EEEEDaSU_SV_EUlSU_E0_NS1_11comp_targetILNS1_3genE9ELNS1_11target_archE1100ELNS1_3gpuE3ELNS1_3repE0EEENS1_30default_config_static_selectorELNS0_4arch9wavefront6targetE1EEEvT1_: ; @_ZN7rocprim17ROCPRIM_400000_NS6detail17trampoline_kernelINS0_14default_configENS1_20scan_config_selectorIN3c107complexIdEEEEZZNS1_9scan_implILNS1_25lookback_scan_determinismE0ELb0ELb0ES3_PKS7_PS7_S7_ZZZN2at6native31launch_logcumsumexp_cuda_kernelERKNSE_10TensorBaseESI_lENKUlvE_clEvENKUlvE1_clEvEUlS7_S7_E_S7_EEDaPvRmT3_T4_T5_mT6_P12ihipStream_tbENKUlT_T0_E_clISt17integral_constantIbLb1EESY_IbLb0EEEEDaSU_SV_EUlSU_E0_NS1_11comp_targetILNS1_3genE9ELNS1_11target_archE1100ELNS1_3gpuE3ELNS1_3repE0EEENS1_30default_config_static_selectorELNS0_4arch9wavefront6targetE1EEEvT1_
; %bb.0:
	.section	.rodata,"a",@progbits
	.p2align	6, 0x0
	.amdhsa_kernel _ZN7rocprim17ROCPRIM_400000_NS6detail17trampoline_kernelINS0_14default_configENS1_20scan_config_selectorIN3c107complexIdEEEEZZNS1_9scan_implILNS1_25lookback_scan_determinismE0ELb0ELb0ES3_PKS7_PS7_S7_ZZZN2at6native31launch_logcumsumexp_cuda_kernelERKNSE_10TensorBaseESI_lENKUlvE_clEvENKUlvE1_clEvEUlS7_S7_E_S7_EEDaPvRmT3_T4_T5_mT6_P12ihipStream_tbENKUlT_T0_E_clISt17integral_constantIbLb1EESY_IbLb0EEEEDaSU_SV_EUlSU_E0_NS1_11comp_targetILNS1_3genE9ELNS1_11target_archE1100ELNS1_3gpuE3ELNS1_3repE0EEENS1_30default_config_static_selectorELNS0_4arch9wavefront6targetE1EEEvT1_
		.amdhsa_group_segment_fixed_size 0
		.amdhsa_private_segment_fixed_size 0
		.amdhsa_kernarg_size 48
		.amdhsa_user_sgpr_count 6
		.amdhsa_user_sgpr_private_segment_buffer 1
		.amdhsa_user_sgpr_dispatch_ptr 0
		.amdhsa_user_sgpr_queue_ptr 0
		.amdhsa_user_sgpr_kernarg_segment_ptr 1
		.amdhsa_user_sgpr_dispatch_id 0
		.amdhsa_user_sgpr_flat_scratch_init 0
		.amdhsa_user_sgpr_kernarg_preload_length 0
		.amdhsa_user_sgpr_kernarg_preload_offset 0
		.amdhsa_user_sgpr_private_segment_size 0
		.amdhsa_uses_dynamic_stack 0
		.amdhsa_system_sgpr_private_segment_wavefront_offset 0
		.amdhsa_system_sgpr_workgroup_id_x 1
		.amdhsa_system_sgpr_workgroup_id_y 0
		.amdhsa_system_sgpr_workgroup_id_z 0
		.amdhsa_system_sgpr_workgroup_info 0
		.amdhsa_system_vgpr_workitem_id 0
		.amdhsa_next_free_vgpr 1
		.amdhsa_next_free_sgpr 0
		.amdhsa_accum_offset 4
		.amdhsa_reserve_vcc 0
		.amdhsa_reserve_flat_scratch 0
		.amdhsa_float_round_mode_32 0
		.amdhsa_float_round_mode_16_64 0
		.amdhsa_float_denorm_mode_32 3
		.amdhsa_float_denorm_mode_16_64 3
		.amdhsa_dx10_clamp 1
		.amdhsa_ieee_mode 1
		.amdhsa_fp16_overflow 0
		.amdhsa_tg_split 0
		.amdhsa_exception_fp_ieee_invalid_op 0
		.amdhsa_exception_fp_denorm_src 0
		.amdhsa_exception_fp_ieee_div_zero 0
		.amdhsa_exception_fp_ieee_overflow 0
		.amdhsa_exception_fp_ieee_underflow 0
		.amdhsa_exception_fp_ieee_inexact 0
		.amdhsa_exception_int_div_zero 0
	.end_amdhsa_kernel
	.section	.text._ZN7rocprim17ROCPRIM_400000_NS6detail17trampoline_kernelINS0_14default_configENS1_20scan_config_selectorIN3c107complexIdEEEEZZNS1_9scan_implILNS1_25lookback_scan_determinismE0ELb0ELb0ES3_PKS7_PS7_S7_ZZZN2at6native31launch_logcumsumexp_cuda_kernelERKNSE_10TensorBaseESI_lENKUlvE_clEvENKUlvE1_clEvEUlS7_S7_E_S7_EEDaPvRmT3_T4_T5_mT6_P12ihipStream_tbENKUlT_T0_E_clISt17integral_constantIbLb1EESY_IbLb0EEEEDaSU_SV_EUlSU_E0_NS1_11comp_targetILNS1_3genE9ELNS1_11target_archE1100ELNS1_3gpuE3ELNS1_3repE0EEENS1_30default_config_static_selectorELNS0_4arch9wavefront6targetE1EEEvT1_,"axG",@progbits,_ZN7rocprim17ROCPRIM_400000_NS6detail17trampoline_kernelINS0_14default_configENS1_20scan_config_selectorIN3c107complexIdEEEEZZNS1_9scan_implILNS1_25lookback_scan_determinismE0ELb0ELb0ES3_PKS7_PS7_S7_ZZZN2at6native31launch_logcumsumexp_cuda_kernelERKNSE_10TensorBaseESI_lENKUlvE_clEvENKUlvE1_clEvEUlS7_S7_E_S7_EEDaPvRmT3_T4_T5_mT6_P12ihipStream_tbENKUlT_T0_E_clISt17integral_constantIbLb1EESY_IbLb0EEEEDaSU_SV_EUlSU_E0_NS1_11comp_targetILNS1_3genE9ELNS1_11target_archE1100ELNS1_3gpuE3ELNS1_3repE0EEENS1_30default_config_static_selectorELNS0_4arch9wavefront6targetE1EEEvT1_,comdat
.Lfunc_end238:
	.size	_ZN7rocprim17ROCPRIM_400000_NS6detail17trampoline_kernelINS0_14default_configENS1_20scan_config_selectorIN3c107complexIdEEEEZZNS1_9scan_implILNS1_25lookback_scan_determinismE0ELb0ELb0ES3_PKS7_PS7_S7_ZZZN2at6native31launch_logcumsumexp_cuda_kernelERKNSE_10TensorBaseESI_lENKUlvE_clEvENKUlvE1_clEvEUlS7_S7_E_S7_EEDaPvRmT3_T4_T5_mT6_P12ihipStream_tbENKUlT_T0_E_clISt17integral_constantIbLb1EESY_IbLb0EEEEDaSU_SV_EUlSU_E0_NS1_11comp_targetILNS1_3genE9ELNS1_11target_archE1100ELNS1_3gpuE3ELNS1_3repE0EEENS1_30default_config_static_selectorELNS0_4arch9wavefront6targetE1EEEvT1_, .Lfunc_end238-_ZN7rocprim17ROCPRIM_400000_NS6detail17trampoline_kernelINS0_14default_configENS1_20scan_config_selectorIN3c107complexIdEEEEZZNS1_9scan_implILNS1_25lookback_scan_determinismE0ELb0ELb0ES3_PKS7_PS7_S7_ZZZN2at6native31launch_logcumsumexp_cuda_kernelERKNSE_10TensorBaseESI_lENKUlvE_clEvENKUlvE1_clEvEUlS7_S7_E_S7_EEDaPvRmT3_T4_T5_mT6_P12ihipStream_tbENKUlT_T0_E_clISt17integral_constantIbLb1EESY_IbLb0EEEEDaSU_SV_EUlSU_E0_NS1_11comp_targetILNS1_3genE9ELNS1_11target_archE1100ELNS1_3gpuE3ELNS1_3repE0EEENS1_30default_config_static_selectorELNS0_4arch9wavefront6targetE1EEEvT1_
                                        ; -- End function
	.section	.AMDGPU.csdata,"",@progbits
; Kernel info:
; codeLenInByte = 0
; NumSgprs: 4
; NumVgprs: 0
; NumAgprs: 0
; TotalNumVgprs: 0
; ScratchSize: 0
; MemoryBound: 0
; FloatMode: 240
; IeeeMode: 1
; LDSByteSize: 0 bytes/workgroup (compile time only)
; SGPRBlocks: 0
; VGPRBlocks: 0
; NumSGPRsForWavesPerEU: 4
; NumVGPRsForWavesPerEU: 1
; AccumOffset: 4
; Occupancy: 8
; WaveLimiterHint : 0
; COMPUTE_PGM_RSRC2:SCRATCH_EN: 0
; COMPUTE_PGM_RSRC2:USER_SGPR: 6
; COMPUTE_PGM_RSRC2:TRAP_HANDLER: 0
; COMPUTE_PGM_RSRC2:TGID_X_EN: 1
; COMPUTE_PGM_RSRC2:TGID_Y_EN: 0
; COMPUTE_PGM_RSRC2:TGID_Z_EN: 0
; COMPUTE_PGM_RSRC2:TIDIG_COMP_CNT: 0
; COMPUTE_PGM_RSRC3_GFX90A:ACCUM_OFFSET: 0
; COMPUTE_PGM_RSRC3_GFX90A:TG_SPLIT: 0
	.section	.text._ZN7rocprim17ROCPRIM_400000_NS6detail17trampoline_kernelINS0_14default_configENS1_20scan_config_selectorIN3c107complexIdEEEEZZNS1_9scan_implILNS1_25lookback_scan_determinismE0ELb0ELb0ES3_PKS7_PS7_S7_ZZZN2at6native31launch_logcumsumexp_cuda_kernelERKNSE_10TensorBaseESI_lENKUlvE_clEvENKUlvE1_clEvEUlS7_S7_E_S7_EEDaPvRmT3_T4_T5_mT6_P12ihipStream_tbENKUlT_T0_E_clISt17integral_constantIbLb1EESY_IbLb0EEEEDaSU_SV_EUlSU_E0_NS1_11comp_targetILNS1_3genE8ELNS1_11target_archE1030ELNS1_3gpuE2ELNS1_3repE0EEENS1_30default_config_static_selectorELNS0_4arch9wavefront6targetE1EEEvT1_,"axG",@progbits,_ZN7rocprim17ROCPRIM_400000_NS6detail17trampoline_kernelINS0_14default_configENS1_20scan_config_selectorIN3c107complexIdEEEEZZNS1_9scan_implILNS1_25lookback_scan_determinismE0ELb0ELb0ES3_PKS7_PS7_S7_ZZZN2at6native31launch_logcumsumexp_cuda_kernelERKNSE_10TensorBaseESI_lENKUlvE_clEvENKUlvE1_clEvEUlS7_S7_E_S7_EEDaPvRmT3_T4_T5_mT6_P12ihipStream_tbENKUlT_T0_E_clISt17integral_constantIbLb1EESY_IbLb0EEEEDaSU_SV_EUlSU_E0_NS1_11comp_targetILNS1_3genE8ELNS1_11target_archE1030ELNS1_3gpuE2ELNS1_3repE0EEENS1_30default_config_static_selectorELNS0_4arch9wavefront6targetE1EEEvT1_,comdat
	.globl	_ZN7rocprim17ROCPRIM_400000_NS6detail17trampoline_kernelINS0_14default_configENS1_20scan_config_selectorIN3c107complexIdEEEEZZNS1_9scan_implILNS1_25lookback_scan_determinismE0ELb0ELb0ES3_PKS7_PS7_S7_ZZZN2at6native31launch_logcumsumexp_cuda_kernelERKNSE_10TensorBaseESI_lENKUlvE_clEvENKUlvE1_clEvEUlS7_S7_E_S7_EEDaPvRmT3_T4_T5_mT6_P12ihipStream_tbENKUlT_T0_E_clISt17integral_constantIbLb1EESY_IbLb0EEEEDaSU_SV_EUlSU_E0_NS1_11comp_targetILNS1_3genE8ELNS1_11target_archE1030ELNS1_3gpuE2ELNS1_3repE0EEENS1_30default_config_static_selectorELNS0_4arch9wavefront6targetE1EEEvT1_ ; -- Begin function _ZN7rocprim17ROCPRIM_400000_NS6detail17trampoline_kernelINS0_14default_configENS1_20scan_config_selectorIN3c107complexIdEEEEZZNS1_9scan_implILNS1_25lookback_scan_determinismE0ELb0ELb0ES3_PKS7_PS7_S7_ZZZN2at6native31launch_logcumsumexp_cuda_kernelERKNSE_10TensorBaseESI_lENKUlvE_clEvENKUlvE1_clEvEUlS7_S7_E_S7_EEDaPvRmT3_T4_T5_mT6_P12ihipStream_tbENKUlT_T0_E_clISt17integral_constantIbLb1EESY_IbLb0EEEEDaSU_SV_EUlSU_E0_NS1_11comp_targetILNS1_3genE8ELNS1_11target_archE1030ELNS1_3gpuE2ELNS1_3repE0EEENS1_30default_config_static_selectorELNS0_4arch9wavefront6targetE1EEEvT1_
	.p2align	8
	.type	_ZN7rocprim17ROCPRIM_400000_NS6detail17trampoline_kernelINS0_14default_configENS1_20scan_config_selectorIN3c107complexIdEEEEZZNS1_9scan_implILNS1_25lookback_scan_determinismE0ELb0ELb0ES3_PKS7_PS7_S7_ZZZN2at6native31launch_logcumsumexp_cuda_kernelERKNSE_10TensorBaseESI_lENKUlvE_clEvENKUlvE1_clEvEUlS7_S7_E_S7_EEDaPvRmT3_T4_T5_mT6_P12ihipStream_tbENKUlT_T0_E_clISt17integral_constantIbLb1EESY_IbLb0EEEEDaSU_SV_EUlSU_E0_NS1_11comp_targetILNS1_3genE8ELNS1_11target_archE1030ELNS1_3gpuE2ELNS1_3repE0EEENS1_30default_config_static_selectorELNS0_4arch9wavefront6targetE1EEEvT1_,@function
_ZN7rocprim17ROCPRIM_400000_NS6detail17trampoline_kernelINS0_14default_configENS1_20scan_config_selectorIN3c107complexIdEEEEZZNS1_9scan_implILNS1_25lookback_scan_determinismE0ELb0ELb0ES3_PKS7_PS7_S7_ZZZN2at6native31launch_logcumsumexp_cuda_kernelERKNSE_10TensorBaseESI_lENKUlvE_clEvENKUlvE1_clEvEUlS7_S7_E_S7_EEDaPvRmT3_T4_T5_mT6_P12ihipStream_tbENKUlT_T0_E_clISt17integral_constantIbLb1EESY_IbLb0EEEEDaSU_SV_EUlSU_E0_NS1_11comp_targetILNS1_3genE8ELNS1_11target_archE1030ELNS1_3gpuE2ELNS1_3repE0EEENS1_30default_config_static_selectorELNS0_4arch9wavefront6targetE1EEEvT1_: ; @_ZN7rocprim17ROCPRIM_400000_NS6detail17trampoline_kernelINS0_14default_configENS1_20scan_config_selectorIN3c107complexIdEEEEZZNS1_9scan_implILNS1_25lookback_scan_determinismE0ELb0ELb0ES3_PKS7_PS7_S7_ZZZN2at6native31launch_logcumsumexp_cuda_kernelERKNSE_10TensorBaseESI_lENKUlvE_clEvENKUlvE1_clEvEUlS7_S7_E_S7_EEDaPvRmT3_T4_T5_mT6_P12ihipStream_tbENKUlT_T0_E_clISt17integral_constantIbLb1EESY_IbLb0EEEEDaSU_SV_EUlSU_E0_NS1_11comp_targetILNS1_3genE8ELNS1_11target_archE1030ELNS1_3gpuE2ELNS1_3repE0EEENS1_30default_config_static_selectorELNS0_4arch9wavefront6targetE1EEEvT1_
; %bb.0:
	.section	.rodata,"a",@progbits
	.p2align	6, 0x0
	.amdhsa_kernel _ZN7rocprim17ROCPRIM_400000_NS6detail17trampoline_kernelINS0_14default_configENS1_20scan_config_selectorIN3c107complexIdEEEEZZNS1_9scan_implILNS1_25lookback_scan_determinismE0ELb0ELb0ES3_PKS7_PS7_S7_ZZZN2at6native31launch_logcumsumexp_cuda_kernelERKNSE_10TensorBaseESI_lENKUlvE_clEvENKUlvE1_clEvEUlS7_S7_E_S7_EEDaPvRmT3_T4_T5_mT6_P12ihipStream_tbENKUlT_T0_E_clISt17integral_constantIbLb1EESY_IbLb0EEEEDaSU_SV_EUlSU_E0_NS1_11comp_targetILNS1_3genE8ELNS1_11target_archE1030ELNS1_3gpuE2ELNS1_3repE0EEENS1_30default_config_static_selectorELNS0_4arch9wavefront6targetE1EEEvT1_
		.amdhsa_group_segment_fixed_size 0
		.amdhsa_private_segment_fixed_size 0
		.amdhsa_kernarg_size 48
		.amdhsa_user_sgpr_count 6
		.amdhsa_user_sgpr_private_segment_buffer 1
		.amdhsa_user_sgpr_dispatch_ptr 0
		.amdhsa_user_sgpr_queue_ptr 0
		.amdhsa_user_sgpr_kernarg_segment_ptr 1
		.amdhsa_user_sgpr_dispatch_id 0
		.amdhsa_user_sgpr_flat_scratch_init 0
		.amdhsa_user_sgpr_kernarg_preload_length 0
		.amdhsa_user_sgpr_kernarg_preload_offset 0
		.amdhsa_user_sgpr_private_segment_size 0
		.amdhsa_uses_dynamic_stack 0
		.amdhsa_system_sgpr_private_segment_wavefront_offset 0
		.amdhsa_system_sgpr_workgroup_id_x 1
		.amdhsa_system_sgpr_workgroup_id_y 0
		.amdhsa_system_sgpr_workgroup_id_z 0
		.amdhsa_system_sgpr_workgroup_info 0
		.amdhsa_system_vgpr_workitem_id 0
		.amdhsa_next_free_vgpr 1
		.amdhsa_next_free_sgpr 0
		.amdhsa_accum_offset 4
		.amdhsa_reserve_vcc 0
		.amdhsa_reserve_flat_scratch 0
		.amdhsa_float_round_mode_32 0
		.amdhsa_float_round_mode_16_64 0
		.amdhsa_float_denorm_mode_32 3
		.amdhsa_float_denorm_mode_16_64 3
		.amdhsa_dx10_clamp 1
		.amdhsa_ieee_mode 1
		.amdhsa_fp16_overflow 0
		.amdhsa_tg_split 0
		.amdhsa_exception_fp_ieee_invalid_op 0
		.amdhsa_exception_fp_denorm_src 0
		.amdhsa_exception_fp_ieee_div_zero 0
		.amdhsa_exception_fp_ieee_overflow 0
		.amdhsa_exception_fp_ieee_underflow 0
		.amdhsa_exception_fp_ieee_inexact 0
		.amdhsa_exception_int_div_zero 0
	.end_amdhsa_kernel
	.section	.text._ZN7rocprim17ROCPRIM_400000_NS6detail17trampoline_kernelINS0_14default_configENS1_20scan_config_selectorIN3c107complexIdEEEEZZNS1_9scan_implILNS1_25lookback_scan_determinismE0ELb0ELb0ES3_PKS7_PS7_S7_ZZZN2at6native31launch_logcumsumexp_cuda_kernelERKNSE_10TensorBaseESI_lENKUlvE_clEvENKUlvE1_clEvEUlS7_S7_E_S7_EEDaPvRmT3_T4_T5_mT6_P12ihipStream_tbENKUlT_T0_E_clISt17integral_constantIbLb1EESY_IbLb0EEEEDaSU_SV_EUlSU_E0_NS1_11comp_targetILNS1_3genE8ELNS1_11target_archE1030ELNS1_3gpuE2ELNS1_3repE0EEENS1_30default_config_static_selectorELNS0_4arch9wavefront6targetE1EEEvT1_,"axG",@progbits,_ZN7rocprim17ROCPRIM_400000_NS6detail17trampoline_kernelINS0_14default_configENS1_20scan_config_selectorIN3c107complexIdEEEEZZNS1_9scan_implILNS1_25lookback_scan_determinismE0ELb0ELb0ES3_PKS7_PS7_S7_ZZZN2at6native31launch_logcumsumexp_cuda_kernelERKNSE_10TensorBaseESI_lENKUlvE_clEvENKUlvE1_clEvEUlS7_S7_E_S7_EEDaPvRmT3_T4_T5_mT6_P12ihipStream_tbENKUlT_T0_E_clISt17integral_constantIbLb1EESY_IbLb0EEEEDaSU_SV_EUlSU_E0_NS1_11comp_targetILNS1_3genE8ELNS1_11target_archE1030ELNS1_3gpuE2ELNS1_3repE0EEENS1_30default_config_static_selectorELNS0_4arch9wavefront6targetE1EEEvT1_,comdat
.Lfunc_end239:
	.size	_ZN7rocprim17ROCPRIM_400000_NS6detail17trampoline_kernelINS0_14default_configENS1_20scan_config_selectorIN3c107complexIdEEEEZZNS1_9scan_implILNS1_25lookback_scan_determinismE0ELb0ELb0ES3_PKS7_PS7_S7_ZZZN2at6native31launch_logcumsumexp_cuda_kernelERKNSE_10TensorBaseESI_lENKUlvE_clEvENKUlvE1_clEvEUlS7_S7_E_S7_EEDaPvRmT3_T4_T5_mT6_P12ihipStream_tbENKUlT_T0_E_clISt17integral_constantIbLb1EESY_IbLb0EEEEDaSU_SV_EUlSU_E0_NS1_11comp_targetILNS1_3genE8ELNS1_11target_archE1030ELNS1_3gpuE2ELNS1_3repE0EEENS1_30default_config_static_selectorELNS0_4arch9wavefront6targetE1EEEvT1_, .Lfunc_end239-_ZN7rocprim17ROCPRIM_400000_NS6detail17trampoline_kernelINS0_14default_configENS1_20scan_config_selectorIN3c107complexIdEEEEZZNS1_9scan_implILNS1_25lookback_scan_determinismE0ELb0ELb0ES3_PKS7_PS7_S7_ZZZN2at6native31launch_logcumsumexp_cuda_kernelERKNSE_10TensorBaseESI_lENKUlvE_clEvENKUlvE1_clEvEUlS7_S7_E_S7_EEDaPvRmT3_T4_T5_mT6_P12ihipStream_tbENKUlT_T0_E_clISt17integral_constantIbLb1EESY_IbLb0EEEEDaSU_SV_EUlSU_E0_NS1_11comp_targetILNS1_3genE8ELNS1_11target_archE1030ELNS1_3gpuE2ELNS1_3repE0EEENS1_30default_config_static_selectorELNS0_4arch9wavefront6targetE1EEEvT1_
                                        ; -- End function
	.section	.AMDGPU.csdata,"",@progbits
; Kernel info:
; codeLenInByte = 0
; NumSgprs: 4
; NumVgprs: 0
; NumAgprs: 0
; TotalNumVgprs: 0
; ScratchSize: 0
; MemoryBound: 0
; FloatMode: 240
; IeeeMode: 1
; LDSByteSize: 0 bytes/workgroup (compile time only)
; SGPRBlocks: 0
; VGPRBlocks: 0
; NumSGPRsForWavesPerEU: 4
; NumVGPRsForWavesPerEU: 1
; AccumOffset: 4
; Occupancy: 8
; WaveLimiterHint : 0
; COMPUTE_PGM_RSRC2:SCRATCH_EN: 0
; COMPUTE_PGM_RSRC2:USER_SGPR: 6
; COMPUTE_PGM_RSRC2:TRAP_HANDLER: 0
; COMPUTE_PGM_RSRC2:TGID_X_EN: 1
; COMPUTE_PGM_RSRC2:TGID_Y_EN: 0
; COMPUTE_PGM_RSRC2:TGID_Z_EN: 0
; COMPUTE_PGM_RSRC2:TIDIG_COMP_CNT: 0
; COMPUTE_PGM_RSRC3_GFX90A:ACCUM_OFFSET: 0
; COMPUTE_PGM_RSRC3_GFX90A:TG_SPLIT: 0
	.section	.text._ZN7rocprim17ROCPRIM_400000_NS6detail31init_lookback_scan_state_kernelINS1_19lookback_scan_stateIN3c107complexIdEELb0ELb0EEENS1_16block_id_wrapperIjLb1EEEEEvT_jT0_jPNSA_10value_typeE,"axG",@progbits,_ZN7rocprim17ROCPRIM_400000_NS6detail31init_lookback_scan_state_kernelINS1_19lookback_scan_stateIN3c107complexIdEELb0ELb0EEENS1_16block_id_wrapperIjLb1EEEEEvT_jT0_jPNSA_10value_typeE,comdat
	.protected	_ZN7rocprim17ROCPRIM_400000_NS6detail31init_lookback_scan_state_kernelINS1_19lookback_scan_stateIN3c107complexIdEELb0ELb0EEENS1_16block_id_wrapperIjLb1EEEEEvT_jT0_jPNSA_10value_typeE ; -- Begin function _ZN7rocprim17ROCPRIM_400000_NS6detail31init_lookback_scan_state_kernelINS1_19lookback_scan_stateIN3c107complexIdEELb0ELb0EEENS1_16block_id_wrapperIjLb1EEEEEvT_jT0_jPNSA_10value_typeE
	.globl	_ZN7rocprim17ROCPRIM_400000_NS6detail31init_lookback_scan_state_kernelINS1_19lookback_scan_stateIN3c107complexIdEELb0ELb0EEENS1_16block_id_wrapperIjLb1EEEEEvT_jT0_jPNSA_10value_typeE
	.p2align	8
	.type	_ZN7rocprim17ROCPRIM_400000_NS6detail31init_lookback_scan_state_kernelINS1_19lookback_scan_stateIN3c107complexIdEELb0ELb0EEENS1_16block_id_wrapperIjLb1EEEEEvT_jT0_jPNSA_10value_typeE,@function
_ZN7rocprim17ROCPRIM_400000_NS6detail31init_lookback_scan_state_kernelINS1_19lookback_scan_stateIN3c107complexIdEELb0ELb0EEENS1_16block_id_wrapperIjLb1EEEEEvT_jT0_jPNSA_10value_typeE: ; @_ZN7rocprim17ROCPRIM_400000_NS6detail31init_lookback_scan_state_kernelINS1_19lookback_scan_stateIN3c107complexIdEELb0ELb0EEENS1_16block_id_wrapperIjLb1EEEEEvT_jT0_jPNSA_10value_typeE
; %bb.0:
	s_load_dword s0, s[4:5], 0x44
	s_load_dwordx2 s[10:11], s[4:5], 0x30
	s_load_dwordx2 s[8:9], s[4:5], 0x10
	s_load_dword s16, s[4:5], 0x18
	s_waitcnt lgkmcnt(0)
	s_and_b32 s0, s0, 0xffff
	s_mul_i32 s6, s6, s0
	s_cmp_eq_u64 s[10:11], 0
	v_add_u32_e32 v0, s6, v0
	s_cbranch_scc1 .LBB240_7
; %bb.1:
	s_load_dword s0, s[4:5], 0x28
	s_mov_b32 s13, 0
	s_waitcnt lgkmcnt(0)
	s_cmp_lt_u32 s0, s16
	s_cselect_b32 s1, s0, 0
	v_cmp_eq_u32_e32 vcc, s1, v0
	s_and_saveexec_b64 s[6:7], vcc
	s_cbranch_execz .LBB240_6
; %bb.2:
	s_add_i32 s12, s0, 64
	v_mov_b32_e32 v1, s12
	global_load_ubyte v1, v1, s[8:9] glc
	s_load_dwordx4 s[0:3], s[4:5], 0x0
	s_add_u32 s14, s8, s12
	s_addc_u32 s15, s9, 0
	s_waitcnt vmcnt(0)
	v_cmp_ne_u16_e32 vcc, 0, v1
	v_readfirstlane_b32 s17, v1
	s_cbranch_vccnz .LBB240_5
; %bb.3:
	v_mov_b32_e32 v1, 0
.LBB240_4:                              ; =>This Inner Loop Header: Depth=1
	global_load_ubyte v2, v1, s[14:15] glc
	s_waitcnt vmcnt(0)
	v_cmp_eq_u16_e32 vcc, 0, v2
	v_readfirstlane_b32 s17, v2
	s_cbranch_vccnz .LBB240_4
.LBB240_5:
	s_and_b32 s14, 0xffff, s17
	s_cmp_eq_u32 s14, 1
	s_waitcnt lgkmcnt(0)
	s_cselect_b32 s3, s1, s3
	s_cselect_b32 s2, s0, s2
	s_lshl_b64 s[0:1], s[12:13], 4
	s_add_u32 s0, s2, s0
	s_addc_u32 s1, s3, s1
	v_mov_b32_e32 v1, 0
	buffer_wbinvl1_vol
	global_load_dwordx4 v[2:5], v1, s[0:1]
	s_waitcnt vmcnt(0)
	global_store_dwordx4 v1, v[2:5], s[10:11]
.LBB240_6:
	s_or_b64 exec, exec, s[6:7]
.LBB240_7:
	v_cmp_eq_u32_e32 vcc, 0, v0
	s_and_saveexec_b64 s[0:1], vcc
	s_cbranch_execnz .LBB240_11
; %bb.8:
	s_or_b64 exec, exec, s[0:1]
	v_cmp_gt_u32_e32 vcc, s16, v0
	s_and_saveexec_b64 s[0:1], vcc
	s_cbranch_execnz .LBB240_12
.LBB240_9:
	s_or_b64 exec, exec, s[0:1]
	v_cmp_gt_u32_e32 vcc, 64, v0
	s_and_saveexec_b64 s[0:1], vcc
	s_cbranch_execnz .LBB240_13
.LBB240_10:
	s_endpgm
.LBB240_11:
	s_load_dwordx2 s[2:3], s[4:5], 0x20
	v_mov_b32_e32 v1, 0
	s_waitcnt lgkmcnt(0)
	global_store_dword v1, v1, s[2:3]
	s_or_b64 exec, exec, s[0:1]
	v_cmp_gt_u32_e32 vcc, s16, v0
	s_and_saveexec_b64 s[0:1], vcc
	s_cbranch_execz .LBB240_9
.LBB240_12:
	v_add_u32_e32 v1, 64, v0
	v_mov_b32_e32 v2, 0
	global_store_byte v1, v2, s[8:9]
	s_or_b64 exec, exec, s[0:1]
	v_cmp_gt_u32_e32 vcc, 64, v0
	s_and_saveexec_b64 s[0:1], vcc
	s_cbranch_execz .LBB240_10
.LBB240_13:
	v_mov_b32_e32 v1, 0xff
	global_store_byte v0, v1, s[8:9]
	s_endpgm
	.section	.rodata,"a",@progbits
	.p2align	6, 0x0
	.amdhsa_kernel _ZN7rocprim17ROCPRIM_400000_NS6detail31init_lookback_scan_state_kernelINS1_19lookback_scan_stateIN3c107complexIdEELb0ELb0EEENS1_16block_id_wrapperIjLb1EEEEEvT_jT0_jPNSA_10value_typeE
		.amdhsa_group_segment_fixed_size 0
		.amdhsa_private_segment_fixed_size 0
		.amdhsa_kernarg_size 312
		.amdhsa_user_sgpr_count 6
		.amdhsa_user_sgpr_private_segment_buffer 1
		.amdhsa_user_sgpr_dispatch_ptr 0
		.amdhsa_user_sgpr_queue_ptr 0
		.amdhsa_user_sgpr_kernarg_segment_ptr 1
		.amdhsa_user_sgpr_dispatch_id 0
		.amdhsa_user_sgpr_flat_scratch_init 0
		.amdhsa_user_sgpr_kernarg_preload_length 0
		.amdhsa_user_sgpr_kernarg_preload_offset 0
		.amdhsa_user_sgpr_private_segment_size 0
		.amdhsa_uses_dynamic_stack 0
		.amdhsa_system_sgpr_private_segment_wavefront_offset 0
		.amdhsa_system_sgpr_workgroup_id_x 1
		.amdhsa_system_sgpr_workgroup_id_y 0
		.amdhsa_system_sgpr_workgroup_id_z 0
		.amdhsa_system_sgpr_workgroup_info 0
		.amdhsa_system_vgpr_workitem_id 0
		.amdhsa_next_free_vgpr 6
		.amdhsa_next_free_sgpr 18
		.amdhsa_accum_offset 8
		.amdhsa_reserve_vcc 1
		.amdhsa_reserve_flat_scratch 0
		.amdhsa_float_round_mode_32 0
		.amdhsa_float_round_mode_16_64 0
		.amdhsa_float_denorm_mode_32 3
		.amdhsa_float_denorm_mode_16_64 3
		.amdhsa_dx10_clamp 1
		.amdhsa_ieee_mode 1
		.amdhsa_fp16_overflow 0
		.amdhsa_tg_split 0
		.amdhsa_exception_fp_ieee_invalid_op 0
		.amdhsa_exception_fp_denorm_src 0
		.amdhsa_exception_fp_ieee_div_zero 0
		.amdhsa_exception_fp_ieee_overflow 0
		.amdhsa_exception_fp_ieee_underflow 0
		.amdhsa_exception_fp_ieee_inexact 0
		.amdhsa_exception_int_div_zero 0
	.end_amdhsa_kernel
	.section	.text._ZN7rocprim17ROCPRIM_400000_NS6detail31init_lookback_scan_state_kernelINS1_19lookback_scan_stateIN3c107complexIdEELb0ELb0EEENS1_16block_id_wrapperIjLb1EEEEEvT_jT0_jPNSA_10value_typeE,"axG",@progbits,_ZN7rocprim17ROCPRIM_400000_NS6detail31init_lookback_scan_state_kernelINS1_19lookback_scan_stateIN3c107complexIdEELb0ELb0EEENS1_16block_id_wrapperIjLb1EEEEEvT_jT0_jPNSA_10value_typeE,comdat
.Lfunc_end240:
	.size	_ZN7rocprim17ROCPRIM_400000_NS6detail31init_lookback_scan_state_kernelINS1_19lookback_scan_stateIN3c107complexIdEELb0ELb0EEENS1_16block_id_wrapperIjLb1EEEEEvT_jT0_jPNSA_10value_typeE, .Lfunc_end240-_ZN7rocprim17ROCPRIM_400000_NS6detail31init_lookback_scan_state_kernelINS1_19lookback_scan_stateIN3c107complexIdEELb0ELb0EEENS1_16block_id_wrapperIjLb1EEEEEvT_jT0_jPNSA_10value_typeE
                                        ; -- End function
	.section	.AMDGPU.csdata,"",@progbits
; Kernel info:
; codeLenInByte = 384
; NumSgprs: 22
; NumVgprs: 6
; NumAgprs: 0
; TotalNumVgprs: 6
; ScratchSize: 0
; MemoryBound: 0
; FloatMode: 240
; IeeeMode: 1
; LDSByteSize: 0 bytes/workgroup (compile time only)
; SGPRBlocks: 2
; VGPRBlocks: 0
; NumSGPRsForWavesPerEU: 22
; NumVGPRsForWavesPerEU: 6
; AccumOffset: 8
; Occupancy: 8
; WaveLimiterHint : 0
; COMPUTE_PGM_RSRC2:SCRATCH_EN: 0
; COMPUTE_PGM_RSRC2:USER_SGPR: 6
; COMPUTE_PGM_RSRC2:TRAP_HANDLER: 0
; COMPUTE_PGM_RSRC2:TGID_X_EN: 1
; COMPUTE_PGM_RSRC2:TGID_Y_EN: 0
; COMPUTE_PGM_RSRC2:TGID_Z_EN: 0
; COMPUTE_PGM_RSRC2:TIDIG_COMP_CNT: 0
; COMPUTE_PGM_RSRC3_GFX90A:ACCUM_OFFSET: 1
; COMPUTE_PGM_RSRC3_GFX90A:TG_SPLIT: 0
	.section	.text._ZN7rocprim17ROCPRIM_400000_NS6detail17trampoline_kernelINS0_14default_configENS1_20scan_config_selectorIN3c107complexIdEEEEZZNS1_9scan_implILNS1_25lookback_scan_determinismE0ELb0ELb0ES3_PKS7_PS7_S7_ZZZN2at6native31launch_logcumsumexp_cuda_kernelERKNSE_10TensorBaseESI_lENKUlvE_clEvENKUlvE1_clEvEUlS7_S7_E_S7_EEDaPvRmT3_T4_T5_mT6_P12ihipStream_tbENKUlT_T0_E_clISt17integral_constantIbLb0EESY_IbLb1EEEEDaSU_SV_EUlSU_E_NS1_11comp_targetILNS1_3genE0ELNS1_11target_archE4294967295ELNS1_3gpuE0ELNS1_3repE0EEENS1_30default_config_static_selectorELNS0_4arch9wavefront6targetE1EEEvT1_,"axG",@progbits,_ZN7rocprim17ROCPRIM_400000_NS6detail17trampoline_kernelINS0_14default_configENS1_20scan_config_selectorIN3c107complexIdEEEEZZNS1_9scan_implILNS1_25lookback_scan_determinismE0ELb0ELb0ES3_PKS7_PS7_S7_ZZZN2at6native31launch_logcumsumexp_cuda_kernelERKNSE_10TensorBaseESI_lENKUlvE_clEvENKUlvE1_clEvEUlS7_S7_E_S7_EEDaPvRmT3_T4_T5_mT6_P12ihipStream_tbENKUlT_T0_E_clISt17integral_constantIbLb0EESY_IbLb1EEEEDaSU_SV_EUlSU_E_NS1_11comp_targetILNS1_3genE0ELNS1_11target_archE4294967295ELNS1_3gpuE0ELNS1_3repE0EEENS1_30default_config_static_selectorELNS0_4arch9wavefront6targetE1EEEvT1_,comdat
	.globl	_ZN7rocprim17ROCPRIM_400000_NS6detail17trampoline_kernelINS0_14default_configENS1_20scan_config_selectorIN3c107complexIdEEEEZZNS1_9scan_implILNS1_25lookback_scan_determinismE0ELb0ELb0ES3_PKS7_PS7_S7_ZZZN2at6native31launch_logcumsumexp_cuda_kernelERKNSE_10TensorBaseESI_lENKUlvE_clEvENKUlvE1_clEvEUlS7_S7_E_S7_EEDaPvRmT3_T4_T5_mT6_P12ihipStream_tbENKUlT_T0_E_clISt17integral_constantIbLb0EESY_IbLb1EEEEDaSU_SV_EUlSU_E_NS1_11comp_targetILNS1_3genE0ELNS1_11target_archE4294967295ELNS1_3gpuE0ELNS1_3repE0EEENS1_30default_config_static_selectorELNS0_4arch9wavefront6targetE1EEEvT1_ ; -- Begin function _ZN7rocprim17ROCPRIM_400000_NS6detail17trampoline_kernelINS0_14default_configENS1_20scan_config_selectorIN3c107complexIdEEEEZZNS1_9scan_implILNS1_25lookback_scan_determinismE0ELb0ELb0ES3_PKS7_PS7_S7_ZZZN2at6native31launch_logcumsumexp_cuda_kernelERKNSE_10TensorBaseESI_lENKUlvE_clEvENKUlvE1_clEvEUlS7_S7_E_S7_EEDaPvRmT3_T4_T5_mT6_P12ihipStream_tbENKUlT_T0_E_clISt17integral_constantIbLb0EESY_IbLb1EEEEDaSU_SV_EUlSU_E_NS1_11comp_targetILNS1_3genE0ELNS1_11target_archE4294967295ELNS1_3gpuE0ELNS1_3repE0EEENS1_30default_config_static_selectorELNS0_4arch9wavefront6targetE1EEEvT1_
	.p2align	8
	.type	_ZN7rocprim17ROCPRIM_400000_NS6detail17trampoline_kernelINS0_14default_configENS1_20scan_config_selectorIN3c107complexIdEEEEZZNS1_9scan_implILNS1_25lookback_scan_determinismE0ELb0ELb0ES3_PKS7_PS7_S7_ZZZN2at6native31launch_logcumsumexp_cuda_kernelERKNSE_10TensorBaseESI_lENKUlvE_clEvENKUlvE1_clEvEUlS7_S7_E_S7_EEDaPvRmT3_T4_T5_mT6_P12ihipStream_tbENKUlT_T0_E_clISt17integral_constantIbLb0EESY_IbLb1EEEEDaSU_SV_EUlSU_E_NS1_11comp_targetILNS1_3genE0ELNS1_11target_archE4294967295ELNS1_3gpuE0ELNS1_3repE0EEENS1_30default_config_static_selectorELNS0_4arch9wavefront6targetE1EEEvT1_,@function
_ZN7rocprim17ROCPRIM_400000_NS6detail17trampoline_kernelINS0_14default_configENS1_20scan_config_selectorIN3c107complexIdEEEEZZNS1_9scan_implILNS1_25lookback_scan_determinismE0ELb0ELb0ES3_PKS7_PS7_S7_ZZZN2at6native31launch_logcumsumexp_cuda_kernelERKNSE_10TensorBaseESI_lENKUlvE_clEvENKUlvE1_clEvEUlS7_S7_E_S7_EEDaPvRmT3_T4_T5_mT6_P12ihipStream_tbENKUlT_T0_E_clISt17integral_constantIbLb0EESY_IbLb1EEEEDaSU_SV_EUlSU_E_NS1_11comp_targetILNS1_3genE0ELNS1_11target_archE4294967295ELNS1_3gpuE0ELNS1_3repE0EEENS1_30default_config_static_selectorELNS0_4arch9wavefront6targetE1EEEvT1_: ; @_ZN7rocprim17ROCPRIM_400000_NS6detail17trampoline_kernelINS0_14default_configENS1_20scan_config_selectorIN3c107complexIdEEEEZZNS1_9scan_implILNS1_25lookback_scan_determinismE0ELb0ELb0ES3_PKS7_PS7_S7_ZZZN2at6native31launch_logcumsumexp_cuda_kernelERKNSE_10TensorBaseESI_lENKUlvE_clEvENKUlvE1_clEvEUlS7_S7_E_S7_EEDaPvRmT3_T4_T5_mT6_P12ihipStream_tbENKUlT_T0_E_clISt17integral_constantIbLb0EESY_IbLb1EEEEDaSU_SV_EUlSU_E_NS1_11comp_targetILNS1_3genE0ELNS1_11target_archE4294967295ELNS1_3gpuE0ELNS1_3repE0EEENS1_30default_config_static_selectorELNS0_4arch9wavefront6targetE1EEEvT1_
; %bb.0:
	.section	.rodata,"a",@progbits
	.p2align	6, 0x0
	.amdhsa_kernel _ZN7rocprim17ROCPRIM_400000_NS6detail17trampoline_kernelINS0_14default_configENS1_20scan_config_selectorIN3c107complexIdEEEEZZNS1_9scan_implILNS1_25lookback_scan_determinismE0ELb0ELb0ES3_PKS7_PS7_S7_ZZZN2at6native31launch_logcumsumexp_cuda_kernelERKNSE_10TensorBaseESI_lENKUlvE_clEvENKUlvE1_clEvEUlS7_S7_E_S7_EEDaPvRmT3_T4_T5_mT6_P12ihipStream_tbENKUlT_T0_E_clISt17integral_constantIbLb0EESY_IbLb1EEEEDaSU_SV_EUlSU_E_NS1_11comp_targetILNS1_3genE0ELNS1_11target_archE4294967295ELNS1_3gpuE0ELNS1_3repE0EEENS1_30default_config_static_selectorELNS0_4arch9wavefront6targetE1EEEvT1_
		.amdhsa_group_segment_fixed_size 0
		.amdhsa_private_segment_fixed_size 0
		.amdhsa_kernarg_size 128
		.amdhsa_user_sgpr_count 6
		.amdhsa_user_sgpr_private_segment_buffer 1
		.amdhsa_user_sgpr_dispatch_ptr 0
		.amdhsa_user_sgpr_queue_ptr 0
		.amdhsa_user_sgpr_kernarg_segment_ptr 1
		.amdhsa_user_sgpr_dispatch_id 0
		.amdhsa_user_sgpr_flat_scratch_init 0
		.amdhsa_user_sgpr_kernarg_preload_length 0
		.amdhsa_user_sgpr_kernarg_preload_offset 0
		.amdhsa_user_sgpr_private_segment_size 0
		.amdhsa_uses_dynamic_stack 0
		.amdhsa_system_sgpr_private_segment_wavefront_offset 0
		.amdhsa_system_sgpr_workgroup_id_x 1
		.amdhsa_system_sgpr_workgroup_id_y 0
		.amdhsa_system_sgpr_workgroup_id_z 0
		.amdhsa_system_sgpr_workgroup_info 0
		.amdhsa_system_vgpr_workitem_id 0
		.amdhsa_next_free_vgpr 1
		.amdhsa_next_free_sgpr 0
		.amdhsa_accum_offset 4
		.amdhsa_reserve_vcc 0
		.amdhsa_reserve_flat_scratch 0
		.amdhsa_float_round_mode_32 0
		.amdhsa_float_round_mode_16_64 0
		.amdhsa_float_denorm_mode_32 3
		.amdhsa_float_denorm_mode_16_64 3
		.amdhsa_dx10_clamp 1
		.amdhsa_ieee_mode 1
		.amdhsa_fp16_overflow 0
		.amdhsa_tg_split 0
		.amdhsa_exception_fp_ieee_invalid_op 0
		.amdhsa_exception_fp_denorm_src 0
		.amdhsa_exception_fp_ieee_div_zero 0
		.amdhsa_exception_fp_ieee_overflow 0
		.amdhsa_exception_fp_ieee_underflow 0
		.amdhsa_exception_fp_ieee_inexact 0
		.amdhsa_exception_int_div_zero 0
	.end_amdhsa_kernel
	.section	.text._ZN7rocprim17ROCPRIM_400000_NS6detail17trampoline_kernelINS0_14default_configENS1_20scan_config_selectorIN3c107complexIdEEEEZZNS1_9scan_implILNS1_25lookback_scan_determinismE0ELb0ELb0ES3_PKS7_PS7_S7_ZZZN2at6native31launch_logcumsumexp_cuda_kernelERKNSE_10TensorBaseESI_lENKUlvE_clEvENKUlvE1_clEvEUlS7_S7_E_S7_EEDaPvRmT3_T4_T5_mT6_P12ihipStream_tbENKUlT_T0_E_clISt17integral_constantIbLb0EESY_IbLb1EEEEDaSU_SV_EUlSU_E_NS1_11comp_targetILNS1_3genE0ELNS1_11target_archE4294967295ELNS1_3gpuE0ELNS1_3repE0EEENS1_30default_config_static_selectorELNS0_4arch9wavefront6targetE1EEEvT1_,"axG",@progbits,_ZN7rocprim17ROCPRIM_400000_NS6detail17trampoline_kernelINS0_14default_configENS1_20scan_config_selectorIN3c107complexIdEEEEZZNS1_9scan_implILNS1_25lookback_scan_determinismE0ELb0ELb0ES3_PKS7_PS7_S7_ZZZN2at6native31launch_logcumsumexp_cuda_kernelERKNSE_10TensorBaseESI_lENKUlvE_clEvENKUlvE1_clEvEUlS7_S7_E_S7_EEDaPvRmT3_T4_T5_mT6_P12ihipStream_tbENKUlT_T0_E_clISt17integral_constantIbLb0EESY_IbLb1EEEEDaSU_SV_EUlSU_E_NS1_11comp_targetILNS1_3genE0ELNS1_11target_archE4294967295ELNS1_3gpuE0ELNS1_3repE0EEENS1_30default_config_static_selectorELNS0_4arch9wavefront6targetE1EEEvT1_,comdat
.Lfunc_end241:
	.size	_ZN7rocprim17ROCPRIM_400000_NS6detail17trampoline_kernelINS0_14default_configENS1_20scan_config_selectorIN3c107complexIdEEEEZZNS1_9scan_implILNS1_25lookback_scan_determinismE0ELb0ELb0ES3_PKS7_PS7_S7_ZZZN2at6native31launch_logcumsumexp_cuda_kernelERKNSE_10TensorBaseESI_lENKUlvE_clEvENKUlvE1_clEvEUlS7_S7_E_S7_EEDaPvRmT3_T4_T5_mT6_P12ihipStream_tbENKUlT_T0_E_clISt17integral_constantIbLb0EESY_IbLb1EEEEDaSU_SV_EUlSU_E_NS1_11comp_targetILNS1_3genE0ELNS1_11target_archE4294967295ELNS1_3gpuE0ELNS1_3repE0EEENS1_30default_config_static_selectorELNS0_4arch9wavefront6targetE1EEEvT1_, .Lfunc_end241-_ZN7rocprim17ROCPRIM_400000_NS6detail17trampoline_kernelINS0_14default_configENS1_20scan_config_selectorIN3c107complexIdEEEEZZNS1_9scan_implILNS1_25lookback_scan_determinismE0ELb0ELb0ES3_PKS7_PS7_S7_ZZZN2at6native31launch_logcumsumexp_cuda_kernelERKNSE_10TensorBaseESI_lENKUlvE_clEvENKUlvE1_clEvEUlS7_S7_E_S7_EEDaPvRmT3_T4_T5_mT6_P12ihipStream_tbENKUlT_T0_E_clISt17integral_constantIbLb0EESY_IbLb1EEEEDaSU_SV_EUlSU_E_NS1_11comp_targetILNS1_3genE0ELNS1_11target_archE4294967295ELNS1_3gpuE0ELNS1_3repE0EEENS1_30default_config_static_selectorELNS0_4arch9wavefront6targetE1EEEvT1_
                                        ; -- End function
	.section	.AMDGPU.csdata,"",@progbits
; Kernel info:
; codeLenInByte = 0
; NumSgprs: 4
; NumVgprs: 0
; NumAgprs: 0
; TotalNumVgprs: 0
; ScratchSize: 0
; MemoryBound: 0
; FloatMode: 240
; IeeeMode: 1
; LDSByteSize: 0 bytes/workgroup (compile time only)
; SGPRBlocks: 0
; VGPRBlocks: 0
; NumSGPRsForWavesPerEU: 4
; NumVGPRsForWavesPerEU: 1
; AccumOffset: 4
; Occupancy: 8
; WaveLimiterHint : 0
; COMPUTE_PGM_RSRC2:SCRATCH_EN: 0
; COMPUTE_PGM_RSRC2:USER_SGPR: 6
; COMPUTE_PGM_RSRC2:TRAP_HANDLER: 0
; COMPUTE_PGM_RSRC2:TGID_X_EN: 1
; COMPUTE_PGM_RSRC2:TGID_Y_EN: 0
; COMPUTE_PGM_RSRC2:TGID_Z_EN: 0
; COMPUTE_PGM_RSRC2:TIDIG_COMP_CNT: 0
; COMPUTE_PGM_RSRC3_GFX90A:ACCUM_OFFSET: 0
; COMPUTE_PGM_RSRC3_GFX90A:TG_SPLIT: 0
	.section	.text._ZN7rocprim17ROCPRIM_400000_NS6detail17trampoline_kernelINS0_14default_configENS1_20scan_config_selectorIN3c107complexIdEEEEZZNS1_9scan_implILNS1_25lookback_scan_determinismE0ELb0ELb0ES3_PKS7_PS7_S7_ZZZN2at6native31launch_logcumsumexp_cuda_kernelERKNSE_10TensorBaseESI_lENKUlvE_clEvENKUlvE1_clEvEUlS7_S7_E_S7_EEDaPvRmT3_T4_T5_mT6_P12ihipStream_tbENKUlT_T0_E_clISt17integral_constantIbLb0EESY_IbLb1EEEEDaSU_SV_EUlSU_E_NS1_11comp_targetILNS1_3genE5ELNS1_11target_archE942ELNS1_3gpuE9ELNS1_3repE0EEENS1_30default_config_static_selectorELNS0_4arch9wavefront6targetE1EEEvT1_,"axG",@progbits,_ZN7rocprim17ROCPRIM_400000_NS6detail17trampoline_kernelINS0_14default_configENS1_20scan_config_selectorIN3c107complexIdEEEEZZNS1_9scan_implILNS1_25lookback_scan_determinismE0ELb0ELb0ES3_PKS7_PS7_S7_ZZZN2at6native31launch_logcumsumexp_cuda_kernelERKNSE_10TensorBaseESI_lENKUlvE_clEvENKUlvE1_clEvEUlS7_S7_E_S7_EEDaPvRmT3_T4_T5_mT6_P12ihipStream_tbENKUlT_T0_E_clISt17integral_constantIbLb0EESY_IbLb1EEEEDaSU_SV_EUlSU_E_NS1_11comp_targetILNS1_3genE5ELNS1_11target_archE942ELNS1_3gpuE9ELNS1_3repE0EEENS1_30default_config_static_selectorELNS0_4arch9wavefront6targetE1EEEvT1_,comdat
	.globl	_ZN7rocprim17ROCPRIM_400000_NS6detail17trampoline_kernelINS0_14default_configENS1_20scan_config_selectorIN3c107complexIdEEEEZZNS1_9scan_implILNS1_25lookback_scan_determinismE0ELb0ELb0ES3_PKS7_PS7_S7_ZZZN2at6native31launch_logcumsumexp_cuda_kernelERKNSE_10TensorBaseESI_lENKUlvE_clEvENKUlvE1_clEvEUlS7_S7_E_S7_EEDaPvRmT3_T4_T5_mT6_P12ihipStream_tbENKUlT_T0_E_clISt17integral_constantIbLb0EESY_IbLb1EEEEDaSU_SV_EUlSU_E_NS1_11comp_targetILNS1_3genE5ELNS1_11target_archE942ELNS1_3gpuE9ELNS1_3repE0EEENS1_30default_config_static_selectorELNS0_4arch9wavefront6targetE1EEEvT1_ ; -- Begin function _ZN7rocprim17ROCPRIM_400000_NS6detail17trampoline_kernelINS0_14default_configENS1_20scan_config_selectorIN3c107complexIdEEEEZZNS1_9scan_implILNS1_25lookback_scan_determinismE0ELb0ELb0ES3_PKS7_PS7_S7_ZZZN2at6native31launch_logcumsumexp_cuda_kernelERKNSE_10TensorBaseESI_lENKUlvE_clEvENKUlvE1_clEvEUlS7_S7_E_S7_EEDaPvRmT3_T4_T5_mT6_P12ihipStream_tbENKUlT_T0_E_clISt17integral_constantIbLb0EESY_IbLb1EEEEDaSU_SV_EUlSU_E_NS1_11comp_targetILNS1_3genE5ELNS1_11target_archE942ELNS1_3gpuE9ELNS1_3repE0EEENS1_30default_config_static_selectorELNS0_4arch9wavefront6targetE1EEEvT1_
	.p2align	8
	.type	_ZN7rocprim17ROCPRIM_400000_NS6detail17trampoline_kernelINS0_14default_configENS1_20scan_config_selectorIN3c107complexIdEEEEZZNS1_9scan_implILNS1_25lookback_scan_determinismE0ELb0ELb0ES3_PKS7_PS7_S7_ZZZN2at6native31launch_logcumsumexp_cuda_kernelERKNSE_10TensorBaseESI_lENKUlvE_clEvENKUlvE1_clEvEUlS7_S7_E_S7_EEDaPvRmT3_T4_T5_mT6_P12ihipStream_tbENKUlT_T0_E_clISt17integral_constantIbLb0EESY_IbLb1EEEEDaSU_SV_EUlSU_E_NS1_11comp_targetILNS1_3genE5ELNS1_11target_archE942ELNS1_3gpuE9ELNS1_3repE0EEENS1_30default_config_static_selectorELNS0_4arch9wavefront6targetE1EEEvT1_,@function
_ZN7rocprim17ROCPRIM_400000_NS6detail17trampoline_kernelINS0_14default_configENS1_20scan_config_selectorIN3c107complexIdEEEEZZNS1_9scan_implILNS1_25lookback_scan_determinismE0ELb0ELb0ES3_PKS7_PS7_S7_ZZZN2at6native31launch_logcumsumexp_cuda_kernelERKNSE_10TensorBaseESI_lENKUlvE_clEvENKUlvE1_clEvEUlS7_S7_E_S7_EEDaPvRmT3_T4_T5_mT6_P12ihipStream_tbENKUlT_T0_E_clISt17integral_constantIbLb0EESY_IbLb1EEEEDaSU_SV_EUlSU_E_NS1_11comp_targetILNS1_3genE5ELNS1_11target_archE942ELNS1_3gpuE9ELNS1_3repE0EEENS1_30default_config_static_selectorELNS0_4arch9wavefront6targetE1EEEvT1_: ; @_ZN7rocprim17ROCPRIM_400000_NS6detail17trampoline_kernelINS0_14default_configENS1_20scan_config_selectorIN3c107complexIdEEEEZZNS1_9scan_implILNS1_25lookback_scan_determinismE0ELb0ELb0ES3_PKS7_PS7_S7_ZZZN2at6native31launch_logcumsumexp_cuda_kernelERKNSE_10TensorBaseESI_lENKUlvE_clEvENKUlvE1_clEvEUlS7_S7_E_S7_EEDaPvRmT3_T4_T5_mT6_P12ihipStream_tbENKUlT_T0_E_clISt17integral_constantIbLb0EESY_IbLb1EEEEDaSU_SV_EUlSU_E_NS1_11comp_targetILNS1_3genE5ELNS1_11target_archE942ELNS1_3gpuE9ELNS1_3repE0EEENS1_30default_config_static_selectorELNS0_4arch9wavefront6targetE1EEEvT1_
; %bb.0:
	.section	.rodata,"a",@progbits
	.p2align	6, 0x0
	.amdhsa_kernel _ZN7rocprim17ROCPRIM_400000_NS6detail17trampoline_kernelINS0_14default_configENS1_20scan_config_selectorIN3c107complexIdEEEEZZNS1_9scan_implILNS1_25lookback_scan_determinismE0ELb0ELb0ES3_PKS7_PS7_S7_ZZZN2at6native31launch_logcumsumexp_cuda_kernelERKNSE_10TensorBaseESI_lENKUlvE_clEvENKUlvE1_clEvEUlS7_S7_E_S7_EEDaPvRmT3_T4_T5_mT6_P12ihipStream_tbENKUlT_T0_E_clISt17integral_constantIbLb0EESY_IbLb1EEEEDaSU_SV_EUlSU_E_NS1_11comp_targetILNS1_3genE5ELNS1_11target_archE942ELNS1_3gpuE9ELNS1_3repE0EEENS1_30default_config_static_selectorELNS0_4arch9wavefront6targetE1EEEvT1_
		.amdhsa_group_segment_fixed_size 0
		.amdhsa_private_segment_fixed_size 0
		.amdhsa_kernarg_size 128
		.amdhsa_user_sgpr_count 6
		.amdhsa_user_sgpr_private_segment_buffer 1
		.amdhsa_user_sgpr_dispatch_ptr 0
		.amdhsa_user_sgpr_queue_ptr 0
		.amdhsa_user_sgpr_kernarg_segment_ptr 1
		.amdhsa_user_sgpr_dispatch_id 0
		.amdhsa_user_sgpr_flat_scratch_init 0
		.amdhsa_user_sgpr_kernarg_preload_length 0
		.amdhsa_user_sgpr_kernarg_preload_offset 0
		.amdhsa_user_sgpr_private_segment_size 0
		.amdhsa_uses_dynamic_stack 0
		.amdhsa_system_sgpr_private_segment_wavefront_offset 0
		.amdhsa_system_sgpr_workgroup_id_x 1
		.amdhsa_system_sgpr_workgroup_id_y 0
		.amdhsa_system_sgpr_workgroup_id_z 0
		.amdhsa_system_sgpr_workgroup_info 0
		.amdhsa_system_vgpr_workitem_id 0
		.amdhsa_next_free_vgpr 1
		.amdhsa_next_free_sgpr 0
		.amdhsa_accum_offset 4
		.amdhsa_reserve_vcc 0
		.amdhsa_reserve_flat_scratch 0
		.amdhsa_float_round_mode_32 0
		.amdhsa_float_round_mode_16_64 0
		.amdhsa_float_denorm_mode_32 3
		.amdhsa_float_denorm_mode_16_64 3
		.amdhsa_dx10_clamp 1
		.amdhsa_ieee_mode 1
		.amdhsa_fp16_overflow 0
		.amdhsa_tg_split 0
		.amdhsa_exception_fp_ieee_invalid_op 0
		.amdhsa_exception_fp_denorm_src 0
		.amdhsa_exception_fp_ieee_div_zero 0
		.amdhsa_exception_fp_ieee_overflow 0
		.amdhsa_exception_fp_ieee_underflow 0
		.amdhsa_exception_fp_ieee_inexact 0
		.amdhsa_exception_int_div_zero 0
	.end_amdhsa_kernel
	.section	.text._ZN7rocprim17ROCPRIM_400000_NS6detail17trampoline_kernelINS0_14default_configENS1_20scan_config_selectorIN3c107complexIdEEEEZZNS1_9scan_implILNS1_25lookback_scan_determinismE0ELb0ELb0ES3_PKS7_PS7_S7_ZZZN2at6native31launch_logcumsumexp_cuda_kernelERKNSE_10TensorBaseESI_lENKUlvE_clEvENKUlvE1_clEvEUlS7_S7_E_S7_EEDaPvRmT3_T4_T5_mT6_P12ihipStream_tbENKUlT_T0_E_clISt17integral_constantIbLb0EESY_IbLb1EEEEDaSU_SV_EUlSU_E_NS1_11comp_targetILNS1_3genE5ELNS1_11target_archE942ELNS1_3gpuE9ELNS1_3repE0EEENS1_30default_config_static_selectorELNS0_4arch9wavefront6targetE1EEEvT1_,"axG",@progbits,_ZN7rocprim17ROCPRIM_400000_NS6detail17trampoline_kernelINS0_14default_configENS1_20scan_config_selectorIN3c107complexIdEEEEZZNS1_9scan_implILNS1_25lookback_scan_determinismE0ELb0ELb0ES3_PKS7_PS7_S7_ZZZN2at6native31launch_logcumsumexp_cuda_kernelERKNSE_10TensorBaseESI_lENKUlvE_clEvENKUlvE1_clEvEUlS7_S7_E_S7_EEDaPvRmT3_T4_T5_mT6_P12ihipStream_tbENKUlT_T0_E_clISt17integral_constantIbLb0EESY_IbLb1EEEEDaSU_SV_EUlSU_E_NS1_11comp_targetILNS1_3genE5ELNS1_11target_archE942ELNS1_3gpuE9ELNS1_3repE0EEENS1_30default_config_static_selectorELNS0_4arch9wavefront6targetE1EEEvT1_,comdat
.Lfunc_end242:
	.size	_ZN7rocprim17ROCPRIM_400000_NS6detail17trampoline_kernelINS0_14default_configENS1_20scan_config_selectorIN3c107complexIdEEEEZZNS1_9scan_implILNS1_25lookback_scan_determinismE0ELb0ELb0ES3_PKS7_PS7_S7_ZZZN2at6native31launch_logcumsumexp_cuda_kernelERKNSE_10TensorBaseESI_lENKUlvE_clEvENKUlvE1_clEvEUlS7_S7_E_S7_EEDaPvRmT3_T4_T5_mT6_P12ihipStream_tbENKUlT_T0_E_clISt17integral_constantIbLb0EESY_IbLb1EEEEDaSU_SV_EUlSU_E_NS1_11comp_targetILNS1_3genE5ELNS1_11target_archE942ELNS1_3gpuE9ELNS1_3repE0EEENS1_30default_config_static_selectorELNS0_4arch9wavefront6targetE1EEEvT1_, .Lfunc_end242-_ZN7rocprim17ROCPRIM_400000_NS6detail17trampoline_kernelINS0_14default_configENS1_20scan_config_selectorIN3c107complexIdEEEEZZNS1_9scan_implILNS1_25lookback_scan_determinismE0ELb0ELb0ES3_PKS7_PS7_S7_ZZZN2at6native31launch_logcumsumexp_cuda_kernelERKNSE_10TensorBaseESI_lENKUlvE_clEvENKUlvE1_clEvEUlS7_S7_E_S7_EEDaPvRmT3_T4_T5_mT6_P12ihipStream_tbENKUlT_T0_E_clISt17integral_constantIbLb0EESY_IbLb1EEEEDaSU_SV_EUlSU_E_NS1_11comp_targetILNS1_3genE5ELNS1_11target_archE942ELNS1_3gpuE9ELNS1_3repE0EEENS1_30default_config_static_selectorELNS0_4arch9wavefront6targetE1EEEvT1_
                                        ; -- End function
	.section	.AMDGPU.csdata,"",@progbits
; Kernel info:
; codeLenInByte = 0
; NumSgprs: 4
; NumVgprs: 0
; NumAgprs: 0
; TotalNumVgprs: 0
; ScratchSize: 0
; MemoryBound: 0
; FloatMode: 240
; IeeeMode: 1
; LDSByteSize: 0 bytes/workgroup (compile time only)
; SGPRBlocks: 0
; VGPRBlocks: 0
; NumSGPRsForWavesPerEU: 4
; NumVGPRsForWavesPerEU: 1
; AccumOffset: 4
; Occupancy: 8
; WaveLimiterHint : 0
; COMPUTE_PGM_RSRC2:SCRATCH_EN: 0
; COMPUTE_PGM_RSRC2:USER_SGPR: 6
; COMPUTE_PGM_RSRC2:TRAP_HANDLER: 0
; COMPUTE_PGM_RSRC2:TGID_X_EN: 1
; COMPUTE_PGM_RSRC2:TGID_Y_EN: 0
; COMPUTE_PGM_RSRC2:TGID_Z_EN: 0
; COMPUTE_PGM_RSRC2:TIDIG_COMP_CNT: 0
; COMPUTE_PGM_RSRC3_GFX90A:ACCUM_OFFSET: 0
; COMPUTE_PGM_RSRC3_GFX90A:TG_SPLIT: 0
	.section	.text._ZN7rocprim17ROCPRIM_400000_NS6detail17trampoline_kernelINS0_14default_configENS1_20scan_config_selectorIN3c107complexIdEEEEZZNS1_9scan_implILNS1_25lookback_scan_determinismE0ELb0ELb0ES3_PKS7_PS7_S7_ZZZN2at6native31launch_logcumsumexp_cuda_kernelERKNSE_10TensorBaseESI_lENKUlvE_clEvENKUlvE1_clEvEUlS7_S7_E_S7_EEDaPvRmT3_T4_T5_mT6_P12ihipStream_tbENKUlT_T0_E_clISt17integral_constantIbLb0EESY_IbLb1EEEEDaSU_SV_EUlSU_E_NS1_11comp_targetILNS1_3genE4ELNS1_11target_archE910ELNS1_3gpuE8ELNS1_3repE0EEENS1_30default_config_static_selectorELNS0_4arch9wavefront6targetE1EEEvT1_,"axG",@progbits,_ZN7rocprim17ROCPRIM_400000_NS6detail17trampoline_kernelINS0_14default_configENS1_20scan_config_selectorIN3c107complexIdEEEEZZNS1_9scan_implILNS1_25lookback_scan_determinismE0ELb0ELb0ES3_PKS7_PS7_S7_ZZZN2at6native31launch_logcumsumexp_cuda_kernelERKNSE_10TensorBaseESI_lENKUlvE_clEvENKUlvE1_clEvEUlS7_S7_E_S7_EEDaPvRmT3_T4_T5_mT6_P12ihipStream_tbENKUlT_T0_E_clISt17integral_constantIbLb0EESY_IbLb1EEEEDaSU_SV_EUlSU_E_NS1_11comp_targetILNS1_3genE4ELNS1_11target_archE910ELNS1_3gpuE8ELNS1_3repE0EEENS1_30default_config_static_selectorELNS0_4arch9wavefront6targetE1EEEvT1_,comdat
	.globl	_ZN7rocprim17ROCPRIM_400000_NS6detail17trampoline_kernelINS0_14default_configENS1_20scan_config_selectorIN3c107complexIdEEEEZZNS1_9scan_implILNS1_25lookback_scan_determinismE0ELb0ELb0ES3_PKS7_PS7_S7_ZZZN2at6native31launch_logcumsumexp_cuda_kernelERKNSE_10TensorBaseESI_lENKUlvE_clEvENKUlvE1_clEvEUlS7_S7_E_S7_EEDaPvRmT3_T4_T5_mT6_P12ihipStream_tbENKUlT_T0_E_clISt17integral_constantIbLb0EESY_IbLb1EEEEDaSU_SV_EUlSU_E_NS1_11comp_targetILNS1_3genE4ELNS1_11target_archE910ELNS1_3gpuE8ELNS1_3repE0EEENS1_30default_config_static_selectorELNS0_4arch9wavefront6targetE1EEEvT1_ ; -- Begin function _ZN7rocprim17ROCPRIM_400000_NS6detail17trampoline_kernelINS0_14default_configENS1_20scan_config_selectorIN3c107complexIdEEEEZZNS1_9scan_implILNS1_25lookback_scan_determinismE0ELb0ELb0ES3_PKS7_PS7_S7_ZZZN2at6native31launch_logcumsumexp_cuda_kernelERKNSE_10TensorBaseESI_lENKUlvE_clEvENKUlvE1_clEvEUlS7_S7_E_S7_EEDaPvRmT3_T4_T5_mT6_P12ihipStream_tbENKUlT_T0_E_clISt17integral_constantIbLb0EESY_IbLb1EEEEDaSU_SV_EUlSU_E_NS1_11comp_targetILNS1_3genE4ELNS1_11target_archE910ELNS1_3gpuE8ELNS1_3repE0EEENS1_30default_config_static_selectorELNS0_4arch9wavefront6targetE1EEEvT1_
	.p2align	8
	.type	_ZN7rocprim17ROCPRIM_400000_NS6detail17trampoline_kernelINS0_14default_configENS1_20scan_config_selectorIN3c107complexIdEEEEZZNS1_9scan_implILNS1_25lookback_scan_determinismE0ELb0ELb0ES3_PKS7_PS7_S7_ZZZN2at6native31launch_logcumsumexp_cuda_kernelERKNSE_10TensorBaseESI_lENKUlvE_clEvENKUlvE1_clEvEUlS7_S7_E_S7_EEDaPvRmT3_T4_T5_mT6_P12ihipStream_tbENKUlT_T0_E_clISt17integral_constantIbLb0EESY_IbLb1EEEEDaSU_SV_EUlSU_E_NS1_11comp_targetILNS1_3genE4ELNS1_11target_archE910ELNS1_3gpuE8ELNS1_3repE0EEENS1_30default_config_static_selectorELNS0_4arch9wavefront6targetE1EEEvT1_,@function
_ZN7rocprim17ROCPRIM_400000_NS6detail17trampoline_kernelINS0_14default_configENS1_20scan_config_selectorIN3c107complexIdEEEEZZNS1_9scan_implILNS1_25lookback_scan_determinismE0ELb0ELb0ES3_PKS7_PS7_S7_ZZZN2at6native31launch_logcumsumexp_cuda_kernelERKNSE_10TensorBaseESI_lENKUlvE_clEvENKUlvE1_clEvEUlS7_S7_E_S7_EEDaPvRmT3_T4_T5_mT6_P12ihipStream_tbENKUlT_T0_E_clISt17integral_constantIbLb0EESY_IbLb1EEEEDaSU_SV_EUlSU_E_NS1_11comp_targetILNS1_3genE4ELNS1_11target_archE910ELNS1_3gpuE8ELNS1_3repE0EEENS1_30default_config_static_selectorELNS0_4arch9wavefront6targetE1EEEvT1_: ; @_ZN7rocprim17ROCPRIM_400000_NS6detail17trampoline_kernelINS0_14default_configENS1_20scan_config_selectorIN3c107complexIdEEEEZZNS1_9scan_implILNS1_25lookback_scan_determinismE0ELb0ELb0ES3_PKS7_PS7_S7_ZZZN2at6native31launch_logcumsumexp_cuda_kernelERKNSE_10TensorBaseESI_lENKUlvE_clEvENKUlvE1_clEvEUlS7_S7_E_S7_EEDaPvRmT3_T4_T5_mT6_P12ihipStream_tbENKUlT_T0_E_clISt17integral_constantIbLb0EESY_IbLb1EEEEDaSU_SV_EUlSU_E_NS1_11comp_targetILNS1_3genE4ELNS1_11target_archE910ELNS1_3gpuE8ELNS1_3repE0EEENS1_30default_config_static_selectorELNS0_4arch9wavefront6targetE1EEEvT1_
; %bb.0:
	s_load_dwordx4 s[60:63], s[4:5], 0x38
	s_load_dwordx2 s[64:65], s[4:5], 0x48
	s_add_u32 flat_scratch_lo, s6, s9
	s_addc_u32 flat_scratch_hi, s7, 0
	s_add_u32 s0, s0, s9
	v_mov_b32_e32 v46, v0
	s_addc_u32 s1, s1, 0
	v_cmp_ne_u32_e64 s[38:39], 0, v46
	v_cmp_eq_u32_e64 s[40:41], 0, v46
	s_mov_b32 s32, 0
	s_and_saveexec_b64 s[6:7], s[40:41]
	s_cbranch_execz .LBB243_4
; %bb.1:
	s_mov_b64 s[10:11], exec
	v_mbcnt_lo_u32_b32 v0, s10, 0
	v_mbcnt_hi_u32_b32 v0, s11, v0
	v_cmp_eq_u32_e32 vcc, 0, v0
                                        ; implicit-def: $vgpr1
	s_and_saveexec_b64 s[8:9], vcc
	s_cbranch_execz .LBB243_3
; %bb.2:
	s_load_dwordx2 s[12:13], s[4:5], 0x78
	s_bcnt1_i32_b64 s10, s[10:11]
	v_mov_b32_e32 v1, 0
	v_mov_b32_e32 v2, s10
	s_waitcnt lgkmcnt(0)
	global_atomic_add v1, v1, v2, s[12:13] glc
.LBB243_3:
	s_or_b64 exec, exec, s[8:9]
	s_waitcnt vmcnt(0)
	v_readfirstlane_b32 s8, v1
	v_add_u32_e32 v0, s8, v0
	v_mov_b32_e32 v1, 0
	ds_write_b32 v1, v0
.LBB243_4:
	s_or_b64 exec, exec, s[6:7]
	s_load_dwordx8 s[52:59], s[4:5], 0x0
	s_load_dword s6, s[4:5], 0x50
	s_load_dwordx8 s[44:51], s[4:5], 0x58
	v_mov_b32_e32 v0, 0
	s_waitcnt lgkmcnt(0)
	; wave barrier
	s_waitcnt lgkmcnt(0)
	ds_read_b32 v0, v0
	s_lshl_b64 s[54:55], s[54:55], 4
	s_add_u32 s7, s52, s54
	s_addc_u32 s8, s53, s55
	s_add_i32 s6, s6, -1
	s_mul_i32 s9, s6, 0x3c0
	s_sub_u32 s33, s58, s9
	s_waitcnt lgkmcnt(0)
	v_readfirstlane_b32 s70, v0
	s_subb_u32 s37, s59, 0
	s_mov_b32 s5, 0
	s_mul_i32 s4, s70, 0x3c0
	s_cmp_lg_u32 s70, s6
	s_cselect_b64 s[52:53], -1, 0
	s_lshl_b64 s[58:59], s[4:5], 4
	s_add_u32 s6, s7, s58
	s_addc_u32 s7, s8, s59
	s_mov_b64 s[4:5], -1
	s_and_b64 vcc, exec, s[52:53]
	v_lshlrev_b32_e32 v168, 4, v46
	s_waitcnt lgkmcnt(0)
	; wave barrier
	s_cbranch_vccz .LBB243_6
; %bb.5:
	v_mov_b32_e32 v0, s7
	v_add_co_u32_e32 v47, vcc, s6, v168
	v_addc_co_u32_e32 v52, vcc, 0, v0, vcc
	v_add_co_u32_e32 v32, vcc, 0x1000, v47
	v_addc_co_u32_e32 v33, vcc, 0, v52, vcc
	;; [unrolled: 2-line block ×3, first 2 shown]
	global_load_dwordx4 v[0:3], v168, s[6:7]
	global_load_dwordx4 v[4:7], v168, s[6:7] offset:1024
	global_load_dwordx4 v[8:11], v168, s[6:7] offset:2048
	;; [unrolled: 1-line block ×3, first 2 shown]
	global_load_dwordx4 v[16:19], v[32:33], off
	global_load_dwordx4 v[20:23], v[32:33], off offset:1024
	global_load_dwordx4 v[24:27], v[32:33], off offset:2048
	;; [unrolled: 1-line block ×3, first 2 shown]
	s_nop 0
	global_load_dwordx4 v[32:35], v[44:45], off
	global_load_dwordx4 v[36:39], v[44:45], off offset:1024
	global_load_dwordx4 v[40:43], v[44:45], off offset:2048
	;; [unrolled: 1-line block ×3, first 2 shown]
	v_add_co_u32_e32 v44, vcc, 0x3000, v47
	v_addc_co_u32_e32 v45, vcc, 0, v52, vcc
	global_load_dwordx4 v[52:55], v[44:45], off
	global_load_dwordx4 v[56:59], v[44:45], off offset:1024
	global_load_dwordx4 v[60:63], v[44:45], off offset:2048
	s_mov_b64 s[4:5], 0
	s_waitcnt vmcnt(14)
	ds_write_b128 v168, v[0:3]
	s_waitcnt vmcnt(13)
	ds_write_b128 v168, v[4:7] offset:1024
	s_waitcnt vmcnt(12)
	ds_write_b128 v168, v[8:11] offset:2048
	;; [unrolled: 2-line block ×14, first 2 shown]
	s_waitcnt lgkmcnt(0)
	; wave barrier
.LBB243_6:
	s_andn2_b64 vcc, exec, s[4:5]
	v_cmp_gt_u32_e64 s[4:5], s33, v46
	s_cbranch_vccnz .LBB243_38
; %bb.7:
	v_mov_b32_e32 v0, 0
	global_load_dwordx4 v[0:3], v0, s[6:7]
	s_waitcnt vmcnt(0)
	v_pk_mov_b32 v[6:7], v[2:3], v[2:3] op_sel:[0,1]
	v_pk_mov_b32 v[4:5], v[0:1], v[0:1] op_sel:[0,1]
	s_and_saveexec_b64 s[8:9], s[4:5]
	s_cbranch_execz .LBB243_9
; %bb.8:
	global_load_dwordx4 v[4:7], v168, s[6:7]
.LBB243_9:
	s_or_b64 exec, exec, s[8:9]
	v_or_b32_e32 v8, 64, v46
	v_cmp_gt_u32_e32 vcc, s33, v8
	v_pk_mov_b32 v[10:11], v[2:3], v[2:3] op_sel:[0,1]
	v_pk_mov_b32 v[8:9], v[0:1], v[0:1] op_sel:[0,1]
	s_and_saveexec_b64 s[4:5], vcc
	s_cbranch_execz .LBB243_11
; %bb.10:
	global_load_dwordx4 v[8:11], v168, s[6:7] offset:1024
.LBB243_11:
	s_or_b64 exec, exec, s[4:5]
	v_or_b32_e32 v12, 0x80, v46
	v_cmp_gt_u32_e32 vcc, s33, v12
	v_pk_mov_b32 v[14:15], v[2:3], v[2:3] op_sel:[0,1]
	v_pk_mov_b32 v[12:13], v[0:1], v[0:1] op_sel:[0,1]
	s_and_saveexec_b64 s[4:5], vcc
	s_cbranch_execz .LBB243_13
; %bb.12:
	global_load_dwordx4 v[12:15], v168, s[6:7] offset:2048
.LBB243_13:
	;; [unrolled: 10-line block ×3, first 2 shown]
	s_or_b64 exec, exec, s[4:5]
	v_or_b32_e32 v24, 0x100, v46
	v_cmp_gt_u32_e32 vcc, s33, v24
	v_pk_mov_b32 v[22:23], v[2:3], v[2:3] op_sel:[0,1]
	v_pk_mov_b32 v[20:21], v[0:1], v[0:1] op_sel:[0,1]
	s_and_saveexec_b64 s[4:5], vcc
	s_cbranch_execz .LBB243_17
; %bb.16:
	v_lshlrev_b32_e32 v20, 4, v24
	global_load_dwordx4 v[20:23], v20, s[6:7]
.LBB243_17:
	s_or_b64 exec, exec, s[4:5]
	v_or_b32_e32 v28, 0x140, v46
	v_cmp_gt_u32_e32 vcc, s33, v28
	v_pk_mov_b32 v[26:27], v[2:3], v[2:3] op_sel:[0,1]
	v_pk_mov_b32 v[24:25], v[0:1], v[0:1] op_sel:[0,1]
	s_and_saveexec_b64 s[4:5], vcc
	s_cbranch_execz .LBB243_19
; %bb.18:
	v_lshlrev_b32_e32 v24, 4, v28
	global_load_dwordx4 v[24:27], v24, s[6:7]
.LBB243_19:
	;; [unrolled: 11-line block ×10, first 2 shown]
	s_or_b64 exec, exec, s[4:5]
	v_or_b32_e32 v44, 0x380, v46
	v_cmp_gt_u32_e32 vcc, s33, v44
	s_and_saveexec_b64 s[4:5], vcc
	s_cbranch_execz .LBB243_37
; %bb.36:
	v_lshlrev_b32_e32 v0, 4, v44
	global_load_dwordx4 v[0:3], v0, s[6:7]
.LBB243_37:
	s_or_b64 exec, exec, s[4:5]
	s_waitcnt vmcnt(0)
	ds_write_b128 v168, v[4:7]
	ds_write_b128 v168, v[8:11] offset:1024
	ds_write_b128 v168, v[12:15] offset:2048
	;; [unrolled: 1-line block ×14, first 2 shown]
	s_waitcnt lgkmcnt(0)
	; wave barrier
.LBB243_38:
	v_mul_u32_u24_e32 v169, 15, v46
	v_lshlrev_b32_e32 v170, 4, v169
	s_waitcnt lgkmcnt(0)
	ds_read_b128 v[42:45], v170
	ds_read_b128 v[104:107], v170 offset:16
	ds_read_b128 v[100:103], v170 offset:32
	;; [unrolled: 1-line block ×14, first 2 shown]
	s_cmp_lg_u32 s70, 0
	s_waitcnt lgkmcnt(0)
	; wave barrier
	s_waitcnt lgkmcnt(0)
	s_cbranch_scc0 .LBB243_99
; %bb.39:
	v_mov_b32_e32 v0, v42
	v_mov_b32_e32 v1, v43
	;; [unrolled: 1-line block ×8, first 2 shown]
	s_getpc_b64 s[42:43]
	s_add_u32 s42, s42, _ZZZZN2at6native31launch_logcumsumexp_cuda_kernelERKNS_10TensorBaseES3_lENKUlvE_clEvENKUlvE1_clEvENKUlN3c107complexIdEES8_E_clES8_S8_@rel32@lo+4
	s_addc_u32 s43, s43, _ZZZZN2at6native31launch_logcumsumexp_cuda_kernelERKNS_10TensorBaseES3_lENKUlvE_clEvENKUlvE1_clEvENKUlN3c107complexIdEES8_E_clES8_S8_@rel32@hi+12
	s_swappc_b64 s[30:31], s[42:43]
	v_mov_b32_e32 v4, v100
	v_mov_b32_e32 v5, v101
	v_mov_b32_e32 v6, v102
	v_mov_b32_e32 v7, v103
	s_swappc_b64 s[30:31], s[42:43]
	v_mov_b32_e32 v4, v96
	v_mov_b32_e32 v5, v97
	v_mov_b32_e32 v6, v98
	v_mov_b32_e32 v7, v99
	s_swappc_b64 s[30:31], s[42:43]
	v_mov_b32_e32 v4, v92
	v_mov_b32_e32 v5, v93
	v_mov_b32_e32 v6, v94
	v_mov_b32_e32 v7, v95
	s_swappc_b64 s[30:31], s[42:43]
	v_mov_b32_e32 v4, v88
	v_mov_b32_e32 v5, v89
	v_mov_b32_e32 v6, v90
	v_mov_b32_e32 v7, v91
	s_swappc_b64 s[30:31], s[42:43]
	v_mov_b32_e32 v4, v84
	v_mov_b32_e32 v5, v85
	v_mov_b32_e32 v6, v86
	v_mov_b32_e32 v7, v87
	s_swappc_b64 s[30:31], s[42:43]
	v_mov_b32_e32 v4, v80
	v_mov_b32_e32 v5, v81
	v_mov_b32_e32 v6, v82
	v_mov_b32_e32 v7, v83
	s_swappc_b64 s[30:31], s[42:43]
	v_mov_b32_e32 v4, v76
	v_mov_b32_e32 v5, v77
	v_mov_b32_e32 v6, v78
	v_mov_b32_e32 v7, v79
	s_swappc_b64 s[30:31], s[42:43]
	v_mov_b32_e32 v4, v72
	v_mov_b32_e32 v5, v73
	v_mov_b32_e32 v6, v74
	v_mov_b32_e32 v7, v75
	s_swappc_b64 s[30:31], s[42:43]
	v_mov_b32_e32 v4, v68
	v_mov_b32_e32 v5, v69
	v_mov_b32_e32 v6, v70
	v_mov_b32_e32 v7, v71
	s_swappc_b64 s[30:31], s[42:43]
	v_mov_b32_e32 v4, v64
	v_mov_b32_e32 v5, v65
	v_mov_b32_e32 v6, v66
	v_mov_b32_e32 v7, v67
	s_swappc_b64 s[30:31], s[42:43]
	v_mov_b32_e32 v4, v60
	v_mov_b32_e32 v5, v61
	v_mov_b32_e32 v6, v62
	v_mov_b32_e32 v7, v63
	s_swappc_b64 s[30:31], s[42:43]
	v_mov_b32_e32 v4, v56
	v_mov_b32_e32 v5, v57
	v_mov_b32_e32 v6, v58
	v_mov_b32_e32 v7, v59
	s_swappc_b64 s[30:31], s[42:43]
	v_mov_b32_e32 v4, v52
	v_mov_b32_e32 v5, v53
	v_mov_b32_e32 v6, v54
	v_mov_b32_e32 v7, v55
	s_swappc_b64 s[30:31], s[42:43]
	v_mov_b32_e32 v4, v0
	v_mbcnt_lo_u32_b32 v0, -1, 0
	v_mbcnt_hi_u32_b32 v112, -1, v0
	v_mov_b32_e32 v5, v1
	v_mov_b32_e32 v6, v2
	;; [unrolled: 1-line block ×3, first 2 shown]
	v_and_b32_e32 v41, 15, v112
	v_mov_b32_dpp v0, v4 row_shr:1 row_mask:0xf bank_mask:0xf
	v_mov_b32_dpp v1, v5 row_shr:1 row_mask:0xf bank_mask:0xf
	;; [unrolled: 1-line block ×4, first 2 shown]
	v_cmp_ne_u32_e32 vcc, 0, v41
	s_and_saveexec_b64 s[66:67], vcc
	s_cbranch_execz .LBB243_41
; %bb.40:
	s_swappc_b64 s[30:31], s[42:43]
	v_mov_b32_e32 v4, v0
	v_mov_b32_e32 v5, v1
	;; [unrolled: 1-line block ×4, first 2 shown]
.LBB243_41:
	s_or_b64 exec, exec, s[66:67]
	v_mov_b32_dpp v0, v4 row_shr:2 row_mask:0xf bank_mask:0xf
	v_mov_b32_dpp v1, v5 row_shr:2 row_mask:0xf bank_mask:0xf
	v_mov_b32_dpp v2, v6 row_shr:2 row_mask:0xf bank_mask:0xf
	v_mov_b32_dpp v3, v7 row_shr:2 row_mask:0xf bank_mask:0xf
	v_cmp_lt_u32_e32 vcc, 1, v41
	s_and_saveexec_b64 s[42:43], vcc
	s_cbranch_execz .LBB243_43
; %bb.42:
	s_getpc_b64 s[4:5]
	s_add_u32 s4, s4, _ZZZZN2at6native31launch_logcumsumexp_cuda_kernelERKNS_10TensorBaseES3_lENKUlvE_clEvENKUlvE1_clEvENKUlN3c107complexIdEES8_E_clES8_S8_@rel32@lo+4
	s_addc_u32 s5, s5, _ZZZZN2at6native31launch_logcumsumexp_cuda_kernelERKNS_10TensorBaseES3_lENKUlvE_clEvENKUlvE1_clEvENKUlN3c107complexIdEES8_E_clES8_S8_@rel32@hi+12
	s_swappc_b64 s[30:31], s[4:5]
	v_mov_b32_e32 v4, v0
	v_mov_b32_e32 v5, v1
	v_mov_b32_e32 v6, v2
	v_mov_b32_e32 v7, v3
.LBB243_43:
	s_or_b64 exec, exec, s[42:43]
	v_mov_b32_dpp v0, v4 row_shr:4 row_mask:0xf bank_mask:0xf
	v_mov_b32_dpp v1, v5 row_shr:4 row_mask:0xf bank_mask:0xf
	v_mov_b32_dpp v2, v6 row_shr:4 row_mask:0xf bank_mask:0xf
	v_mov_b32_dpp v3, v7 row_shr:4 row_mask:0xf bank_mask:0xf
	v_cmp_lt_u32_e32 vcc, 3, v41
	s_and_saveexec_b64 s[42:43], vcc
	s_cbranch_execz .LBB243_45
; %bb.44:
	s_getpc_b64 s[4:5]
	s_add_u32 s4, s4, _ZZZZN2at6native31launch_logcumsumexp_cuda_kernelERKNS_10TensorBaseES3_lENKUlvE_clEvENKUlvE1_clEvENKUlN3c107complexIdEES8_E_clES8_S8_@rel32@lo+4
	s_addc_u32 s5, s5, _ZZZZN2at6native31launch_logcumsumexp_cuda_kernelERKNS_10TensorBaseES3_lENKUlvE_clEvENKUlvE1_clEvENKUlN3c107complexIdEES8_E_clES8_S8_@rel32@hi+12
	s_swappc_b64 s[30:31], s[4:5]
	v_mov_b32_e32 v4, v0
	v_mov_b32_e32 v5, v1
	v_mov_b32_e32 v6, v2
	v_mov_b32_e32 v7, v3
.LBB243_45:
	;; [unrolled: 18-line block ×3, first 2 shown]
	s_or_b64 exec, exec, s[42:43]
	v_and_b32_e32 v8, 16, v112
	v_mov_b32_dpp v0, v4 row_bcast:15 row_mask:0xf bank_mask:0xf
	v_mov_b32_dpp v1, v5 row_bcast:15 row_mask:0xf bank_mask:0xf
	;; [unrolled: 1-line block ×4, first 2 shown]
	v_cmp_ne_u32_e32 vcc, 0, v8
	s_and_saveexec_b64 s[42:43], vcc
	s_cbranch_execz .LBB243_49
; %bb.48:
	s_getpc_b64 s[4:5]
	s_add_u32 s4, s4, _ZZZZN2at6native31launch_logcumsumexp_cuda_kernelERKNS_10TensorBaseES3_lENKUlvE_clEvENKUlvE1_clEvENKUlN3c107complexIdEES8_E_clES8_S8_@rel32@lo+4
	s_addc_u32 s5, s5, _ZZZZN2at6native31launch_logcumsumexp_cuda_kernelERKNS_10TensorBaseES3_lENKUlvE_clEvENKUlvE1_clEvENKUlN3c107complexIdEES8_E_clES8_S8_@rel32@hi+12
	s_swappc_b64 s[30:31], s[4:5]
	v_mov_b32_e32 v4, v0
	v_mov_b32_e32 v5, v1
	;; [unrolled: 1-line block ×4, first 2 shown]
.LBB243_49:
	s_or_b64 exec, exec, s[42:43]
	v_mov_b32_dpp v0, v4 row_bcast:31 row_mask:0xf bank_mask:0xf
	v_mov_b32_dpp v1, v5 row_bcast:31 row_mask:0xf bank_mask:0xf
	;; [unrolled: 1-line block ×4, first 2 shown]
	v_cmp_lt_u32_e32 vcc, 31, v112
	s_and_saveexec_b64 s[42:43], vcc
	s_cbranch_execz .LBB243_51
; %bb.50:
	s_getpc_b64 s[4:5]
	s_add_u32 s4, s4, _ZZZZN2at6native31launch_logcumsumexp_cuda_kernelERKNS_10TensorBaseES3_lENKUlvE_clEvENKUlvE1_clEvENKUlN3c107complexIdEES8_E_clES8_S8_@rel32@lo+4
	s_addc_u32 s5, s5, _ZZZZN2at6native31launch_logcumsumexp_cuda_kernelERKNS_10TensorBaseES3_lENKUlvE_clEvENKUlvE1_clEvENKUlN3c107complexIdEES8_E_clES8_S8_@rel32@hi+12
	s_swappc_b64 s[30:31], s[4:5]
	v_mov_b32_e32 v4, v0
	v_mov_b32_e32 v5, v1
	;; [unrolled: 1-line block ×4, first 2 shown]
.LBB243_51:
	s_or_b64 exec, exec, s[42:43]
	v_cmp_eq_u32_e32 vcc, 63, v46
	s_and_saveexec_b64 s[4:5], vcc
	s_cbranch_execz .LBB243_53
; %bb.52:
	v_mov_b32_e32 v0, 0
	ds_write_b128 v0, v[4:7]
.LBB243_53:
	s_or_b64 exec, exec, s[4:5]
	v_add_u32_e32 v0, -1, v112
	v_and_b32_e32 v1, 64, v112
	v_cmp_lt_i32_e32 vcc, v0, v1
	v_cndmask_b32_e32 v0, v0, v112, vcc
	v_lshlrev_b32_e32 v0, 2, v0
	ds_bpermute_b32 v41, v0, v4
	ds_bpermute_b32 v47, v0, v5
	;; [unrolled: 1-line block ×4, first 2 shown]
	v_cmp_gt_u32_e32 vcc, 64, v46
	s_waitcnt lgkmcnt(0)
	; wave barrier
	s_waitcnt lgkmcnt(0)
	s_and_saveexec_b64 s[66:67], vcc
	s_cbranch_execz .LBB243_96
; %bb.54:
	v_mov_b32_e32 v1, 0
	ds_read_b128 v[108:111], v1
	s_mov_b32 s7, 0
	v_cmp_eq_u32_e64 s[42:43], 0, v112
	s_and_saveexec_b64 s[4:5], s[42:43]
	s_cbranch_execz .LBB243_56
; %bb.55:
	s_add_i32 s6, s70, 64
	s_lshl_b64 s[8:9], s[6:7], 4
	s_add_u32 s8, s60, s8
	s_addc_u32 s9, s61, s9
	v_mov_b32_e32 v0, s6
	v_mov_b32_e32 v2, 1
	s_waitcnt lgkmcnt(0)
	global_store_dwordx4 v1, v[108:111], s[8:9]
	s_waitcnt vmcnt(0)
	buffer_wbinvl1_vol
	global_store_byte v0, v2, s[64:65]
.LBB243_56:
	s_or_b64 exec, exec, s[4:5]
	v_xad_u32 v118, v112, -1, s70
	v_add_u32_e32 v0, 64, v118
	global_load_ubyte v122, v0, s[64:65] glc
	s_waitcnt vmcnt(0)
	v_cmp_eq_u16_e32 vcc, 0, v122
	s_and_saveexec_b64 s[4:5], vcc
	s_cbranch_execz .LBB243_60
; %bb.57:
	v_mov_b32_e32 v3, s65
	v_add_co_u32_e32 v2, vcc, s64, v0
	v_addc_co_u32_e32 v3, vcc, 0, v3, vcc
	s_mov_b64 s[6:7], 0
.LBB243_58:                             ; =>This Inner Loop Header: Depth=1
	global_load_ubyte v122, v[2:3], off glc
	s_waitcnt vmcnt(0)
	v_cmp_ne_u16_e32 vcc, 0, v122
	s_or_b64 s[6:7], vcc, s[6:7]
	s_andn2_b64 exec, exec, s[6:7]
	s_cbranch_execnz .LBB243_58
; %bb.59:
	s_or_b64 exec, exec, s[6:7]
.LBB243_60:
	s_or_b64 exec, exec, s[4:5]
	v_mov_b32_e32 v2, s63
	v_mov_b32_e32 v3, s61
	v_cmp_eq_u16_e32 vcc, 1, v122
	v_cndmask_b32_e32 v2, v2, v3, vcc
	v_mov_b32_e32 v3, s62
	v_mov_b32_e32 v4, s60
	v_cndmask_b32_e32 v3, v3, v4, vcc
	v_lshlrev_b64 v[0:1], 4, v[0:1]
	v_add_co_u32_e32 v0, vcc, v3, v0
	v_addc_co_u32_e32 v1, vcc, v2, v1, vcc
	s_waitcnt lgkmcnt(0)
	buffer_wbinvl1_vol
	global_load_dwordx4 v[4:7], v[0:1], off
	v_cmp_eq_u16_e32 vcc, 2, v122
	v_lshlrev_b64 v[120:121], v112, -1
	v_and_b32_e32 v123, 63, v112
	v_and_b32_e32 v0, vcc_hi, v121
	v_and_b32_e32 v8, vcc_lo, v120
	v_cmp_ne_u32_e32 vcc, 63, v123
	v_addc_co_u32_e32 v1, vcc, 0, v112, vcc
	v_or_b32_e32 v0, 0x80000000, v0
	v_lshlrev_b32_e32 v124, 2, v1
	v_ffbl_b32_e32 v9, v0
	v_add_u32_e32 v9, 32, v9
	v_ffbl_b32_e32 v8, v8
	v_min_u32_e32 v113, v8, v9
	v_cmp_lt_u32_e32 vcc, v123, v113
	s_waitcnt vmcnt(0)
	ds_bpermute_b32 v0, v124, v4
	ds_bpermute_b32 v1, v124, v5
	;; [unrolled: 1-line block ×4, first 2 shown]
	s_and_saveexec_b64 s[68:69], vcc
	s_cbranch_execz .LBB243_62
; %bb.61:
	s_getpc_b64 s[4:5]
	s_add_u32 s4, s4, _ZZZZN2at6native31launch_logcumsumexp_cuda_kernelERKNS_10TensorBaseES3_lENKUlvE_clEvENKUlvE1_clEvENKUlN3c107complexIdEES8_E_clES8_S8_@rel32@lo+4
	s_addc_u32 s5, s5, _ZZZZN2at6native31launch_logcumsumexp_cuda_kernelERKNS_10TensorBaseES3_lENKUlvE_clEvENKUlvE1_clEvENKUlN3c107complexIdEES8_E_clES8_S8_@rel32@hi+12
	s_swappc_b64 s[30:31], s[4:5]
	v_mov_b32_e32 v4, v0
	v_mov_b32_e32 v5, v1
	v_mov_b32_e32 v6, v2
	v_mov_b32_e32 v7, v3
.LBB243_62:
	s_or_b64 exec, exec, s[68:69]
	v_cmp_gt_u32_e32 vcc, 62, v123
	s_waitcnt lgkmcnt(3)
	v_cndmask_b32_e64 v0, 0, 1, vcc
	v_lshlrev_b32_e32 v0, 1, v0
	v_add_lshl_u32 v125, v0, v112, 2
	ds_bpermute_b32 v0, v125, v4
	s_waitcnt lgkmcnt(3)
	ds_bpermute_b32 v1, v125, v5
	s_waitcnt lgkmcnt(3)
	ds_bpermute_b32 v2, v125, v6
	s_waitcnt lgkmcnt(3)
	ds_bpermute_b32 v3, v125, v7
	v_add_u32_e32 v126, 2, v123
	v_cmp_le_u32_e32 vcc, v126, v113
	s_and_saveexec_b64 s[68:69], vcc
	s_cbranch_execz .LBB243_64
; %bb.63:
	s_getpc_b64 s[4:5]
	s_add_u32 s4, s4, _ZZZZN2at6native31launch_logcumsumexp_cuda_kernelERKNS_10TensorBaseES3_lENKUlvE_clEvENKUlvE1_clEvENKUlN3c107complexIdEES8_E_clES8_S8_@rel32@lo+4
	s_addc_u32 s5, s5, _ZZZZN2at6native31launch_logcumsumexp_cuda_kernelERKNS_10TensorBaseES3_lENKUlvE_clEvENKUlvE1_clEvENKUlN3c107complexIdEES8_E_clES8_S8_@rel32@hi+12
	s_swappc_b64 s[30:31], s[4:5]
	v_mov_b32_e32 v4, v0
	v_mov_b32_e32 v5, v1
	v_mov_b32_e32 v6, v2
	v_mov_b32_e32 v7, v3
.LBB243_64:
	s_or_b64 exec, exec, s[68:69]
	v_cmp_gt_u32_e32 vcc, 60, v123
	s_waitcnt lgkmcnt(3)
	v_cndmask_b32_e64 v0, 0, 1, vcc
	v_lshlrev_b32_e32 v0, 2, v0
	v_add_lshl_u32 v127, v0, v112, 2
	ds_bpermute_b32 v0, v127, v4
	s_waitcnt lgkmcnt(3)
	ds_bpermute_b32 v1, v127, v5
	s_waitcnt lgkmcnt(3)
	ds_bpermute_b32 v2, v127, v6
	s_waitcnt lgkmcnt(3)
	ds_bpermute_b32 v3, v127, v7
	v_add_u32_e32 v128, 4, v123
	v_cmp_le_u32_e32 vcc, v128, v113
	;; [unrolled: 27-line block ×5, first 2 shown]
	s_and_saveexec_b64 s[68:69], vcc
	s_cbranch_execz .LBB243_72
; %bb.71:
	s_getpc_b64 s[4:5]
	s_add_u32 s4, s4, _ZZZZN2at6native31launch_logcumsumexp_cuda_kernelERKNS_10TensorBaseES3_lENKUlvE_clEvENKUlvE1_clEvENKUlN3c107complexIdEES8_E_clES8_S8_@rel32@lo+4
	s_addc_u32 s5, s5, _ZZZZN2at6native31launch_logcumsumexp_cuda_kernelERKNS_10TensorBaseES3_lENKUlvE_clEvENKUlvE1_clEvENKUlN3c107complexIdEES8_E_clES8_S8_@rel32@hi+12
	s_swappc_b64 s[30:31], s[4:5]
	v_mov_b32_e32 v4, v0
	v_mov_b32_e32 v5, v1
	;; [unrolled: 1-line block ×4, first 2 shown]
.LBB243_72:
	s_or_b64 exec, exec, s[68:69]
	v_mov_b32_e32 v119, 0
	v_mov_b32_e32 v135, 2
	s_branch .LBB243_74
.LBB243_73:                             ;   in Loop: Header=BB243_74 Depth=1
	s_or_b64 exec, exec, s[68:69]
	s_waitcnt lgkmcnt(3)
	v_mov_b32_e32 v0, v4
	s_waitcnt lgkmcnt(2)
	v_mov_b32_e32 v1, v5
	;; [unrolled: 2-line block ×4, first 2 shown]
	v_mov_b32_e32 v4, v112
	v_mov_b32_e32 v5, v113
	;; [unrolled: 1-line block ×4, first 2 shown]
	v_subrev_u32_e32 v118, 64, v118
	s_getpc_b64 s[4:5]
	s_add_u32 s4, s4, _ZZZZN2at6native31launch_logcumsumexp_cuda_kernelERKNS_10TensorBaseES3_lENKUlvE_clEvENKUlvE1_clEvENKUlN3c107complexIdEES8_E_clES8_S8_@rel32@lo+4
	s_addc_u32 s5, s5, _ZZZZN2at6native31launch_logcumsumexp_cuda_kernelERKNS_10TensorBaseES3_lENKUlvE_clEvENKUlvE1_clEvENKUlN3c107complexIdEES8_E_clES8_S8_@rel32@hi+12
	s_swappc_b64 s[30:31], s[4:5]
	v_mov_b32_e32 v4, v0
	v_mov_b32_e32 v5, v1
	v_mov_b32_e32 v6, v2
	v_mov_b32_e32 v7, v3
.LBB243_74:                             ; =>This Loop Header: Depth=1
                                        ;     Child Loop BB243_77 Depth 2
	v_cmp_ne_u16_sdwa s[4:5], v122, v135 src0_sel:BYTE_0 src1_sel:DWORD
	s_waitcnt lgkmcnt(3)
	v_cndmask_b32_e64 v0, 0, 1, s[4:5]
	;;#ASMSTART
	;;#ASMEND
	v_cmp_ne_u32_e32 vcc, 0, v0
	v_pk_mov_b32 v[114:115], v[6:7], v[6:7] op_sel:[0,1]
	s_cmp_lg_u64 vcc, exec
	v_pk_mov_b32 v[112:113], v[4:5], v[4:5] op_sel:[0,1]
	s_cbranch_scc1 .LBB243_91
; %bb.75:                               ;   in Loop: Header=BB243_74 Depth=1
	global_load_ubyte v122, v118, s[64:65] glc
	s_waitcnt vmcnt(0)
	v_cmp_eq_u16_e32 vcc, 0, v122
	s_and_saveexec_b64 s[4:5], vcc
	s_cbranch_execz .LBB243_79
; %bb.76:                               ;   in Loop: Header=BB243_74 Depth=1
	s_waitcnt lgkmcnt(2)
	v_mov_b32_e32 v1, s65
	v_add_co_u32_e32 v0, vcc, s64, v118
	v_addc_co_u32_e32 v1, vcc, 0, v1, vcc
	s_mov_b64 s[6:7], 0
.LBB243_77:                             ;   Parent Loop BB243_74 Depth=1
                                        ; =>  This Inner Loop Header: Depth=2
	global_load_ubyte v122, v[0:1], off glc
	s_waitcnt vmcnt(0)
	v_cmp_ne_u16_e32 vcc, 0, v122
	s_or_b64 s[6:7], vcc, s[6:7]
	s_andn2_b64 exec, exec, s[6:7]
	s_cbranch_execnz .LBB243_77
; %bb.78:                               ;   in Loop: Header=BB243_74 Depth=1
	s_or_b64 exec, exec, s[6:7]
.LBB243_79:                             ;   in Loop: Header=BB243_74 Depth=1
	s_or_b64 exec, exec, s[4:5]
	v_mov_b32_e32 v0, s63
	s_waitcnt lgkmcnt(2)
	v_mov_b32_e32 v1, s61
	v_cmp_eq_u16_e32 vcc, 1, v122
	s_waitcnt lgkmcnt(1)
	v_cndmask_b32_e32 v2, v0, v1, vcc
	v_mov_b32_e32 v0, s62
	v_mov_b32_e32 v1, s60
	s_waitcnt lgkmcnt(0)
	v_cndmask_b32_e32 v3, v0, v1, vcc
	v_lshlrev_b64 v[0:1], 4, v[118:119]
	v_add_co_u32_e32 v0, vcc, v3, v0
	v_addc_co_u32_e32 v1, vcc, v2, v1, vcc
	buffer_wbinvl1_vol
	global_load_dwordx4 v[4:7], v[0:1], off
	v_cmp_eq_u16_e32 vcc, 2, v122
	v_and_b32_e32 v0, vcc_hi, v121
	v_or_b32_e32 v0, 0x80000000, v0
	v_ffbl_b32_e32 v9, v0
	v_and_b32_e32 v8, vcc_lo, v120
	v_add_u32_e32 v9, 32, v9
	v_ffbl_b32_e32 v8, v8
	v_min_u32_e32 v136, v8, v9
	v_cmp_lt_u32_e32 vcc, v123, v136
	s_waitcnt vmcnt(0)
	ds_bpermute_b32 v0, v124, v4
	ds_bpermute_b32 v1, v124, v5
	;; [unrolled: 1-line block ×4, first 2 shown]
	s_and_saveexec_b64 s[68:69], vcc
	s_cbranch_execz .LBB243_81
; %bb.80:                               ;   in Loop: Header=BB243_74 Depth=1
	s_getpc_b64 s[4:5]
	s_add_u32 s4, s4, _ZZZZN2at6native31launch_logcumsumexp_cuda_kernelERKNS_10TensorBaseES3_lENKUlvE_clEvENKUlvE1_clEvENKUlN3c107complexIdEES8_E_clES8_S8_@rel32@lo+4
	s_addc_u32 s5, s5, _ZZZZN2at6native31launch_logcumsumexp_cuda_kernelERKNS_10TensorBaseES3_lENKUlvE_clEvENKUlvE1_clEvENKUlN3c107complexIdEES8_E_clES8_S8_@rel32@hi+12
	s_swappc_b64 s[30:31], s[4:5]
	v_mov_b32_e32 v4, v0
	v_mov_b32_e32 v5, v1
	v_mov_b32_e32 v6, v2
	v_mov_b32_e32 v7, v3
.LBB243_81:                             ;   in Loop: Header=BB243_74 Depth=1
	s_or_b64 exec, exec, s[68:69]
	s_waitcnt lgkmcnt(3)
	ds_bpermute_b32 v0, v125, v4
	s_waitcnt lgkmcnt(3)
	ds_bpermute_b32 v1, v125, v5
	s_waitcnt lgkmcnt(3)
	ds_bpermute_b32 v2, v125, v6
	s_waitcnt lgkmcnt(3)
	ds_bpermute_b32 v3, v125, v7
	v_cmp_le_u32_e32 vcc, v126, v136
	s_and_saveexec_b64 s[68:69], vcc
	s_cbranch_execz .LBB243_83
; %bb.82:                               ;   in Loop: Header=BB243_74 Depth=1
	s_getpc_b64 s[4:5]
	s_add_u32 s4, s4, _ZZZZN2at6native31launch_logcumsumexp_cuda_kernelERKNS_10TensorBaseES3_lENKUlvE_clEvENKUlvE1_clEvENKUlN3c107complexIdEES8_E_clES8_S8_@rel32@lo+4
	s_addc_u32 s5, s5, _ZZZZN2at6native31launch_logcumsumexp_cuda_kernelERKNS_10TensorBaseES3_lENKUlvE_clEvENKUlvE1_clEvENKUlN3c107complexIdEES8_E_clES8_S8_@rel32@hi+12
	s_swappc_b64 s[30:31], s[4:5]
	v_mov_b32_e32 v4, v0
	v_mov_b32_e32 v5, v1
	v_mov_b32_e32 v6, v2
	v_mov_b32_e32 v7, v3
.LBB243_83:                             ;   in Loop: Header=BB243_74 Depth=1
	s_or_b64 exec, exec, s[68:69]
	s_waitcnt lgkmcnt(3)
	ds_bpermute_b32 v0, v127, v4
	s_waitcnt lgkmcnt(3)
	ds_bpermute_b32 v1, v127, v5
	s_waitcnt lgkmcnt(3)
	ds_bpermute_b32 v2, v127, v6
	s_waitcnt lgkmcnt(3)
	ds_bpermute_b32 v3, v127, v7
	v_cmp_le_u32_e32 vcc, v128, v136
	;; [unrolled: 22-line block ×5, first 2 shown]
	s_and_saveexec_b64 s[68:69], vcc
	s_cbranch_execz .LBB243_73
; %bb.90:                               ;   in Loop: Header=BB243_74 Depth=1
	s_getpc_b64 s[4:5]
	s_add_u32 s4, s4, _ZZZZN2at6native31launch_logcumsumexp_cuda_kernelERKNS_10TensorBaseES3_lENKUlvE_clEvENKUlvE1_clEvENKUlN3c107complexIdEES8_E_clES8_S8_@rel32@lo+4
	s_addc_u32 s5, s5, _ZZZZN2at6native31launch_logcumsumexp_cuda_kernelERKNS_10TensorBaseES3_lENKUlvE_clEvENKUlvE1_clEvENKUlN3c107complexIdEES8_E_clES8_S8_@rel32@hi+12
	s_swappc_b64 s[30:31], s[4:5]
	v_mov_b32_e32 v4, v0
	v_mov_b32_e32 v5, v1
	v_mov_b32_e32 v6, v2
	v_mov_b32_e32 v7, v3
	s_branch .LBB243_73
.LBB243_91:                             ;   in Loop: Header=BB243_74 Depth=1
                                        ; implicit-def: $vgpr6_vgpr7
                                        ; implicit-def: $vgpr122
	s_cbranch_execz .LBB243_74
; %bb.92:
	s_and_saveexec_b64 s[60:61], s[42:43]
	s_cbranch_execz .LBB243_94
; %bb.93:
	v_mov_b32_e32 v0, v112
	s_waitcnt lgkmcnt(2)
	v_mov_b32_e32 v1, v113
	s_waitcnt lgkmcnt(1)
	v_mov_b32_e32 v2, v114
	s_waitcnt lgkmcnt(0)
	v_mov_b32_e32 v3, v115
	v_mov_b32_e32 v4, v108
	v_mov_b32_e32 v5, v109
	v_mov_b32_e32 v6, v110
	v_mov_b32_e32 v7, v111
	s_getpc_b64 s[4:5]
	s_add_u32 s4, s4, _ZZZZN2at6native31launch_logcumsumexp_cuda_kernelERKNS_10TensorBaseES3_lENKUlvE_clEvENKUlvE1_clEvENKUlN3c107complexIdEES8_E_clES8_S8_@rel32@lo+4
	s_addc_u32 s5, s5, _ZZZZN2at6native31launch_logcumsumexp_cuda_kernelERKNS_10TensorBaseES3_lENKUlvE_clEvENKUlvE1_clEvENKUlN3c107complexIdEES8_E_clES8_S8_@rel32@hi+12
	s_swappc_b64 s[30:31], s[4:5]
	s_add_i32 s4, s70, 64
	s_mov_b32 s5, 0
	s_lshl_b64 s[6:7], s[4:5], 4
	s_add_u32 s6, s62, s6
	s_addc_u32 s7, s63, s7
	v_mov_b32_e32 v4, 0
	global_store_dwordx4 v4, v[0:3], s[6:7]
	s_waitcnt vmcnt(0)
	buffer_wbinvl1_vol
	v_mov_b32_e32 v0, s4
	v_mov_b32_e32 v1, 2
	global_store_byte v0, v1, s[64:65]
.LBB243_94:
	s_or_b64 exec, exec, s[60:61]
	s_and_b64 exec, exec, s[40:41]
	s_cbranch_execz .LBB243_96
; %bb.95:
	v_mov_b32_e32 v0, 0
	ds_write_b128 v0, v[112:115]
.LBB243_96:
	s_or_b64 exec, exec, s[66:67]
	v_mov_b32_e32 v0, 0
	s_waitcnt lgkmcnt(0)
	; wave barrier
	s_waitcnt lgkmcnt(0)
	ds_read_b128 v[108:111], v0
	v_pk_mov_b32 v[6:7], v[44:45], v[44:45] op_sel:[0,1]
	v_pk_mov_b32 v[4:5], v[42:43], v[42:43] op_sel:[0,1]
	s_and_saveexec_b64 s[42:43], s[38:39]
	s_cbranch_execz .LBB243_98
; %bb.97:
	v_mov_b32_e32 v0, v41
	v_mov_b32_e32 v1, v47
	;; [unrolled: 1-line block ×8, first 2 shown]
	s_getpc_b64 s[4:5]
	s_add_u32 s4, s4, _ZZZZN2at6native31launch_logcumsumexp_cuda_kernelERKNS_10TensorBaseES3_lENKUlvE_clEvENKUlvE1_clEvENKUlN3c107complexIdEES8_E_clES8_S8_@rel32@lo+4
	s_addc_u32 s5, s5, _ZZZZN2at6native31launch_logcumsumexp_cuda_kernelERKNS_10TensorBaseES3_lENKUlvE_clEvENKUlvE1_clEvENKUlN3c107complexIdEES8_E_clES8_S8_@rel32@hi+12
	s_swappc_b64 s[30:31], s[4:5]
	v_mov_b32_e32 v4, v0
	v_mov_b32_e32 v5, v1
	;; [unrolled: 1-line block ×4, first 2 shown]
.LBB243_98:
	s_or_b64 exec, exec, s[42:43]
	s_waitcnt lgkmcnt(0)
	v_mov_b32_e32 v0, v108
	v_mov_b32_e32 v1, v109
	;; [unrolled: 1-line block ×4, first 2 shown]
	s_getpc_b64 s[42:43]
	s_add_u32 s42, s42, _ZZZZN2at6native31launch_logcumsumexp_cuda_kernelERKNS_10TensorBaseES3_lENKUlvE_clEvENKUlvE1_clEvENKUlN3c107complexIdEES8_E_clES8_S8_@rel32@lo+4
	s_addc_u32 s43, s43, _ZZZZN2at6native31launch_logcumsumexp_cuda_kernelERKNS_10TensorBaseES3_lENKUlvE_clEvENKUlvE1_clEvENKUlN3c107complexIdEES8_E_clES8_S8_@rel32@hi+12
	s_swappc_b64 s[30:31], s[42:43]
	v_mov_b32_e32 v4, v104
	v_mov_b32_e32 v5, v105
	v_mov_b32_e32 v6, v106
	v_mov_b32_e32 v7, v107
	v_mov_b32_e32 v164, v0
	v_mov_b32_e32 v165, v1
	v_mov_b32_e32 v166, v2
	v_mov_b32_e32 v167, v3
	s_swappc_b64 s[30:31], s[42:43]
	v_mov_b32_e32 v4, v100
	v_mov_b32_e32 v5, v101
	v_mov_b32_e32 v6, v102
	v_mov_b32_e32 v7, v103
	v_mov_b32_e32 v108, v0
	v_mov_b32_e32 v109, v1
	v_mov_b32_e32 v110, v2
	v_mov_b32_e32 v111, v3
	;; [unrolled: 9-line block ×14, first 2 shown]
	s_swappc_b64 s[30:31], s[42:43]
	v_mov_b32_e32 v160, v0
	v_mov_b32_e32 v161, v1
	;; [unrolled: 1-line block ×4, first 2 shown]
	s_branch .LBB243_121
.LBB243_99:
                                        ; implicit-def: $vgpr164_vgpr165
                                        ; implicit-def: $vgpr108_vgpr109
                                        ; implicit-def: $vgpr112_vgpr113
                                        ; implicit-def: $vgpr116_vgpr117
                                        ; implicit-def: $vgpr120_vgpr121
                                        ; implicit-def: $vgpr124_vgpr125
                                        ; implicit-def: $vgpr128_vgpr129
                                        ; implicit-def: $vgpr132_vgpr133
                                        ; implicit-def: $vgpr136_vgpr137
                                        ; implicit-def: $vgpr140_vgpr141
                                        ; implicit-def: $vgpr144_vgpr145
                                        ; implicit-def: $vgpr148_vgpr149
                                        ; implicit-def: $vgpr152_vgpr153
                                        ; implicit-def: $vgpr156_vgpr157
                                        ; implicit-def: $vgpr160_vgpr161
	s_cbranch_execz .LBB243_121
; %bb.100:
	s_cmp_lg_u64 s[48:49], 0
	s_cselect_b64 s[4:5], -1, 0
	s_and_b64 s[4:5], s[40:41], s[4:5]
	s_and_saveexec_b64 s[40:41], s[4:5]
	s_cbranch_execz .LBB243_102
; %bb.101:
	v_mov_b32_e32 v0, 0
	global_load_dwordx4 v[0:3], v0, s[44:45]
	v_mov_b32_e32 v4, v42
	v_mov_b32_e32 v5, v43
	;; [unrolled: 1-line block ×4, first 2 shown]
	s_getpc_b64 s[4:5]
	s_add_u32 s4, s4, _ZZZZN2at6native31launch_logcumsumexp_cuda_kernelERKNS_10TensorBaseES3_lENKUlvE_clEvENKUlvE1_clEvENKUlN3c107complexIdEES8_E_clES8_S8_@rel32@lo+4
	s_addc_u32 s5, s5, _ZZZZN2at6native31launch_logcumsumexp_cuda_kernelERKNS_10TensorBaseES3_lENKUlvE_clEvENKUlvE1_clEvENKUlN3c107complexIdEES8_E_clES8_S8_@rel32@hi+12
	s_swappc_b64 s[30:31], s[4:5]
	v_mov_b32_e32 v42, v0
	v_mov_b32_e32 v43, v1
	;; [unrolled: 1-line block ×4, first 2 shown]
.LBB243_102:
	s_or_b64 exec, exec, s[40:41]
	v_mov_b32_e32 v0, v42
	v_mov_b32_e32 v1, v43
	;; [unrolled: 1-line block ×8, first 2 shown]
	s_getpc_b64 s[40:41]
	s_add_u32 s40, s40, _ZZZZN2at6native31launch_logcumsumexp_cuda_kernelERKNS_10TensorBaseES3_lENKUlvE_clEvENKUlvE1_clEvENKUlN3c107complexIdEES8_E_clES8_S8_@rel32@lo+4
	s_addc_u32 s41, s41, _ZZZZN2at6native31launch_logcumsumexp_cuda_kernelERKNS_10TensorBaseES3_lENKUlvE_clEvENKUlvE1_clEvENKUlN3c107complexIdEES8_E_clES8_S8_@rel32@hi+12
	s_swappc_b64 s[30:31], s[40:41]
	v_mov_b32_e32 v4, v100
	v_mov_b32_e32 v5, v101
	v_mov_b32_e32 v6, v102
	v_mov_b32_e32 v7, v103
	v_mov_b32_e32 v108, v0
	v_mov_b32_e32 v109, v1
	v_mov_b32_e32 v110, v2
	v_mov_b32_e32 v111, v3
	s_swappc_b64 s[30:31], s[40:41]
	v_mov_b32_e32 v4, v96
	v_mov_b32_e32 v5, v97
	v_mov_b32_e32 v6, v98
	v_mov_b32_e32 v7, v99
	v_mov_b32_e32 v112, v0
	v_mov_b32_e32 v113, v1
	v_mov_b32_e32 v114, v2
	v_mov_b32_e32 v115, v3
	;; [unrolled: 9-line block ×13, first 2 shown]
	s_swappc_b64 s[30:31], s[40:41]
	v_mov_b32_e32 v160, v0
	v_mbcnt_lo_u32_b32 v0, -1, 0
	v_mbcnt_hi_u32_b32 v41, -1, v0
	v_mov_b32_e32 v161, v1
	v_mov_b32_e32 v162, v2
	;; [unrolled: 1-line block ×3, first 2 shown]
	v_and_b32_e32 v47, 15, v41
	v_mov_b32_dpp v8, v160 row_shr:1 row_mask:0xf bank_mask:0xf
	v_mov_b32_dpp v9, v161 row_shr:1 row_mask:0xf bank_mask:0xf
	;; [unrolled: 1-line block ×4, first 2 shown]
	v_cmp_ne_u32_e32 vcc, 0, v47
	v_pk_mov_b32 v[4:5], v[160:161], v[160:161] op_sel:[0,1]
	v_pk_mov_b32 v[6:7], v[162:163], v[162:163] op_sel:[0,1]
	v_mov_b32_e32 v0, v160
	s_and_saveexec_b64 s[42:43], vcc
	s_cbranch_execz .LBB243_104
; %bb.103:
	v_mov_b32_e32 v0, v8
	v_mov_b32_e32 v1, v9
	;; [unrolled: 1-line block ×8, first 2 shown]
	s_swappc_b64 s[30:31], s[40:41]
	v_mov_b32_e32 v4, v0
	v_mov_b32_e32 v5, v1
	;; [unrolled: 1-line block ×4, first 2 shown]
.LBB243_104:
	s_or_b64 exec, exec, s[42:43]
	v_mov_b32_dpp v8, v0 row_shr:2 row_mask:0xf bank_mask:0xf
	v_mov_b32_dpp v9, v1 row_shr:2 row_mask:0xf bank_mask:0xf
	v_mov_b32_dpp v10, v2 row_shr:2 row_mask:0xf bank_mask:0xf
	v_mov_b32_dpp v11, v3 row_shr:2 row_mask:0xf bank_mask:0xf
	v_cmp_lt_u32_e32 vcc, 1, v47
	s_and_saveexec_b64 s[40:41], vcc
	s_cbranch_execz .LBB243_106
; %bb.105:
	v_mov_b32_e32 v0, v8
	v_mov_b32_e32 v1, v9
	v_mov_b32_e32 v2, v10
	v_mov_b32_e32 v3, v11
	s_getpc_b64 s[4:5]
	s_add_u32 s4, s4, _ZZZZN2at6native31launch_logcumsumexp_cuda_kernelERKNS_10TensorBaseES3_lENKUlvE_clEvENKUlvE1_clEvENKUlN3c107complexIdEES8_E_clES8_S8_@rel32@lo+4
	s_addc_u32 s5, s5, _ZZZZN2at6native31launch_logcumsumexp_cuda_kernelERKNS_10TensorBaseES3_lENKUlvE_clEvENKUlvE1_clEvENKUlN3c107complexIdEES8_E_clES8_S8_@rel32@hi+12
	s_swappc_b64 s[30:31], s[4:5]
	v_pk_mov_b32 v[6:7], v[2:3], v[2:3] op_sel:[0,1]
	v_pk_mov_b32 v[4:5], v[0:1], v[0:1] op_sel:[0,1]
.LBB243_106:
	s_or_b64 exec, exec, s[40:41]
	v_mov_b32_dpp v8, v0 row_shr:4 row_mask:0xf bank_mask:0xf
	v_mov_b32_dpp v9, v1 row_shr:4 row_mask:0xf bank_mask:0xf
	v_mov_b32_dpp v10, v2 row_shr:4 row_mask:0xf bank_mask:0xf
	v_mov_b32_dpp v11, v3 row_shr:4 row_mask:0xf bank_mask:0xf
	v_cmp_lt_u32_e32 vcc, 3, v47
	s_and_saveexec_b64 s[40:41], vcc
	s_cbranch_execz .LBB243_108
; %bb.107:
	v_mov_b32_e32 v0, v8
	v_mov_b32_e32 v1, v9
	v_mov_b32_e32 v2, v10
	v_mov_b32_e32 v3, v11
	s_getpc_b64 s[4:5]
	s_add_u32 s4, s4, _ZZZZN2at6native31launch_logcumsumexp_cuda_kernelERKNS_10TensorBaseES3_lENKUlvE_clEvENKUlvE1_clEvENKUlN3c107complexIdEES8_E_clES8_S8_@rel32@lo+4
	s_addc_u32 s5, s5, _ZZZZN2at6native31launch_logcumsumexp_cuda_kernelERKNS_10TensorBaseES3_lENKUlvE_clEvENKUlvE1_clEvENKUlN3c107complexIdEES8_E_clES8_S8_@rel32@hi+12
	s_swappc_b64 s[30:31], s[4:5]
	v_pk_mov_b32 v[6:7], v[2:3], v[2:3] op_sel:[0,1]
	v_pk_mov_b32 v[4:5], v[0:1], v[0:1] op_sel:[0,1]
.LBB243_108:
	;; [unrolled: 20-line block ×3, first 2 shown]
	s_or_b64 exec, exec, s[40:41]
	v_and_b32_e32 v12, 16, v41
	v_mov_b32_dpp v8, v0 row_bcast:15 row_mask:0xf bank_mask:0xf
	v_mov_b32_dpp v9, v1 row_bcast:15 row_mask:0xf bank_mask:0xf
	;; [unrolled: 1-line block ×4, first 2 shown]
	v_cmp_ne_u32_e32 vcc, 0, v12
	s_and_saveexec_b64 s[40:41], vcc
	s_cbranch_execz .LBB243_112
; %bb.111:
	v_mov_b32_e32 v0, v8
	v_mov_b32_e32 v1, v9
	;; [unrolled: 1-line block ×4, first 2 shown]
	s_getpc_b64 s[4:5]
	s_add_u32 s4, s4, _ZZZZN2at6native31launch_logcumsumexp_cuda_kernelERKNS_10TensorBaseES3_lENKUlvE_clEvENKUlvE1_clEvENKUlN3c107complexIdEES8_E_clES8_S8_@rel32@lo+4
	s_addc_u32 s5, s5, _ZZZZN2at6native31launch_logcumsumexp_cuda_kernelERKNS_10TensorBaseES3_lENKUlvE_clEvENKUlvE1_clEvENKUlN3c107complexIdEES8_E_clES8_S8_@rel32@hi+12
	s_swappc_b64 s[30:31], s[4:5]
	v_mov_b32_e32 v4, v0
	v_mov_b32_e32 v5, v1
	;; [unrolled: 1-line block ×4, first 2 shown]
.LBB243_112:
	s_or_b64 exec, exec, s[40:41]
	v_mov_b32_dpp v0, v0 row_bcast:31 row_mask:0xf bank_mask:0xf
	v_mov_b32_dpp v1, v1 row_bcast:31 row_mask:0xf bank_mask:0xf
	;; [unrolled: 1-line block ×4, first 2 shown]
	v_cmp_lt_u32_e32 vcc, 31, v41
	s_and_saveexec_b64 s[40:41], vcc
	s_cbranch_execz .LBB243_114
; %bb.113:
	s_getpc_b64 s[4:5]
	s_add_u32 s4, s4, _ZZZZN2at6native31launch_logcumsumexp_cuda_kernelERKNS_10TensorBaseES3_lENKUlvE_clEvENKUlvE1_clEvENKUlN3c107complexIdEES8_E_clES8_S8_@rel32@lo+4
	s_addc_u32 s5, s5, _ZZZZN2at6native31launch_logcumsumexp_cuda_kernelERKNS_10TensorBaseES3_lENKUlvE_clEvENKUlvE1_clEvENKUlN3c107complexIdEES8_E_clES8_S8_@rel32@hi+12
	s_swappc_b64 s[30:31], s[4:5]
	v_mov_b32_e32 v4, v0
	v_mov_b32_e32 v5, v1
	;; [unrolled: 1-line block ×4, first 2 shown]
.LBB243_114:
	s_or_b64 exec, exec, s[40:41]
	v_cmp_eq_u32_e64 s[40:41], 63, v46
	s_and_saveexec_b64 s[4:5], s[40:41]
	s_cbranch_execz .LBB243_116
; %bb.115:
	v_mov_b32_e32 v0, 0
	ds_write_b128 v0, v[4:7]
.LBB243_116:
	s_or_b64 exec, exec, s[4:5]
	v_add_u32_e32 v0, -1, v41
	v_and_b32_e32 v1, 64, v41
	v_cmp_lt_i32_e32 vcc, v0, v1
	v_cndmask_b32_e32 v0, v0, v41, vcc
	v_lshlrev_b32_e32 v3, 2, v0
	ds_bpermute_b32 v0, v3, v4
	ds_bpermute_b32 v1, v3, v5
	ds_bpermute_b32 v2, v3, v6
	ds_bpermute_b32 v3, v3, v7
	s_waitcnt lgkmcnt(0)
	; wave barrier
	s_waitcnt lgkmcnt(0)
	s_and_saveexec_b64 s[42:43], s[38:39]
	s_cbranch_execz .LBB243_118
; %bb.117:
	v_mov_b32_e32 v4, v42
	v_mov_b32_e32 v5, v43
	;; [unrolled: 1-line block ×4, first 2 shown]
	s_getpc_b64 s[38:39]
	s_add_u32 s38, s38, _ZZZZN2at6native31launch_logcumsumexp_cuda_kernelERKNS_10TensorBaseES3_lENKUlvE_clEvENKUlvE1_clEvENKUlN3c107complexIdEES8_E_clES8_S8_@rel32@lo+4
	s_addc_u32 s39, s39, _ZZZZN2at6native31launch_logcumsumexp_cuda_kernelERKNS_10TensorBaseES3_lENKUlvE_clEvENKUlvE1_clEvENKUlN3c107complexIdEES8_E_clES8_S8_@rel32@hi+12
	s_swappc_b64 s[30:31], s[38:39]
	v_mov_b32_e32 v4, v104
	v_mov_b32_e32 v5, v105
	;; [unrolled: 1-line block ×8, first 2 shown]
	;;#ASMSTART
	;;#ASMEND
	s_swappc_b64 s[30:31], s[38:39]
	v_mov_b32_e32 v4, v100
	v_mov_b32_e32 v5, v101
	v_mov_b32_e32 v6, v102
	v_mov_b32_e32 v7, v103
	v_mov_b32_e32 v108, v0
	v_mov_b32_e32 v109, v1
	v_mov_b32_e32 v110, v2
	v_mov_b32_e32 v111, v3
	s_swappc_b64 s[30:31], s[38:39]
	v_mov_b32_e32 v4, v96
	v_mov_b32_e32 v5, v97
	v_mov_b32_e32 v6, v98
	v_mov_b32_e32 v7, v99
	v_mov_b32_e32 v112, v0
	v_mov_b32_e32 v113, v1
	v_mov_b32_e32 v114, v2
	v_mov_b32_e32 v115, v3
	;; [unrolled: 9-line block ×13, first 2 shown]
	s_swappc_b64 s[30:31], s[38:39]
	v_mov_b32_e32 v160, v0
	v_mov_b32_e32 v161, v1
	v_mov_b32_e32 v162, v2
	v_mov_b32_e32 v163, v3
.LBB243_118:
	s_or_b64 exec, exec, s[42:43]
	s_and_saveexec_b64 s[4:5], s[40:41]
	s_cbranch_execz .LBB243_120
; %bb.119:
	v_mov_b32_e32 v0, 0
	v_mov_b32_e32 v1, 2
	global_store_dwordx4 v0, v[160:163], s[62:63] offset:1024
	s_waitcnt vmcnt(0)
	buffer_wbinvl1_vol
	global_store_byte v0, v1, s[64:65] offset:64
.LBB243_120:
	s_or_b64 exec, exec, s[4:5]
	v_pk_mov_b32 v[164:165], v[42:43], v[42:43] op_sel:[0,1]
	v_pk_mov_b32 v[166:167], v[44:45], v[44:45] op_sel:[0,1]
.LBB243_121:
	s_add_u32 s4, s56, s54
	s_addc_u32 s5, s57, s55
	s_add_u32 s4, s4, s58
	s_addc_u32 s5, s5, s59
	s_mov_b64 s[6:7], -1
	s_and_b64 vcc, exec, s[52:53]
	s_waitcnt lgkmcnt(0)
	; wave barrier
	s_cbranch_vccz .LBB243_123
; %bb.122:
	v_mul_u32_u24_e32 v0, 0xf0, v46
	s_movk_i32 s6, 0xf0
	ds_write_b128 v0, v[164:167]
	ds_write_b128 v0, v[108:111] offset:16
	ds_write_b128 v0, v[112:115] offset:32
	;; [unrolled: 1-line block ×14, first 2 shown]
	v_mul_i32_i24_e32 v0, 0xffffff20, v46
	v_mad_u32_u24 v44, v46, s6, v0
	s_waitcnt lgkmcnt(0)
	; wave barrier
	s_waitcnt lgkmcnt(0)
	ds_read_b128 v[0:3], v44
	ds_read_b128 v[4:7], v44 offset:1024
	ds_read_b128 v[8:11], v44 offset:2048
	;; [unrolled: 1-line block ×14, first 2 shown]
	v_mov_b32_e32 v44, s5
	v_add_co_u32_e32 v45, vcc, s4, v168
	v_addc_co_u32_e32 v44, vcc, 0, v44, vcc
	s_movk_i32 s6, 0x1000
	s_waitcnt lgkmcnt(14)
	global_store_dwordx4 v168, v[0:3], s[4:5]
	s_waitcnt lgkmcnt(13)
	global_store_dwordx4 v168, v[4:7], s[4:5] offset:1024
	s_waitcnt lgkmcnt(12)
	global_store_dwordx4 v168, v[8:11], s[4:5] offset:2048
	;; [unrolled: 2-line block ×3, first 2 shown]
	v_add_co_u32_e32 v0, vcc, s6, v45
	v_addc_co_u32_e32 v1, vcc, 0, v44, vcc
	s_waitcnt lgkmcnt(10)
	global_store_dwordx4 v[0:1], v[16:19], off
	s_waitcnt lgkmcnt(9)
	global_store_dwordx4 v[0:1], v[20:23], off offset:1024
	s_waitcnt lgkmcnt(8)
	global_store_dwordx4 v[0:1], v[24:27], off offset:2048
	;; [unrolled: 2-line block ×3, first 2 shown]
	v_add_co_u32_e32 v0, vcc, 0x2000, v45
	v_addc_co_u32_e32 v1, vcc, 0, v44, vcc
	s_waitcnt lgkmcnt(6)
	global_store_dwordx4 v[0:1], v[32:35], off
	s_waitcnt lgkmcnt(5)
	global_store_dwordx4 v[0:1], v[36:39], off offset:1024
	s_waitcnt lgkmcnt(4)
	global_store_dwordx4 v[0:1], v[40:43], off offset:2048
	;; [unrolled: 2-line block ×3, first 2 shown]
	v_add_co_u32_e32 v0, vcc, 0x3000, v45
	v_addc_co_u32_e32 v1, vcc, 0, v44, vcc
	s_waitcnt lgkmcnt(2)
	global_store_dwordx4 v[0:1], v[52:55], off
	s_waitcnt lgkmcnt(1)
	global_store_dwordx4 v[0:1], v[56:59], off offset:1024
	s_waitcnt lgkmcnt(0)
	global_store_dwordx4 v[0:1], v[60:63], off offset:2048
	s_mov_b64 s[6:7], 0
.LBB243_123:
	s_andn2_b64 vcc, exec, s[6:7]
	s_cbranch_vccnz .LBB243_209
; %bb.124:
	s_movk_i32 s6, 0xff20
	v_mad_i32_i24 v44, v46, s6, v170
	ds_write_b128 v170, v[164:167]
	ds_write_b128 v170, v[108:111] offset:16
	ds_write_b128 v170, v[112:115] offset:32
	;; [unrolled: 1-line block ×14, first 2 shown]
	s_waitcnt lgkmcnt(0)
	; wave barrier
	s_waitcnt lgkmcnt(0)
	ds_read_b128 v[8:11], v44
	ds_read_b128 v[0:3], v44 offset:1024
	ds_read_b128 v[4:7], v44 offset:2048
	;; [unrolled: 1-line block ×14, first 2 shown]
	v_mov_b32_e32 v45, s5
	v_add_co_u32_e32 v44, vcc, s4, v168
	v_addc_co_u32_e32 v45, vcc, 0, v45, vcc
	v_mov_b32_e32 v47, 0
	v_cmp_gt_u32_e32 vcc, s33, v46
	s_and_saveexec_b64 s[4:5], vcc
	s_cbranch_execz .LBB243_126
; %bb.125:
	s_waitcnt lgkmcnt(14)
	global_store_dwordx4 v[44:45], v[8:11], off
.LBB243_126:
	s_or_b64 exec, exec, s[4:5]
	v_or_b32_e32 v64, 64, v46
	v_cmp_gt_u32_e32 vcc, s33, v64
	s_and_saveexec_b64 s[4:5], vcc
	s_cbranch_execz .LBB243_128
; %bb.127:
	s_waitcnt lgkmcnt(13)
	global_store_dwordx4 v[44:45], v[0:3], off offset:1024
.LBB243_128:
	s_or_b64 exec, exec, s[4:5]
	v_or_b32_e32 v64, 0x80, v46
	v_cmp_gt_u32_e32 vcc, s33, v64
	s_and_saveexec_b64 s[4:5], vcc
	s_cbranch_execz .LBB243_130
; %bb.129:
	s_waitcnt lgkmcnt(12)
	global_store_dwordx4 v[44:45], v[4:7], off offset:2048
.LBB243_130:
	;; [unrolled: 9-line block ×3, first 2 shown]
	s_or_b64 exec, exec, s[4:5]
	v_or_b32_e32 v64, 0x100, v46
	v_cmp_gt_u32_e32 vcc, s33, v64
	s_and_saveexec_b64 s[4:5], vcc
	s_cbranch_execz .LBB243_134
; %bb.133:
	v_add_co_u32_e32 v64, vcc, 0x1000, v44
	v_addc_co_u32_e32 v65, vcc, 0, v45, vcc
	s_waitcnt lgkmcnt(10)
	global_store_dwordx4 v[64:65], v[12:15], off
.LBB243_134:
	s_or_b64 exec, exec, s[4:5]
	v_or_b32_e32 v64, 0x140, v46
	v_cmp_gt_u32_e32 vcc, s33, v64
	s_and_saveexec_b64 s[4:5], vcc
	s_cbranch_execz .LBB243_136
; %bb.135:
	v_add_co_u32_e32 v64, vcc, 0x1000, v44
	v_addc_co_u32_e32 v65, vcc, 0, v45, vcc
	s_waitcnt lgkmcnt(9)
	global_store_dwordx4 v[64:65], v[20:23], off offset:1024
.LBB243_136:
	s_or_b64 exec, exec, s[4:5]
	v_or_b32_e32 v64, 0x180, v46
	v_cmp_gt_u32_e32 vcc, s33, v64
	s_and_saveexec_b64 s[4:5], vcc
	s_cbranch_execz .LBB243_138
; %bb.137:
	v_add_co_u32_e32 v64, vcc, 0x1000, v44
	v_addc_co_u32_e32 v65, vcc, 0, v45, vcc
	s_waitcnt lgkmcnt(8)
	global_store_dwordx4 v[64:65], v[24:27], off offset:2048
.LBB243_138:
	s_or_b64 exec, exec, s[4:5]
	v_or_b32_e32 v64, 0x1c0, v46
	v_cmp_gt_u32_e32 vcc, s33, v64
	s_and_saveexec_b64 s[4:5], vcc
	s_cbranch_execz .LBB243_140
; %bb.139:
	v_add_co_u32_e32 v64, vcc, 0x1000, v44
	v_addc_co_u32_e32 v65, vcc, 0, v45, vcc
	s_waitcnt lgkmcnt(7)
	global_store_dwordx4 v[64:65], v[28:31], off offset:3072
.LBB243_140:
	s_or_b64 exec, exec, s[4:5]
	v_or_b32_e32 v64, 0x200, v46
	v_cmp_gt_u32_e32 vcc, s33, v64
	s_and_saveexec_b64 s[4:5], vcc
	s_cbranch_execz .LBB243_142
; %bb.141:
	v_add_co_u32_e32 v64, vcc, 0x2000, v44
	v_addc_co_u32_e32 v65, vcc, 0, v45, vcc
	s_waitcnt lgkmcnt(6)
	global_store_dwordx4 v[64:65], v[40:43], off
.LBB243_142:
	s_or_b64 exec, exec, s[4:5]
	v_or_b32_e32 v64, 0x240, v46
	v_cmp_gt_u32_e32 vcc, s33, v64
	s_and_saveexec_b64 s[4:5], vcc
	s_cbranch_execz .LBB243_144
; %bb.143:
	v_add_co_u32_e32 v64, vcc, 0x2000, v44
	v_addc_co_u32_e32 v65, vcc, 0, v45, vcc
	s_waitcnt lgkmcnt(5)
	global_store_dwordx4 v[64:65], v[36:39], off offset:1024
.LBB243_144:
	s_or_b64 exec, exec, s[4:5]
	v_or_b32_e32 v64, 0x280, v46
	v_cmp_gt_u32_e32 vcc, s33, v64
	s_and_saveexec_b64 s[4:5], vcc
	s_cbranch_execz .LBB243_146
; %bb.145:
	v_add_co_u32_e32 v64, vcc, 0x2000, v44
	v_addc_co_u32_e32 v65, vcc, 0, v45, vcc
	s_waitcnt lgkmcnt(4)
	global_store_dwordx4 v[64:65], v[48:51], off offset:2048
.LBB243_146:
	;; [unrolled: 11-line block ×3, first 2 shown]
	s_or_b64 exec, exec, s[4:5]
	v_or_b32_e32 v64, 0x300, v46
	v_cmp_gt_u32_e32 vcc, s33, v64
	s_and_saveexec_b64 s[4:5], vcc
	s_cbranch_execz .LBB243_150
; %bb.149:
	v_add_co_u32_e32 v64, vcc, 0x3000, v44
	v_addc_co_u32_e32 v65, vcc, 0, v45, vcc
	s_waitcnt lgkmcnt(2)
	global_store_dwordx4 v[64:65], v[52:55], off
.LBB243_150:
	s_or_b64 exec, exec, s[4:5]
	v_or_b32_e32 v64, 0x340, v46
	v_cmp_gt_u32_e32 vcc, s33, v64
	s_and_saveexec_b64 s[4:5], vcc
	s_cbranch_execz .LBB243_152
; %bb.151:
	v_add_co_u32_e32 v64, vcc, 0x3000, v44
	v_addc_co_u32_e32 v65, vcc, 0, v45, vcc
	s_waitcnt lgkmcnt(1)
	global_store_dwordx4 v[64:65], v[56:59], off offset:1024
.LBB243_152:
	s_or_b64 exec, exec, s[4:5]
	v_or_b32_e32 v64, 0x380, v46
	v_cmp_gt_u32_e32 vcc, s33, v64
	s_and_saveexec_b64 s[4:5], vcc
	s_cbranch_execz .LBB243_154
; %bb.153:
	v_add_co_u32_e32 v44, vcc, 0x3000, v44
	v_addc_co_u32_e32 v45, vcc, 0, v45, vcc
	s_waitcnt lgkmcnt(0)
	global_store_dwordx4 v[44:45], v[60:63], off offset:2048
.LBB243_154:
	s_or_b64 exec, exec, s[4:5]
	v_cmp_lt_u64_e64 s[4:5], s[50:51], 2
	s_and_b64 vcc, exec, s[4:5]
	s_cbranch_vccnz .LBB243_209
; %bb.155:
	s_add_u32 s4, s33, -1
	s_addc_u32 s5, s37, -1
	s_add_u32 s6, 0, 0x11108400
	s_addc_u32 s7, 0, 49
	s_add_i32 s7, s7, 0x111110e0
	s_mul_hi_u32 s11, s6, -15
	s_sub_i32 s11, s11, s6
	s_mul_i32 s12, s7, -15
	s_mul_i32 s8, s6, -15
	s_add_i32 s11, s11, s12
	s_mul_hi_u32 s9, s7, s8
	s_mul_i32 s10, s7, s8
	s_mul_i32 s13, s6, s11
	s_mul_hi_u32 s8, s6, s8
	s_mul_hi_u32 s12, s6, s11
	s_add_u32 s8, s8, s13
	s_addc_u32 s12, 0, s12
	s_add_u32 s8, s8, s10
	s_mul_hi_u32 s13, s7, s11
	s_addc_u32 s8, s12, s9
	s_addc_u32 s9, s13, 0
	s_mul_i32 s10, s7, s11
	s_add_u32 s8, s8, s10
	v_mov_b32_e32 v44, s8
	s_addc_u32 s9, 0, s9
	v_add_co_u32_e32 v44, vcc, s6, v44
	s_cmp_lg_u64 vcc, 0
	s_addc_u32 s6, s7, s9
	v_readfirstlane_b32 s9, v44
	s_mul_i32 s8, s4, s6
	s_mul_hi_u32 s10, s4, s9
	s_mul_hi_u32 s7, s4, s6
	s_add_u32 s8, s10, s8
	s_addc_u32 s7, 0, s7
	s_mul_hi_u32 s11, s5, s9
	s_mul_i32 s9, s5, s9
	s_add_u32 s8, s8, s9
	s_mul_hi_u32 s10, s5, s6
	s_addc_u32 s7, s7, s11
	s_addc_u32 s8, s10, 0
	s_mul_i32 s6, s5, s6
	s_add_u32 s6, s7, s6
	s_addc_u32 s7, 0, s8
	s_add_u32 s8, s6, 1
	s_addc_u32 s9, s7, 0
	s_add_u32 s10, s6, 2
	s_mul_i32 s12, s7, 15
	s_mul_hi_u32 s13, s6, 15
	s_addc_u32 s11, s7, 0
	s_add_i32 s13, s13, s12
	s_mul_i32 s12, s6, 15
	v_mov_b32_e32 v44, s12
	v_sub_co_u32_e32 v44, vcc, s4, v44
	s_cmp_lg_u64 vcc, 0
	s_subb_u32 s12, s5, s13
	v_subrev_co_u32_e32 v45, vcc, 15, v44
	s_cmp_lg_u64 vcc, 0
	s_subb_u32 s13, s12, 0
	v_readfirstlane_b32 s14, v45
	s_cmp_gt_u32 s14, 14
	s_cselect_b32 s14, -1, 0
	s_cmp_eq_u32 s13, 0
	s_cselect_b32 s13, s14, -1
	s_cmp_lg_u32 s13, 0
	s_cselect_b32 s8, s10, s8
	v_readfirstlane_b32 s10, v44
	s_cselect_b32 s9, s11, s9
	s_cmp_gt_u32 s10, 14
	s_cselect_b32 s10, -1, 0
	s_cmp_eq_u32 s12, 0
	s_cselect_b32 s10, s10, -1
	s_cmp_lg_u32 s10, 0
	s_cselect_b32 s7, s9, s7
	s_cselect_b32 s6, s8, s6
	v_cmp_eq_u64_e32 vcc, s[6:7], v[46:47]
	s_and_saveexec_b64 s[6:7], vcc
	s_cbranch_execz .LBB243_209
; %bb.156:
	v_mul_hi_u32_u24_e32 v45, 15, v46
	v_mov_b32_e32 v46, s5
	v_sub_co_u32_e32 v44, vcc, s4, v169
	v_subb_co_u32_e32 v45, vcc, v46, v45, vcc
	v_cmp_lt_i64_e32 vcc, 7, v[44:45]
	s_and_saveexec_b64 s[4:5], vcc
	s_xor_b64 s[4:5], exec, s[4:5]
	s_cbranch_execz .LBB243_182
; %bb.157:
	v_cmp_lt_i64_e32 vcc, 10, v[44:45]
	s_and_saveexec_b64 s[6:7], vcc
	s_xor_b64 s[6:7], exec, s[6:7]
	s_cbranch_execz .LBB243_171
; %bb.158:
	;; [unrolled: 5-line block ×4, first 2 shown]
	s_waitcnt lgkmcnt(13)
	v_mov_b32_e32 v0, 0
	s_waitcnt lgkmcnt(0)
	global_store_dwordx4 v0, v[60:63], s[46:47]
                                        ; implicit-def: $vgpr56_vgpr57_vgpr58_vgpr59
.LBB243_161:
	s_andn2_saveexec_b64 s[10:11], s[10:11]
	s_cbranch_execz .LBB243_163
; %bb.162:
	s_waitcnt lgkmcnt(13)
	v_mov_b32_e32 v0, 0
	s_waitcnt lgkmcnt(1)
	global_store_dwordx4 v0, v[56:59], s[46:47]
.LBB243_163:
	s_or_b64 exec, exec, s[10:11]
                                        ; implicit-def: $vgpr32_vgpr33_vgpr34_vgpr35
                                        ; implicit-def: $vgpr44_vgpr45
                                        ; implicit-def: $vgpr52_vgpr53_vgpr54_vgpr55
.LBB243_164:
	s_andn2_saveexec_b64 s[8:9], s[8:9]
	s_cbranch_execz .LBB243_170
; %bb.165:
	v_cmp_lt_i64_e32 vcc, 11, v[44:45]
	s_and_saveexec_b64 s[10:11], vcc
	s_xor_b64 s[10:11], exec, s[10:11]
	s_cbranch_execz .LBB243_167
; %bb.166:
	s_waitcnt lgkmcnt(13)
	v_mov_b32_e32 v0, 0
	s_waitcnt lgkmcnt(2)
	global_store_dwordx4 v0, v[52:55], s[46:47]
                                        ; implicit-def: $vgpr32_vgpr33_vgpr34_vgpr35
.LBB243_167:
	s_andn2_saveexec_b64 s[10:11], s[10:11]
	s_cbranch_execz .LBB243_169
; %bb.168:
	s_waitcnt lgkmcnt(13)
	v_mov_b32_e32 v0, 0
	s_waitcnt lgkmcnt(3)
	global_store_dwordx4 v0, v[32:35], s[46:47]
.LBB243_169:
	s_or_b64 exec, exec, s[10:11]
.LBB243_170:
	s_or_b64 exec, exec, s[8:9]
                                        ; implicit-def: $vgpr40_vgpr41_vgpr42_vgpr43
                                        ; implicit-def: $vgpr44_vgpr45
                                        ; implicit-def: $vgpr36_vgpr37_vgpr38_vgpr39
                                        ; implicit-def: $vgpr48_vgpr49_vgpr50_vgpr51
.LBB243_171:
	s_andn2_saveexec_b64 s[6:7], s[6:7]
	s_cbranch_execz .LBB243_181
; %bb.172:
	v_cmp_lt_i64_e32 vcc, 8, v[44:45]
	s_and_saveexec_b64 s[8:9], vcc
	s_xor_b64 s[8:9], exec, s[8:9]
	s_cbranch_execz .LBB243_178
; %bb.173:
	v_cmp_lt_i64_e32 vcc, 9, v[44:45]
	s_and_saveexec_b64 s[10:11], vcc
	s_xor_b64 s[10:11], exec, s[10:11]
	s_cbranch_execz .LBB243_175
; %bb.174:
	s_waitcnt lgkmcnt(13)
	v_mov_b32_e32 v0, 0
	s_waitcnt lgkmcnt(4)
	global_store_dwordx4 v0, v[48:51], s[46:47]
                                        ; implicit-def: $vgpr36_vgpr37_vgpr38_vgpr39
.LBB243_175:
	s_andn2_saveexec_b64 s[10:11], s[10:11]
	s_cbranch_execz .LBB243_177
; %bb.176:
	s_waitcnt lgkmcnt(13)
	v_mov_b32_e32 v0, 0
	s_waitcnt lgkmcnt(5)
	global_store_dwordx4 v0, v[36:39], s[46:47]
.LBB243_177:
	s_or_b64 exec, exec, s[10:11]
                                        ; implicit-def: $vgpr40_vgpr41_vgpr42_vgpr43
.LBB243_178:
	s_andn2_saveexec_b64 s[8:9], s[8:9]
	s_cbranch_execz .LBB243_180
; %bb.179:
	s_waitcnt lgkmcnt(13)
	v_mov_b32_e32 v0, 0
	s_waitcnt lgkmcnt(6)
	global_store_dwordx4 v0, v[40:43], s[46:47]
.LBB243_180:
	s_or_b64 exec, exec, s[8:9]
.LBB243_181:
	s_or_b64 exec, exec, s[6:7]
                                        ; implicit-def: $vgpr0_vgpr1_vgpr2_vgpr3
                                        ; implicit-def: $vgpr4_vgpr5_vgpr6_vgpr7
                                        ; implicit-def: $vgpr16_vgpr17_vgpr18_vgpr19
                                        ; implicit-def: $vgpr12_vgpr13_vgpr14_vgpr15
                                        ; implicit-def: $vgpr20_vgpr21_vgpr22_vgpr23
                                        ; implicit-def: $vgpr24_vgpr25_vgpr26_vgpr27
                                        ; implicit-def: $vgpr28_vgpr29_vgpr30_vgpr31
                                        ; implicit-def: $vgpr44_vgpr45
                                        ; implicit-def: $vgpr8_vgpr9_vgpr10_vgpr11
.LBB243_182:
	s_andn2_saveexec_b64 s[4:5], s[4:5]
	s_cbranch_execz .LBB243_209
; %bb.183:
	v_cmp_lt_i64_e32 vcc, 3, v[44:45]
	s_and_saveexec_b64 s[4:5], vcc
	s_xor_b64 s[4:5], exec, s[4:5]
	s_cbranch_execz .LBB243_197
; %bb.184:
	v_cmp_lt_i64_e32 vcc, 5, v[44:45]
	s_and_saveexec_b64 s[6:7], vcc
	s_xor_b64 s[6:7], exec, s[6:7]
	;; [unrolled: 5-line block ×3, first 2 shown]
	s_cbranch_execz .LBB243_187
; %bb.186:
	s_waitcnt lgkmcnt(13)
	v_mov_b32_e32 v0, 0
	s_waitcnt lgkmcnt(7)
	global_store_dwordx4 v0, v[28:31], s[46:47]
                                        ; implicit-def: $vgpr24_vgpr25_vgpr26_vgpr27
.LBB243_187:
	s_andn2_saveexec_b64 s[8:9], s[8:9]
	s_cbranch_execz .LBB243_189
; %bb.188:
	s_waitcnt lgkmcnt(13)
	v_mov_b32_e32 v0, 0
	s_waitcnt lgkmcnt(8)
	global_store_dwordx4 v0, v[24:27], s[46:47]
.LBB243_189:
	s_or_b64 exec, exec, s[8:9]
                                        ; implicit-def: $vgpr12_vgpr13_vgpr14_vgpr15
                                        ; implicit-def: $vgpr44_vgpr45
                                        ; implicit-def: $vgpr20_vgpr21_vgpr22_vgpr23
.LBB243_190:
	s_andn2_saveexec_b64 s[6:7], s[6:7]
	s_cbranch_execz .LBB243_196
; %bb.191:
	v_cmp_lt_i64_e32 vcc, 4, v[44:45]
	s_and_saveexec_b64 s[8:9], vcc
	s_xor_b64 s[8:9], exec, s[8:9]
	s_cbranch_execz .LBB243_193
; %bb.192:
	s_waitcnt lgkmcnt(13)
	v_mov_b32_e32 v0, 0
	s_waitcnt lgkmcnt(9)
	global_store_dwordx4 v0, v[20:23], s[46:47]
                                        ; implicit-def: $vgpr12_vgpr13_vgpr14_vgpr15
.LBB243_193:
	s_andn2_saveexec_b64 s[8:9], s[8:9]
	s_cbranch_execz .LBB243_195
; %bb.194:
	s_waitcnt lgkmcnt(13)
	v_mov_b32_e32 v0, 0
	s_waitcnt lgkmcnt(10)
	global_store_dwordx4 v0, v[12:15], s[46:47]
.LBB243_195:
	s_or_b64 exec, exec, s[8:9]
.LBB243_196:
	s_or_b64 exec, exec, s[6:7]
                                        ; implicit-def: $vgpr44_vgpr45
                                        ; implicit-def: $vgpr0_vgpr1_vgpr2_vgpr3
                                        ; implicit-def: $vgpr4_vgpr5_vgpr6_vgpr7
                                        ; implicit-def: $vgpr8_vgpr9_vgpr10_vgpr11
                                        ; implicit-def: $vgpr16_vgpr17_vgpr18_vgpr19
.LBB243_197:
	s_andn2_saveexec_b64 s[4:5], s[4:5]
	s_cbranch_execz .LBB243_209
; %bb.198:
	v_cmp_lt_i64_e32 vcc, 1, v[44:45]
	s_and_saveexec_b64 s[4:5], vcc
	s_xor_b64 s[4:5], exec, s[4:5]
	s_cbranch_execz .LBB243_204
; %bb.199:
	v_cmp_lt_i64_e32 vcc, 2, v[44:45]
	s_and_saveexec_b64 s[6:7], vcc
	s_xor_b64 s[6:7], exec, s[6:7]
	s_cbranch_execz .LBB243_201
; %bb.200:
	s_waitcnt lgkmcnt(13)
	v_mov_b32_e32 v0, 0
	s_waitcnt lgkmcnt(11)
	global_store_dwordx4 v0, v[16:19], s[46:47]
                                        ; implicit-def: $vgpr4_vgpr5_vgpr6_vgpr7
.LBB243_201:
	s_andn2_saveexec_b64 s[6:7], s[6:7]
	s_cbranch_execz .LBB243_203
; %bb.202:
	s_waitcnt lgkmcnt(13)
	v_mov_b32_e32 v0, 0
	s_waitcnt lgkmcnt(12)
	global_store_dwordx4 v0, v[4:7], s[46:47]
.LBB243_203:
	s_or_b64 exec, exec, s[6:7]
                                        ; implicit-def: $vgpr0_vgpr1_vgpr2_vgpr3
                                        ; implicit-def: $vgpr44_vgpr45
                                        ; implicit-def: $vgpr8_vgpr9_vgpr10_vgpr11
.LBB243_204:
	s_andn2_saveexec_b64 s[4:5], s[4:5]
	s_cbranch_execz .LBB243_209
; %bb.205:
	v_cmp_ne_u64_e32 vcc, 1, v[44:45]
	s_and_saveexec_b64 s[4:5], vcc
	s_xor_b64 s[4:5], exec, s[4:5]
	s_cbranch_execz .LBB243_207
; %bb.206:
	s_waitcnt lgkmcnt(13)
	v_mov_b32_e32 v0, 0
	global_store_dwordx4 v0, v[8:11], s[46:47]
                                        ; implicit-def: $vgpr0_vgpr1_vgpr2_vgpr3
.LBB243_207:
	s_andn2_saveexec_b64 s[4:5], s[4:5]
	s_cbranch_execz .LBB243_209
; %bb.208:
	s_waitcnt lgkmcnt(12)
	v_mov_b32_e32 v4, 0
	global_store_dwordx4 v4, v[0:3], s[46:47]
.LBB243_209:
	s_endpgm
	.section	.rodata,"a",@progbits
	.p2align	6, 0x0
	.amdhsa_kernel _ZN7rocprim17ROCPRIM_400000_NS6detail17trampoline_kernelINS0_14default_configENS1_20scan_config_selectorIN3c107complexIdEEEEZZNS1_9scan_implILNS1_25lookback_scan_determinismE0ELb0ELb0ES3_PKS7_PS7_S7_ZZZN2at6native31launch_logcumsumexp_cuda_kernelERKNSE_10TensorBaseESI_lENKUlvE_clEvENKUlvE1_clEvEUlS7_S7_E_S7_EEDaPvRmT3_T4_T5_mT6_P12ihipStream_tbENKUlT_T0_E_clISt17integral_constantIbLb0EESY_IbLb1EEEEDaSU_SV_EUlSU_E_NS1_11comp_targetILNS1_3genE4ELNS1_11target_archE910ELNS1_3gpuE8ELNS1_3repE0EEENS1_30default_config_static_selectorELNS0_4arch9wavefront6targetE1EEEvT1_
		.amdhsa_group_segment_fixed_size 15360
		.amdhsa_private_segment_fixed_size 8
		.amdhsa_kernarg_size 128
		.amdhsa_user_sgpr_count 8
		.amdhsa_user_sgpr_private_segment_buffer 1
		.amdhsa_user_sgpr_dispatch_ptr 0
		.amdhsa_user_sgpr_queue_ptr 0
		.amdhsa_user_sgpr_kernarg_segment_ptr 1
		.amdhsa_user_sgpr_dispatch_id 0
		.amdhsa_user_sgpr_flat_scratch_init 1
		.amdhsa_user_sgpr_kernarg_preload_length 0
		.amdhsa_user_sgpr_kernarg_preload_offset 0
		.amdhsa_user_sgpr_private_segment_size 0
		.amdhsa_uses_dynamic_stack 0
		.amdhsa_system_sgpr_private_segment_wavefront_offset 1
		.amdhsa_system_sgpr_workgroup_id_x 1
		.amdhsa_system_sgpr_workgroup_id_y 0
		.amdhsa_system_sgpr_workgroup_id_z 0
		.amdhsa_system_sgpr_workgroup_info 0
		.amdhsa_system_vgpr_workitem_id 0
		.amdhsa_next_free_vgpr 171
		.amdhsa_next_free_sgpr 71
		.amdhsa_accum_offset 172
		.amdhsa_reserve_vcc 1
		.amdhsa_reserve_flat_scratch 1
		.amdhsa_float_round_mode_32 0
		.amdhsa_float_round_mode_16_64 0
		.amdhsa_float_denorm_mode_32 3
		.amdhsa_float_denorm_mode_16_64 3
		.amdhsa_dx10_clamp 1
		.amdhsa_ieee_mode 1
		.amdhsa_fp16_overflow 0
		.amdhsa_tg_split 0
		.amdhsa_exception_fp_ieee_invalid_op 0
		.amdhsa_exception_fp_denorm_src 0
		.amdhsa_exception_fp_ieee_div_zero 0
		.amdhsa_exception_fp_ieee_overflow 0
		.amdhsa_exception_fp_ieee_underflow 0
		.amdhsa_exception_fp_ieee_inexact 0
		.amdhsa_exception_int_div_zero 0
	.end_amdhsa_kernel
	.section	.text._ZN7rocprim17ROCPRIM_400000_NS6detail17trampoline_kernelINS0_14default_configENS1_20scan_config_selectorIN3c107complexIdEEEEZZNS1_9scan_implILNS1_25lookback_scan_determinismE0ELb0ELb0ES3_PKS7_PS7_S7_ZZZN2at6native31launch_logcumsumexp_cuda_kernelERKNSE_10TensorBaseESI_lENKUlvE_clEvENKUlvE1_clEvEUlS7_S7_E_S7_EEDaPvRmT3_T4_T5_mT6_P12ihipStream_tbENKUlT_T0_E_clISt17integral_constantIbLb0EESY_IbLb1EEEEDaSU_SV_EUlSU_E_NS1_11comp_targetILNS1_3genE4ELNS1_11target_archE910ELNS1_3gpuE8ELNS1_3repE0EEENS1_30default_config_static_selectorELNS0_4arch9wavefront6targetE1EEEvT1_,"axG",@progbits,_ZN7rocprim17ROCPRIM_400000_NS6detail17trampoline_kernelINS0_14default_configENS1_20scan_config_selectorIN3c107complexIdEEEEZZNS1_9scan_implILNS1_25lookback_scan_determinismE0ELb0ELb0ES3_PKS7_PS7_S7_ZZZN2at6native31launch_logcumsumexp_cuda_kernelERKNSE_10TensorBaseESI_lENKUlvE_clEvENKUlvE1_clEvEUlS7_S7_E_S7_EEDaPvRmT3_T4_T5_mT6_P12ihipStream_tbENKUlT_T0_E_clISt17integral_constantIbLb0EESY_IbLb1EEEEDaSU_SV_EUlSU_E_NS1_11comp_targetILNS1_3genE4ELNS1_11target_archE910ELNS1_3gpuE8ELNS1_3repE0EEENS1_30default_config_static_selectorELNS0_4arch9wavefront6targetE1EEEvT1_,comdat
.Lfunc_end243:
	.size	_ZN7rocprim17ROCPRIM_400000_NS6detail17trampoline_kernelINS0_14default_configENS1_20scan_config_selectorIN3c107complexIdEEEEZZNS1_9scan_implILNS1_25lookback_scan_determinismE0ELb0ELb0ES3_PKS7_PS7_S7_ZZZN2at6native31launch_logcumsumexp_cuda_kernelERKNSE_10TensorBaseESI_lENKUlvE_clEvENKUlvE1_clEvEUlS7_S7_E_S7_EEDaPvRmT3_T4_T5_mT6_P12ihipStream_tbENKUlT_T0_E_clISt17integral_constantIbLb0EESY_IbLb1EEEEDaSU_SV_EUlSU_E_NS1_11comp_targetILNS1_3genE4ELNS1_11target_archE910ELNS1_3gpuE8ELNS1_3repE0EEENS1_30default_config_static_selectorELNS0_4arch9wavefront6targetE1EEEvT1_, .Lfunc_end243-_ZN7rocprim17ROCPRIM_400000_NS6detail17trampoline_kernelINS0_14default_configENS1_20scan_config_selectorIN3c107complexIdEEEEZZNS1_9scan_implILNS1_25lookback_scan_determinismE0ELb0ELb0ES3_PKS7_PS7_S7_ZZZN2at6native31launch_logcumsumexp_cuda_kernelERKNSE_10TensorBaseESI_lENKUlvE_clEvENKUlvE1_clEvEUlS7_S7_E_S7_EEDaPvRmT3_T4_T5_mT6_P12ihipStream_tbENKUlT_T0_E_clISt17integral_constantIbLb0EESY_IbLb1EEEEDaSU_SV_EUlSU_E_NS1_11comp_targetILNS1_3genE4ELNS1_11target_archE910ELNS1_3gpuE8ELNS1_3repE0EEENS1_30default_config_static_selectorELNS0_4arch9wavefront6targetE1EEEvT1_
                                        ; -- End function
	.section	.AMDGPU.csdata,"",@progbits
; Kernel info:
; codeLenInByte = 10044
; NumSgprs: 77
; NumVgprs: 171
; NumAgprs: 0
; TotalNumVgprs: 171
; ScratchSize: 8
; MemoryBound: 1
; FloatMode: 240
; IeeeMode: 1
; LDSByteSize: 15360 bytes/workgroup (compile time only)
; SGPRBlocks: 9
; VGPRBlocks: 21
; NumSGPRsForWavesPerEU: 77
; NumVGPRsForWavesPerEU: 171
; AccumOffset: 172
; Occupancy: 1
; WaveLimiterHint : 1
; COMPUTE_PGM_RSRC2:SCRATCH_EN: 1
; COMPUTE_PGM_RSRC2:USER_SGPR: 8
; COMPUTE_PGM_RSRC2:TRAP_HANDLER: 0
; COMPUTE_PGM_RSRC2:TGID_X_EN: 1
; COMPUTE_PGM_RSRC2:TGID_Y_EN: 0
; COMPUTE_PGM_RSRC2:TGID_Z_EN: 0
; COMPUTE_PGM_RSRC2:TIDIG_COMP_CNT: 0
; COMPUTE_PGM_RSRC3_GFX90A:ACCUM_OFFSET: 42
; COMPUTE_PGM_RSRC3_GFX90A:TG_SPLIT: 0
	.section	.text._ZN7rocprim17ROCPRIM_400000_NS6detail17trampoline_kernelINS0_14default_configENS1_20scan_config_selectorIN3c107complexIdEEEEZZNS1_9scan_implILNS1_25lookback_scan_determinismE0ELb0ELb0ES3_PKS7_PS7_S7_ZZZN2at6native31launch_logcumsumexp_cuda_kernelERKNSE_10TensorBaseESI_lENKUlvE_clEvENKUlvE1_clEvEUlS7_S7_E_S7_EEDaPvRmT3_T4_T5_mT6_P12ihipStream_tbENKUlT_T0_E_clISt17integral_constantIbLb0EESY_IbLb1EEEEDaSU_SV_EUlSU_E_NS1_11comp_targetILNS1_3genE3ELNS1_11target_archE908ELNS1_3gpuE7ELNS1_3repE0EEENS1_30default_config_static_selectorELNS0_4arch9wavefront6targetE1EEEvT1_,"axG",@progbits,_ZN7rocprim17ROCPRIM_400000_NS6detail17trampoline_kernelINS0_14default_configENS1_20scan_config_selectorIN3c107complexIdEEEEZZNS1_9scan_implILNS1_25lookback_scan_determinismE0ELb0ELb0ES3_PKS7_PS7_S7_ZZZN2at6native31launch_logcumsumexp_cuda_kernelERKNSE_10TensorBaseESI_lENKUlvE_clEvENKUlvE1_clEvEUlS7_S7_E_S7_EEDaPvRmT3_T4_T5_mT6_P12ihipStream_tbENKUlT_T0_E_clISt17integral_constantIbLb0EESY_IbLb1EEEEDaSU_SV_EUlSU_E_NS1_11comp_targetILNS1_3genE3ELNS1_11target_archE908ELNS1_3gpuE7ELNS1_3repE0EEENS1_30default_config_static_selectorELNS0_4arch9wavefront6targetE1EEEvT1_,comdat
	.globl	_ZN7rocprim17ROCPRIM_400000_NS6detail17trampoline_kernelINS0_14default_configENS1_20scan_config_selectorIN3c107complexIdEEEEZZNS1_9scan_implILNS1_25lookback_scan_determinismE0ELb0ELb0ES3_PKS7_PS7_S7_ZZZN2at6native31launch_logcumsumexp_cuda_kernelERKNSE_10TensorBaseESI_lENKUlvE_clEvENKUlvE1_clEvEUlS7_S7_E_S7_EEDaPvRmT3_T4_T5_mT6_P12ihipStream_tbENKUlT_T0_E_clISt17integral_constantIbLb0EESY_IbLb1EEEEDaSU_SV_EUlSU_E_NS1_11comp_targetILNS1_3genE3ELNS1_11target_archE908ELNS1_3gpuE7ELNS1_3repE0EEENS1_30default_config_static_selectorELNS0_4arch9wavefront6targetE1EEEvT1_ ; -- Begin function _ZN7rocprim17ROCPRIM_400000_NS6detail17trampoline_kernelINS0_14default_configENS1_20scan_config_selectorIN3c107complexIdEEEEZZNS1_9scan_implILNS1_25lookback_scan_determinismE0ELb0ELb0ES3_PKS7_PS7_S7_ZZZN2at6native31launch_logcumsumexp_cuda_kernelERKNSE_10TensorBaseESI_lENKUlvE_clEvENKUlvE1_clEvEUlS7_S7_E_S7_EEDaPvRmT3_T4_T5_mT6_P12ihipStream_tbENKUlT_T0_E_clISt17integral_constantIbLb0EESY_IbLb1EEEEDaSU_SV_EUlSU_E_NS1_11comp_targetILNS1_3genE3ELNS1_11target_archE908ELNS1_3gpuE7ELNS1_3repE0EEENS1_30default_config_static_selectorELNS0_4arch9wavefront6targetE1EEEvT1_
	.p2align	8
	.type	_ZN7rocprim17ROCPRIM_400000_NS6detail17trampoline_kernelINS0_14default_configENS1_20scan_config_selectorIN3c107complexIdEEEEZZNS1_9scan_implILNS1_25lookback_scan_determinismE0ELb0ELb0ES3_PKS7_PS7_S7_ZZZN2at6native31launch_logcumsumexp_cuda_kernelERKNSE_10TensorBaseESI_lENKUlvE_clEvENKUlvE1_clEvEUlS7_S7_E_S7_EEDaPvRmT3_T4_T5_mT6_P12ihipStream_tbENKUlT_T0_E_clISt17integral_constantIbLb0EESY_IbLb1EEEEDaSU_SV_EUlSU_E_NS1_11comp_targetILNS1_3genE3ELNS1_11target_archE908ELNS1_3gpuE7ELNS1_3repE0EEENS1_30default_config_static_selectorELNS0_4arch9wavefront6targetE1EEEvT1_,@function
_ZN7rocprim17ROCPRIM_400000_NS6detail17trampoline_kernelINS0_14default_configENS1_20scan_config_selectorIN3c107complexIdEEEEZZNS1_9scan_implILNS1_25lookback_scan_determinismE0ELb0ELb0ES3_PKS7_PS7_S7_ZZZN2at6native31launch_logcumsumexp_cuda_kernelERKNSE_10TensorBaseESI_lENKUlvE_clEvENKUlvE1_clEvEUlS7_S7_E_S7_EEDaPvRmT3_T4_T5_mT6_P12ihipStream_tbENKUlT_T0_E_clISt17integral_constantIbLb0EESY_IbLb1EEEEDaSU_SV_EUlSU_E_NS1_11comp_targetILNS1_3genE3ELNS1_11target_archE908ELNS1_3gpuE7ELNS1_3repE0EEENS1_30default_config_static_selectorELNS0_4arch9wavefront6targetE1EEEvT1_: ; @_ZN7rocprim17ROCPRIM_400000_NS6detail17trampoline_kernelINS0_14default_configENS1_20scan_config_selectorIN3c107complexIdEEEEZZNS1_9scan_implILNS1_25lookback_scan_determinismE0ELb0ELb0ES3_PKS7_PS7_S7_ZZZN2at6native31launch_logcumsumexp_cuda_kernelERKNSE_10TensorBaseESI_lENKUlvE_clEvENKUlvE1_clEvEUlS7_S7_E_S7_EEDaPvRmT3_T4_T5_mT6_P12ihipStream_tbENKUlT_T0_E_clISt17integral_constantIbLb0EESY_IbLb1EEEEDaSU_SV_EUlSU_E_NS1_11comp_targetILNS1_3genE3ELNS1_11target_archE908ELNS1_3gpuE7ELNS1_3repE0EEENS1_30default_config_static_selectorELNS0_4arch9wavefront6targetE1EEEvT1_
; %bb.0:
	.section	.rodata,"a",@progbits
	.p2align	6, 0x0
	.amdhsa_kernel _ZN7rocprim17ROCPRIM_400000_NS6detail17trampoline_kernelINS0_14default_configENS1_20scan_config_selectorIN3c107complexIdEEEEZZNS1_9scan_implILNS1_25lookback_scan_determinismE0ELb0ELb0ES3_PKS7_PS7_S7_ZZZN2at6native31launch_logcumsumexp_cuda_kernelERKNSE_10TensorBaseESI_lENKUlvE_clEvENKUlvE1_clEvEUlS7_S7_E_S7_EEDaPvRmT3_T4_T5_mT6_P12ihipStream_tbENKUlT_T0_E_clISt17integral_constantIbLb0EESY_IbLb1EEEEDaSU_SV_EUlSU_E_NS1_11comp_targetILNS1_3genE3ELNS1_11target_archE908ELNS1_3gpuE7ELNS1_3repE0EEENS1_30default_config_static_selectorELNS0_4arch9wavefront6targetE1EEEvT1_
		.amdhsa_group_segment_fixed_size 0
		.amdhsa_private_segment_fixed_size 0
		.amdhsa_kernarg_size 128
		.amdhsa_user_sgpr_count 6
		.amdhsa_user_sgpr_private_segment_buffer 1
		.amdhsa_user_sgpr_dispatch_ptr 0
		.amdhsa_user_sgpr_queue_ptr 0
		.amdhsa_user_sgpr_kernarg_segment_ptr 1
		.amdhsa_user_sgpr_dispatch_id 0
		.amdhsa_user_sgpr_flat_scratch_init 0
		.amdhsa_user_sgpr_kernarg_preload_length 0
		.amdhsa_user_sgpr_kernarg_preload_offset 0
		.amdhsa_user_sgpr_private_segment_size 0
		.amdhsa_uses_dynamic_stack 0
		.amdhsa_system_sgpr_private_segment_wavefront_offset 0
		.amdhsa_system_sgpr_workgroup_id_x 1
		.amdhsa_system_sgpr_workgroup_id_y 0
		.amdhsa_system_sgpr_workgroup_id_z 0
		.amdhsa_system_sgpr_workgroup_info 0
		.amdhsa_system_vgpr_workitem_id 0
		.amdhsa_next_free_vgpr 1
		.amdhsa_next_free_sgpr 0
		.amdhsa_accum_offset 4
		.amdhsa_reserve_vcc 0
		.amdhsa_reserve_flat_scratch 0
		.amdhsa_float_round_mode_32 0
		.amdhsa_float_round_mode_16_64 0
		.amdhsa_float_denorm_mode_32 3
		.amdhsa_float_denorm_mode_16_64 3
		.amdhsa_dx10_clamp 1
		.amdhsa_ieee_mode 1
		.amdhsa_fp16_overflow 0
		.amdhsa_tg_split 0
		.amdhsa_exception_fp_ieee_invalid_op 0
		.amdhsa_exception_fp_denorm_src 0
		.amdhsa_exception_fp_ieee_div_zero 0
		.amdhsa_exception_fp_ieee_overflow 0
		.amdhsa_exception_fp_ieee_underflow 0
		.amdhsa_exception_fp_ieee_inexact 0
		.amdhsa_exception_int_div_zero 0
	.end_amdhsa_kernel
	.section	.text._ZN7rocprim17ROCPRIM_400000_NS6detail17trampoline_kernelINS0_14default_configENS1_20scan_config_selectorIN3c107complexIdEEEEZZNS1_9scan_implILNS1_25lookback_scan_determinismE0ELb0ELb0ES3_PKS7_PS7_S7_ZZZN2at6native31launch_logcumsumexp_cuda_kernelERKNSE_10TensorBaseESI_lENKUlvE_clEvENKUlvE1_clEvEUlS7_S7_E_S7_EEDaPvRmT3_T4_T5_mT6_P12ihipStream_tbENKUlT_T0_E_clISt17integral_constantIbLb0EESY_IbLb1EEEEDaSU_SV_EUlSU_E_NS1_11comp_targetILNS1_3genE3ELNS1_11target_archE908ELNS1_3gpuE7ELNS1_3repE0EEENS1_30default_config_static_selectorELNS0_4arch9wavefront6targetE1EEEvT1_,"axG",@progbits,_ZN7rocprim17ROCPRIM_400000_NS6detail17trampoline_kernelINS0_14default_configENS1_20scan_config_selectorIN3c107complexIdEEEEZZNS1_9scan_implILNS1_25lookback_scan_determinismE0ELb0ELb0ES3_PKS7_PS7_S7_ZZZN2at6native31launch_logcumsumexp_cuda_kernelERKNSE_10TensorBaseESI_lENKUlvE_clEvENKUlvE1_clEvEUlS7_S7_E_S7_EEDaPvRmT3_T4_T5_mT6_P12ihipStream_tbENKUlT_T0_E_clISt17integral_constantIbLb0EESY_IbLb1EEEEDaSU_SV_EUlSU_E_NS1_11comp_targetILNS1_3genE3ELNS1_11target_archE908ELNS1_3gpuE7ELNS1_3repE0EEENS1_30default_config_static_selectorELNS0_4arch9wavefront6targetE1EEEvT1_,comdat
.Lfunc_end244:
	.size	_ZN7rocprim17ROCPRIM_400000_NS6detail17trampoline_kernelINS0_14default_configENS1_20scan_config_selectorIN3c107complexIdEEEEZZNS1_9scan_implILNS1_25lookback_scan_determinismE0ELb0ELb0ES3_PKS7_PS7_S7_ZZZN2at6native31launch_logcumsumexp_cuda_kernelERKNSE_10TensorBaseESI_lENKUlvE_clEvENKUlvE1_clEvEUlS7_S7_E_S7_EEDaPvRmT3_T4_T5_mT6_P12ihipStream_tbENKUlT_T0_E_clISt17integral_constantIbLb0EESY_IbLb1EEEEDaSU_SV_EUlSU_E_NS1_11comp_targetILNS1_3genE3ELNS1_11target_archE908ELNS1_3gpuE7ELNS1_3repE0EEENS1_30default_config_static_selectorELNS0_4arch9wavefront6targetE1EEEvT1_, .Lfunc_end244-_ZN7rocprim17ROCPRIM_400000_NS6detail17trampoline_kernelINS0_14default_configENS1_20scan_config_selectorIN3c107complexIdEEEEZZNS1_9scan_implILNS1_25lookback_scan_determinismE0ELb0ELb0ES3_PKS7_PS7_S7_ZZZN2at6native31launch_logcumsumexp_cuda_kernelERKNSE_10TensorBaseESI_lENKUlvE_clEvENKUlvE1_clEvEUlS7_S7_E_S7_EEDaPvRmT3_T4_T5_mT6_P12ihipStream_tbENKUlT_T0_E_clISt17integral_constantIbLb0EESY_IbLb1EEEEDaSU_SV_EUlSU_E_NS1_11comp_targetILNS1_3genE3ELNS1_11target_archE908ELNS1_3gpuE7ELNS1_3repE0EEENS1_30default_config_static_selectorELNS0_4arch9wavefront6targetE1EEEvT1_
                                        ; -- End function
	.section	.AMDGPU.csdata,"",@progbits
; Kernel info:
; codeLenInByte = 0
; NumSgprs: 4
; NumVgprs: 0
; NumAgprs: 0
; TotalNumVgprs: 0
; ScratchSize: 0
; MemoryBound: 0
; FloatMode: 240
; IeeeMode: 1
; LDSByteSize: 0 bytes/workgroup (compile time only)
; SGPRBlocks: 0
; VGPRBlocks: 0
; NumSGPRsForWavesPerEU: 4
; NumVGPRsForWavesPerEU: 1
; AccumOffset: 4
; Occupancy: 8
; WaveLimiterHint : 0
; COMPUTE_PGM_RSRC2:SCRATCH_EN: 0
; COMPUTE_PGM_RSRC2:USER_SGPR: 6
; COMPUTE_PGM_RSRC2:TRAP_HANDLER: 0
; COMPUTE_PGM_RSRC2:TGID_X_EN: 1
; COMPUTE_PGM_RSRC2:TGID_Y_EN: 0
; COMPUTE_PGM_RSRC2:TGID_Z_EN: 0
; COMPUTE_PGM_RSRC2:TIDIG_COMP_CNT: 0
; COMPUTE_PGM_RSRC3_GFX90A:ACCUM_OFFSET: 0
; COMPUTE_PGM_RSRC3_GFX90A:TG_SPLIT: 0
	.section	.text._ZN7rocprim17ROCPRIM_400000_NS6detail17trampoline_kernelINS0_14default_configENS1_20scan_config_selectorIN3c107complexIdEEEEZZNS1_9scan_implILNS1_25lookback_scan_determinismE0ELb0ELb0ES3_PKS7_PS7_S7_ZZZN2at6native31launch_logcumsumexp_cuda_kernelERKNSE_10TensorBaseESI_lENKUlvE_clEvENKUlvE1_clEvEUlS7_S7_E_S7_EEDaPvRmT3_T4_T5_mT6_P12ihipStream_tbENKUlT_T0_E_clISt17integral_constantIbLb0EESY_IbLb1EEEEDaSU_SV_EUlSU_E_NS1_11comp_targetILNS1_3genE2ELNS1_11target_archE906ELNS1_3gpuE6ELNS1_3repE0EEENS1_30default_config_static_selectorELNS0_4arch9wavefront6targetE1EEEvT1_,"axG",@progbits,_ZN7rocprim17ROCPRIM_400000_NS6detail17trampoline_kernelINS0_14default_configENS1_20scan_config_selectorIN3c107complexIdEEEEZZNS1_9scan_implILNS1_25lookback_scan_determinismE0ELb0ELb0ES3_PKS7_PS7_S7_ZZZN2at6native31launch_logcumsumexp_cuda_kernelERKNSE_10TensorBaseESI_lENKUlvE_clEvENKUlvE1_clEvEUlS7_S7_E_S7_EEDaPvRmT3_T4_T5_mT6_P12ihipStream_tbENKUlT_T0_E_clISt17integral_constantIbLb0EESY_IbLb1EEEEDaSU_SV_EUlSU_E_NS1_11comp_targetILNS1_3genE2ELNS1_11target_archE906ELNS1_3gpuE6ELNS1_3repE0EEENS1_30default_config_static_selectorELNS0_4arch9wavefront6targetE1EEEvT1_,comdat
	.globl	_ZN7rocprim17ROCPRIM_400000_NS6detail17trampoline_kernelINS0_14default_configENS1_20scan_config_selectorIN3c107complexIdEEEEZZNS1_9scan_implILNS1_25lookback_scan_determinismE0ELb0ELb0ES3_PKS7_PS7_S7_ZZZN2at6native31launch_logcumsumexp_cuda_kernelERKNSE_10TensorBaseESI_lENKUlvE_clEvENKUlvE1_clEvEUlS7_S7_E_S7_EEDaPvRmT3_T4_T5_mT6_P12ihipStream_tbENKUlT_T0_E_clISt17integral_constantIbLb0EESY_IbLb1EEEEDaSU_SV_EUlSU_E_NS1_11comp_targetILNS1_3genE2ELNS1_11target_archE906ELNS1_3gpuE6ELNS1_3repE0EEENS1_30default_config_static_selectorELNS0_4arch9wavefront6targetE1EEEvT1_ ; -- Begin function _ZN7rocprim17ROCPRIM_400000_NS6detail17trampoline_kernelINS0_14default_configENS1_20scan_config_selectorIN3c107complexIdEEEEZZNS1_9scan_implILNS1_25lookback_scan_determinismE0ELb0ELb0ES3_PKS7_PS7_S7_ZZZN2at6native31launch_logcumsumexp_cuda_kernelERKNSE_10TensorBaseESI_lENKUlvE_clEvENKUlvE1_clEvEUlS7_S7_E_S7_EEDaPvRmT3_T4_T5_mT6_P12ihipStream_tbENKUlT_T0_E_clISt17integral_constantIbLb0EESY_IbLb1EEEEDaSU_SV_EUlSU_E_NS1_11comp_targetILNS1_3genE2ELNS1_11target_archE906ELNS1_3gpuE6ELNS1_3repE0EEENS1_30default_config_static_selectorELNS0_4arch9wavefront6targetE1EEEvT1_
	.p2align	8
	.type	_ZN7rocprim17ROCPRIM_400000_NS6detail17trampoline_kernelINS0_14default_configENS1_20scan_config_selectorIN3c107complexIdEEEEZZNS1_9scan_implILNS1_25lookback_scan_determinismE0ELb0ELb0ES3_PKS7_PS7_S7_ZZZN2at6native31launch_logcumsumexp_cuda_kernelERKNSE_10TensorBaseESI_lENKUlvE_clEvENKUlvE1_clEvEUlS7_S7_E_S7_EEDaPvRmT3_T4_T5_mT6_P12ihipStream_tbENKUlT_T0_E_clISt17integral_constantIbLb0EESY_IbLb1EEEEDaSU_SV_EUlSU_E_NS1_11comp_targetILNS1_3genE2ELNS1_11target_archE906ELNS1_3gpuE6ELNS1_3repE0EEENS1_30default_config_static_selectorELNS0_4arch9wavefront6targetE1EEEvT1_,@function
_ZN7rocprim17ROCPRIM_400000_NS6detail17trampoline_kernelINS0_14default_configENS1_20scan_config_selectorIN3c107complexIdEEEEZZNS1_9scan_implILNS1_25lookback_scan_determinismE0ELb0ELb0ES3_PKS7_PS7_S7_ZZZN2at6native31launch_logcumsumexp_cuda_kernelERKNSE_10TensorBaseESI_lENKUlvE_clEvENKUlvE1_clEvEUlS7_S7_E_S7_EEDaPvRmT3_T4_T5_mT6_P12ihipStream_tbENKUlT_T0_E_clISt17integral_constantIbLb0EESY_IbLb1EEEEDaSU_SV_EUlSU_E_NS1_11comp_targetILNS1_3genE2ELNS1_11target_archE906ELNS1_3gpuE6ELNS1_3repE0EEENS1_30default_config_static_selectorELNS0_4arch9wavefront6targetE1EEEvT1_: ; @_ZN7rocprim17ROCPRIM_400000_NS6detail17trampoline_kernelINS0_14default_configENS1_20scan_config_selectorIN3c107complexIdEEEEZZNS1_9scan_implILNS1_25lookback_scan_determinismE0ELb0ELb0ES3_PKS7_PS7_S7_ZZZN2at6native31launch_logcumsumexp_cuda_kernelERKNSE_10TensorBaseESI_lENKUlvE_clEvENKUlvE1_clEvEUlS7_S7_E_S7_EEDaPvRmT3_T4_T5_mT6_P12ihipStream_tbENKUlT_T0_E_clISt17integral_constantIbLb0EESY_IbLb1EEEEDaSU_SV_EUlSU_E_NS1_11comp_targetILNS1_3genE2ELNS1_11target_archE906ELNS1_3gpuE6ELNS1_3repE0EEENS1_30default_config_static_selectorELNS0_4arch9wavefront6targetE1EEEvT1_
; %bb.0:
	.section	.rodata,"a",@progbits
	.p2align	6, 0x0
	.amdhsa_kernel _ZN7rocprim17ROCPRIM_400000_NS6detail17trampoline_kernelINS0_14default_configENS1_20scan_config_selectorIN3c107complexIdEEEEZZNS1_9scan_implILNS1_25lookback_scan_determinismE0ELb0ELb0ES3_PKS7_PS7_S7_ZZZN2at6native31launch_logcumsumexp_cuda_kernelERKNSE_10TensorBaseESI_lENKUlvE_clEvENKUlvE1_clEvEUlS7_S7_E_S7_EEDaPvRmT3_T4_T5_mT6_P12ihipStream_tbENKUlT_T0_E_clISt17integral_constantIbLb0EESY_IbLb1EEEEDaSU_SV_EUlSU_E_NS1_11comp_targetILNS1_3genE2ELNS1_11target_archE906ELNS1_3gpuE6ELNS1_3repE0EEENS1_30default_config_static_selectorELNS0_4arch9wavefront6targetE1EEEvT1_
		.amdhsa_group_segment_fixed_size 0
		.amdhsa_private_segment_fixed_size 0
		.amdhsa_kernarg_size 128
		.amdhsa_user_sgpr_count 6
		.amdhsa_user_sgpr_private_segment_buffer 1
		.amdhsa_user_sgpr_dispatch_ptr 0
		.amdhsa_user_sgpr_queue_ptr 0
		.amdhsa_user_sgpr_kernarg_segment_ptr 1
		.amdhsa_user_sgpr_dispatch_id 0
		.amdhsa_user_sgpr_flat_scratch_init 0
		.amdhsa_user_sgpr_kernarg_preload_length 0
		.amdhsa_user_sgpr_kernarg_preload_offset 0
		.amdhsa_user_sgpr_private_segment_size 0
		.amdhsa_uses_dynamic_stack 0
		.amdhsa_system_sgpr_private_segment_wavefront_offset 0
		.amdhsa_system_sgpr_workgroup_id_x 1
		.amdhsa_system_sgpr_workgroup_id_y 0
		.amdhsa_system_sgpr_workgroup_id_z 0
		.amdhsa_system_sgpr_workgroup_info 0
		.amdhsa_system_vgpr_workitem_id 0
		.amdhsa_next_free_vgpr 1
		.amdhsa_next_free_sgpr 0
		.amdhsa_accum_offset 4
		.amdhsa_reserve_vcc 0
		.amdhsa_reserve_flat_scratch 0
		.amdhsa_float_round_mode_32 0
		.amdhsa_float_round_mode_16_64 0
		.amdhsa_float_denorm_mode_32 3
		.amdhsa_float_denorm_mode_16_64 3
		.amdhsa_dx10_clamp 1
		.amdhsa_ieee_mode 1
		.amdhsa_fp16_overflow 0
		.amdhsa_tg_split 0
		.amdhsa_exception_fp_ieee_invalid_op 0
		.amdhsa_exception_fp_denorm_src 0
		.amdhsa_exception_fp_ieee_div_zero 0
		.amdhsa_exception_fp_ieee_overflow 0
		.amdhsa_exception_fp_ieee_underflow 0
		.amdhsa_exception_fp_ieee_inexact 0
		.amdhsa_exception_int_div_zero 0
	.end_amdhsa_kernel
	.section	.text._ZN7rocprim17ROCPRIM_400000_NS6detail17trampoline_kernelINS0_14default_configENS1_20scan_config_selectorIN3c107complexIdEEEEZZNS1_9scan_implILNS1_25lookback_scan_determinismE0ELb0ELb0ES3_PKS7_PS7_S7_ZZZN2at6native31launch_logcumsumexp_cuda_kernelERKNSE_10TensorBaseESI_lENKUlvE_clEvENKUlvE1_clEvEUlS7_S7_E_S7_EEDaPvRmT3_T4_T5_mT6_P12ihipStream_tbENKUlT_T0_E_clISt17integral_constantIbLb0EESY_IbLb1EEEEDaSU_SV_EUlSU_E_NS1_11comp_targetILNS1_3genE2ELNS1_11target_archE906ELNS1_3gpuE6ELNS1_3repE0EEENS1_30default_config_static_selectorELNS0_4arch9wavefront6targetE1EEEvT1_,"axG",@progbits,_ZN7rocprim17ROCPRIM_400000_NS6detail17trampoline_kernelINS0_14default_configENS1_20scan_config_selectorIN3c107complexIdEEEEZZNS1_9scan_implILNS1_25lookback_scan_determinismE0ELb0ELb0ES3_PKS7_PS7_S7_ZZZN2at6native31launch_logcumsumexp_cuda_kernelERKNSE_10TensorBaseESI_lENKUlvE_clEvENKUlvE1_clEvEUlS7_S7_E_S7_EEDaPvRmT3_T4_T5_mT6_P12ihipStream_tbENKUlT_T0_E_clISt17integral_constantIbLb0EESY_IbLb1EEEEDaSU_SV_EUlSU_E_NS1_11comp_targetILNS1_3genE2ELNS1_11target_archE906ELNS1_3gpuE6ELNS1_3repE0EEENS1_30default_config_static_selectorELNS0_4arch9wavefront6targetE1EEEvT1_,comdat
.Lfunc_end245:
	.size	_ZN7rocprim17ROCPRIM_400000_NS6detail17trampoline_kernelINS0_14default_configENS1_20scan_config_selectorIN3c107complexIdEEEEZZNS1_9scan_implILNS1_25lookback_scan_determinismE0ELb0ELb0ES3_PKS7_PS7_S7_ZZZN2at6native31launch_logcumsumexp_cuda_kernelERKNSE_10TensorBaseESI_lENKUlvE_clEvENKUlvE1_clEvEUlS7_S7_E_S7_EEDaPvRmT3_T4_T5_mT6_P12ihipStream_tbENKUlT_T0_E_clISt17integral_constantIbLb0EESY_IbLb1EEEEDaSU_SV_EUlSU_E_NS1_11comp_targetILNS1_3genE2ELNS1_11target_archE906ELNS1_3gpuE6ELNS1_3repE0EEENS1_30default_config_static_selectorELNS0_4arch9wavefront6targetE1EEEvT1_, .Lfunc_end245-_ZN7rocprim17ROCPRIM_400000_NS6detail17trampoline_kernelINS0_14default_configENS1_20scan_config_selectorIN3c107complexIdEEEEZZNS1_9scan_implILNS1_25lookback_scan_determinismE0ELb0ELb0ES3_PKS7_PS7_S7_ZZZN2at6native31launch_logcumsumexp_cuda_kernelERKNSE_10TensorBaseESI_lENKUlvE_clEvENKUlvE1_clEvEUlS7_S7_E_S7_EEDaPvRmT3_T4_T5_mT6_P12ihipStream_tbENKUlT_T0_E_clISt17integral_constantIbLb0EESY_IbLb1EEEEDaSU_SV_EUlSU_E_NS1_11comp_targetILNS1_3genE2ELNS1_11target_archE906ELNS1_3gpuE6ELNS1_3repE0EEENS1_30default_config_static_selectorELNS0_4arch9wavefront6targetE1EEEvT1_
                                        ; -- End function
	.section	.AMDGPU.csdata,"",@progbits
; Kernel info:
; codeLenInByte = 0
; NumSgprs: 4
; NumVgprs: 0
; NumAgprs: 0
; TotalNumVgprs: 0
; ScratchSize: 0
; MemoryBound: 0
; FloatMode: 240
; IeeeMode: 1
; LDSByteSize: 0 bytes/workgroup (compile time only)
; SGPRBlocks: 0
; VGPRBlocks: 0
; NumSGPRsForWavesPerEU: 4
; NumVGPRsForWavesPerEU: 1
; AccumOffset: 4
; Occupancy: 8
; WaveLimiterHint : 0
; COMPUTE_PGM_RSRC2:SCRATCH_EN: 0
; COMPUTE_PGM_RSRC2:USER_SGPR: 6
; COMPUTE_PGM_RSRC2:TRAP_HANDLER: 0
; COMPUTE_PGM_RSRC2:TGID_X_EN: 1
; COMPUTE_PGM_RSRC2:TGID_Y_EN: 0
; COMPUTE_PGM_RSRC2:TGID_Z_EN: 0
; COMPUTE_PGM_RSRC2:TIDIG_COMP_CNT: 0
; COMPUTE_PGM_RSRC3_GFX90A:ACCUM_OFFSET: 0
; COMPUTE_PGM_RSRC3_GFX90A:TG_SPLIT: 0
	.section	.text._ZN7rocprim17ROCPRIM_400000_NS6detail17trampoline_kernelINS0_14default_configENS1_20scan_config_selectorIN3c107complexIdEEEEZZNS1_9scan_implILNS1_25lookback_scan_determinismE0ELb0ELb0ES3_PKS7_PS7_S7_ZZZN2at6native31launch_logcumsumexp_cuda_kernelERKNSE_10TensorBaseESI_lENKUlvE_clEvENKUlvE1_clEvEUlS7_S7_E_S7_EEDaPvRmT3_T4_T5_mT6_P12ihipStream_tbENKUlT_T0_E_clISt17integral_constantIbLb0EESY_IbLb1EEEEDaSU_SV_EUlSU_E_NS1_11comp_targetILNS1_3genE10ELNS1_11target_archE1201ELNS1_3gpuE5ELNS1_3repE0EEENS1_30default_config_static_selectorELNS0_4arch9wavefront6targetE1EEEvT1_,"axG",@progbits,_ZN7rocprim17ROCPRIM_400000_NS6detail17trampoline_kernelINS0_14default_configENS1_20scan_config_selectorIN3c107complexIdEEEEZZNS1_9scan_implILNS1_25lookback_scan_determinismE0ELb0ELb0ES3_PKS7_PS7_S7_ZZZN2at6native31launch_logcumsumexp_cuda_kernelERKNSE_10TensorBaseESI_lENKUlvE_clEvENKUlvE1_clEvEUlS7_S7_E_S7_EEDaPvRmT3_T4_T5_mT6_P12ihipStream_tbENKUlT_T0_E_clISt17integral_constantIbLb0EESY_IbLb1EEEEDaSU_SV_EUlSU_E_NS1_11comp_targetILNS1_3genE10ELNS1_11target_archE1201ELNS1_3gpuE5ELNS1_3repE0EEENS1_30default_config_static_selectorELNS0_4arch9wavefront6targetE1EEEvT1_,comdat
	.globl	_ZN7rocprim17ROCPRIM_400000_NS6detail17trampoline_kernelINS0_14default_configENS1_20scan_config_selectorIN3c107complexIdEEEEZZNS1_9scan_implILNS1_25lookback_scan_determinismE0ELb0ELb0ES3_PKS7_PS7_S7_ZZZN2at6native31launch_logcumsumexp_cuda_kernelERKNSE_10TensorBaseESI_lENKUlvE_clEvENKUlvE1_clEvEUlS7_S7_E_S7_EEDaPvRmT3_T4_T5_mT6_P12ihipStream_tbENKUlT_T0_E_clISt17integral_constantIbLb0EESY_IbLb1EEEEDaSU_SV_EUlSU_E_NS1_11comp_targetILNS1_3genE10ELNS1_11target_archE1201ELNS1_3gpuE5ELNS1_3repE0EEENS1_30default_config_static_selectorELNS0_4arch9wavefront6targetE1EEEvT1_ ; -- Begin function _ZN7rocprim17ROCPRIM_400000_NS6detail17trampoline_kernelINS0_14default_configENS1_20scan_config_selectorIN3c107complexIdEEEEZZNS1_9scan_implILNS1_25lookback_scan_determinismE0ELb0ELb0ES3_PKS7_PS7_S7_ZZZN2at6native31launch_logcumsumexp_cuda_kernelERKNSE_10TensorBaseESI_lENKUlvE_clEvENKUlvE1_clEvEUlS7_S7_E_S7_EEDaPvRmT3_T4_T5_mT6_P12ihipStream_tbENKUlT_T0_E_clISt17integral_constantIbLb0EESY_IbLb1EEEEDaSU_SV_EUlSU_E_NS1_11comp_targetILNS1_3genE10ELNS1_11target_archE1201ELNS1_3gpuE5ELNS1_3repE0EEENS1_30default_config_static_selectorELNS0_4arch9wavefront6targetE1EEEvT1_
	.p2align	8
	.type	_ZN7rocprim17ROCPRIM_400000_NS6detail17trampoline_kernelINS0_14default_configENS1_20scan_config_selectorIN3c107complexIdEEEEZZNS1_9scan_implILNS1_25lookback_scan_determinismE0ELb0ELb0ES3_PKS7_PS7_S7_ZZZN2at6native31launch_logcumsumexp_cuda_kernelERKNSE_10TensorBaseESI_lENKUlvE_clEvENKUlvE1_clEvEUlS7_S7_E_S7_EEDaPvRmT3_T4_T5_mT6_P12ihipStream_tbENKUlT_T0_E_clISt17integral_constantIbLb0EESY_IbLb1EEEEDaSU_SV_EUlSU_E_NS1_11comp_targetILNS1_3genE10ELNS1_11target_archE1201ELNS1_3gpuE5ELNS1_3repE0EEENS1_30default_config_static_selectorELNS0_4arch9wavefront6targetE1EEEvT1_,@function
_ZN7rocprim17ROCPRIM_400000_NS6detail17trampoline_kernelINS0_14default_configENS1_20scan_config_selectorIN3c107complexIdEEEEZZNS1_9scan_implILNS1_25lookback_scan_determinismE0ELb0ELb0ES3_PKS7_PS7_S7_ZZZN2at6native31launch_logcumsumexp_cuda_kernelERKNSE_10TensorBaseESI_lENKUlvE_clEvENKUlvE1_clEvEUlS7_S7_E_S7_EEDaPvRmT3_T4_T5_mT6_P12ihipStream_tbENKUlT_T0_E_clISt17integral_constantIbLb0EESY_IbLb1EEEEDaSU_SV_EUlSU_E_NS1_11comp_targetILNS1_3genE10ELNS1_11target_archE1201ELNS1_3gpuE5ELNS1_3repE0EEENS1_30default_config_static_selectorELNS0_4arch9wavefront6targetE1EEEvT1_: ; @_ZN7rocprim17ROCPRIM_400000_NS6detail17trampoline_kernelINS0_14default_configENS1_20scan_config_selectorIN3c107complexIdEEEEZZNS1_9scan_implILNS1_25lookback_scan_determinismE0ELb0ELb0ES3_PKS7_PS7_S7_ZZZN2at6native31launch_logcumsumexp_cuda_kernelERKNSE_10TensorBaseESI_lENKUlvE_clEvENKUlvE1_clEvEUlS7_S7_E_S7_EEDaPvRmT3_T4_T5_mT6_P12ihipStream_tbENKUlT_T0_E_clISt17integral_constantIbLb0EESY_IbLb1EEEEDaSU_SV_EUlSU_E_NS1_11comp_targetILNS1_3genE10ELNS1_11target_archE1201ELNS1_3gpuE5ELNS1_3repE0EEENS1_30default_config_static_selectorELNS0_4arch9wavefront6targetE1EEEvT1_
; %bb.0:
	.section	.rodata,"a",@progbits
	.p2align	6, 0x0
	.amdhsa_kernel _ZN7rocprim17ROCPRIM_400000_NS6detail17trampoline_kernelINS0_14default_configENS1_20scan_config_selectorIN3c107complexIdEEEEZZNS1_9scan_implILNS1_25lookback_scan_determinismE0ELb0ELb0ES3_PKS7_PS7_S7_ZZZN2at6native31launch_logcumsumexp_cuda_kernelERKNSE_10TensorBaseESI_lENKUlvE_clEvENKUlvE1_clEvEUlS7_S7_E_S7_EEDaPvRmT3_T4_T5_mT6_P12ihipStream_tbENKUlT_T0_E_clISt17integral_constantIbLb0EESY_IbLb1EEEEDaSU_SV_EUlSU_E_NS1_11comp_targetILNS1_3genE10ELNS1_11target_archE1201ELNS1_3gpuE5ELNS1_3repE0EEENS1_30default_config_static_selectorELNS0_4arch9wavefront6targetE1EEEvT1_
		.amdhsa_group_segment_fixed_size 0
		.amdhsa_private_segment_fixed_size 0
		.amdhsa_kernarg_size 128
		.amdhsa_user_sgpr_count 6
		.amdhsa_user_sgpr_private_segment_buffer 1
		.amdhsa_user_sgpr_dispatch_ptr 0
		.amdhsa_user_sgpr_queue_ptr 0
		.amdhsa_user_sgpr_kernarg_segment_ptr 1
		.amdhsa_user_sgpr_dispatch_id 0
		.amdhsa_user_sgpr_flat_scratch_init 0
		.amdhsa_user_sgpr_kernarg_preload_length 0
		.amdhsa_user_sgpr_kernarg_preload_offset 0
		.amdhsa_user_sgpr_private_segment_size 0
		.amdhsa_uses_dynamic_stack 0
		.amdhsa_system_sgpr_private_segment_wavefront_offset 0
		.amdhsa_system_sgpr_workgroup_id_x 1
		.amdhsa_system_sgpr_workgroup_id_y 0
		.amdhsa_system_sgpr_workgroup_id_z 0
		.amdhsa_system_sgpr_workgroup_info 0
		.amdhsa_system_vgpr_workitem_id 0
		.amdhsa_next_free_vgpr 1
		.amdhsa_next_free_sgpr 0
		.amdhsa_accum_offset 4
		.amdhsa_reserve_vcc 0
		.amdhsa_reserve_flat_scratch 0
		.amdhsa_float_round_mode_32 0
		.amdhsa_float_round_mode_16_64 0
		.amdhsa_float_denorm_mode_32 3
		.amdhsa_float_denorm_mode_16_64 3
		.amdhsa_dx10_clamp 1
		.amdhsa_ieee_mode 1
		.amdhsa_fp16_overflow 0
		.amdhsa_tg_split 0
		.amdhsa_exception_fp_ieee_invalid_op 0
		.amdhsa_exception_fp_denorm_src 0
		.amdhsa_exception_fp_ieee_div_zero 0
		.amdhsa_exception_fp_ieee_overflow 0
		.amdhsa_exception_fp_ieee_underflow 0
		.amdhsa_exception_fp_ieee_inexact 0
		.amdhsa_exception_int_div_zero 0
	.end_amdhsa_kernel
	.section	.text._ZN7rocprim17ROCPRIM_400000_NS6detail17trampoline_kernelINS0_14default_configENS1_20scan_config_selectorIN3c107complexIdEEEEZZNS1_9scan_implILNS1_25lookback_scan_determinismE0ELb0ELb0ES3_PKS7_PS7_S7_ZZZN2at6native31launch_logcumsumexp_cuda_kernelERKNSE_10TensorBaseESI_lENKUlvE_clEvENKUlvE1_clEvEUlS7_S7_E_S7_EEDaPvRmT3_T4_T5_mT6_P12ihipStream_tbENKUlT_T0_E_clISt17integral_constantIbLb0EESY_IbLb1EEEEDaSU_SV_EUlSU_E_NS1_11comp_targetILNS1_3genE10ELNS1_11target_archE1201ELNS1_3gpuE5ELNS1_3repE0EEENS1_30default_config_static_selectorELNS0_4arch9wavefront6targetE1EEEvT1_,"axG",@progbits,_ZN7rocprim17ROCPRIM_400000_NS6detail17trampoline_kernelINS0_14default_configENS1_20scan_config_selectorIN3c107complexIdEEEEZZNS1_9scan_implILNS1_25lookback_scan_determinismE0ELb0ELb0ES3_PKS7_PS7_S7_ZZZN2at6native31launch_logcumsumexp_cuda_kernelERKNSE_10TensorBaseESI_lENKUlvE_clEvENKUlvE1_clEvEUlS7_S7_E_S7_EEDaPvRmT3_T4_T5_mT6_P12ihipStream_tbENKUlT_T0_E_clISt17integral_constantIbLb0EESY_IbLb1EEEEDaSU_SV_EUlSU_E_NS1_11comp_targetILNS1_3genE10ELNS1_11target_archE1201ELNS1_3gpuE5ELNS1_3repE0EEENS1_30default_config_static_selectorELNS0_4arch9wavefront6targetE1EEEvT1_,comdat
.Lfunc_end246:
	.size	_ZN7rocprim17ROCPRIM_400000_NS6detail17trampoline_kernelINS0_14default_configENS1_20scan_config_selectorIN3c107complexIdEEEEZZNS1_9scan_implILNS1_25lookback_scan_determinismE0ELb0ELb0ES3_PKS7_PS7_S7_ZZZN2at6native31launch_logcumsumexp_cuda_kernelERKNSE_10TensorBaseESI_lENKUlvE_clEvENKUlvE1_clEvEUlS7_S7_E_S7_EEDaPvRmT3_T4_T5_mT6_P12ihipStream_tbENKUlT_T0_E_clISt17integral_constantIbLb0EESY_IbLb1EEEEDaSU_SV_EUlSU_E_NS1_11comp_targetILNS1_3genE10ELNS1_11target_archE1201ELNS1_3gpuE5ELNS1_3repE0EEENS1_30default_config_static_selectorELNS0_4arch9wavefront6targetE1EEEvT1_, .Lfunc_end246-_ZN7rocprim17ROCPRIM_400000_NS6detail17trampoline_kernelINS0_14default_configENS1_20scan_config_selectorIN3c107complexIdEEEEZZNS1_9scan_implILNS1_25lookback_scan_determinismE0ELb0ELb0ES3_PKS7_PS7_S7_ZZZN2at6native31launch_logcumsumexp_cuda_kernelERKNSE_10TensorBaseESI_lENKUlvE_clEvENKUlvE1_clEvEUlS7_S7_E_S7_EEDaPvRmT3_T4_T5_mT6_P12ihipStream_tbENKUlT_T0_E_clISt17integral_constantIbLb0EESY_IbLb1EEEEDaSU_SV_EUlSU_E_NS1_11comp_targetILNS1_3genE10ELNS1_11target_archE1201ELNS1_3gpuE5ELNS1_3repE0EEENS1_30default_config_static_selectorELNS0_4arch9wavefront6targetE1EEEvT1_
                                        ; -- End function
	.section	.AMDGPU.csdata,"",@progbits
; Kernel info:
; codeLenInByte = 0
; NumSgprs: 4
; NumVgprs: 0
; NumAgprs: 0
; TotalNumVgprs: 0
; ScratchSize: 0
; MemoryBound: 0
; FloatMode: 240
; IeeeMode: 1
; LDSByteSize: 0 bytes/workgroup (compile time only)
; SGPRBlocks: 0
; VGPRBlocks: 0
; NumSGPRsForWavesPerEU: 4
; NumVGPRsForWavesPerEU: 1
; AccumOffset: 4
; Occupancy: 8
; WaveLimiterHint : 0
; COMPUTE_PGM_RSRC2:SCRATCH_EN: 0
; COMPUTE_PGM_RSRC2:USER_SGPR: 6
; COMPUTE_PGM_RSRC2:TRAP_HANDLER: 0
; COMPUTE_PGM_RSRC2:TGID_X_EN: 1
; COMPUTE_PGM_RSRC2:TGID_Y_EN: 0
; COMPUTE_PGM_RSRC2:TGID_Z_EN: 0
; COMPUTE_PGM_RSRC2:TIDIG_COMP_CNT: 0
; COMPUTE_PGM_RSRC3_GFX90A:ACCUM_OFFSET: 0
; COMPUTE_PGM_RSRC3_GFX90A:TG_SPLIT: 0
	.section	.text._ZN7rocprim17ROCPRIM_400000_NS6detail17trampoline_kernelINS0_14default_configENS1_20scan_config_selectorIN3c107complexIdEEEEZZNS1_9scan_implILNS1_25lookback_scan_determinismE0ELb0ELb0ES3_PKS7_PS7_S7_ZZZN2at6native31launch_logcumsumexp_cuda_kernelERKNSE_10TensorBaseESI_lENKUlvE_clEvENKUlvE1_clEvEUlS7_S7_E_S7_EEDaPvRmT3_T4_T5_mT6_P12ihipStream_tbENKUlT_T0_E_clISt17integral_constantIbLb0EESY_IbLb1EEEEDaSU_SV_EUlSU_E_NS1_11comp_targetILNS1_3genE10ELNS1_11target_archE1200ELNS1_3gpuE4ELNS1_3repE0EEENS1_30default_config_static_selectorELNS0_4arch9wavefront6targetE1EEEvT1_,"axG",@progbits,_ZN7rocprim17ROCPRIM_400000_NS6detail17trampoline_kernelINS0_14default_configENS1_20scan_config_selectorIN3c107complexIdEEEEZZNS1_9scan_implILNS1_25lookback_scan_determinismE0ELb0ELb0ES3_PKS7_PS7_S7_ZZZN2at6native31launch_logcumsumexp_cuda_kernelERKNSE_10TensorBaseESI_lENKUlvE_clEvENKUlvE1_clEvEUlS7_S7_E_S7_EEDaPvRmT3_T4_T5_mT6_P12ihipStream_tbENKUlT_T0_E_clISt17integral_constantIbLb0EESY_IbLb1EEEEDaSU_SV_EUlSU_E_NS1_11comp_targetILNS1_3genE10ELNS1_11target_archE1200ELNS1_3gpuE4ELNS1_3repE0EEENS1_30default_config_static_selectorELNS0_4arch9wavefront6targetE1EEEvT1_,comdat
	.globl	_ZN7rocprim17ROCPRIM_400000_NS6detail17trampoline_kernelINS0_14default_configENS1_20scan_config_selectorIN3c107complexIdEEEEZZNS1_9scan_implILNS1_25lookback_scan_determinismE0ELb0ELb0ES3_PKS7_PS7_S7_ZZZN2at6native31launch_logcumsumexp_cuda_kernelERKNSE_10TensorBaseESI_lENKUlvE_clEvENKUlvE1_clEvEUlS7_S7_E_S7_EEDaPvRmT3_T4_T5_mT6_P12ihipStream_tbENKUlT_T0_E_clISt17integral_constantIbLb0EESY_IbLb1EEEEDaSU_SV_EUlSU_E_NS1_11comp_targetILNS1_3genE10ELNS1_11target_archE1200ELNS1_3gpuE4ELNS1_3repE0EEENS1_30default_config_static_selectorELNS0_4arch9wavefront6targetE1EEEvT1_ ; -- Begin function _ZN7rocprim17ROCPRIM_400000_NS6detail17trampoline_kernelINS0_14default_configENS1_20scan_config_selectorIN3c107complexIdEEEEZZNS1_9scan_implILNS1_25lookback_scan_determinismE0ELb0ELb0ES3_PKS7_PS7_S7_ZZZN2at6native31launch_logcumsumexp_cuda_kernelERKNSE_10TensorBaseESI_lENKUlvE_clEvENKUlvE1_clEvEUlS7_S7_E_S7_EEDaPvRmT3_T4_T5_mT6_P12ihipStream_tbENKUlT_T0_E_clISt17integral_constantIbLb0EESY_IbLb1EEEEDaSU_SV_EUlSU_E_NS1_11comp_targetILNS1_3genE10ELNS1_11target_archE1200ELNS1_3gpuE4ELNS1_3repE0EEENS1_30default_config_static_selectorELNS0_4arch9wavefront6targetE1EEEvT1_
	.p2align	8
	.type	_ZN7rocprim17ROCPRIM_400000_NS6detail17trampoline_kernelINS0_14default_configENS1_20scan_config_selectorIN3c107complexIdEEEEZZNS1_9scan_implILNS1_25lookback_scan_determinismE0ELb0ELb0ES3_PKS7_PS7_S7_ZZZN2at6native31launch_logcumsumexp_cuda_kernelERKNSE_10TensorBaseESI_lENKUlvE_clEvENKUlvE1_clEvEUlS7_S7_E_S7_EEDaPvRmT3_T4_T5_mT6_P12ihipStream_tbENKUlT_T0_E_clISt17integral_constantIbLb0EESY_IbLb1EEEEDaSU_SV_EUlSU_E_NS1_11comp_targetILNS1_3genE10ELNS1_11target_archE1200ELNS1_3gpuE4ELNS1_3repE0EEENS1_30default_config_static_selectorELNS0_4arch9wavefront6targetE1EEEvT1_,@function
_ZN7rocprim17ROCPRIM_400000_NS6detail17trampoline_kernelINS0_14default_configENS1_20scan_config_selectorIN3c107complexIdEEEEZZNS1_9scan_implILNS1_25lookback_scan_determinismE0ELb0ELb0ES3_PKS7_PS7_S7_ZZZN2at6native31launch_logcumsumexp_cuda_kernelERKNSE_10TensorBaseESI_lENKUlvE_clEvENKUlvE1_clEvEUlS7_S7_E_S7_EEDaPvRmT3_T4_T5_mT6_P12ihipStream_tbENKUlT_T0_E_clISt17integral_constantIbLb0EESY_IbLb1EEEEDaSU_SV_EUlSU_E_NS1_11comp_targetILNS1_3genE10ELNS1_11target_archE1200ELNS1_3gpuE4ELNS1_3repE0EEENS1_30default_config_static_selectorELNS0_4arch9wavefront6targetE1EEEvT1_: ; @_ZN7rocprim17ROCPRIM_400000_NS6detail17trampoline_kernelINS0_14default_configENS1_20scan_config_selectorIN3c107complexIdEEEEZZNS1_9scan_implILNS1_25lookback_scan_determinismE0ELb0ELb0ES3_PKS7_PS7_S7_ZZZN2at6native31launch_logcumsumexp_cuda_kernelERKNSE_10TensorBaseESI_lENKUlvE_clEvENKUlvE1_clEvEUlS7_S7_E_S7_EEDaPvRmT3_T4_T5_mT6_P12ihipStream_tbENKUlT_T0_E_clISt17integral_constantIbLb0EESY_IbLb1EEEEDaSU_SV_EUlSU_E_NS1_11comp_targetILNS1_3genE10ELNS1_11target_archE1200ELNS1_3gpuE4ELNS1_3repE0EEENS1_30default_config_static_selectorELNS0_4arch9wavefront6targetE1EEEvT1_
; %bb.0:
	.section	.rodata,"a",@progbits
	.p2align	6, 0x0
	.amdhsa_kernel _ZN7rocprim17ROCPRIM_400000_NS6detail17trampoline_kernelINS0_14default_configENS1_20scan_config_selectorIN3c107complexIdEEEEZZNS1_9scan_implILNS1_25lookback_scan_determinismE0ELb0ELb0ES3_PKS7_PS7_S7_ZZZN2at6native31launch_logcumsumexp_cuda_kernelERKNSE_10TensorBaseESI_lENKUlvE_clEvENKUlvE1_clEvEUlS7_S7_E_S7_EEDaPvRmT3_T4_T5_mT6_P12ihipStream_tbENKUlT_T0_E_clISt17integral_constantIbLb0EESY_IbLb1EEEEDaSU_SV_EUlSU_E_NS1_11comp_targetILNS1_3genE10ELNS1_11target_archE1200ELNS1_3gpuE4ELNS1_3repE0EEENS1_30default_config_static_selectorELNS0_4arch9wavefront6targetE1EEEvT1_
		.amdhsa_group_segment_fixed_size 0
		.amdhsa_private_segment_fixed_size 0
		.amdhsa_kernarg_size 128
		.amdhsa_user_sgpr_count 6
		.amdhsa_user_sgpr_private_segment_buffer 1
		.amdhsa_user_sgpr_dispatch_ptr 0
		.amdhsa_user_sgpr_queue_ptr 0
		.amdhsa_user_sgpr_kernarg_segment_ptr 1
		.amdhsa_user_sgpr_dispatch_id 0
		.amdhsa_user_sgpr_flat_scratch_init 0
		.amdhsa_user_sgpr_kernarg_preload_length 0
		.amdhsa_user_sgpr_kernarg_preload_offset 0
		.amdhsa_user_sgpr_private_segment_size 0
		.amdhsa_uses_dynamic_stack 0
		.amdhsa_system_sgpr_private_segment_wavefront_offset 0
		.amdhsa_system_sgpr_workgroup_id_x 1
		.amdhsa_system_sgpr_workgroup_id_y 0
		.amdhsa_system_sgpr_workgroup_id_z 0
		.amdhsa_system_sgpr_workgroup_info 0
		.amdhsa_system_vgpr_workitem_id 0
		.amdhsa_next_free_vgpr 1
		.amdhsa_next_free_sgpr 0
		.amdhsa_accum_offset 4
		.amdhsa_reserve_vcc 0
		.amdhsa_reserve_flat_scratch 0
		.amdhsa_float_round_mode_32 0
		.amdhsa_float_round_mode_16_64 0
		.amdhsa_float_denorm_mode_32 3
		.amdhsa_float_denorm_mode_16_64 3
		.amdhsa_dx10_clamp 1
		.amdhsa_ieee_mode 1
		.amdhsa_fp16_overflow 0
		.amdhsa_tg_split 0
		.amdhsa_exception_fp_ieee_invalid_op 0
		.amdhsa_exception_fp_denorm_src 0
		.amdhsa_exception_fp_ieee_div_zero 0
		.amdhsa_exception_fp_ieee_overflow 0
		.amdhsa_exception_fp_ieee_underflow 0
		.amdhsa_exception_fp_ieee_inexact 0
		.amdhsa_exception_int_div_zero 0
	.end_amdhsa_kernel
	.section	.text._ZN7rocprim17ROCPRIM_400000_NS6detail17trampoline_kernelINS0_14default_configENS1_20scan_config_selectorIN3c107complexIdEEEEZZNS1_9scan_implILNS1_25lookback_scan_determinismE0ELb0ELb0ES3_PKS7_PS7_S7_ZZZN2at6native31launch_logcumsumexp_cuda_kernelERKNSE_10TensorBaseESI_lENKUlvE_clEvENKUlvE1_clEvEUlS7_S7_E_S7_EEDaPvRmT3_T4_T5_mT6_P12ihipStream_tbENKUlT_T0_E_clISt17integral_constantIbLb0EESY_IbLb1EEEEDaSU_SV_EUlSU_E_NS1_11comp_targetILNS1_3genE10ELNS1_11target_archE1200ELNS1_3gpuE4ELNS1_3repE0EEENS1_30default_config_static_selectorELNS0_4arch9wavefront6targetE1EEEvT1_,"axG",@progbits,_ZN7rocprim17ROCPRIM_400000_NS6detail17trampoline_kernelINS0_14default_configENS1_20scan_config_selectorIN3c107complexIdEEEEZZNS1_9scan_implILNS1_25lookback_scan_determinismE0ELb0ELb0ES3_PKS7_PS7_S7_ZZZN2at6native31launch_logcumsumexp_cuda_kernelERKNSE_10TensorBaseESI_lENKUlvE_clEvENKUlvE1_clEvEUlS7_S7_E_S7_EEDaPvRmT3_T4_T5_mT6_P12ihipStream_tbENKUlT_T0_E_clISt17integral_constantIbLb0EESY_IbLb1EEEEDaSU_SV_EUlSU_E_NS1_11comp_targetILNS1_3genE10ELNS1_11target_archE1200ELNS1_3gpuE4ELNS1_3repE0EEENS1_30default_config_static_selectorELNS0_4arch9wavefront6targetE1EEEvT1_,comdat
.Lfunc_end247:
	.size	_ZN7rocprim17ROCPRIM_400000_NS6detail17trampoline_kernelINS0_14default_configENS1_20scan_config_selectorIN3c107complexIdEEEEZZNS1_9scan_implILNS1_25lookback_scan_determinismE0ELb0ELb0ES3_PKS7_PS7_S7_ZZZN2at6native31launch_logcumsumexp_cuda_kernelERKNSE_10TensorBaseESI_lENKUlvE_clEvENKUlvE1_clEvEUlS7_S7_E_S7_EEDaPvRmT3_T4_T5_mT6_P12ihipStream_tbENKUlT_T0_E_clISt17integral_constantIbLb0EESY_IbLb1EEEEDaSU_SV_EUlSU_E_NS1_11comp_targetILNS1_3genE10ELNS1_11target_archE1200ELNS1_3gpuE4ELNS1_3repE0EEENS1_30default_config_static_selectorELNS0_4arch9wavefront6targetE1EEEvT1_, .Lfunc_end247-_ZN7rocprim17ROCPRIM_400000_NS6detail17trampoline_kernelINS0_14default_configENS1_20scan_config_selectorIN3c107complexIdEEEEZZNS1_9scan_implILNS1_25lookback_scan_determinismE0ELb0ELb0ES3_PKS7_PS7_S7_ZZZN2at6native31launch_logcumsumexp_cuda_kernelERKNSE_10TensorBaseESI_lENKUlvE_clEvENKUlvE1_clEvEUlS7_S7_E_S7_EEDaPvRmT3_T4_T5_mT6_P12ihipStream_tbENKUlT_T0_E_clISt17integral_constantIbLb0EESY_IbLb1EEEEDaSU_SV_EUlSU_E_NS1_11comp_targetILNS1_3genE10ELNS1_11target_archE1200ELNS1_3gpuE4ELNS1_3repE0EEENS1_30default_config_static_selectorELNS0_4arch9wavefront6targetE1EEEvT1_
                                        ; -- End function
	.section	.AMDGPU.csdata,"",@progbits
; Kernel info:
; codeLenInByte = 0
; NumSgprs: 4
; NumVgprs: 0
; NumAgprs: 0
; TotalNumVgprs: 0
; ScratchSize: 0
; MemoryBound: 0
; FloatMode: 240
; IeeeMode: 1
; LDSByteSize: 0 bytes/workgroup (compile time only)
; SGPRBlocks: 0
; VGPRBlocks: 0
; NumSGPRsForWavesPerEU: 4
; NumVGPRsForWavesPerEU: 1
; AccumOffset: 4
; Occupancy: 8
; WaveLimiterHint : 0
; COMPUTE_PGM_RSRC2:SCRATCH_EN: 0
; COMPUTE_PGM_RSRC2:USER_SGPR: 6
; COMPUTE_PGM_RSRC2:TRAP_HANDLER: 0
; COMPUTE_PGM_RSRC2:TGID_X_EN: 1
; COMPUTE_PGM_RSRC2:TGID_Y_EN: 0
; COMPUTE_PGM_RSRC2:TGID_Z_EN: 0
; COMPUTE_PGM_RSRC2:TIDIG_COMP_CNT: 0
; COMPUTE_PGM_RSRC3_GFX90A:ACCUM_OFFSET: 0
; COMPUTE_PGM_RSRC3_GFX90A:TG_SPLIT: 0
	.section	.text._ZN7rocprim17ROCPRIM_400000_NS6detail17trampoline_kernelINS0_14default_configENS1_20scan_config_selectorIN3c107complexIdEEEEZZNS1_9scan_implILNS1_25lookback_scan_determinismE0ELb0ELb0ES3_PKS7_PS7_S7_ZZZN2at6native31launch_logcumsumexp_cuda_kernelERKNSE_10TensorBaseESI_lENKUlvE_clEvENKUlvE1_clEvEUlS7_S7_E_S7_EEDaPvRmT3_T4_T5_mT6_P12ihipStream_tbENKUlT_T0_E_clISt17integral_constantIbLb0EESY_IbLb1EEEEDaSU_SV_EUlSU_E_NS1_11comp_targetILNS1_3genE9ELNS1_11target_archE1100ELNS1_3gpuE3ELNS1_3repE0EEENS1_30default_config_static_selectorELNS0_4arch9wavefront6targetE1EEEvT1_,"axG",@progbits,_ZN7rocprim17ROCPRIM_400000_NS6detail17trampoline_kernelINS0_14default_configENS1_20scan_config_selectorIN3c107complexIdEEEEZZNS1_9scan_implILNS1_25lookback_scan_determinismE0ELb0ELb0ES3_PKS7_PS7_S7_ZZZN2at6native31launch_logcumsumexp_cuda_kernelERKNSE_10TensorBaseESI_lENKUlvE_clEvENKUlvE1_clEvEUlS7_S7_E_S7_EEDaPvRmT3_T4_T5_mT6_P12ihipStream_tbENKUlT_T0_E_clISt17integral_constantIbLb0EESY_IbLb1EEEEDaSU_SV_EUlSU_E_NS1_11comp_targetILNS1_3genE9ELNS1_11target_archE1100ELNS1_3gpuE3ELNS1_3repE0EEENS1_30default_config_static_selectorELNS0_4arch9wavefront6targetE1EEEvT1_,comdat
	.globl	_ZN7rocprim17ROCPRIM_400000_NS6detail17trampoline_kernelINS0_14default_configENS1_20scan_config_selectorIN3c107complexIdEEEEZZNS1_9scan_implILNS1_25lookback_scan_determinismE0ELb0ELb0ES3_PKS7_PS7_S7_ZZZN2at6native31launch_logcumsumexp_cuda_kernelERKNSE_10TensorBaseESI_lENKUlvE_clEvENKUlvE1_clEvEUlS7_S7_E_S7_EEDaPvRmT3_T4_T5_mT6_P12ihipStream_tbENKUlT_T0_E_clISt17integral_constantIbLb0EESY_IbLb1EEEEDaSU_SV_EUlSU_E_NS1_11comp_targetILNS1_3genE9ELNS1_11target_archE1100ELNS1_3gpuE3ELNS1_3repE0EEENS1_30default_config_static_selectorELNS0_4arch9wavefront6targetE1EEEvT1_ ; -- Begin function _ZN7rocprim17ROCPRIM_400000_NS6detail17trampoline_kernelINS0_14default_configENS1_20scan_config_selectorIN3c107complexIdEEEEZZNS1_9scan_implILNS1_25lookback_scan_determinismE0ELb0ELb0ES3_PKS7_PS7_S7_ZZZN2at6native31launch_logcumsumexp_cuda_kernelERKNSE_10TensorBaseESI_lENKUlvE_clEvENKUlvE1_clEvEUlS7_S7_E_S7_EEDaPvRmT3_T4_T5_mT6_P12ihipStream_tbENKUlT_T0_E_clISt17integral_constantIbLb0EESY_IbLb1EEEEDaSU_SV_EUlSU_E_NS1_11comp_targetILNS1_3genE9ELNS1_11target_archE1100ELNS1_3gpuE3ELNS1_3repE0EEENS1_30default_config_static_selectorELNS0_4arch9wavefront6targetE1EEEvT1_
	.p2align	8
	.type	_ZN7rocprim17ROCPRIM_400000_NS6detail17trampoline_kernelINS0_14default_configENS1_20scan_config_selectorIN3c107complexIdEEEEZZNS1_9scan_implILNS1_25lookback_scan_determinismE0ELb0ELb0ES3_PKS7_PS7_S7_ZZZN2at6native31launch_logcumsumexp_cuda_kernelERKNSE_10TensorBaseESI_lENKUlvE_clEvENKUlvE1_clEvEUlS7_S7_E_S7_EEDaPvRmT3_T4_T5_mT6_P12ihipStream_tbENKUlT_T0_E_clISt17integral_constantIbLb0EESY_IbLb1EEEEDaSU_SV_EUlSU_E_NS1_11comp_targetILNS1_3genE9ELNS1_11target_archE1100ELNS1_3gpuE3ELNS1_3repE0EEENS1_30default_config_static_selectorELNS0_4arch9wavefront6targetE1EEEvT1_,@function
_ZN7rocprim17ROCPRIM_400000_NS6detail17trampoline_kernelINS0_14default_configENS1_20scan_config_selectorIN3c107complexIdEEEEZZNS1_9scan_implILNS1_25lookback_scan_determinismE0ELb0ELb0ES3_PKS7_PS7_S7_ZZZN2at6native31launch_logcumsumexp_cuda_kernelERKNSE_10TensorBaseESI_lENKUlvE_clEvENKUlvE1_clEvEUlS7_S7_E_S7_EEDaPvRmT3_T4_T5_mT6_P12ihipStream_tbENKUlT_T0_E_clISt17integral_constantIbLb0EESY_IbLb1EEEEDaSU_SV_EUlSU_E_NS1_11comp_targetILNS1_3genE9ELNS1_11target_archE1100ELNS1_3gpuE3ELNS1_3repE0EEENS1_30default_config_static_selectorELNS0_4arch9wavefront6targetE1EEEvT1_: ; @_ZN7rocprim17ROCPRIM_400000_NS6detail17trampoline_kernelINS0_14default_configENS1_20scan_config_selectorIN3c107complexIdEEEEZZNS1_9scan_implILNS1_25lookback_scan_determinismE0ELb0ELb0ES3_PKS7_PS7_S7_ZZZN2at6native31launch_logcumsumexp_cuda_kernelERKNSE_10TensorBaseESI_lENKUlvE_clEvENKUlvE1_clEvEUlS7_S7_E_S7_EEDaPvRmT3_T4_T5_mT6_P12ihipStream_tbENKUlT_T0_E_clISt17integral_constantIbLb0EESY_IbLb1EEEEDaSU_SV_EUlSU_E_NS1_11comp_targetILNS1_3genE9ELNS1_11target_archE1100ELNS1_3gpuE3ELNS1_3repE0EEENS1_30default_config_static_selectorELNS0_4arch9wavefront6targetE1EEEvT1_
; %bb.0:
	.section	.rodata,"a",@progbits
	.p2align	6, 0x0
	.amdhsa_kernel _ZN7rocprim17ROCPRIM_400000_NS6detail17trampoline_kernelINS0_14default_configENS1_20scan_config_selectorIN3c107complexIdEEEEZZNS1_9scan_implILNS1_25lookback_scan_determinismE0ELb0ELb0ES3_PKS7_PS7_S7_ZZZN2at6native31launch_logcumsumexp_cuda_kernelERKNSE_10TensorBaseESI_lENKUlvE_clEvENKUlvE1_clEvEUlS7_S7_E_S7_EEDaPvRmT3_T4_T5_mT6_P12ihipStream_tbENKUlT_T0_E_clISt17integral_constantIbLb0EESY_IbLb1EEEEDaSU_SV_EUlSU_E_NS1_11comp_targetILNS1_3genE9ELNS1_11target_archE1100ELNS1_3gpuE3ELNS1_3repE0EEENS1_30default_config_static_selectorELNS0_4arch9wavefront6targetE1EEEvT1_
		.amdhsa_group_segment_fixed_size 0
		.amdhsa_private_segment_fixed_size 0
		.amdhsa_kernarg_size 128
		.amdhsa_user_sgpr_count 6
		.amdhsa_user_sgpr_private_segment_buffer 1
		.amdhsa_user_sgpr_dispatch_ptr 0
		.amdhsa_user_sgpr_queue_ptr 0
		.amdhsa_user_sgpr_kernarg_segment_ptr 1
		.amdhsa_user_sgpr_dispatch_id 0
		.amdhsa_user_sgpr_flat_scratch_init 0
		.amdhsa_user_sgpr_kernarg_preload_length 0
		.amdhsa_user_sgpr_kernarg_preload_offset 0
		.amdhsa_user_sgpr_private_segment_size 0
		.amdhsa_uses_dynamic_stack 0
		.amdhsa_system_sgpr_private_segment_wavefront_offset 0
		.amdhsa_system_sgpr_workgroup_id_x 1
		.amdhsa_system_sgpr_workgroup_id_y 0
		.amdhsa_system_sgpr_workgroup_id_z 0
		.amdhsa_system_sgpr_workgroup_info 0
		.amdhsa_system_vgpr_workitem_id 0
		.amdhsa_next_free_vgpr 1
		.amdhsa_next_free_sgpr 0
		.amdhsa_accum_offset 4
		.amdhsa_reserve_vcc 0
		.amdhsa_reserve_flat_scratch 0
		.amdhsa_float_round_mode_32 0
		.amdhsa_float_round_mode_16_64 0
		.amdhsa_float_denorm_mode_32 3
		.amdhsa_float_denorm_mode_16_64 3
		.amdhsa_dx10_clamp 1
		.amdhsa_ieee_mode 1
		.amdhsa_fp16_overflow 0
		.amdhsa_tg_split 0
		.amdhsa_exception_fp_ieee_invalid_op 0
		.amdhsa_exception_fp_denorm_src 0
		.amdhsa_exception_fp_ieee_div_zero 0
		.amdhsa_exception_fp_ieee_overflow 0
		.amdhsa_exception_fp_ieee_underflow 0
		.amdhsa_exception_fp_ieee_inexact 0
		.amdhsa_exception_int_div_zero 0
	.end_amdhsa_kernel
	.section	.text._ZN7rocprim17ROCPRIM_400000_NS6detail17trampoline_kernelINS0_14default_configENS1_20scan_config_selectorIN3c107complexIdEEEEZZNS1_9scan_implILNS1_25lookback_scan_determinismE0ELb0ELb0ES3_PKS7_PS7_S7_ZZZN2at6native31launch_logcumsumexp_cuda_kernelERKNSE_10TensorBaseESI_lENKUlvE_clEvENKUlvE1_clEvEUlS7_S7_E_S7_EEDaPvRmT3_T4_T5_mT6_P12ihipStream_tbENKUlT_T0_E_clISt17integral_constantIbLb0EESY_IbLb1EEEEDaSU_SV_EUlSU_E_NS1_11comp_targetILNS1_3genE9ELNS1_11target_archE1100ELNS1_3gpuE3ELNS1_3repE0EEENS1_30default_config_static_selectorELNS0_4arch9wavefront6targetE1EEEvT1_,"axG",@progbits,_ZN7rocprim17ROCPRIM_400000_NS6detail17trampoline_kernelINS0_14default_configENS1_20scan_config_selectorIN3c107complexIdEEEEZZNS1_9scan_implILNS1_25lookback_scan_determinismE0ELb0ELb0ES3_PKS7_PS7_S7_ZZZN2at6native31launch_logcumsumexp_cuda_kernelERKNSE_10TensorBaseESI_lENKUlvE_clEvENKUlvE1_clEvEUlS7_S7_E_S7_EEDaPvRmT3_T4_T5_mT6_P12ihipStream_tbENKUlT_T0_E_clISt17integral_constantIbLb0EESY_IbLb1EEEEDaSU_SV_EUlSU_E_NS1_11comp_targetILNS1_3genE9ELNS1_11target_archE1100ELNS1_3gpuE3ELNS1_3repE0EEENS1_30default_config_static_selectorELNS0_4arch9wavefront6targetE1EEEvT1_,comdat
.Lfunc_end248:
	.size	_ZN7rocprim17ROCPRIM_400000_NS6detail17trampoline_kernelINS0_14default_configENS1_20scan_config_selectorIN3c107complexIdEEEEZZNS1_9scan_implILNS1_25lookback_scan_determinismE0ELb0ELb0ES3_PKS7_PS7_S7_ZZZN2at6native31launch_logcumsumexp_cuda_kernelERKNSE_10TensorBaseESI_lENKUlvE_clEvENKUlvE1_clEvEUlS7_S7_E_S7_EEDaPvRmT3_T4_T5_mT6_P12ihipStream_tbENKUlT_T0_E_clISt17integral_constantIbLb0EESY_IbLb1EEEEDaSU_SV_EUlSU_E_NS1_11comp_targetILNS1_3genE9ELNS1_11target_archE1100ELNS1_3gpuE3ELNS1_3repE0EEENS1_30default_config_static_selectorELNS0_4arch9wavefront6targetE1EEEvT1_, .Lfunc_end248-_ZN7rocprim17ROCPRIM_400000_NS6detail17trampoline_kernelINS0_14default_configENS1_20scan_config_selectorIN3c107complexIdEEEEZZNS1_9scan_implILNS1_25lookback_scan_determinismE0ELb0ELb0ES3_PKS7_PS7_S7_ZZZN2at6native31launch_logcumsumexp_cuda_kernelERKNSE_10TensorBaseESI_lENKUlvE_clEvENKUlvE1_clEvEUlS7_S7_E_S7_EEDaPvRmT3_T4_T5_mT6_P12ihipStream_tbENKUlT_T0_E_clISt17integral_constantIbLb0EESY_IbLb1EEEEDaSU_SV_EUlSU_E_NS1_11comp_targetILNS1_3genE9ELNS1_11target_archE1100ELNS1_3gpuE3ELNS1_3repE0EEENS1_30default_config_static_selectorELNS0_4arch9wavefront6targetE1EEEvT1_
                                        ; -- End function
	.section	.AMDGPU.csdata,"",@progbits
; Kernel info:
; codeLenInByte = 0
; NumSgprs: 4
; NumVgprs: 0
; NumAgprs: 0
; TotalNumVgprs: 0
; ScratchSize: 0
; MemoryBound: 0
; FloatMode: 240
; IeeeMode: 1
; LDSByteSize: 0 bytes/workgroup (compile time only)
; SGPRBlocks: 0
; VGPRBlocks: 0
; NumSGPRsForWavesPerEU: 4
; NumVGPRsForWavesPerEU: 1
; AccumOffset: 4
; Occupancy: 8
; WaveLimiterHint : 0
; COMPUTE_PGM_RSRC2:SCRATCH_EN: 0
; COMPUTE_PGM_RSRC2:USER_SGPR: 6
; COMPUTE_PGM_RSRC2:TRAP_HANDLER: 0
; COMPUTE_PGM_RSRC2:TGID_X_EN: 1
; COMPUTE_PGM_RSRC2:TGID_Y_EN: 0
; COMPUTE_PGM_RSRC2:TGID_Z_EN: 0
; COMPUTE_PGM_RSRC2:TIDIG_COMP_CNT: 0
; COMPUTE_PGM_RSRC3_GFX90A:ACCUM_OFFSET: 0
; COMPUTE_PGM_RSRC3_GFX90A:TG_SPLIT: 0
	.section	.text._ZN7rocprim17ROCPRIM_400000_NS6detail17trampoline_kernelINS0_14default_configENS1_20scan_config_selectorIN3c107complexIdEEEEZZNS1_9scan_implILNS1_25lookback_scan_determinismE0ELb0ELb0ES3_PKS7_PS7_S7_ZZZN2at6native31launch_logcumsumexp_cuda_kernelERKNSE_10TensorBaseESI_lENKUlvE_clEvENKUlvE1_clEvEUlS7_S7_E_S7_EEDaPvRmT3_T4_T5_mT6_P12ihipStream_tbENKUlT_T0_E_clISt17integral_constantIbLb0EESY_IbLb1EEEEDaSU_SV_EUlSU_E_NS1_11comp_targetILNS1_3genE8ELNS1_11target_archE1030ELNS1_3gpuE2ELNS1_3repE0EEENS1_30default_config_static_selectorELNS0_4arch9wavefront6targetE1EEEvT1_,"axG",@progbits,_ZN7rocprim17ROCPRIM_400000_NS6detail17trampoline_kernelINS0_14default_configENS1_20scan_config_selectorIN3c107complexIdEEEEZZNS1_9scan_implILNS1_25lookback_scan_determinismE0ELb0ELb0ES3_PKS7_PS7_S7_ZZZN2at6native31launch_logcumsumexp_cuda_kernelERKNSE_10TensorBaseESI_lENKUlvE_clEvENKUlvE1_clEvEUlS7_S7_E_S7_EEDaPvRmT3_T4_T5_mT6_P12ihipStream_tbENKUlT_T0_E_clISt17integral_constantIbLb0EESY_IbLb1EEEEDaSU_SV_EUlSU_E_NS1_11comp_targetILNS1_3genE8ELNS1_11target_archE1030ELNS1_3gpuE2ELNS1_3repE0EEENS1_30default_config_static_selectorELNS0_4arch9wavefront6targetE1EEEvT1_,comdat
	.globl	_ZN7rocprim17ROCPRIM_400000_NS6detail17trampoline_kernelINS0_14default_configENS1_20scan_config_selectorIN3c107complexIdEEEEZZNS1_9scan_implILNS1_25lookback_scan_determinismE0ELb0ELb0ES3_PKS7_PS7_S7_ZZZN2at6native31launch_logcumsumexp_cuda_kernelERKNSE_10TensorBaseESI_lENKUlvE_clEvENKUlvE1_clEvEUlS7_S7_E_S7_EEDaPvRmT3_T4_T5_mT6_P12ihipStream_tbENKUlT_T0_E_clISt17integral_constantIbLb0EESY_IbLb1EEEEDaSU_SV_EUlSU_E_NS1_11comp_targetILNS1_3genE8ELNS1_11target_archE1030ELNS1_3gpuE2ELNS1_3repE0EEENS1_30default_config_static_selectorELNS0_4arch9wavefront6targetE1EEEvT1_ ; -- Begin function _ZN7rocprim17ROCPRIM_400000_NS6detail17trampoline_kernelINS0_14default_configENS1_20scan_config_selectorIN3c107complexIdEEEEZZNS1_9scan_implILNS1_25lookback_scan_determinismE0ELb0ELb0ES3_PKS7_PS7_S7_ZZZN2at6native31launch_logcumsumexp_cuda_kernelERKNSE_10TensorBaseESI_lENKUlvE_clEvENKUlvE1_clEvEUlS7_S7_E_S7_EEDaPvRmT3_T4_T5_mT6_P12ihipStream_tbENKUlT_T0_E_clISt17integral_constantIbLb0EESY_IbLb1EEEEDaSU_SV_EUlSU_E_NS1_11comp_targetILNS1_3genE8ELNS1_11target_archE1030ELNS1_3gpuE2ELNS1_3repE0EEENS1_30default_config_static_selectorELNS0_4arch9wavefront6targetE1EEEvT1_
	.p2align	8
	.type	_ZN7rocprim17ROCPRIM_400000_NS6detail17trampoline_kernelINS0_14default_configENS1_20scan_config_selectorIN3c107complexIdEEEEZZNS1_9scan_implILNS1_25lookback_scan_determinismE0ELb0ELb0ES3_PKS7_PS7_S7_ZZZN2at6native31launch_logcumsumexp_cuda_kernelERKNSE_10TensorBaseESI_lENKUlvE_clEvENKUlvE1_clEvEUlS7_S7_E_S7_EEDaPvRmT3_T4_T5_mT6_P12ihipStream_tbENKUlT_T0_E_clISt17integral_constantIbLb0EESY_IbLb1EEEEDaSU_SV_EUlSU_E_NS1_11comp_targetILNS1_3genE8ELNS1_11target_archE1030ELNS1_3gpuE2ELNS1_3repE0EEENS1_30default_config_static_selectorELNS0_4arch9wavefront6targetE1EEEvT1_,@function
_ZN7rocprim17ROCPRIM_400000_NS6detail17trampoline_kernelINS0_14default_configENS1_20scan_config_selectorIN3c107complexIdEEEEZZNS1_9scan_implILNS1_25lookback_scan_determinismE0ELb0ELb0ES3_PKS7_PS7_S7_ZZZN2at6native31launch_logcumsumexp_cuda_kernelERKNSE_10TensorBaseESI_lENKUlvE_clEvENKUlvE1_clEvEUlS7_S7_E_S7_EEDaPvRmT3_T4_T5_mT6_P12ihipStream_tbENKUlT_T0_E_clISt17integral_constantIbLb0EESY_IbLb1EEEEDaSU_SV_EUlSU_E_NS1_11comp_targetILNS1_3genE8ELNS1_11target_archE1030ELNS1_3gpuE2ELNS1_3repE0EEENS1_30default_config_static_selectorELNS0_4arch9wavefront6targetE1EEEvT1_: ; @_ZN7rocprim17ROCPRIM_400000_NS6detail17trampoline_kernelINS0_14default_configENS1_20scan_config_selectorIN3c107complexIdEEEEZZNS1_9scan_implILNS1_25lookback_scan_determinismE0ELb0ELb0ES3_PKS7_PS7_S7_ZZZN2at6native31launch_logcumsumexp_cuda_kernelERKNSE_10TensorBaseESI_lENKUlvE_clEvENKUlvE1_clEvEUlS7_S7_E_S7_EEDaPvRmT3_T4_T5_mT6_P12ihipStream_tbENKUlT_T0_E_clISt17integral_constantIbLb0EESY_IbLb1EEEEDaSU_SV_EUlSU_E_NS1_11comp_targetILNS1_3genE8ELNS1_11target_archE1030ELNS1_3gpuE2ELNS1_3repE0EEENS1_30default_config_static_selectorELNS0_4arch9wavefront6targetE1EEEvT1_
; %bb.0:
	.section	.rodata,"a",@progbits
	.p2align	6, 0x0
	.amdhsa_kernel _ZN7rocprim17ROCPRIM_400000_NS6detail17trampoline_kernelINS0_14default_configENS1_20scan_config_selectorIN3c107complexIdEEEEZZNS1_9scan_implILNS1_25lookback_scan_determinismE0ELb0ELb0ES3_PKS7_PS7_S7_ZZZN2at6native31launch_logcumsumexp_cuda_kernelERKNSE_10TensorBaseESI_lENKUlvE_clEvENKUlvE1_clEvEUlS7_S7_E_S7_EEDaPvRmT3_T4_T5_mT6_P12ihipStream_tbENKUlT_T0_E_clISt17integral_constantIbLb0EESY_IbLb1EEEEDaSU_SV_EUlSU_E_NS1_11comp_targetILNS1_3genE8ELNS1_11target_archE1030ELNS1_3gpuE2ELNS1_3repE0EEENS1_30default_config_static_selectorELNS0_4arch9wavefront6targetE1EEEvT1_
		.amdhsa_group_segment_fixed_size 0
		.amdhsa_private_segment_fixed_size 0
		.amdhsa_kernarg_size 128
		.amdhsa_user_sgpr_count 6
		.amdhsa_user_sgpr_private_segment_buffer 1
		.amdhsa_user_sgpr_dispatch_ptr 0
		.amdhsa_user_sgpr_queue_ptr 0
		.amdhsa_user_sgpr_kernarg_segment_ptr 1
		.amdhsa_user_sgpr_dispatch_id 0
		.amdhsa_user_sgpr_flat_scratch_init 0
		.amdhsa_user_sgpr_kernarg_preload_length 0
		.amdhsa_user_sgpr_kernarg_preload_offset 0
		.amdhsa_user_sgpr_private_segment_size 0
		.amdhsa_uses_dynamic_stack 0
		.amdhsa_system_sgpr_private_segment_wavefront_offset 0
		.amdhsa_system_sgpr_workgroup_id_x 1
		.amdhsa_system_sgpr_workgroup_id_y 0
		.amdhsa_system_sgpr_workgroup_id_z 0
		.amdhsa_system_sgpr_workgroup_info 0
		.amdhsa_system_vgpr_workitem_id 0
		.amdhsa_next_free_vgpr 1
		.amdhsa_next_free_sgpr 0
		.amdhsa_accum_offset 4
		.amdhsa_reserve_vcc 0
		.amdhsa_reserve_flat_scratch 0
		.amdhsa_float_round_mode_32 0
		.amdhsa_float_round_mode_16_64 0
		.amdhsa_float_denorm_mode_32 3
		.amdhsa_float_denorm_mode_16_64 3
		.amdhsa_dx10_clamp 1
		.amdhsa_ieee_mode 1
		.amdhsa_fp16_overflow 0
		.amdhsa_tg_split 0
		.amdhsa_exception_fp_ieee_invalid_op 0
		.amdhsa_exception_fp_denorm_src 0
		.amdhsa_exception_fp_ieee_div_zero 0
		.amdhsa_exception_fp_ieee_overflow 0
		.amdhsa_exception_fp_ieee_underflow 0
		.amdhsa_exception_fp_ieee_inexact 0
		.amdhsa_exception_int_div_zero 0
	.end_amdhsa_kernel
	.section	.text._ZN7rocprim17ROCPRIM_400000_NS6detail17trampoline_kernelINS0_14default_configENS1_20scan_config_selectorIN3c107complexIdEEEEZZNS1_9scan_implILNS1_25lookback_scan_determinismE0ELb0ELb0ES3_PKS7_PS7_S7_ZZZN2at6native31launch_logcumsumexp_cuda_kernelERKNSE_10TensorBaseESI_lENKUlvE_clEvENKUlvE1_clEvEUlS7_S7_E_S7_EEDaPvRmT3_T4_T5_mT6_P12ihipStream_tbENKUlT_T0_E_clISt17integral_constantIbLb0EESY_IbLb1EEEEDaSU_SV_EUlSU_E_NS1_11comp_targetILNS1_3genE8ELNS1_11target_archE1030ELNS1_3gpuE2ELNS1_3repE0EEENS1_30default_config_static_selectorELNS0_4arch9wavefront6targetE1EEEvT1_,"axG",@progbits,_ZN7rocprim17ROCPRIM_400000_NS6detail17trampoline_kernelINS0_14default_configENS1_20scan_config_selectorIN3c107complexIdEEEEZZNS1_9scan_implILNS1_25lookback_scan_determinismE0ELb0ELb0ES3_PKS7_PS7_S7_ZZZN2at6native31launch_logcumsumexp_cuda_kernelERKNSE_10TensorBaseESI_lENKUlvE_clEvENKUlvE1_clEvEUlS7_S7_E_S7_EEDaPvRmT3_T4_T5_mT6_P12ihipStream_tbENKUlT_T0_E_clISt17integral_constantIbLb0EESY_IbLb1EEEEDaSU_SV_EUlSU_E_NS1_11comp_targetILNS1_3genE8ELNS1_11target_archE1030ELNS1_3gpuE2ELNS1_3repE0EEENS1_30default_config_static_selectorELNS0_4arch9wavefront6targetE1EEEvT1_,comdat
.Lfunc_end249:
	.size	_ZN7rocprim17ROCPRIM_400000_NS6detail17trampoline_kernelINS0_14default_configENS1_20scan_config_selectorIN3c107complexIdEEEEZZNS1_9scan_implILNS1_25lookback_scan_determinismE0ELb0ELb0ES3_PKS7_PS7_S7_ZZZN2at6native31launch_logcumsumexp_cuda_kernelERKNSE_10TensorBaseESI_lENKUlvE_clEvENKUlvE1_clEvEUlS7_S7_E_S7_EEDaPvRmT3_T4_T5_mT6_P12ihipStream_tbENKUlT_T0_E_clISt17integral_constantIbLb0EESY_IbLb1EEEEDaSU_SV_EUlSU_E_NS1_11comp_targetILNS1_3genE8ELNS1_11target_archE1030ELNS1_3gpuE2ELNS1_3repE0EEENS1_30default_config_static_selectorELNS0_4arch9wavefront6targetE1EEEvT1_, .Lfunc_end249-_ZN7rocprim17ROCPRIM_400000_NS6detail17trampoline_kernelINS0_14default_configENS1_20scan_config_selectorIN3c107complexIdEEEEZZNS1_9scan_implILNS1_25lookback_scan_determinismE0ELb0ELb0ES3_PKS7_PS7_S7_ZZZN2at6native31launch_logcumsumexp_cuda_kernelERKNSE_10TensorBaseESI_lENKUlvE_clEvENKUlvE1_clEvEUlS7_S7_E_S7_EEDaPvRmT3_T4_T5_mT6_P12ihipStream_tbENKUlT_T0_E_clISt17integral_constantIbLb0EESY_IbLb1EEEEDaSU_SV_EUlSU_E_NS1_11comp_targetILNS1_3genE8ELNS1_11target_archE1030ELNS1_3gpuE2ELNS1_3repE0EEENS1_30default_config_static_selectorELNS0_4arch9wavefront6targetE1EEEvT1_
                                        ; -- End function
	.section	.AMDGPU.csdata,"",@progbits
; Kernel info:
; codeLenInByte = 0
; NumSgprs: 4
; NumVgprs: 0
; NumAgprs: 0
; TotalNumVgprs: 0
; ScratchSize: 0
; MemoryBound: 0
; FloatMode: 240
; IeeeMode: 1
; LDSByteSize: 0 bytes/workgroup (compile time only)
; SGPRBlocks: 0
; VGPRBlocks: 0
; NumSGPRsForWavesPerEU: 4
; NumVGPRsForWavesPerEU: 1
; AccumOffset: 4
; Occupancy: 8
; WaveLimiterHint : 0
; COMPUTE_PGM_RSRC2:SCRATCH_EN: 0
; COMPUTE_PGM_RSRC2:USER_SGPR: 6
; COMPUTE_PGM_RSRC2:TRAP_HANDLER: 0
; COMPUTE_PGM_RSRC2:TGID_X_EN: 1
; COMPUTE_PGM_RSRC2:TGID_Y_EN: 0
; COMPUTE_PGM_RSRC2:TGID_Z_EN: 0
; COMPUTE_PGM_RSRC2:TIDIG_COMP_CNT: 0
; COMPUTE_PGM_RSRC3_GFX90A:ACCUM_OFFSET: 0
; COMPUTE_PGM_RSRC3_GFX90A:TG_SPLIT: 0
	.section	.text._ZN7rocprim17ROCPRIM_400000_NS6detail17trampoline_kernelINS0_14default_configENS1_20scan_config_selectorIN3c107complexIdEEEEZZNS1_9scan_implILNS1_25lookback_scan_determinismE0ELb0ELb0ES3_PKS7_PS7_S7_ZZZN2at6native31launch_logcumsumexp_cuda_kernelERKNSE_10TensorBaseESI_lENKUlvE_clEvENKUlvE1_clEvEUlS7_S7_E_S7_EEDaPvRmT3_T4_T5_mT6_P12ihipStream_tbENKUlT_T0_E_clISt17integral_constantIbLb0EESY_IbLb1EEEEDaSU_SV_EUlSU_E0_NS1_11comp_targetILNS1_3genE0ELNS1_11target_archE4294967295ELNS1_3gpuE0ELNS1_3repE0EEENS1_30default_config_static_selectorELNS0_4arch9wavefront6targetE1EEEvT1_,"axG",@progbits,_ZN7rocprim17ROCPRIM_400000_NS6detail17trampoline_kernelINS0_14default_configENS1_20scan_config_selectorIN3c107complexIdEEEEZZNS1_9scan_implILNS1_25lookback_scan_determinismE0ELb0ELb0ES3_PKS7_PS7_S7_ZZZN2at6native31launch_logcumsumexp_cuda_kernelERKNSE_10TensorBaseESI_lENKUlvE_clEvENKUlvE1_clEvEUlS7_S7_E_S7_EEDaPvRmT3_T4_T5_mT6_P12ihipStream_tbENKUlT_T0_E_clISt17integral_constantIbLb0EESY_IbLb1EEEEDaSU_SV_EUlSU_E0_NS1_11comp_targetILNS1_3genE0ELNS1_11target_archE4294967295ELNS1_3gpuE0ELNS1_3repE0EEENS1_30default_config_static_selectorELNS0_4arch9wavefront6targetE1EEEvT1_,comdat
	.globl	_ZN7rocprim17ROCPRIM_400000_NS6detail17trampoline_kernelINS0_14default_configENS1_20scan_config_selectorIN3c107complexIdEEEEZZNS1_9scan_implILNS1_25lookback_scan_determinismE0ELb0ELb0ES3_PKS7_PS7_S7_ZZZN2at6native31launch_logcumsumexp_cuda_kernelERKNSE_10TensorBaseESI_lENKUlvE_clEvENKUlvE1_clEvEUlS7_S7_E_S7_EEDaPvRmT3_T4_T5_mT6_P12ihipStream_tbENKUlT_T0_E_clISt17integral_constantIbLb0EESY_IbLb1EEEEDaSU_SV_EUlSU_E0_NS1_11comp_targetILNS1_3genE0ELNS1_11target_archE4294967295ELNS1_3gpuE0ELNS1_3repE0EEENS1_30default_config_static_selectorELNS0_4arch9wavefront6targetE1EEEvT1_ ; -- Begin function _ZN7rocprim17ROCPRIM_400000_NS6detail17trampoline_kernelINS0_14default_configENS1_20scan_config_selectorIN3c107complexIdEEEEZZNS1_9scan_implILNS1_25lookback_scan_determinismE0ELb0ELb0ES3_PKS7_PS7_S7_ZZZN2at6native31launch_logcumsumexp_cuda_kernelERKNSE_10TensorBaseESI_lENKUlvE_clEvENKUlvE1_clEvEUlS7_S7_E_S7_EEDaPvRmT3_T4_T5_mT6_P12ihipStream_tbENKUlT_T0_E_clISt17integral_constantIbLb0EESY_IbLb1EEEEDaSU_SV_EUlSU_E0_NS1_11comp_targetILNS1_3genE0ELNS1_11target_archE4294967295ELNS1_3gpuE0ELNS1_3repE0EEENS1_30default_config_static_selectorELNS0_4arch9wavefront6targetE1EEEvT1_
	.p2align	8
	.type	_ZN7rocprim17ROCPRIM_400000_NS6detail17trampoline_kernelINS0_14default_configENS1_20scan_config_selectorIN3c107complexIdEEEEZZNS1_9scan_implILNS1_25lookback_scan_determinismE0ELb0ELb0ES3_PKS7_PS7_S7_ZZZN2at6native31launch_logcumsumexp_cuda_kernelERKNSE_10TensorBaseESI_lENKUlvE_clEvENKUlvE1_clEvEUlS7_S7_E_S7_EEDaPvRmT3_T4_T5_mT6_P12ihipStream_tbENKUlT_T0_E_clISt17integral_constantIbLb0EESY_IbLb1EEEEDaSU_SV_EUlSU_E0_NS1_11comp_targetILNS1_3genE0ELNS1_11target_archE4294967295ELNS1_3gpuE0ELNS1_3repE0EEENS1_30default_config_static_selectorELNS0_4arch9wavefront6targetE1EEEvT1_,@function
_ZN7rocprim17ROCPRIM_400000_NS6detail17trampoline_kernelINS0_14default_configENS1_20scan_config_selectorIN3c107complexIdEEEEZZNS1_9scan_implILNS1_25lookback_scan_determinismE0ELb0ELb0ES3_PKS7_PS7_S7_ZZZN2at6native31launch_logcumsumexp_cuda_kernelERKNSE_10TensorBaseESI_lENKUlvE_clEvENKUlvE1_clEvEUlS7_S7_E_S7_EEDaPvRmT3_T4_T5_mT6_P12ihipStream_tbENKUlT_T0_E_clISt17integral_constantIbLb0EESY_IbLb1EEEEDaSU_SV_EUlSU_E0_NS1_11comp_targetILNS1_3genE0ELNS1_11target_archE4294967295ELNS1_3gpuE0ELNS1_3repE0EEENS1_30default_config_static_selectorELNS0_4arch9wavefront6targetE1EEEvT1_: ; @_ZN7rocprim17ROCPRIM_400000_NS6detail17trampoline_kernelINS0_14default_configENS1_20scan_config_selectorIN3c107complexIdEEEEZZNS1_9scan_implILNS1_25lookback_scan_determinismE0ELb0ELb0ES3_PKS7_PS7_S7_ZZZN2at6native31launch_logcumsumexp_cuda_kernelERKNSE_10TensorBaseESI_lENKUlvE_clEvENKUlvE1_clEvEUlS7_S7_E_S7_EEDaPvRmT3_T4_T5_mT6_P12ihipStream_tbENKUlT_T0_E_clISt17integral_constantIbLb0EESY_IbLb1EEEEDaSU_SV_EUlSU_E0_NS1_11comp_targetILNS1_3genE0ELNS1_11target_archE4294967295ELNS1_3gpuE0ELNS1_3repE0EEENS1_30default_config_static_selectorELNS0_4arch9wavefront6targetE1EEEvT1_
; %bb.0:
	.section	.rodata,"a",@progbits
	.p2align	6, 0x0
	.amdhsa_kernel _ZN7rocprim17ROCPRIM_400000_NS6detail17trampoline_kernelINS0_14default_configENS1_20scan_config_selectorIN3c107complexIdEEEEZZNS1_9scan_implILNS1_25lookback_scan_determinismE0ELb0ELb0ES3_PKS7_PS7_S7_ZZZN2at6native31launch_logcumsumexp_cuda_kernelERKNSE_10TensorBaseESI_lENKUlvE_clEvENKUlvE1_clEvEUlS7_S7_E_S7_EEDaPvRmT3_T4_T5_mT6_P12ihipStream_tbENKUlT_T0_E_clISt17integral_constantIbLb0EESY_IbLb1EEEEDaSU_SV_EUlSU_E0_NS1_11comp_targetILNS1_3genE0ELNS1_11target_archE4294967295ELNS1_3gpuE0ELNS1_3repE0EEENS1_30default_config_static_selectorELNS0_4arch9wavefront6targetE1EEEvT1_
		.amdhsa_group_segment_fixed_size 0
		.amdhsa_private_segment_fixed_size 0
		.amdhsa_kernarg_size 48
		.amdhsa_user_sgpr_count 6
		.amdhsa_user_sgpr_private_segment_buffer 1
		.amdhsa_user_sgpr_dispatch_ptr 0
		.amdhsa_user_sgpr_queue_ptr 0
		.amdhsa_user_sgpr_kernarg_segment_ptr 1
		.amdhsa_user_sgpr_dispatch_id 0
		.amdhsa_user_sgpr_flat_scratch_init 0
		.amdhsa_user_sgpr_kernarg_preload_length 0
		.amdhsa_user_sgpr_kernarg_preload_offset 0
		.amdhsa_user_sgpr_private_segment_size 0
		.amdhsa_uses_dynamic_stack 0
		.amdhsa_system_sgpr_private_segment_wavefront_offset 0
		.amdhsa_system_sgpr_workgroup_id_x 1
		.amdhsa_system_sgpr_workgroup_id_y 0
		.amdhsa_system_sgpr_workgroup_id_z 0
		.amdhsa_system_sgpr_workgroup_info 0
		.amdhsa_system_vgpr_workitem_id 0
		.amdhsa_next_free_vgpr 1
		.amdhsa_next_free_sgpr 0
		.amdhsa_accum_offset 4
		.amdhsa_reserve_vcc 0
		.amdhsa_reserve_flat_scratch 0
		.amdhsa_float_round_mode_32 0
		.amdhsa_float_round_mode_16_64 0
		.amdhsa_float_denorm_mode_32 3
		.amdhsa_float_denorm_mode_16_64 3
		.amdhsa_dx10_clamp 1
		.amdhsa_ieee_mode 1
		.amdhsa_fp16_overflow 0
		.amdhsa_tg_split 0
		.amdhsa_exception_fp_ieee_invalid_op 0
		.amdhsa_exception_fp_denorm_src 0
		.amdhsa_exception_fp_ieee_div_zero 0
		.amdhsa_exception_fp_ieee_overflow 0
		.amdhsa_exception_fp_ieee_underflow 0
		.amdhsa_exception_fp_ieee_inexact 0
		.amdhsa_exception_int_div_zero 0
	.end_amdhsa_kernel
	.section	.text._ZN7rocprim17ROCPRIM_400000_NS6detail17trampoline_kernelINS0_14default_configENS1_20scan_config_selectorIN3c107complexIdEEEEZZNS1_9scan_implILNS1_25lookback_scan_determinismE0ELb0ELb0ES3_PKS7_PS7_S7_ZZZN2at6native31launch_logcumsumexp_cuda_kernelERKNSE_10TensorBaseESI_lENKUlvE_clEvENKUlvE1_clEvEUlS7_S7_E_S7_EEDaPvRmT3_T4_T5_mT6_P12ihipStream_tbENKUlT_T0_E_clISt17integral_constantIbLb0EESY_IbLb1EEEEDaSU_SV_EUlSU_E0_NS1_11comp_targetILNS1_3genE0ELNS1_11target_archE4294967295ELNS1_3gpuE0ELNS1_3repE0EEENS1_30default_config_static_selectorELNS0_4arch9wavefront6targetE1EEEvT1_,"axG",@progbits,_ZN7rocprim17ROCPRIM_400000_NS6detail17trampoline_kernelINS0_14default_configENS1_20scan_config_selectorIN3c107complexIdEEEEZZNS1_9scan_implILNS1_25lookback_scan_determinismE0ELb0ELb0ES3_PKS7_PS7_S7_ZZZN2at6native31launch_logcumsumexp_cuda_kernelERKNSE_10TensorBaseESI_lENKUlvE_clEvENKUlvE1_clEvEUlS7_S7_E_S7_EEDaPvRmT3_T4_T5_mT6_P12ihipStream_tbENKUlT_T0_E_clISt17integral_constantIbLb0EESY_IbLb1EEEEDaSU_SV_EUlSU_E0_NS1_11comp_targetILNS1_3genE0ELNS1_11target_archE4294967295ELNS1_3gpuE0ELNS1_3repE0EEENS1_30default_config_static_selectorELNS0_4arch9wavefront6targetE1EEEvT1_,comdat
.Lfunc_end250:
	.size	_ZN7rocprim17ROCPRIM_400000_NS6detail17trampoline_kernelINS0_14default_configENS1_20scan_config_selectorIN3c107complexIdEEEEZZNS1_9scan_implILNS1_25lookback_scan_determinismE0ELb0ELb0ES3_PKS7_PS7_S7_ZZZN2at6native31launch_logcumsumexp_cuda_kernelERKNSE_10TensorBaseESI_lENKUlvE_clEvENKUlvE1_clEvEUlS7_S7_E_S7_EEDaPvRmT3_T4_T5_mT6_P12ihipStream_tbENKUlT_T0_E_clISt17integral_constantIbLb0EESY_IbLb1EEEEDaSU_SV_EUlSU_E0_NS1_11comp_targetILNS1_3genE0ELNS1_11target_archE4294967295ELNS1_3gpuE0ELNS1_3repE0EEENS1_30default_config_static_selectorELNS0_4arch9wavefront6targetE1EEEvT1_, .Lfunc_end250-_ZN7rocprim17ROCPRIM_400000_NS6detail17trampoline_kernelINS0_14default_configENS1_20scan_config_selectorIN3c107complexIdEEEEZZNS1_9scan_implILNS1_25lookback_scan_determinismE0ELb0ELb0ES3_PKS7_PS7_S7_ZZZN2at6native31launch_logcumsumexp_cuda_kernelERKNSE_10TensorBaseESI_lENKUlvE_clEvENKUlvE1_clEvEUlS7_S7_E_S7_EEDaPvRmT3_T4_T5_mT6_P12ihipStream_tbENKUlT_T0_E_clISt17integral_constantIbLb0EESY_IbLb1EEEEDaSU_SV_EUlSU_E0_NS1_11comp_targetILNS1_3genE0ELNS1_11target_archE4294967295ELNS1_3gpuE0ELNS1_3repE0EEENS1_30default_config_static_selectorELNS0_4arch9wavefront6targetE1EEEvT1_
                                        ; -- End function
	.section	.AMDGPU.csdata,"",@progbits
; Kernel info:
; codeLenInByte = 0
; NumSgprs: 4
; NumVgprs: 0
; NumAgprs: 0
; TotalNumVgprs: 0
; ScratchSize: 0
; MemoryBound: 0
; FloatMode: 240
; IeeeMode: 1
; LDSByteSize: 0 bytes/workgroup (compile time only)
; SGPRBlocks: 0
; VGPRBlocks: 0
; NumSGPRsForWavesPerEU: 4
; NumVGPRsForWavesPerEU: 1
; AccumOffset: 4
; Occupancy: 8
; WaveLimiterHint : 0
; COMPUTE_PGM_RSRC2:SCRATCH_EN: 0
; COMPUTE_PGM_RSRC2:USER_SGPR: 6
; COMPUTE_PGM_RSRC2:TRAP_HANDLER: 0
; COMPUTE_PGM_RSRC2:TGID_X_EN: 1
; COMPUTE_PGM_RSRC2:TGID_Y_EN: 0
; COMPUTE_PGM_RSRC2:TGID_Z_EN: 0
; COMPUTE_PGM_RSRC2:TIDIG_COMP_CNT: 0
; COMPUTE_PGM_RSRC3_GFX90A:ACCUM_OFFSET: 0
; COMPUTE_PGM_RSRC3_GFX90A:TG_SPLIT: 0
	.section	.text._ZN7rocprim17ROCPRIM_400000_NS6detail17trampoline_kernelINS0_14default_configENS1_20scan_config_selectorIN3c107complexIdEEEEZZNS1_9scan_implILNS1_25lookback_scan_determinismE0ELb0ELb0ES3_PKS7_PS7_S7_ZZZN2at6native31launch_logcumsumexp_cuda_kernelERKNSE_10TensorBaseESI_lENKUlvE_clEvENKUlvE1_clEvEUlS7_S7_E_S7_EEDaPvRmT3_T4_T5_mT6_P12ihipStream_tbENKUlT_T0_E_clISt17integral_constantIbLb0EESY_IbLb1EEEEDaSU_SV_EUlSU_E0_NS1_11comp_targetILNS1_3genE5ELNS1_11target_archE942ELNS1_3gpuE9ELNS1_3repE0EEENS1_30default_config_static_selectorELNS0_4arch9wavefront6targetE1EEEvT1_,"axG",@progbits,_ZN7rocprim17ROCPRIM_400000_NS6detail17trampoline_kernelINS0_14default_configENS1_20scan_config_selectorIN3c107complexIdEEEEZZNS1_9scan_implILNS1_25lookback_scan_determinismE0ELb0ELb0ES3_PKS7_PS7_S7_ZZZN2at6native31launch_logcumsumexp_cuda_kernelERKNSE_10TensorBaseESI_lENKUlvE_clEvENKUlvE1_clEvEUlS7_S7_E_S7_EEDaPvRmT3_T4_T5_mT6_P12ihipStream_tbENKUlT_T0_E_clISt17integral_constantIbLb0EESY_IbLb1EEEEDaSU_SV_EUlSU_E0_NS1_11comp_targetILNS1_3genE5ELNS1_11target_archE942ELNS1_3gpuE9ELNS1_3repE0EEENS1_30default_config_static_selectorELNS0_4arch9wavefront6targetE1EEEvT1_,comdat
	.globl	_ZN7rocprim17ROCPRIM_400000_NS6detail17trampoline_kernelINS0_14default_configENS1_20scan_config_selectorIN3c107complexIdEEEEZZNS1_9scan_implILNS1_25lookback_scan_determinismE0ELb0ELb0ES3_PKS7_PS7_S7_ZZZN2at6native31launch_logcumsumexp_cuda_kernelERKNSE_10TensorBaseESI_lENKUlvE_clEvENKUlvE1_clEvEUlS7_S7_E_S7_EEDaPvRmT3_T4_T5_mT6_P12ihipStream_tbENKUlT_T0_E_clISt17integral_constantIbLb0EESY_IbLb1EEEEDaSU_SV_EUlSU_E0_NS1_11comp_targetILNS1_3genE5ELNS1_11target_archE942ELNS1_3gpuE9ELNS1_3repE0EEENS1_30default_config_static_selectorELNS0_4arch9wavefront6targetE1EEEvT1_ ; -- Begin function _ZN7rocprim17ROCPRIM_400000_NS6detail17trampoline_kernelINS0_14default_configENS1_20scan_config_selectorIN3c107complexIdEEEEZZNS1_9scan_implILNS1_25lookback_scan_determinismE0ELb0ELb0ES3_PKS7_PS7_S7_ZZZN2at6native31launch_logcumsumexp_cuda_kernelERKNSE_10TensorBaseESI_lENKUlvE_clEvENKUlvE1_clEvEUlS7_S7_E_S7_EEDaPvRmT3_T4_T5_mT6_P12ihipStream_tbENKUlT_T0_E_clISt17integral_constantIbLb0EESY_IbLb1EEEEDaSU_SV_EUlSU_E0_NS1_11comp_targetILNS1_3genE5ELNS1_11target_archE942ELNS1_3gpuE9ELNS1_3repE0EEENS1_30default_config_static_selectorELNS0_4arch9wavefront6targetE1EEEvT1_
	.p2align	8
	.type	_ZN7rocprim17ROCPRIM_400000_NS6detail17trampoline_kernelINS0_14default_configENS1_20scan_config_selectorIN3c107complexIdEEEEZZNS1_9scan_implILNS1_25lookback_scan_determinismE0ELb0ELb0ES3_PKS7_PS7_S7_ZZZN2at6native31launch_logcumsumexp_cuda_kernelERKNSE_10TensorBaseESI_lENKUlvE_clEvENKUlvE1_clEvEUlS7_S7_E_S7_EEDaPvRmT3_T4_T5_mT6_P12ihipStream_tbENKUlT_T0_E_clISt17integral_constantIbLb0EESY_IbLb1EEEEDaSU_SV_EUlSU_E0_NS1_11comp_targetILNS1_3genE5ELNS1_11target_archE942ELNS1_3gpuE9ELNS1_3repE0EEENS1_30default_config_static_selectorELNS0_4arch9wavefront6targetE1EEEvT1_,@function
_ZN7rocprim17ROCPRIM_400000_NS6detail17trampoline_kernelINS0_14default_configENS1_20scan_config_selectorIN3c107complexIdEEEEZZNS1_9scan_implILNS1_25lookback_scan_determinismE0ELb0ELb0ES3_PKS7_PS7_S7_ZZZN2at6native31launch_logcumsumexp_cuda_kernelERKNSE_10TensorBaseESI_lENKUlvE_clEvENKUlvE1_clEvEUlS7_S7_E_S7_EEDaPvRmT3_T4_T5_mT6_P12ihipStream_tbENKUlT_T0_E_clISt17integral_constantIbLb0EESY_IbLb1EEEEDaSU_SV_EUlSU_E0_NS1_11comp_targetILNS1_3genE5ELNS1_11target_archE942ELNS1_3gpuE9ELNS1_3repE0EEENS1_30default_config_static_selectorELNS0_4arch9wavefront6targetE1EEEvT1_: ; @_ZN7rocprim17ROCPRIM_400000_NS6detail17trampoline_kernelINS0_14default_configENS1_20scan_config_selectorIN3c107complexIdEEEEZZNS1_9scan_implILNS1_25lookback_scan_determinismE0ELb0ELb0ES3_PKS7_PS7_S7_ZZZN2at6native31launch_logcumsumexp_cuda_kernelERKNSE_10TensorBaseESI_lENKUlvE_clEvENKUlvE1_clEvEUlS7_S7_E_S7_EEDaPvRmT3_T4_T5_mT6_P12ihipStream_tbENKUlT_T0_E_clISt17integral_constantIbLb0EESY_IbLb1EEEEDaSU_SV_EUlSU_E0_NS1_11comp_targetILNS1_3genE5ELNS1_11target_archE942ELNS1_3gpuE9ELNS1_3repE0EEENS1_30default_config_static_selectorELNS0_4arch9wavefront6targetE1EEEvT1_
; %bb.0:
	.section	.rodata,"a",@progbits
	.p2align	6, 0x0
	.amdhsa_kernel _ZN7rocprim17ROCPRIM_400000_NS6detail17trampoline_kernelINS0_14default_configENS1_20scan_config_selectorIN3c107complexIdEEEEZZNS1_9scan_implILNS1_25lookback_scan_determinismE0ELb0ELb0ES3_PKS7_PS7_S7_ZZZN2at6native31launch_logcumsumexp_cuda_kernelERKNSE_10TensorBaseESI_lENKUlvE_clEvENKUlvE1_clEvEUlS7_S7_E_S7_EEDaPvRmT3_T4_T5_mT6_P12ihipStream_tbENKUlT_T0_E_clISt17integral_constantIbLb0EESY_IbLb1EEEEDaSU_SV_EUlSU_E0_NS1_11comp_targetILNS1_3genE5ELNS1_11target_archE942ELNS1_3gpuE9ELNS1_3repE0EEENS1_30default_config_static_selectorELNS0_4arch9wavefront6targetE1EEEvT1_
		.amdhsa_group_segment_fixed_size 0
		.amdhsa_private_segment_fixed_size 0
		.amdhsa_kernarg_size 48
		.amdhsa_user_sgpr_count 6
		.amdhsa_user_sgpr_private_segment_buffer 1
		.amdhsa_user_sgpr_dispatch_ptr 0
		.amdhsa_user_sgpr_queue_ptr 0
		.amdhsa_user_sgpr_kernarg_segment_ptr 1
		.amdhsa_user_sgpr_dispatch_id 0
		.amdhsa_user_sgpr_flat_scratch_init 0
		.amdhsa_user_sgpr_kernarg_preload_length 0
		.amdhsa_user_sgpr_kernarg_preload_offset 0
		.amdhsa_user_sgpr_private_segment_size 0
		.amdhsa_uses_dynamic_stack 0
		.amdhsa_system_sgpr_private_segment_wavefront_offset 0
		.amdhsa_system_sgpr_workgroup_id_x 1
		.amdhsa_system_sgpr_workgroup_id_y 0
		.amdhsa_system_sgpr_workgroup_id_z 0
		.amdhsa_system_sgpr_workgroup_info 0
		.amdhsa_system_vgpr_workitem_id 0
		.amdhsa_next_free_vgpr 1
		.amdhsa_next_free_sgpr 0
		.amdhsa_accum_offset 4
		.amdhsa_reserve_vcc 0
		.amdhsa_reserve_flat_scratch 0
		.amdhsa_float_round_mode_32 0
		.amdhsa_float_round_mode_16_64 0
		.amdhsa_float_denorm_mode_32 3
		.amdhsa_float_denorm_mode_16_64 3
		.amdhsa_dx10_clamp 1
		.amdhsa_ieee_mode 1
		.amdhsa_fp16_overflow 0
		.amdhsa_tg_split 0
		.amdhsa_exception_fp_ieee_invalid_op 0
		.amdhsa_exception_fp_denorm_src 0
		.amdhsa_exception_fp_ieee_div_zero 0
		.amdhsa_exception_fp_ieee_overflow 0
		.amdhsa_exception_fp_ieee_underflow 0
		.amdhsa_exception_fp_ieee_inexact 0
		.amdhsa_exception_int_div_zero 0
	.end_amdhsa_kernel
	.section	.text._ZN7rocprim17ROCPRIM_400000_NS6detail17trampoline_kernelINS0_14default_configENS1_20scan_config_selectorIN3c107complexIdEEEEZZNS1_9scan_implILNS1_25lookback_scan_determinismE0ELb0ELb0ES3_PKS7_PS7_S7_ZZZN2at6native31launch_logcumsumexp_cuda_kernelERKNSE_10TensorBaseESI_lENKUlvE_clEvENKUlvE1_clEvEUlS7_S7_E_S7_EEDaPvRmT3_T4_T5_mT6_P12ihipStream_tbENKUlT_T0_E_clISt17integral_constantIbLb0EESY_IbLb1EEEEDaSU_SV_EUlSU_E0_NS1_11comp_targetILNS1_3genE5ELNS1_11target_archE942ELNS1_3gpuE9ELNS1_3repE0EEENS1_30default_config_static_selectorELNS0_4arch9wavefront6targetE1EEEvT1_,"axG",@progbits,_ZN7rocprim17ROCPRIM_400000_NS6detail17trampoline_kernelINS0_14default_configENS1_20scan_config_selectorIN3c107complexIdEEEEZZNS1_9scan_implILNS1_25lookback_scan_determinismE0ELb0ELb0ES3_PKS7_PS7_S7_ZZZN2at6native31launch_logcumsumexp_cuda_kernelERKNSE_10TensorBaseESI_lENKUlvE_clEvENKUlvE1_clEvEUlS7_S7_E_S7_EEDaPvRmT3_T4_T5_mT6_P12ihipStream_tbENKUlT_T0_E_clISt17integral_constantIbLb0EESY_IbLb1EEEEDaSU_SV_EUlSU_E0_NS1_11comp_targetILNS1_3genE5ELNS1_11target_archE942ELNS1_3gpuE9ELNS1_3repE0EEENS1_30default_config_static_selectorELNS0_4arch9wavefront6targetE1EEEvT1_,comdat
.Lfunc_end251:
	.size	_ZN7rocprim17ROCPRIM_400000_NS6detail17trampoline_kernelINS0_14default_configENS1_20scan_config_selectorIN3c107complexIdEEEEZZNS1_9scan_implILNS1_25lookback_scan_determinismE0ELb0ELb0ES3_PKS7_PS7_S7_ZZZN2at6native31launch_logcumsumexp_cuda_kernelERKNSE_10TensorBaseESI_lENKUlvE_clEvENKUlvE1_clEvEUlS7_S7_E_S7_EEDaPvRmT3_T4_T5_mT6_P12ihipStream_tbENKUlT_T0_E_clISt17integral_constantIbLb0EESY_IbLb1EEEEDaSU_SV_EUlSU_E0_NS1_11comp_targetILNS1_3genE5ELNS1_11target_archE942ELNS1_3gpuE9ELNS1_3repE0EEENS1_30default_config_static_selectorELNS0_4arch9wavefront6targetE1EEEvT1_, .Lfunc_end251-_ZN7rocprim17ROCPRIM_400000_NS6detail17trampoline_kernelINS0_14default_configENS1_20scan_config_selectorIN3c107complexIdEEEEZZNS1_9scan_implILNS1_25lookback_scan_determinismE0ELb0ELb0ES3_PKS7_PS7_S7_ZZZN2at6native31launch_logcumsumexp_cuda_kernelERKNSE_10TensorBaseESI_lENKUlvE_clEvENKUlvE1_clEvEUlS7_S7_E_S7_EEDaPvRmT3_T4_T5_mT6_P12ihipStream_tbENKUlT_T0_E_clISt17integral_constantIbLb0EESY_IbLb1EEEEDaSU_SV_EUlSU_E0_NS1_11comp_targetILNS1_3genE5ELNS1_11target_archE942ELNS1_3gpuE9ELNS1_3repE0EEENS1_30default_config_static_selectorELNS0_4arch9wavefront6targetE1EEEvT1_
                                        ; -- End function
	.section	.AMDGPU.csdata,"",@progbits
; Kernel info:
; codeLenInByte = 0
; NumSgprs: 4
; NumVgprs: 0
; NumAgprs: 0
; TotalNumVgprs: 0
; ScratchSize: 0
; MemoryBound: 0
; FloatMode: 240
; IeeeMode: 1
; LDSByteSize: 0 bytes/workgroup (compile time only)
; SGPRBlocks: 0
; VGPRBlocks: 0
; NumSGPRsForWavesPerEU: 4
; NumVGPRsForWavesPerEU: 1
; AccumOffset: 4
; Occupancy: 8
; WaveLimiterHint : 0
; COMPUTE_PGM_RSRC2:SCRATCH_EN: 0
; COMPUTE_PGM_RSRC2:USER_SGPR: 6
; COMPUTE_PGM_RSRC2:TRAP_HANDLER: 0
; COMPUTE_PGM_RSRC2:TGID_X_EN: 1
; COMPUTE_PGM_RSRC2:TGID_Y_EN: 0
; COMPUTE_PGM_RSRC2:TGID_Z_EN: 0
; COMPUTE_PGM_RSRC2:TIDIG_COMP_CNT: 0
; COMPUTE_PGM_RSRC3_GFX90A:ACCUM_OFFSET: 0
; COMPUTE_PGM_RSRC3_GFX90A:TG_SPLIT: 0
	.section	.text._ZN7rocprim17ROCPRIM_400000_NS6detail17trampoline_kernelINS0_14default_configENS1_20scan_config_selectorIN3c107complexIdEEEEZZNS1_9scan_implILNS1_25lookback_scan_determinismE0ELb0ELb0ES3_PKS7_PS7_S7_ZZZN2at6native31launch_logcumsumexp_cuda_kernelERKNSE_10TensorBaseESI_lENKUlvE_clEvENKUlvE1_clEvEUlS7_S7_E_S7_EEDaPvRmT3_T4_T5_mT6_P12ihipStream_tbENKUlT_T0_E_clISt17integral_constantIbLb0EESY_IbLb1EEEEDaSU_SV_EUlSU_E0_NS1_11comp_targetILNS1_3genE4ELNS1_11target_archE910ELNS1_3gpuE8ELNS1_3repE0EEENS1_30default_config_static_selectorELNS0_4arch9wavefront6targetE1EEEvT1_,"axG",@progbits,_ZN7rocprim17ROCPRIM_400000_NS6detail17trampoline_kernelINS0_14default_configENS1_20scan_config_selectorIN3c107complexIdEEEEZZNS1_9scan_implILNS1_25lookback_scan_determinismE0ELb0ELb0ES3_PKS7_PS7_S7_ZZZN2at6native31launch_logcumsumexp_cuda_kernelERKNSE_10TensorBaseESI_lENKUlvE_clEvENKUlvE1_clEvEUlS7_S7_E_S7_EEDaPvRmT3_T4_T5_mT6_P12ihipStream_tbENKUlT_T0_E_clISt17integral_constantIbLb0EESY_IbLb1EEEEDaSU_SV_EUlSU_E0_NS1_11comp_targetILNS1_3genE4ELNS1_11target_archE910ELNS1_3gpuE8ELNS1_3repE0EEENS1_30default_config_static_selectorELNS0_4arch9wavefront6targetE1EEEvT1_,comdat
	.globl	_ZN7rocprim17ROCPRIM_400000_NS6detail17trampoline_kernelINS0_14default_configENS1_20scan_config_selectorIN3c107complexIdEEEEZZNS1_9scan_implILNS1_25lookback_scan_determinismE0ELb0ELb0ES3_PKS7_PS7_S7_ZZZN2at6native31launch_logcumsumexp_cuda_kernelERKNSE_10TensorBaseESI_lENKUlvE_clEvENKUlvE1_clEvEUlS7_S7_E_S7_EEDaPvRmT3_T4_T5_mT6_P12ihipStream_tbENKUlT_T0_E_clISt17integral_constantIbLb0EESY_IbLb1EEEEDaSU_SV_EUlSU_E0_NS1_11comp_targetILNS1_3genE4ELNS1_11target_archE910ELNS1_3gpuE8ELNS1_3repE0EEENS1_30default_config_static_selectorELNS0_4arch9wavefront6targetE1EEEvT1_ ; -- Begin function _ZN7rocprim17ROCPRIM_400000_NS6detail17trampoline_kernelINS0_14default_configENS1_20scan_config_selectorIN3c107complexIdEEEEZZNS1_9scan_implILNS1_25lookback_scan_determinismE0ELb0ELb0ES3_PKS7_PS7_S7_ZZZN2at6native31launch_logcumsumexp_cuda_kernelERKNSE_10TensorBaseESI_lENKUlvE_clEvENKUlvE1_clEvEUlS7_S7_E_S7_EEDaPvRmT3_T4_T5_mT6_P12ihipStream_tbENKUlT_T0_E_clISt17integral_constantIbLb0EESY_IbLb1EEEEDaSU_SV_EUlSU_E0_NS1_11comp_targetILNS1_3genE4ELNS1_11target_archE910ELNS1_3gpuE8ELNS1_3repE0EEENS1_30default_config_static_selectorELNS0_4arch9wavefront6targetE1EEEvT1_
	.p2align	8
	.type	_ZN7rocprim17ROCPRIM_400000_NS6detail17trampoline_kernelINS0_14default_configENS1_20scan_config_selectorIN3c107complexIdEEEEZZNS1_9scan_implILNS1_25lookback_scan_determinismE0ELb0ELb0ES3_PKS7_PS7_S7_ZZZN2at6native31launch_logcumsumexp_cuda_kernelERKNSE_10TensorBaseESI_lENKUlvE_clEvENKUlvE1_clEvEUlS7_S7_E_S7_EEDaPvRmT3_T4_T5_mT6_P12ihipStream_tbENKUlT_T0_E_clISt17integral_constantIbLb0EESY_IbLb1EEEEDaSU_SV_EUlSU_E0_NS1_11comp_targetILNS1_3genE4ELNS1_11target_archE910ELNS1_3gpuE8ELNS1_3repE0EEENS1_30default_config_static_selectorELNS0_4arch9wavefront6targetE1EEEvT1_,@function
_ZN7rocprim17ROCPRIM_400000_NS6detail17trampoline_kernelINS0_14default_configENS1_20scan_config_selectorIN3c107complexIdEEEEZZNS1_9scan_implILNS1_25lookback_scan_determinismE0ELb0ELb0ES3_PKS7_PS7_S7_ZZZN2at6native31launch_logcumsumexp_cuda_kernelERKNSE_10TensorBaseESI_lENKUlvE_clEvENKUlvE1_clEvEUlS7_S7_E_S7_EEDaPvRmT3_T4_T5_mT6_P12ihipStream_tbENKUlT_T0_E_clISt17integral_constantIbLb0EESY_IbLb1EEEEDaSU_SV_EUlSU_E0_NS1_11comp_targetILNS1_3genE4ELNS1_11target_archE910ELNS1_3gpuE8ELNS1_3repE0EEENS1_30default_config_static_selectorELNS0_4arch9wavefront6targetE1EEEvT1_: ; @_ZN7rocprim17ROCPRIM_400000_NS6detail17trampoline_kernelINS0_14default_configENS1_20scan_config_selectorIN3c107complexIdEEEEZZNS1_9scan_implILNS1_25lookback_scan_determinismE0ELb0ELb0ES3_PKS7_PS7_S7_ZZZN2at6native31launch_logcumsumexp_cuda_kernelERKNSE_10TensorBaseESI_lENKUlvE_clEvENKUlvE1_clEvEUlS7_S7_E_S7_EEDaPvRmT3_T4_T5_mT6_P12ihipStream_tbENKUlT_T0_E_clISt17integral_constantIbLb0EESY_IbLb1EEEEDaSU_SV_EUlSU_E0_NS1_11comp_targetILNS1_3genE4ELNS1_11target_archE910ELNS1_3gpuE8ELNS1_3repE0EEENS1_30default_config_static_selectorELNS0_4arch9wavefront6targetE1EEEvT1_
; %bb.0:
	s_add_u32 flat_scratch_lo, s6, s9
	s_addc_u32 flat_scratch_hi, s7, 0
	s_mov_b64 s[68:69], s[4:5]
	s_load_dwordx4 s[4:7], s[4:5], 0x0
	s_add_u32 s0, s0, s9
	v_mov_b32_e32 v41, v0
	s_addc_u32 s1, s1, 0
	v_lshlrev_b32_e32 v164, 4, v41
	s_waitcnt lgkmcnt(0)
	s_load_dwordx4 s[8:11], s[4:5], 0x0
	v_cmp_gt_u32_e64 s[38:39], s6, v41
	s_mov_b32 s32, 0
	s_waitcnt lgkmcnt(0)
	v_pk_mov_b32 v[2:3], s[10:11], s[10:11] op_sel:[0,1]
	v_pk_mov_b32 v[0:1], s[8:9], s[8:9] op_sel:[0,1]
	s_and_saveexec_b64 s[12:13], s[38:39]
	s_cbranch_execz .LBB252_2
; %bb.1:
	global_load_dwordx4 v[0:3], v164, s[4:5]
.LBB252_2:
	s_or_b64 exec, exec, s[12:13]
	v_or_b32_e32 v4, 64, v41
	v_cmp_gt_u32_e64 s[40:41], s6, v4
	v_pk_mov_b32 v[6:7], s[10:11], s[10:11] op_sel:[0,1]
	v_pk_mov_b32 v[4:5], s[8:9], s[8:9] op_sel:[0,1]
	s_and_saveexec_b64 s[12:13], s[40:41]
	s_cbranch_execz .LBB252_4
; %bb.3:
	global_load_dwordx4 v[4:7], v164, s[4:5] offset:1024
.LBB252_4:
	s_or_b64 exec, exec, s[12:13]
	v_or_b32_e32 v8, 0x80, v41
	v_cmp_gt_u32_e64 s[42:43], s6, v8
	v_pk_mov_b32 v[10:11], s[10:11], s[10:11] op_sel:[0,1]
	v_pk_mov_b32 v[8:9], s[8:9], s[8:9] op_sel:[0,1]
	s_and_saveexec_b64 s[12:13], s[42:43]
	s_cbranch_execz .LBB252_6
; %bb.5:
	global_load_dwordx4 v[8:11], v164, s[4:5] offset:2048
.LBB252_6:
	;; [unrolled: 10-line block ×3, first 2 shown]
	s_or_b64 exec, exec, s[12:13]
	v_or_b32_e32 v20, 0x100, v41
	v_cmp_gt_u32_e64 s[46:47], s6, v20
	v_pk_mov_b32 v[18:19], s[10:11], s[10:11] op_sel:[0,1]
	v_pk_mov_b32 v[16:17], s[8:9], s[8:9] op_sel:[0,1]
	s_and_saveexec_b64 s[12:13], s[46:47]
	s_cbranch_execz .LBB252_10
; %bb.9:
	v_lshlrev_b32_e32 v16, 4, v20
	global_load_dwordx4 v[16:19], v16, s[4:5]
.LBB252_10:
	s_or_b64 exec, exec, s[12:13]
	v_or_b32_e32 v24, 0x140, v41
	v_cmp_gt_u32_e64 s[48:49], s6, v24
	v_pk_mov_b32 v[22:23], s[10:11], s[10:11] op_sel:[0,1]
	v_pk_mov_b32 v[20:21], s[8:9], s[8:9] op_sel:[0,1]
	s_and_saveexec_b64 s[12:13], s[48:49]
	s_cbranch_execz .LBB252_12
; %bb.11:
	v_lshlrev_b32_e32 v20, 4, v24
	global_load_dwordx4 v[20:23], v20, s[4:5]
.LBB252_12:
	;; [unrolled: 11-line block ×11, first 2 shown]
	s_or_b64 exec, exec, s[6:7]
	s_movk_i32 s4, 0xe0
	s_waitcnt vmcnt(0)
	ds_write_b128 v164, v[0:3]
	ds_write_b128 v164, v[4:7] offset:1024
	ds_write_b128 v164, v[8:11] offset:2048
	;; [unrolled: 1-line block ×14, first 2 shown]
	v_mad_u32_u24 v46, v41, s4, v164
	s_waitcnt lgkmcnt(0)
	; wave barrier
	s_waitcnt lgkmcnt(0)
	ds_read_b128 v[42:45], v46
	ds_read_b128 v[136:139], v46 offset:16
	ds_read_b128 v[132:135], v46 offset:32
	;; [unrolled: 1-line block ×14, first 2 shown]
	s_waitcnt lgkmcnt(14)
	v_mov_b32_e32 v0, v42
	v_mov_b32_e32 v1, v43
	;; [unrolled: 1-line block ×4, first 2 shown]
	s_waitcnt lgkmcnt(13)
	v_mov_b32_e32 v4, v136
	v_mov_b32_e32 v5, v137
	;; [unrolled: 1-line block ×4, first 2 shown]
	s_waitcnt lgkmcnt(0)
	; wave barrier
	s_waitcnt lgkmcnt(0)
	s_getpc_b64 s[70:71]
	s_add_u32 s70, s70, _ZZZZN2at6native31launch_logcumsumexp_cuda_kernelERKNS_10TensorBaseES3_lENKUlvE_clEvENKUlvE1_clEvENKUlN3c107complexIdEES8_E_clES8_S8_@rel32@lo+4
	s_addc_u32 s71, s71, _ZZZZN2at6native31launch_logcumsumexp_cuda_kernelERKNS_10TensorBaseES3_lENKUlvE_clEvENKUlvE1_clEvENKUlN3c107complexIdEES8_E_clES8_S8_@rel32@hi+12
	s_swappc_b64 s[30:31], s[70:71]
	v_mov_b32_e32 v4, v132
	v_mov_b32_e32 v5, v133
	v_mov_b32_e32 v6, v134
	v_mov_b32_e32 v7, v135
	v_mov_b32_e32 v52, v0
	v_mov_b32_e32 v53, v1
	v_mov_b32_e32 v54, v2
	v_mov_b32_e32 v55, v3
	s_swappc_b64 s[30:31], s[70:71]
	v_mov_b32_e32 v4, v124
	v_mov_b32_e32 v5, v125
	v_mov_b32_e32 v6, v126
	v_mov_b32_e32 v7, v127
	v_mov_b32_e32 v60, v0
	v_mov_b32_e32 v61, v1
	v_mov_b32_e32 v62, v2
	v_mov_b32_e32 v63, v3
	;; [unrolled: 9-line block ×13, first 2 shown]
	s_swappc_b64 s[30:31], s[70:71]
	v_mov_b32_e32 v160, v0
	v_mbcnt_lo_u32_b32 v0, -1, 0
	v_mbcnt_hi_u32_b32 v47, -1, v0
	v_mov_b32_e32 v161, v1
	v_mov_b32_e32 v162, v2
	;; [unrolled: 1-line block ×3, first 2 shown]
	v_and_b32_e32 v165, 15, v47
	v_mov_b32_dpp v8, v160 row_shr:1 row_mask:0xf bank_mask:0xf
	v_mov_b32_dpp v9, v161 row_shr:1 row_mask:0xf bank_mask:0xf
	;; [unrolled: 1-line block ×4, first 2 shown]
	v_cmp_ne_u32_e32 vcc, 0, v165
	v_pk_mov_b32 v[4:5], v[160:161], v[160:161] op_sel:[0,1]
	v_pk_mov_b32 v[6:7], v[162:163], v[162:163] op_sel:[0,1]
	v_mov_b32_e32 v0, v160
	s_and_saveexec_b64 s[72:73], vcc
	s_cbranch_execz .LBB252_32
; %bb.31:
	v_mov_b32_e32 v0, v8
	v_mov_b32_e32 v1, v9
	;; [unrolled: 1-line block ×8, first 2 shown]
	s_swappc_b64 s[30:31], s[70:71]
	v_mov_b32_e32 v4, v0
	v_mov_b32_e32 v5, v1
	;; [unrolled: 1-line block ×4, first 2 shown]
.LBB252_32:
	s_or_b64 exec, exec, s[72:73]
	v_mov_b32_dpp v8, v0 row_shr:2 row_mask:0xf bank_mask:0xf
	v_mov_b32_dpp v9, v1 row_shr:2 row_mask:0xf bank_mask:0xf
	v_mov_b32_dpp v10, v2 row_shr:2 row_mask:0xf bank_mask:0xf
	v_mov_b32_dpp v11, v3 row_shr:2 row_mask:0xf bank_mask:0xf
	v_cmp_lt_u32_e32 vcc, 1, v165
	s_and_saveexec_b64 s[70:71], vcc
	s_cbranch_execz .LBB252_34
; %bb.33:
	v_mov_b32_e32 v0, v8
	v_mov_b32_e32 v1, v9
	v_mov_b32_e32 v2, v10
	v_mov_b32_e32 v3, v11
	s_getpc_b64 s[4:5]
	s_add_u32 s4, s4, _ZZZZN2at6native31launch_logcumsumexp_cuda_kernelERKNS_10TensorBaseES3_lENKUlvE_clEvENKUlvE1_clEvENKUlN3c107complexIdEES8_E_clES8_S8_@rel32@lo+4
	s_addc_u32 s5, s5, _ZZZZN2at6native31launch_logcumsumexp_cuda_kernelERKNS_10TensorBaseES3_lENKUlvE_clEvENKUlvE1_clEvENKUlN3c107complexIdEES8_E_clES8_S8_@rel32@hi+12
	s_swappc_b64 s[30:31], s[4:5]
	v_pk_mov_b32 v[6:7], v[2:3], v[2:3] op_sel:[0,1]
	v_pk_mov_b32 v[4:5], v[0:1], v[0:1] op_sel:[0,1]
.LBB252_34:
	s_or_b64 exec, exec, s[70:71]
	v_mov_b32_dpp v8, v0 row_shr:4 row_mask:0xf bank_mask:0xf
	v_mov_b32_dpp v9, v1 row_shr:4 row_mask:0xf bank_mask:0xf
	v_mov_b32_dpp v10, v2 row_shr:4 row_mask:0xf bank_mask:0xf
	v_mov_b32_dpp v11, v3 row_shr:4 row_mask:0xf bank_mask:0xf
	v_cmp_lt_u32_e32 vcc, 3, v165
	s_and_saveexec_b64 s[70:71], vcc
	s_cbranch_execz .LBB252_36
; %bb.35:
	v_mov_b32_e32 v0, v8
	v_mov_b32_e32 v1, v9
	v_mov_b32_e32 v2, v10
	v_mov_b32_e32 v3, v11
	s_getpc_b64 s[4:5]
	s_add_u32 s4, s4, _ZZZZN2at6native31launch_logcumsumexp_cuda_kernelERKNS_10TensorBaseES3_lENKUlvE_clEvENKUlvE1_clEvENKUlN3c107complexIdEES8_E_clES8_S8_@rel32@lo+4
	s_addc_u32 s5, s5, _ZZZZN2at6native31launch_logcumsumexp_cuda_kernelERKNS_10TensorBaseES3_lENKUlvE_clEvENKUlvE1_clEvENKUlN3c107complexIdEES8_E_clES8_S8_@rel32@hi+12
	s_swappc_b64 s[30:31], s[4:5]
	v_pk_mov_b32 v[6:7], v[2:3], v[2:3] op_sel:[0,1]
	v_pk_mov_b32 v[4:5], v[0:1], v[0:1] op_sel:[0,1]
.LBB252_36:
	;; [unrolled: 20-line block ×3, first 2 shown]
	s_or_b64 exec, exec, s[70:71]
	v_and_b32_e32 v12, 16, v47
	v_mov_b32_dpp v8, v0 row_bcast:15 row_mask:0xf bank_mask:0xf
	v_mov_b32_dpp v9, v1 row_bcast:15 row_mask:0xf bank_mask:0xf
	;; [unrolled: 1-line block ×4, first 2 shown]
	v_cmp_ne_u32_e32 vcc, 0, v12
	s_and_saveexec_b64 s[70:71], vcc
	s_cbranch_execz .LBB252_40
; %bb.39:
	v_mov_b32_e32 v0, v8
	v_mov_b32_e32 v1, v9
	;; [unrolled: 1-line block ×4, first 2 shown]
	s_getpc_b64 s[4:5]
	s_add_u32 s4, s4, _ZZZZN2at6native31launch_logcumsumexp_cuda_kernelERKNS_10TensorBaseES3_lENKUlvE_clEvENKUlvE1_clEvENKUlN3c107complexIdEES8_E_clES8_S8_@rel32@lo+4
	s_addc_u32 s5, s5, _ZZZZN2at6native31launch_logcumsumexp_cuda_kernelERKNS_10TensorBaseES3_lENKUlvE_clEvENKUlvE1_clEvENKUlN3c107complexIdEES8_E_clES8_S8_@rel32@hi+12
	s_swappc_b64 s[30:31], s[4:5]
	v_mov_b32_e32 v4, v0
	v_mov_b32_e32 v5, v1
	;; [unrolled: 1-line block ×4, first 2 shown]
.LBB252_40:
	s_or_b64 exec, exec, s[70:71]
	v_mov_b32_dpp v0, v0 row_bcast:31 row_mask:0xf bank_mask:0xf
	v_mov_b32_dpp v1, v1 row_bcast:31 row_mask:0xf bank_mask:0xf
	;; [unrolled: 1-line block ×4, first 2 shown]
	v_cmp_lt_u32_e32 vcc, 31, v47
	s_and_saveexec_b64 s[70:71], vcc
	s_cbranch_execz .LBB252_42
; %bb.41:
	s_getpc_b64 s[4:5]
	s_add_u32 s4, s4, _ZZZZN2at6native31launch_logcumsumexp_cuda_kernelERKNS_10TensorBaseES3_lENKUlvE_clEvENKUlvE1_clEvENKUlN3c107complexIdEES8_E_clES8_S8_@rel32@lo+4
	s_addc_u32 s5, s5, _ZZZZN2at6native31launch_logcumsumexp_cuda_kernelERKNS_10TensorBaseES3_lENKUlvE_clEvENKUlvE1_clEvENKUlN3c107complexIdEES8_E_clES8_S8_@rel32@hi+12
	s_swappc_b64 s[30:31], s[4:5]
	v_mov_b32_e32 v4, v0
	v_mov_b32_e32 v5, v1
	v_mov_b32_e32 v6, v2
	v_mov_b32_e32 v7, v3
.LBB252_42:
	s_or_b64 exec, exec, s[70:71]
	s_load_dwordx2 s[68:69], s[68:69], 0x28
	v_cmp_eq_u32_e32 vcc, 63, v41
	s_and_saveexec_b64 s[4:5], vcc
	s_cbranch_execz .LBB252_44
; %bb.43:
	v_mov_b32_e32 v0, 0
	ds_write_b128 v0, v[4:7]
.LBB252_44:
	s_or_b64 exec, exec, s[4:5]
	v_add_u32_e32 v0, -1, v47
	v_and_b32_e32 v1, 64, v47
	v_cmp_lt_i32_e32 vcc, v0, v1
	v_cndmask_b32_e32 v0, v0, v47, vcc
	v_lshlrev_b32_e32 v3, 2, v0
	ds_bpermute_b32 v0, v3, v4
	ds_bpermute_b32 v1, v3, v5
	;; [unrolled: 1-line block ×4, first 2 shown]
	v_cmp_ne_u32_e32 vcc, 0, v41
	s_waitcnt lgkmcnt(0)
	; wave barrier
	s_waitcnt lgkmcnt(0)
	s_and_saveexec_b64 s[70:71], vcc
	s_cbranch_execz .LBB252_46
; %bb.45:
	v_mov_b32_e32 v4, v42
	v_mov_b32_e32 v5, v43
	;; [unrolled: 1-line block ×4, first 2 shown]
	s_getpc_b64 s[72:73]
	s_add_u32 s72, s72, _ZZZZN2at6native31launch_logcumsumexp_cuda_kernelERKNS_10TensorBaseES3_lENKUlvE_clEvENKUlvE1_clEvENKUlN3c107complexIdEES8_E_clES8_S8_@rel32@lo+4
	s_addc_u32 s73, s73, _ZZZZN2at6native31launch_logcumsumexp_cuda_kernelERKNS_10TensorBaseES3_lENKUlvE_clEvENKUlvE1_clEvENKUlN3c107complexIdEES8_E_clES8_S8_@rel32@hi+12
	s_swappc_b64 s[30:31], s[72:73]
	v_mov_b32_e32 v4, v136
	v_mov_b32_e32 v5, v137
	;; [unrolled: 1-line block ×8, first 2 shown]
	;;#ASMSTART
	;;#ASMEND
	s_swappc_b64 s[30:31], s[72:73]
	v_mov_b32_e32 v4, v132
	v_mov_b32_e32 v5, v133
	v_mov_b32_e32 v6, v134
	v_mov_b32_e32 v7, v135
	v_mov_b32_e32 v52, v0
	v_mov_b32_e32 v53, v1
	v_mov_b32_e32 v54, v2
	v_mov_b32_e32 v55, v3
	s_swappc_b64 s[30:31], s[72:73]
	v_mov_b32_e32 v4, v124
	v_mov_b32_e32 v5, v125
	v_mov_b32_e32 v6, v126
	v_mov_b32_e32 v7, v127
	v_mov_b32_e32 v60, v0
	v_mov_b32_e32 v61, v1
	v_mov_b32_e32 v62, v2
	v_mov_b32_e32 v63, v3
	;; [unrolled: 9-line block ×13, first 2 shown]
	s_swappc_b64 s[30:31], s[72:73]
	v_mov_b32_e32 v160, v0
	v_mov_b32_e32 v161, v1
	;; [unrolled: 1-line block ×4, first 2 shown]
.LBB252_46:
	s_or_b64 exec, exec, s[70:71]
	s_movk_i32 s4, 0xff20
	v_mad_i32_i24 v0, v41, s4, v46
	s_waitcnt lgkmcnt(0)
	; wave barrier
	ds_write_b128 v46, v[42:45]
	ds_write_b128 v46, v[52:55] offset:16
	ds_write_b128 v46, v[60:63] offset:32
	;; [unrolled: 1-line block ×14, first 2 shown]
	s_waitcnt lgkmcnt(0)
	; wave barrier
	s_waitcnt lgkmcnt(0)
	ds_read_b128 v[52:55], v0 offset:1024
	ds_read_b128 v[48:51], v0 offset:2048
	;; [unrolled: 1-line block ×14, first 2 shown]
	v_mov_b32_e32 v57, s69
	v_add_co_u32_e32 v56, vcc, s68, v164
	v_addc_co_u32_e32 v57, vcc, 0, v57, vcc
	s_and_saveexec_b64 s[4:5], s[38:39]
	s_cbranch_execnz .LBB252_62
; %bb.47:
	s_or_b64 exec, exec, s[4:5]
	s_and_saveexec_b64 s[4:5], s[40:41]
	s_cbranch_execnz .LBB252_63
.LBB252_48:
	s_or_b64 exec, exec, s[4:5]
	s_and_saveexec_b64 s[4:5], s[42:43]
	s_cbranch_execnz .LBB252_64
.LBB252_49:
	s_or_b64 exec, exec, s[4:5]
	s_and_saveexec_b64 s[4:5], s[44:45]
	s_cbranch_execnz .LBB252_65
.LBB252_50:
	s_or_b64 exec, exec, s[4:5]
	s_and_saveexec_b64 s[4:5], s[46:47]
	s_cbranch_execnz .LBB252_66
.LBB252_51:
	s_or_b64 exec, exec, s[4:5]
	s_and_saveexec_b64 s[4:5], s[48:49]
	s_cbranch_execnz .LBB252_67
.LBB252_52:
	s_or_b64 exec, exec, s[4:5]
	s_and_saveexec_b64 s[4:5], s[50:51]
	s_cbranch_execnz .LBB252_68
.LBB252_53:
	s_or_b64 exec, exec, s[4:5]
	s_and_saveexec_b64 s[4:5], s[52:53]
	s_cbranch_execnz .LBB252_69
.LBB252_54:
	s_or_b64 exec, exec, s[4:5]
	s_and_saveexec_b64 s[4:5], s[54:55]
	s_cbranch_execnz .LBB252_70
.LBB252_55:
	s_or_b64 exec, exec, s[4:5]
	s_and_saveexec_b64 s[4:5], s[56:57]
	s_cbranch_execnz .LBB252_71
.LBB252_56:
	s_or_b64 exec, exec, s[4:5]
	s_and_saveexec_b64 s[4:5], s[58:59]
	s_cbranch_execnz .LBB252_72
.LBB252_57:
	s_or_b64 exec, exec, s[4:5]
	s_and_saveexec_b64 s[4:5], s[60:61]
	s_cbranch_execnz .LBB252_73
.LBB252_58:
	s_or_b64 exec, exec, s[4:5]
	s_and_saveexec_b64 s[4:5], s[62:63]
	s_cbranch_execnz .LBB252_74
.LBB252_59:
	s_or_b64 exec, exec, s[4:5]
	s_and_saveexec_b64 s[4:5], s[64:65]
	s_cbranch_execnz .LBB252_75
.LBB252_60:
	s_or_b64 exec, exec, s[4:5]
	s_and_saveexec_b64 s[4:5], s[66:67]
	s_cbranch_execnz .LBB252_76
.LBB252_61:
	s_endpgm
.LBB252_62:
	ds_read_b128 v[58:61], v164
	s_waitcnt lgkmcnt(0)
	global_store_dwordx4 v[56:57], v[58:61], off
	s_or_b64 exec, exec, s[4:5]
	s_and_saveexec_b64 s[4:5], s[40:41]
	s_cbranch_execz .LBB252_48
.LBB252_63:
	s_waitcnt lgkmcnt(13)
	global_store_dwordx4 v[56:57], v[52:55], off offset:1024
	s_or_b64 exec, exec, s[4:5]
	s_and_saveexec_b64 s[4:5], s[42:43]
	s_cbranch_execz .LBB252_49
.LBB252_64:
	s_waitcnt lgkmcnt(12)
	global_store_dwordx4 v[56:57], v[48:51], off offset:2048
	s_or_b64 exec, exec, s[4:5]
	s_and_saveexec_b64 s[4:5], s[44:45]
	s_cbranch_execz .LBB252_50
.LBB252_65:
	s_waitcnt lgkmcnt(11)
	global_store_dwordx4 v[56:57], v[44:47], off offset:3072
	s_or_b64 exec, exec, s[4:5]
	s_and_saveexec_b64 s[4:5], s[46:47]
	s_cbranch_execz .LBB252_51
.LBB252_66:
	s_waitcnt lgkmcnt(11)
	v_add_co_u32_e32 v44, vcc, 0x1000, v56
	v_addc_co_u32_e32 v45, vcc, 0, v57, vcc
	s_waitcnt lgkmcnt(10)
	global_store_dwordx4 v[44:45], v[40:43], off
	s_or_b64 exec, exec, s[4:5]
	s_and_saveexec_b64 s[4:5], s[48:49]
	s_cbranch_execz .LBB252_52
.LBB252_67:
	s_waitcnt lgkmcnt(10)
	v_add_co_u32_e32 v40, vcc, 0x1000, v56
	v_addc_co_u32_e32 v41, vcc, 0, v57, vcc
	s_waitcnt lgkmcnt(9)
	global_store_dwordx4 v[40:41], v[36:39], off offset:1024
	s_or_b64 exec, exec, s[4:5]
	s_and_saveexec_b64 s[4:5], s[50:51]
	s_cbranch_execz .LBB252_53
.LBB252_68:
	s_waitcnt lgkmcnt(9)
	v_add_co_u32_e32 v36, vcc, 0x1000, v56
	v_addc_co_u32_e32 v37, vcc, 0, v57, vcc
	s_waitcnt lgkmcnt(8)
	global_store_dwordx4 v[36:37], v[32:35], off offset:2048
	s_or_b64 exec, exec, s[4:5]
	s_and_saveexec_b64 s[4:5], s[52:53]
	s_cbranch_execz .LBB252_54
.LBB252_69:
	s_waitcnt lgkmcnt(8)
	v_add_co_u32_e32 v32, vcc, 0x1000, v56
	v_addc_co_u32_e32 v33, vcc, 0, v57, vcc
	s_waitcnt lgkmcnt(7)
	global_store_dwordx4 v[32:33], v[28:31], off offset:3072
	s_or_b64 exec, exec, s[4:5]
	s_and_saveexec_b64 s[4:5], s[54:55]
	s_cbranch_execz .LBB252_55
.LBB252_70:
	s_waitcnt lgkmcnt(7)
	v_add_co_u32_e32 v28, vcc, 0x2000, v56
	v_addc_co_u32_e32 v29, vcc, 0, v57, vcc
	s_waitcnt lgkmcnt(6)
	global_store_dwordx4 v[28:29], v[24:27], off
	s_or_b64 exec, exec, s[4:5]
	s_and_saveexec_b64 s[4:5], s[56:57]
	s_cbranch_execz .LBB252_56
.LBB252_71:
	s_waitcnt lgkmcnt(6)
	v_add_co_u32_e32 v24, vcc, 0x2000, v56
	v_addc_co_u32_e32 v25, vcc, 0, v57, vcc
	s_waitcnt lgkmcnt(5)
	global_store_dwordx4 v[24:25], v[20:23], off offset:1024
	s_or_b64 exec, exec, s[4:5]
	s_and_saveexec_b64 s[4:5], s[58:59]
	s_cbranch_execz .LBB252_57
.LBB252_72:
	s_waitcnt lgkmcnt(5)
	v_add_co_u32_e32 v20, vcc, 0x2000, v56
	v_addc_co_u32_e32 v21, vcc, 0, v57, vcc
	s_waitcnt lgkmcnt(4)
	global_store_dwordx4 v[20:21], v[16:19], off offset:2048
	s_or_b64 exec, exec, s[4:5]
	s_and_saveexec_b64 s[4:5], s[60:61]
	s_cbranch_execz .LBB252_58
.LBB252_73:
	s_waitcnt lgkmcnt(4)
	v_add_co_u32_e32 v16, vcc, 0x2000, v56
	v_addc_co_u32_e32 v17, vcc, 0, v57, vcc
	s_waitcnt lgkmcnt(3)
	global_store_dwordx4 v[16:17], v[12:15], off offset:3072
	s_or_b64 exec, exec, s[4:5]
	s_and_saveexec_b64 s[4:5], s[62:63]
	s_cbranch_execz .LBB252_59
.LBB252_74:
	s_waitcnt lgkmcnt(3)
	v_add_co_u32_e32 v12, vcc, 0x3000, v56
	v_addc_co_u32_e32 v13, vcc, 0, v57, vcc
	s_waitcnt lgkmcnt(2)
	global_store_dwordx4 v[12:13], v[8:11], off
	s_or_b64 exec, exec, s[4:5]
	s_and_saveexec_b64 s[4:5], s[64:65]
	s_cbranch_execz .LBB252_60
.LBB252_75:
	s_waitcnt lgkmcnt(2)
	v_add_co_u32_e32 v8, vcc, 0x3000, v56
	v_addc_co_u32_e32 v9, vcc, 0, v57, vcc
	s_waitcnt lgkmcnt(1)
	global_store_dwordx4 v[8:9], v[4:7], off offset:1024
	s_or_b64 exec, exec, s[4:5]
	s_and_saveexec_b64 s[4:5], s[66:67]
	s_cbranch_execz .LBB252_61
.LBB252_76:
	s_waitcnt lgkmcnt(1)
	v_add_co_u32_e32 v4, vcc, 0x3000, v56
	v_addc_co_u32_e32 v5, vcc, 0, v57, vcc
	s_waitcnt lgkmcnt(0)
	global_store_dwordx4 v[4:5], v[0:3], off offset:2048
	s_endpgm
	.section	.rodata,"a",@progbits
	.p2align	6, 0x0
	.amdhsa_kernel _ZN7rocprim17ROCPRIM_400000_NS6detail17trampoline_kernelINS0_14default_configENS1_20scan_config_selectorIN3c107complexIdEEEEZZNS1_9scan_implILNS1_25lookback_scan_determinismE0ELb0ELb0ES3_PKS7_PS7_S7_ZZZN2at6native31launch_logcumsumexp_cuda_kernelERKNSE_10TensorBaseESI_lENKUlvE_clEvENKUlvE1_clEvEUlS7_S7_E_S7_EEDaPvRmT3_T4_T5_mT6_P12ihipStream_tbENKUlT_T0_E_clISt17integral_constantIbLb0EESY_IbLb1EEEEDaSU_SV_EUlSU_E0_NS1_11comp_targetILNS1_3genE4ELNS1_11target_archE910ELNS1_3gpuE8ELNS1_3repE0EEENS1_30default_config_static_selectorELNS0_4arch9wavefront6targetE1EEEvT1_
		.amdhsa_group_segment_fixed_size 15360
		.amdhsa_private_segment_fixed_size 8
		.amdhsa_kernarg_size 48
		.amdhsa_user_sgpr_count 8
		.amdhsa_user_sgpr_private_segment_buffer 1
		.amdhsa_user_sgpr_dispatch_ptr 0
		.amdhsa_user_sgpr_queue_ptr 0
		.amdhsa_user_sgpr_kernarg_segment_ptr 1
		.amdhsa_user_sgpr_dispatch_id 0
		.amdhsa_user_sgpr_flat_scratch_init 1
		.amdhsa_user_sgpr_kernarg_preload_length 0
		.amdhsa_user_sgpr_kernarg_preload_offset 0
		.amdhsa_user_sgpr_private_segment_size 0
		.amdhsa_uses_dynamic_stack 0
		.amdhsa_system_sgpr_private_segment_wavefront_offset 1
		.amdhsa_system_sgpr_workgroup_id_x 1
		.amdhsa_system_sgpr_workgroup_id_y 0
		.amdhsa_system_sgpr_workgroup_id_z 0
		.amdhsa_system_sgpr_workgroup_info 0
		.amdhsa_system_vgpr_workitem_id 0
		.amdhsa_next_free_vgpr 166
		.amdhsa_next_free_sgpr 74
		.amdhsa_accum_offset 168
		.amdhsa_reserve_vcc 1
		.amdhsa_reserve_flat_scratch 1
		.amdhsa_float_round_mode_32 0
		.amdhsa_float_round_mode_16_64 0
		.amdhsa_float_denorm_mode_32 3
		.amdhsa_float_denorm_mode_16_64 3
		.amdhsa_dx10_clamp 1
		.amdhsa_ieee_mode 1
		.amdhsa_fp16_overflow 0
		.amdhsa_tg_split 0
		.amdhsa_exception_fp_ieee_invalid_op 0
		.amdhsa_exception_fp_denorm_src 0
		.amdhsa_exception_fp_ieee_div_zero 0
		.amdhsa_exception_fp_ieee_overflow 0
		.amdhsa_exception_fp_ieee_underflow 0
		.amdhsa_exception_fp_ieee_inexact 0
		.amdhsa_exception_int_div_zero 0
	.end_amdhsa_kernel
	.section	.text._ZN7rocprim17ROCPRIM_400000_NS6detail17trampoline_kernelINS0_14default_configENS1_20scan_config_selectorIN3c107complexIdEEEEZZNS1_9scan_implILNS1_25lookback_scan_determinismE0ELb0ELb0ES3_PKS7_PS7_S7_ZZZN2at6native31launch_logcumsumexp_cuda_kernelERKNSE_10TensorBaseESI_lENKUlvE_clEvENKUlvE1_clEvEUlS7_S7_E_S7_EEDaPvRmT3_T4_T5_mT6_P12ihipStream_tbENKUlT_T0_E_clISt17integral_constantIbLb0EESY_IbLb1EEEEDaSU_SV_EUlSU_E0_NS1_11comp_targetILNS1_3genE4ELNS1_11target_archE910ELNS1_3gpuE8ELNS1_3repE0EEENS1_30default_config_static_selectorELNS0_4arch9wavefront6targetE1EEEvT1_,"axG",@progbits,_ZN7rocprim17ROCPRIM_400000_NS6detail17trampoline_kernelINS0_14default_configENS1_20scan_config_selectorIN3c107complexIdEEEEZZNS1_9scan_implILNS1_25lookback_scan_determinismE0ELb0ELb0ES3_PKS7_PS7_S7_ZZZN2at6native31launch_logcumsumexp_cuda_kernelERKNSE_10TensorBaseESI_lENKUlvE_clEvENKUlvE1_clEvEUlS7_S7_E_S7_EEDaPvRmT3_T4_T5_mT6_P12ihipStream_tbENKUlT_T0_E_clISt17integral_constantIbLb0EESY_IbLb1EEEEDaSU_SV_EUlSU_E0_NS1_11comp_targetILNS1_3genE4ELNS1_11target_archE910ELNS1_3gpuE8ELNS1_3repE0EEENS1_30default_config_static_selectorELNS0_4arch9wavefront6targetE1EEEvT1_,comdat
.Lfunc_end252:
	.size	_ZN7rocprim17ROCPRIM_400000_NS6detail17trampoline_kernelINS0_14default_configENS1_20scan_config_selectorIN3c107complexIdEEEEZZNS1_9scan_implILNS1_25lookback_scan_determinismE0ELb0ELb0ES3_PKS7_PS7_S7_ZZZN2at6native31launch_logcumsumexp_cuda_kernelERKNSE_10TensorBaseESI_lENKUlvE_clEvENKUlvE1_clEvEUlS7_S7_E_S7_EEDaPvRmT3_T4_T5_mT6_P12ihipStream_tbENKUlT_T0_E_clISt17integral_constantIbLb0EESY_IbLb1EEEEDaSU_SV_EUlSU_E0_NS1_11comp_targetILNS1_3genE4ELNS1_11target_archE910ELNS1_3gpuE8ELNS1_3repE0EEENS1_30default_config_static_selectorELNS0_4arch9wavefront6targetE1EEEvT1_, .Lfunc_end252-_ZN7rocprim17ROCPRIM_400000_NS6detail17trampoline_kernelINS0_14default_configENS1_20scan_config_selectorIN3c107complexIdEEEEZZNS1_9scan_implILNS1_25lookback_scan_determinismE0ELb0ELb0ES3_PKS7_PS7_S7_ZZZN2at6native31launch_logcumsumexp_cuda_kernelERKNSE_10TensorBaseESI_lENKUlvE_clEvENKUlvE1_clEvEUlS7_S7_E_S7_EEDaPvRmT3_T4_T5_mT6_P12ihipStream_tbENKUlT_T0_E_clISt17integral_constantIbLb0EESY_IbLb1EEEEDaSU_SV_EUlSU_E0_NS1_11comp_targetILNS1_3genE4ELNS1_11target_archE910ELNS1_3gpuE8ELNS1_3repE0EEENS1_30default_config_static_selectorELNS0_4arch9wavefront6targetE1EEEvT1_
                                        ; -- End function
	.section	.AMDGPU.csdata,"",@progbits
; Kernel info:
; codeLenInByte = 3992
; NumSgprs: 80
; NumVgprs: 166
; NumAgprs: 0
; TotalNumVgprs: 166
; ScratchSize: 8
; MemoryBound: 1
; FloatMode: 240
; IeeeMode: 1
; LDSByteSize: 15360 bytes/workgroup (compile time only)
; SGPRBlocks: 9
; VGPRBlocks: 20
; NumSGPRsForWavesPerEU: 80
; NumVGPRsForWavesPerEU: 166
; AccumOffset: 168
; Occupancy: 1
; WaveLimiterHint : 0
; COMPUTE_PGM_RSRC2:SCRATCH_EN: 1
; COMPUTE_PGM_RSRC2:USER_SGPR: 8
; COMPUTE_PGM_RSRC2:TRAP_HANDLER: 0
; COMPUTE_PGM_RSRC2:TGID_X_EN: 1
; COMPUTE_PGM_RSRC2:TGID_Y_EN: 0
; COMPUTE_PGM_RSRC2:TGID_Z_EN: 0
; COMPUTE_PGM_RSRC2:TIDIG_COMP_CNT: 0
; COMPUTE_PGM_RSRC3_GFX90A:ACCUM_OFFSET: 41
; COMPUTE_PGM_RSRC3_GFX90A:TG_SPLIT: 0
	.section	.text._ZN7rocprim17ROCPRIM_400000_NS6detail17trampoline_kernelINS0_14default_configENS1_20scan_config_selectorIN3c107complexIdEEEEZZNS1_9scan_implILNS1_25lookback_scan_determinismE0ELb0ELb0ES3_PKS7_PS7_S7_ZZZN2at6native31launch_logcumsumexp_cuda_kernelERKNSE_10TensorBaseESI_lENKUlvE_clEvENKUlvE1_clEvEUlS7_S7_E_S7_EEDaPvRmT3_T4_T5_mT6_P12ihipStream_tbENKUlT_T0_E_clISt17integral_constantIbLb0EESY_IbLb1EEEEDaSU_SV_EUlSU_E0_NS1_11comp_targetILNS1_3genE3ELNS1_11target_archE908ELNS1_3gpuE7ELNS1_3repE0EEENS1_30default_config_static_selectorELNS0_4arch9wavefront6targetE1EEEvT1_,"axG",@progbits,_ZN7rocprim17ROCPRIM_400000_NS6detail17trampoline_kernelINS0_14default_configENS1_20scan_config_selectorIN3c107complexIdEEEEZZNS1_9scan_implILNS1_25lookback_scan_determinismE0ELb0ELb0ES3_PKS7_PS7_S7_ZZZN2at6native31launch_logcumsumexp_cuda_kernelERKNSE_10TensorBaseESI_lENKUlvE_clEvENKUlvE1_clEvEUlS7_S7_E_S7_EEDaPvRmT3_T4_T5_mT6_P12ihipStream_tbENKUlT_T0_E_clISt17integral_constantIbLb0EESY_IbLb1EEEEDaSU_SV_EUlSU_E0_NS1_11comp_targetILNS1_3genE3ELNS1_11target_archE908ELNS1_3gpuE7ELNS1_3repE0EEENS1_30default_config_static_selectorELNS0_4arch9wavefront6targetE1EEEvT1_,comdat
	.globl	_ZN7rocprim17ROCPRIM_400000_NS6detail17trampoline_kernelINS0_14default_configENS1_20scan_config_selectorIN3c107complexIdEEEEZZNS1_9scan_implILNS1_25lookback_scan_determinismE0ELb0ELb0ES3_PKS7_PS7_S7_ZZZN2at6native31launch_logcumsumexp_cuda_kernelERKNSE_10TensorBaseESI_lENKUlvE_clEvENKUlvE1_clEvEUlS7_S7_E_S7_EEDaPvRmT3_T4_T5_mT6_P12ihipStream_tbENKUlT_T0_E_clISt17integral_constantIbLb0EESY_IbLb1EEEEDaSU_SV_EUlSU_E0_NS1_11comp_targetILNS1_3genE3ELNS1_11target_archE908ELNS1_3gpuE7ELNS1_3repE0EEENS1_30default_config_static_selectorELNS0_4arch9wavefront6targetE1EEEvT1_ ; -- Begin function _ZN7rocprim17ROCPRIM_400000_NS6detail17trampoline_kernelINS0_14default_configENS1_20scan_config_selectorIN3c107complexIdEEEEZZNS1_9scan_implILNS1_25lookback_scan_determinismE0ELb0ELb0ES3_PKS7_PS7_S7_ZZZN2at6native31launch_logcumsumexp_cuda_kernelERKNSE_10TensorBaseESI_lENKUlvE_clEvENKUlvE1_clEvEUlS7_S7_E_S7_EEDaPvRmT3_T4_T5_mT6_P12ihipStream_tbENKUlT_T0_E_clISt17integral_constantIbLb0EESY_IbLb1EEEEDaSU_SV_EUlSU_E0_NS1_11comp_targetILNS1_3genE3ELNS1_11target_archE908ELNS1_3gpuE7ELNS1_3repE0EEENS1_30default_config_static_selectorELNS0_4arch9wavefront6targetE1EEEvT1_
	.p2align	8
	.type	_ZN7rocprim17ROCPRIM_400000_NS6detail17trampoline_kernelINS0_14default_configENS1_20scan_config_selectorIN3c107complexIdEEEEZZNS1_9scan_implILNS1_25lookback_scan_determinismE0ELb0ELb0ES3_PKS7_PS7_S7_ZZZN2at6native31launch_logcumsumexp_cuda_kernelERKNSE_10TensorBaseESI_lENKUlvE_clEvENKUlvE1_clEvEUlS7_S7_E_S7_EEDaPvRmT3_T4_T5_mT6_P12ihipStream_tbENKUlT_T0_E_clISt17integral_constantIbLb0EESY_IbLb1EEEEDaSU_SV_EUlSU_E0_NS1_11comp_targetILNS1_3genE3ELNS1_11target_archE908ELNS1_3gpuE7ELNS1_3repE0EEENS1_30default_config_static_selectorELNS0_4arch9wavefront6targetE1EEEvT1_,@function
_ZN7rocprim17ROCPRIM_400000_NS6detail17trampoline_kernelINS0_14default_configENS1_20scan_config_selectorIN3c107complexIdEEEEZZNS1_9scan_implILNS1_25lookback_scan_determinismE0ELb0ELb0ES3_PKS7_PS7_S7_ZZZN2at6native31launch_logcumsumexp_cuda_kernelERKNSE_10TensorBaseESI_lENKUlvE_clEvENKUlvE1_clEvEUlS7_S7_E_S7_EEDaPvRmT3_T4_T5_mT6_P12ihipStream_tbENKUlT_T0_E_clISt17integral_constantIbLb0EESY_IbLb1EEEEDaSU_SV_EUlSU_E0_NS1_11comp_targetILNS1_3genE3ELNS1_11target_archE908ELNS1_3gpuE7ELNS1_3repE0EEENS1_30default_config_static_selectorELNS0_4arch9wavefront6targetE1EEEvT1_: ; @_ZN7rocprim17ROCPRIM_400000_NS6detail17trampoline_kernelINS0_14default_configENS1_20scan_config_selectorIN3c107complexIdEEEEZZNS1_9scan_implILNS1_25lookback_scan_determinismE0ELb0ELb0ES3_PKS7_PS7_S7_ZZZN2at6native31launch_logcumsumexp_cuda_kernelERKNSE_10TensorBaseESI_lENKUlvE_clEvENKUlvE1_clEvEUlS7_S7_E_S7_EEDaPvRmT3_T4_T5_mT6_P12ihipStream_tbENKUlT_T0_E_clISt17integral_constantIbLb0EESY_IbLb1EEEEDaSU_SV_EUlSU_E0_NS1_11comp_targetILNS1_3genE3ELNS1_11target_archE908ELNS1_3gpuE7ELNS1_3repE0EEENS1_30default_config_static_selectorELNS0_4arch9wavefront6targetE1EEEvT1_
; %bb.0:
	.section	.rodata,"a",@progbits
	.p2align	6, 0x0
	.amdhsa_kernel _ZN7rocprim17ROCPRIM_400000_NS6detail17trampoline_kernelINS0_14default_configENS1_20scan_config_selectorIN3c107complexIdEEEEZZNS1_9scan_implILNS1_25lookback_scan_determinismE0ELb0ELb0ES3_PKS7_PS7_S7_ZZZN2at6native31launch_logcumsumexp_cuda_kernelERKNSE_10TensorBaseESI_lENKUlvE_clEvENKUlvE1_clEvEUlS7_S7_E_S7_EEDaPvRmT3_T4_T5_mT6_P12ihipStream_tbENKUlT_T0_E_clISt17integral_constantIbLb0EESY_IbLb1EEEEDaSU_SV_EUlSU_E0_NS1_11comp_targetILNS1_3genE3ELNS1_11target_archE908ELNS1_3gpuE7ELNS1_3repE0EEENS1_30default_config_static_selectorELNS0_4arch9wavefront6targetE1EEEvT1_
		.amdhsa_group_segment_fixed_size 0
		.amdhsa_private_segment_fixed_size 0
		.amdhsa_kernarg_size 48
		.amdhsa_user_sgpr_count 6
		.amdhsa_user_sgpr_private_segment_buffer 1
		.amdhsa_user_sgpr_dispatch_ptr 0
		.amdhsa_user_sgpr_queue_ptr 0
		.amdhsa_user_sgpr_kernarg_segment_ptr 1
		.amdhsa_user_sgpr_dispatch_id 0
		.amdhsa_user_sgpr_flat_scratch_init 0
		.amdhsa_user_sgpr_kernarg_preload_length 0
		.amdhsa_user_sgpr_kernarg_preload_offset 0
		.amdhsa_user_sgpr_private_segment_size 0
		.amdhsa_uses_dynamic_stack 0
		.amdhsa_system_sgpr_private_segment_wavefront_offset 0
		.amdhsa_system_sgpr_workgroup_id_x 1
		.amdhsa_system_sgpr_workgroup_id_y 0
		.amdhsa_system_sgpr_workgroup_id_z 0
		.amdhsa_system_sgpr_workgroup_info 0
		.amdhsa_system_vgpr_workitem_id 0
		.amdhsa_next_free_vgpr 1
		.amdhsa_next_free_sgpr 0
		.amdhsa_accum_offset 4
		.amdhsa_reserve_vcc 0
		.amdhsa_reserve_flat_scratch 0
		.amdhsa_float_round_mode_32 0
		.amdhsa_float_round_mode_16_64 0
		.amdhsa_float_denorm_mode_32 3
		.amdhsa_float_denorm_mode_16_64 3
		.amdhsa_dx10_clamp 1
		.amdhsa_ieee_mode 1
		.amdhsa_fp16_overflow 0
		.amdhsa_tg_split 0
		.amdhsa_exception_fp_ieee_invalid_op 0
		.amdhsa_exception_fp_denorm_src 0
		.amdhsa_exception_fp_ieee_div_zero 0
		.amdhsa_exception_fp_ieee_overflow 0
		.amdhsa_exception_fp_ieee_underflow 0
		.amdhsa_exception_fp_ieee_inexact 0
		.amdhsa_exception_int_div_zero 0
	.end_amdhsa_kernel
	.section	.text._ZN7rocprim17ROCPRIM_400000_NS6detail17trampoline_kernelINS0_14default_configENS1_20scan_config_selectorIN3c107complexIdEEEEZZNS1_9scan_implILNS1_25lookback_scan_determinismE0ELb0ELb0ES3_PKS7_PS7_S7_ZZZN2at6native31launch_logcumsumexp_cuda_kernelERKNSE_10TensorBaseESI_lENKUlvE_clEvENKUlvE1_clEvEUlS7_S7_E_S7_EEDaPvRmT3_T4_T5_mT6_P12ihipStream_tbENKUlT_T0_E_clISt17integral_constantIbLb0EESY_IbLb1EEEEDaSU_SV_EUlSU_E0_NS1_11comp_targetILNS1_3genE3ELNS1_11target_archE908ELNS1_3gpuE7ELNS1_3repE0EEENS1_30default_config_static_selectorELNS0_4arch9wavefront6targetE1EEEvT1_,"axG",@progbits,_ZN7rocprim17ROCPRIM_400000_NS6detail17trampoline_kernelINS0_14default_configENS1_20scan_config_selectorIN3c107complexIdEEEEZZNS1_9scan_implILNS1_25lookback_scan_determinismE0ELb0ELb0ES3_PKS7_PS7_S7_ZZZN2at6native31launch_logcumsumexp_cuda_kernelERKNSE_10TensorBaseESI_lENKUlvE_clEvENKUlvE1_clEvEUlS7_S7_E_S7_EEDaPvRmT3_T4_T5_mT6_P12ihipStream_tbENKUlT_T0_E_clISt17integral_constantIbLb0EESY_IbLb1EEEEDaSU_SV_EUlSU_E0_NS1_11comp_targetILNS1_3genE3ELNS1_11target_archE908ELNS1_3gpuE7ELNS1_3repE0EEENS1_30default_config_static_selectorELNS0_4arch9wavefront6targetE1EEEvT1_,comdat
.Lfunc_end253:
	.size	_ZN7rocprim17ROCPRIM_400000_NS6detail17trampoline_kernelINS0_14default_configENS1_20scan_config_selectorIN3c107complexIdEEEEZZNS1_9scan_implILNS1_25lookback_scan_determinismE0ELb0ELb0ES3_PKS7_PS7_S7_ZZZN2at6native31launch_logcumsumexp_cuda_kernelERKNSE_10TensorBaseESI_lENKUlvE_clEvENKUlvE1_clEvEUlS7_S7_E_S7_EEDaPvRmT3_T4_T5_mT6_P12ihipStream_tbENKUlT_T0_E_clISt17integral_constantIbLb0EESY_IbLb1EEEEDaSU_SV_EUlSU_E0_NS1_11comp_targetILNS1_3genE3ELNS1_11target_archE908ELNS1_3gpuE7ELNS1_3repE0EEENS1_30default_config_static_selectorELNS0_4arch9wavefront6targetE1EEEvT1_, .Lfunc_end253-_ZN7rocprim17ROCPRIM_400000_NS6detail17trampoline_kernelINS0_14default_configENS1_20scan_config_selectorIN3c107complexIdEEEEZZNS1_9scan_implILNS1_25lookback_scan_determinismE0ELb0ELb0ES3_PKS7_PS7_S7_ZZZN2at6native31launch_logcumsumexp_cuda_kernelERKNSE_10TensorBaseESI_lENKUlvE_clEvENKUlvE1_clEvEUlS7_S7_E_S7_EEDaPvRmT3_T4_T5_mT6_P12ihipStream_tbENKUlT_T0_E_clISt17integral_constantIbLb0EESY_IbLb1EEEEDaSU_SV_EUlSU_E0_NS1_11comp_targetILNS1_3genE3ELNS1_11target_archE908ELNS1_3gpuE7ELNS1_3repE0EEENS1_30default_config_static_selectorELNS0_4arch9wavefront6targetE1EEEvT1_
                                        ; -- End function
	.section	.AMDGPU.csdata,"",@progbits
; Kernel info:
; codeLenInByte = 0
; NumSgprs: 4
; NumVgprs: 0
; NumAgprs: 0
; TotalNumVgprs: 0
; ScratchSize: 0
; MemoryBound: 0
; FloatMode: 240
; IeeeMode: 1
; LDSByteSize: 0 bytes/workgroup (compile time only)
; SGPRBlocks: 0
; VGPRBlocks: 0
; NumSGPRsForWavesPerEU: 4
; NumVGPRsForWavesPerEU: 1
; AccumOffset: 4
; Occupancy: 8
; WaveLimiterHint : 0
; COMPUTE_PGM_RSRC2:SCRATCH_EN: 0
; COMPUTE_PGM_RSRC2:USER_SGPR: 6
; COMPUTE_PGM_RSRC2:TRAP_HANDLER: 0
; COMPUTE_PGM_RSRC2:TGID_X_EN: 1
; COMPUTE_PGM_RSRC2:TGID_Y_EN: 0
; COMPUTE_PGM_RSRC2:TGID_Z_EN: 0
; COMPUTE_PGM_RSRC2:TIDIG_COMP_CNT: 0
; COMPUTE_PGM_RSRC3_GFX90A:ACCUM_OFFSET: 0
; COMPUTE_PGM_RSRC3_GFX90A:TG_SPLIT: 0
	.section	.text._ZN7rocprim17ROCPRIM_400000_NS6detail17trampoline_kernelINS0_14default_configENS1_20scan_config_selectorIN3c107complexIdEEEEZZNS1_9scan_implILNS1_25lookback_scan_determinismE0ELb0ELb0ES3_PKS7_PS7_S7_ZZZN2at6native31launch_logcumsumexp_cuda_kernelERKNSE_10TensorBaseESI_lENKUlvE_clEvENKUlvE1_clEvEUlS7_S7_E_S7_EEDaPvRmT3_T4_T5_mT6_P12ihipStream_tbENKUlT_T0_E_clISt17integral_constantIbLb0EESY_IbLb1EEEEDaSU_SV_EUlSU_E0_NS1_11comp_targetILNS1_3genE2ELNS1_11target_archE906ELNS1_3gpuE6ELNS1_3repE0EEENS1_30default_config_static_selectorELNS0_4arch9wavefront6targetE1EEEvT1_,"axG",@progbits,_ZN7rocprim17ROCPRIM_400000_NS6detail17trampoline_kernelINS0_14default_configENS1_20scan_config_selectorIN3c107complexIdEEEEZZNS1_9scan_implILNS1_25lookback_scan_determinismE0ELb0ELb0ES3_PKS7_PS7_S7_ZZZN2at6native31launch_logcumsumexp_cuda_kernelERKNSE_10TensorBaseESI_lENKUlvE_clEvENKUlvE1_clEvEUlS7_S7_E_S7_EEDaPvRmT3_T4_T5_mT6_P12ihipStream_tbENKUlT_T0_E_clISt17integral_constantIbLb0EESY_IbLb1EEEEDaSU_SV_EUlSU_E0_NS1_11comp_targetILNS1_3genE2ELNS1_11target_archE906ELNS1_3gpuE6ELNS1_3repE0EEENS1_30default_config_static_selectorELNS0_4arch9wavefront6targetE1EEEvT1_,comdat
	.globl	_ZN7rocprim17ROCPRIM_400000_NS6detail17trampoline_kernelINS0_14default_configENS1_20scan_config_selectorIN3c107complexIdEEEEZZNS1_9scan_implILNS1_25lookback_scan_determinismE0ELb0ELb0ES3_PKS7_PS7_S7_ZZZN2at6native31launch_logcumsumexp_cuda_kernelERKNSE_10TensorBaseESI_lENKUlvE_clEvENKUlvE1_clEvEUlS7_S7_E_S7_EEDaPvRmT3_T4_T5_mT6_P12ihipStream_tbENKUlT_T0_E_clISt17integral_constantIbLb0EESY_IbLb1EEEEDaSU_SV_EUlSU_E0_NS1_11comp_targetILNS1_3genE2ELNS1_11target_archE906ELNS1_3gpuE6ELNS1_3repE0EEENS1_30default_config_static_selectorELNS0_4arch9wavefront6targetE1EEEvT1_ ; -- Begin function _ZN7rocprim17ROCPRIM_400000_NS6detail17trampoline_kernelINS0_14default_configENS1_20scan_config_selectorIN3c107complexIdEEEEZZNS1_9scan_implILNS1_25lookback_scan_determinismE0ELb0ELb0ES3_PKS7_PS7_S7_ZZZN2at6native31launch_logcumsumexp_cuda_kernelERKNSE_10TensorBaseESI_lENKUlvE_clEvENKUlvE1_clEvEUlS7_S7_E_S7_EEDaPvRmT3_T4_T5_mT6_P12ihipStream_tbENKUlT_T0_E_clISt17integral_constantIbLb0EESY_IbLb1EEEEDaSU_SV_EUlSU_E0_NS1_11comp_targetILNS1_3genE2ELNS1_11target_archE906ELNS1_3gpuE6ELNS1_3repE0EEENS1_30default_config_static_selectorELNS0_4arch9wavefront6targetE1EEEvT1_
	.p2align	8
	.type	_ZN7rocprim17ROCPRIM_400000_NS6detail17trampoline_kernelINS0_14default_configENS1_20scan_config_selectorIN3c107complexIdEEEEZZNS1_9scan_implILNS1_25lookback_scan_determinismE0ELb0ELb0ES3_PKS7_PS7_S7_ZZZN2at6native31launch_logcumsumexp_cuda_kernelERKNSE_10TensorBaseESI_lENKUlvE_clEvENKUlvE1_clEvEUlS7_S7_E_S7_EEDaPvRmT3_T4_T5_mT6_P12ihipStream_tbENKUlT_T0_E_clISt17integral_constantIbLb0EESY_IbLb1EEEEDaSU_SV_EUlSU_E0_NS1_11comp_targetILNS1_3genE2ELNS1_11target_archE906ELNS1_3gpuE6ELNS1_3repE0EEENS1_30default_config_static_selectorELNS0_4arch9wavefront6targetE1EEEvT1_,@function
_ZN7rocprim17ROCPRIM_400000_NS6detail17trampoline_kernelINS0_14default_configENS1_20scan_config_selectorIN3c107complexIdEEEEZZNS1_9scan_implILNS1_25lookback_scan_determinismE0ELb0ELb0ES3_PKS7_PS7_S7_ZZZN2at6native31launch_logcumsumexp_cuda_kernelERKNSE_10TensorBaseESI_lENKUlvE_clEvENKUlvE1_clEvEUlS7_S7_E_S7_EEDaPvRmT3_T4_T5_mT6_P12ihipStream_tbENKUlT_T0_E_clISt17integral_constantIbLb0EESY_IbLb1EEEEDaSU_SV_EUlSU_E0_NS1_11comp_targetILNS1_3genE2ELNS1_11target_archE906ELNS1_3gpuE6ELNS1_3repE0EEENS1_30default_config_static_selectorELNS0_4arch9wavefront6targetE1EEEvT1_: ; @_ZN7rocprim17ROCPRIM_400000_NS6detail17trampoline_kernelINS0_14default_configENS1_20scan_config_selectorIN3c107complexIdEEEEZZNS1_9scan_implILNS1_25lookback_scan_determinismE0ELb0ELb0ES3_PKS7_PS7_S7_ZZZN2at6native31launch_logcumsumexp_cuda_kernelERKNSE_10TensorBaseESI_lENKUlvE_clEvENKUlvE1_clEvEUlS7_S7_E_S7_EEDaPvRmT3_T4_T5_mT6_P12ihipStream_tbENKUlT_T0_E_clISt17integral_constantIbLb0EESY_IbLb1EEEEDaSU_SV_EUlSU_E0_NS1_11comp_targetILNS1_3genE2ELNS1_11target_archE906ELNS1_3gpuE6ELNS1_3repE0EEENS1_30default_config_static_selectorELNS0_4arch9wavefront6targetE1EEEvT1_
; %bb.0:
	.section	.rodata,"a",@progbits
	.p2align	6, 0x0
	.amdhsa_kernel _ZN7rocprim17ROCPRIM_400000_NS6detail17trampoline_kernelINS0_14default_configENS1_20scan_config_selectorIN3c107complexIdEEEEZZNS1_9scan_implILNS1_25lookback_scan_determinismE0ELb0ELb0ES3_PKS7_PS7_S7_ZZZN2at6native31launch_logcumsumexp_cuda_kernelERKNSE_10TensorBaseESI_lENKUlvE_clEvENKUlvE1_clEvEUlS7_S7_E_S7_EEDaPvRmT3_T4_T5_mT6_P12ihipStream_tbENKUlT_T0_E_clISt17integral_constantIbLb0EESY_IbLb1EEEEDaSU_SV_EUlSU_E0_NS1_11comp_targetILNS1_3genE2ELNS1_11target_archE906ELNS1_3gpuE6ELNS1_3repE0EEENS1_30default_config_static_selectorELNS0_4arch9wavefront6targetE1EEEvT1_
		.amdhsa_group_segment_fixed_size 0
		.amdhsa_private_segment_fixed_size 0
		.amdhsa_kernarg_size 48
		.amdhsa_user_sgpr_count 6
		.amdhsa_user_sgpr_private_segment_buffer 1
		.amdhsa_user_sgpr_dispatch_ptr 0
		.amdhsa_user_sgpr_queue_ptr 0
		.amdhsa_user_sgpr_kernarg_segment_ptr 1
		.amdhsa_user_sgpr_dispatch_id 0
		.amdhsa_user_sgpr_flat_scratch_init 0
		.amdhsa_user_sgpr_kernarg_preload_length 0
		.amdhsa_user_sgpr_kernarg_preload_offset 0
		.amdhsa_user_sgpr_private_segment_size 0
		.amdhsa_uses_dynamic_stack 0
		.amdhsa_system_sgpr_private_segment_wavefront_offset 0
		.amdhsa_system_sgpr_workgroup_id_x 1
		.amdhsa_system_sgpr_workgroup_id_y 0
		.amdhsa_system_sgpr_workgroup_id_z 0
		.amdhsa_system_sgpr_workgroup_info 0
		.amdhsa_system_vgpr_workitem_id 0
		.amdhsa_next_free_vgpr 1
		.amdhsa_next_free_sgpr 0
		.amdhsa_accum_offset 4
		.amdhsa_reserve_vcc 0
		.amdhsa_reserve_flat_scratch 0
		.amdhsa_float_round_mode_32 0
		.amdhsa_float_round_mode_16_64 0
		.amdhsa_float_denorm_mode_32 3
		.amdhsa_float_denorm_mode_16_64 3
		.amdhsa_dx10_clamp 1
		.amdhsa_ieee_mode 1
		.amdhsa_fp16_overflow 0
		.amdhsa_tg_split 0
		.amdhsa_exception_fp_ieee_invalid_op 0
		.amdhsa_exception_fp_denorm_src 0
		.amdhsa_exception_fp_ieee_div_zero 0
		.amdhsa_exception_fp_ieee_overflow 0
		.amdhsa_exception_fp_ieee_underflow 0
		.amdhsa_exception_fp_ieee_inexact 0
		.amdhsa_exception_int_div_zero 0
	.end_amdhsa_kernel
	.section	.text._ZN7rocprim17ROCPRIM_400000_NS6detail17trampoline_kernelINS0_14default_configENS1_20scan_config_selectorIN3c107complexIdEEEEZZNS1_9scan_implILNS1_25lookback_scan_determinismE0ELb0ELb0ES3_PKS7_PS7_S7_ZZZN2at6native31launch_logcumsumexp_cuda_kernelERKNSE_10TensorBaseESI_lENKUlvE_clEvENKUlvE1_clEvEUlS7_S7_E_S7_EEDaPvRmT3_T4_T5_mT6_P12ihipStream_tbENKUlT_T0_E_clISt17integral_constantIbLb0EESY_IbLb1EEEEDaSU_SV_EUlSU_E0_NS1_11comp_targetILNS1_3genE2ELNS1_11target_archE906ELNS1_3gpuE6ELNS1_3repE0EEENS1_30default_config_static_selectorELNS0_4arch9wavefront6targetE1EEEvT1_,"axG",@progbits,_ZN7rocprim17ROCPRIM_400000_NS6detail17trampoline_kernelINS0_14default_configENS1_20scan_config_selectorIN3c107complexIdEEEEZZNS1_9scan_implILNS1_25lookback_scan_determinismE0ELb0ELb0ES3_PKS7_PS7_S7_ZZZN2at6native31launch_logcumsumexp_cuda_kernelERKNSE_10TensorBaseESI_lENKUlvE_clEvENKUlvE1_clEvEUlS7_S7_E_S7_EEDaPvRmT3_T4_T5_mT6_P12ihipStream_tbENKUlT_T0_E_clISt17integral_constantIbLb0EESY_IbLb1EEEEDaSU_SV_EUlSU_E0_NS1_11comp_targetILNS1_3genE2ELNS1_11target_archE906ELNS1_3gpuE6ELNS1_3repE0EEENS1_30default_config_static_selectorELNS0_4arch9wavefront6targetE1EEEvT1_,comdat
.Lfunc_end254:
	.size	_ZN7rocprim17ROCPRIM_400000_NS6detail17trampoline_kernelINS0_14default_configENS1_20scan_config_selectorIN3c107complexIdEEEEZZNS1_9scan_implILNS1_25lookback_scan_determinismE0ELb0ELb0ES3_PKS7_PS7_S7_ZZZN2at6native31launch_logcumsumexp_cuda_kernelERKNSE_10TensorBaseESI_lENKUlvE_clEvENKUlvE1_clEvEUlS7_S7_E_S7_EEDaPvRmT3_T4_T5_mT6_P12ihipStream_tbENKUlT_T0_E_clISt17integral_constantIbLb0EESY_IbLb1EEEEDaSU_SV_EUlSU_E0_NS1_11comp_targetILNS1_3genE2ELNS1_11target_archE906ELNS1_3gpuE6ELNS1_3repE0EEENS1_30default_config_static_selectorELNS0_4arch9wavefront6targetE1EEEvT1_, .Lfunc_end254-_ZN7rocprim17ROCPRIM_400000_NS6detail17trampoline_kernelINS0_14default_configENS1_20scan_config_selectorIN3c107complexIdEEEEZZNS1_9scan_implILNS1_25lookback_scan_determinismE0ELb0ELb0ES3_PKS7_PS7_S7_ZZZN2at6native31launch_logcumsumexp_cuda_kernelERKNSE_10TensorBaseESI_lENKUlvE_clEvENKUlvE1_clEvEUlS7_S7_E_S7_EEDaPvRmT3_T4_T5_mT6_P12ihipStream_tbENKUlT_T0_E_clISt17integral_constantIbLb0EESY_IbLb1EEEEDaSU_SV_EUlSU_E0_NS1_11comp_targetILNS1_3genE2ELNS1_11target_archE906ELNS1_3gpuE6ELNS1_3repE0EEENS1_30default_config_static_selectorELNS0_4arch9wavefront6targetE1EEEvT1_
                                        ; -- End function
	.section	.AMDGPU.csdata,"",@progbits
; Kernel info:
; codeLenInByte = 0
; NumSgprs: 4
; NumVgprs: 0
; NumAgprs: 0
; TotalNumVgprs: 0
; ScratchSize: 0
; MemoryBound: 0
; FloatMode: 240
; IeeeMode: 1
; LDSByteSize: 0 bytes/workgroup (compile time only)
; SGPRBlocks: 0
; VGPRBlocks: 0
; NumSGPRsForWavesPerEU: 4
; NumVGPRsForWavesPerEU: 1
; AccumOffset: 4
; Occupancy: 8
; WaveLimiterHint : 0
; COMPUTE_PGM_RSRC2:SCRATCH_EN: 0
; COMPUTE_PGM_RSRC2:USER_SGPR: 6
; COMPUTE_PGM_RSRC2:TRAP_HANDLER: 0
; COMPUTE_PGM_RSRC2:TGID_X_EN: 1
; COMPUTE_PGM_RSRC2:TGID_Y_EN: 0
; COMPUTE_PGM_RSRC2:TGID_Z_EN: 0
; COMPUTE_PGM_RSRC2:TIDIG_COMP_CNT: 0
; COMPUTE_PGM_RSRC3_GFX90A:ACCUM_OFFSET: 0
; COMPUTE_PGM_RSRC3_GFX90A:TG_SPLIT: 0
	.section	.text._ZN7rocprim17ROCPRIM_400000_NS6detail17trampoline_kernelINS0_14default_configENS1_20scan_config_selectorIN3c107complexIdEEEEZZNS1_9scan_implILNS1_25lookback_scan_determinismE0ELb0ELb0ES3_PKS7_PS7_S7_ZZZN2at6native31launch_logcumsumexp_cuda_kernelERKNSE_10TensorBaseESI_lENKUlvE_clEvENKUlvE1_clEvEUlS7_S7_E_S7_EEDaPvRmT3_T4_T5_mT6_P12ihipStream_tbENKUlT_T0_E_clISt17integral_constantIbLb0EESY_IbLb1EEEEDaSU_SV_EUlSU_E0_NS1_11comp_targetILNS1_3genE10ELNS1_11target_archE1201ELNS1_3gpuE5ELNS1_3repE0EEENS1_30default_config_static_selectorELNS0_4arch9wavefront6targetE1EEEvT1_,"axG",@progbits,_ZN7rocprim17ROCPRIM_400000_NS6detail17trampoline_kernelINS0_14default_configENS1_20scan_config_selectorIN3c107complexIdEEEEZZNS1_9scan_implILNS1_25lookback_scan_determinismE0ELb0ELb0ES3_PKS7_PS7_S7_ZZZN2at6native31launch_logcumsumexp_cuda_kernelERKNSE_10TensorBaseESI_lENKUlvE_clEvENKUlvE1_clEvEUlS7_S7_E_S7_EEDaPvRmT3_T4_T5_mT6_P12ihipStream_tbENKUlT_T0_E_clISt17integral_constantIbLb0EESY_IbLb1EEEEDaSU_SV_EUlSU_E0_NS1_11comp_targetILNS1_3genE10ELNS1_11target_archE1201ELNS1_3gpuE5ELNS1_3repE0EEENS1_30default_config_static_selectorELNS0_4arch9wavefront6targetE1EEEvT1_,comdat
	.globl	_ZN7rocprim17ROCPRIM_400000_NS6detail17trampoline_kernelINS0_14default_configENS1_20scan_config_selectorIN3c107complexIdEEEEZZNS1_9scan_implILNS1_25lookback_scan_determinismE0ELb0ELb0ES3_PKS7_PS7_S7_ZZZN2at6native31launch_logcumsumexp_cuda_kernelERKNSE_10TensorBaseESI_lENKUlvE_clEvENKUlvE1_clEvEUlS7_S7_E_S7_EEDaPvRmT3_T4_T5_mT6_P12ihipStream_tbENKUlT_T0_E_clISt17integral_constantIbLb0EESY_IbLb1EEEEDaSU_SV_EUlSU_E0_NS1_11comp_targetILNS1_3genE10ELNS1_11target_archE1201ELNS1_3gpuE5ELNS1_3repE0EEENS1_30default_config_static_selectorELNS0_4arch9wavefront6targetE1EEEvT1_ ; -- Begin function _ZN7rocprim17ROCPRIM_400000_NS6detail17trampoline_kernelINS0_14default_configENS1_20scan_config_selectorIN3c107complexIdEEEEZZNS1_9scan_implILNS1_25lookback_scan_determinismE0ELb0ELb0ES3_PKS7_PS7_S7_ZZZN2at6native31launch_logcumsumexp_cuda_kernelERKNSE_10TensorBaseESI_lENKUlvE_clEvENKUlvE1_clEvEUlS7_S7_E_S7_EEDaPvRmT3_T4_T5_mT6_P12ihipStream_tbENKUlT_T0_E_clISt17integral_constantIbLb0EESY_IbLb1EEEEDaSU_SV_EUlSU_E0_NS1_11comp_targetILNS1_3genE10ELNS1_11target_archE1201ELNS1_3gpuE5ELNS1_3repE0EEENS1_30default_config_static_selectorELNS0_4arch9wavefront6targetE1EEEvT1_
	.p2align	8
	.type	_ZN7rocprim17ROCPRIM_400000_NS6detail17trampoline_kernelINS0_14default_configENS1_20scan_config_selectorIN3c107complexIdEEEEZZNS1_9scan_implILNS1_25lookback_scan_determinismE0ELb0ELb0ES3_PKS7_PS7_S7_ZZZN2at6native31launch_logcumsumexp_cuda_kernelERKNSE_10TensorBaseESI_lENKUlvE_clEvENKUlvE1_clEvEUlS7_S7_E_S7_EEDaPvRmT3_T4_T5_mT6_P12ihipStream_tbENKUlT_T0_E_clISt17integral_constantIbLb0EESY_IbLb1EEEEDaSU_SV_EUlSU_E0_NS1_11comp_targetILNS1_3genE10ELNS1_11target_archE1201ELNS1_3gpuE5ELNS1_3repE0EEENS1_30default_config_static_selectorELNS0_4arch9wavefront6targetE1EEEvT1_,@function
_ZN7rocprim17ROCPRIM_400000_NS6detail17trampoline_kernelINS0_14default_configENS1_20scan_config_selectorIN3c107complexIdEEEEZZNS1_9scan_implILNS1_25lookback_scan_determinismE0ELb0ELb0ES3_PKS7_PS7_S7_ZZZN2at6native31launch_logcumsumexp_cuda_kernelERKNSE_10TensorBaseESI_lENKUlvE_clEvENKUlvE1_clEvEUlS7_S7_E_S7_EEDaPvRmT3_T4_T5_mT6_P12ihipStream_tbENKUlT_T0_E_clISt17integral_constantIbLb0EESY_IbLb1EEEEDaSU_SV_EUlSU_E0_NS1_11comp_targetILNS1_3genE10ELNS1_11target_archE1201ELNS1_3gpuE5ELNS1_3repE0EEENS1_30default_config_static_selectorELNS0_4arch9wavefront6targetE1EEEvT1_: ; @_ZN7rocprim17ROCPRIM_400000_NS6detail17trampoline_kernelINS0_14default_configENS1_20scan_config_selectorIN3c107complexIdEEEEZZNS1_9scan_implILNS1_25lookback_scan_determinismE0ELb0ELb0ES3_PKS7_PS7_S7_ZZZN2at6native31launch_logcumsumexp_cuda_kernelERKNSE_10TensorBaseESI_lENKUlvE_clEvENKUlvE1_clEvEUlS7_S7_E_S7_EEDaPvRmT3_T4_T5_mT6_P12ihipStream_tbENKUlT_T0_E_clISt17integral_constantIbLb0EESY_IbLb1EEEEDaSU_SV_EUlSU_E0_NS1_11comp_targetILNS1_3genE10ELNS1_11target_archE1201ELNS1_3gpuE5ELNS1_3repE0EEENS1_30default_config_static_selectorELNS0_4arch9wavefront6targetE1EEEvT1_
; %bb.0:
	.section	.rodata,"a",@progbits
	.p2align	6, 0x0
	.amdhsa_kernel _ZN7rocprim17ROCPRIM_400000_NS6detail17trampoline_kernelINS0_14default_configENS1_20scan_config_selectorIN3c107complexIdEEEEZZNS1_9scan_implILNS1_25lookback_scan_determinismE0ELb0ELb0ES3_PKS7_PS7_S7_ZZZN2at6native31launch_logcumsumexp_cuda_kernelERKNSE_10TensorBaseESI_lENKUlvE_clEvENKUlvE1_clEvEUlS7_S7_E_S7_EEDaPvRmT3_T4_T5_mT6_P12ihipStream_tbENKUlT_T0_E_clISt17integral_constantIbLb0EESY_IbLb1EEEEDaSU_SV_EUlSU_E0_NS1_11comp_targetILNS1_3genE10ELNS1_11target_archE1201ELNS1_3gpuE5ELNS1_3repE0EEENS1_30default_config_static_selectorELNS0_4arch9wavefront6targetE1EEEvT1_
		.amdhsa_group_segment_fixed_size 0
		.amdhsa_private_segment_fixed_size 0
		.amdhsa_kernarg_size 48
		.amdhsa_user_sgpr_count 6
		.amdhsa_user_sgpr_private_segment_buffer 1
		.amdhsa_user_sgpr_dispatch_ptr 0
		.amdhsa_user_sgpr_queue_ptr 0
		.amdhsa_user_sgpr_kernarg_segment_ptr 1
		.amdhsa_user_sgpr_dispatch_id 0
		.amdhsa_user_sgpr_flat_scratch_init 0
		.amdhsa_user_sgpr_kernarg_preload_length 0
		.amdhsa_user_sgpr_kernarg_preload_offset 0
		.amdhsa_user_sgpr_private_segment_size 0
		.amdhsa_uses_dynamic_stack 0
		.amdhsa_system_sgpr_private_segment_wavefront_offset 0
		.amdhsa_system_sgpr_workgroup_id_x 1
		.amdhsa_system_sgpr_workgroup_id_y 0
		.amdhsa_system_sgpr_workgroup_id_z 0
		.amdhsa_system_sgpr_workgroup_info 0
		.amdhsa_system_vgpr_workitem_id 0
		.amdhsa_next_free_vgpr 1
		.amdhsa_next_free_sgpr 0
		.amdhsa_accum_offset 4
		.amdhsa_reserve_vcc 0
		.amdhsa_reserve_flat_scratch 0
		.amdhsa_float_round_mode_32 0
		.amdhsa_float_round_mode_16_64 0
		.amdhsa_float_denorm_mode_32 3
		.amdhsa_float_denorm_mode_16_64 3
		.amdhsa_dx10_clamp 1
		.amdhsa_ieee_mode 1
		.amdhsa_fp16_overflow 0
		.amdhsa_tg_split 0
		.amdhsa_exception_fp_ieee_invalid_op 0
		.amdhsa_exception_fp_denorm_src 0
		.amdhsa_exception_fp_ieee_div_zero 0
		.amdhsa_exception_fp_ieee_overflow 0
		.amdhsa_exception_fp_ieee_underflow 0
		.amdhsa_exception_fp_ieee_inexact 0
		.amdhsa_exception_int_div_zero 0
	.end_amdhsa_kernel
	.section	.text._ZN7rocprim17ROCPRIM_400000_NS6detail17trampoline_kernelINS0_14default_configENS1_20scan_config_selectorIN3c107complexIdEEEEZZNS1_9scan_implILNS1_25lookback_scan_determinismE0ELb0ELb0ES3_PKS7_PS7_S7_ZZZN2at6native31launch_logcumsumexp_cuda_kernelERKNSE_10TensorBaseESI_lENKUlvE_clEvENKUlvE1_clEvEUlS7_S7_E_S7_EEDaPvRmT3_T4_T5_mT6_P12ihipStream_tbENKUlT_T0_E_clISt17integral_constantIbLb0EESY_IbLb1EEEEDaSU_SV_EUlSU_E0_NS1_11comp_targetILNS1_3genE10ELNS1_11target_archE1201ELNS1_3gpuE5ELNS1_3repE0EEENS1_30default_config_static_selectorELNS0_4arch9wavefront6targetE1EEEvT1_,"axG",@progbits,_ZN7rocprim17ROCPRIM_400000_NS6detail17trampoline_kernelINS0_14default_configENS1_20scan_config_selectorIN3c107complexIdEEEEZZNS1_9scan_implILNS1_25lookback_scan_determinismE0ELb0ELb0ES3_PKS7_PS7_S7_ZZZN2at6native31launch_logcumsumexp_cuda_kernelERKNSE_10TensorBaseESI_lENKUlvE_clEvENKUlvE1_clEvEUlS7_S7_E_S7_EEDaPvRmT3_T4_T5_mT6_P12ihipStream_tbENKUlT_T0_E_clISt17integral_constantIbLb0EESY_IbLb1EEEEDaSU_SV_EUlSU_E0_NS1_11comp_targetILNS1_3genE10ELNS1_11target_archE1201ELNS1_3gpuE5ELNS1_3repE0EEENS1_30default_config_static_selectorELNS0_4arch9wavefront6targetE1EEEvT1_,comdat
.Lfunc_end255:
	.size	_ZN7rocprim17ROCPRIM_400000_NS6detail17trampoline_kernelINS0_14default_configENS1_20scan_config_selectorIN3c107complexIdEEEEZZNS1_9scan_implILNS1_25lookback_scan_determinismE0ELb0ELb0ES3_PKS7_PS7_S7_ZZZN2at6native31launch_logcumsumexp_cuda_kernelERKNSE_10TensorBaseESI_lENKUlvE_clEvENKUlvE1_clEvEUlS7_S7_E_S7_EEDaPvRmT3_T4_T5_mT6_P12ihipStream_tbENKUlT_T0_E_clISt17integral_constantIbLb0EESY_IbLb1EEEEDaSU_SV_EUlSU_E0_NS1_11comp_targetILNS1_3genE10ELNS1_11target_archE1201ELNS1_3gpuE5ELNS1_3repE0EEENS1_30default_config_static_selectorELNS0_4arch9wavefront6targetE1EEEvT1_, .Lfunc_end255-_ZN7rocprim17ROCPRIM_400000_NS6detail17trampoline_kernelINS0_14default_configENS1_20scan_config_selectorIN3c107complexIdEEEEZZNS1_9scan_implILNS1_25lookback_scan_determinismE0ELb0ELb0ES3_PKS7_PS7_S7_ZZZN2at6native31launch_logcumsumexp_cuda_kernelERKNSE_10TensorBaseESI_lENKUlvE_clEvENKUlvE1_clEvEUlS7_S7_E_S7_EEDaPvRmT3_T4_T5_mT6_P12ihipStream_tbENKUlT_T0_E_clISt17integral_constantIbLb0EESY_IbLb1EEEEDaSU_SV_EUlSU_E0_NS1_11comp_targetILNS1_3genE10ELNS1_11target_archE1201ELNS1_3gpuE5ELNS1_3repE0EEENS1_30default_config_static_selectorELNS0_4arch9wavefront6targetE1EEEvT1_
                                        ; -- End function
	.section	.AMDGPU.csdata,"",@progbits
; Kernel info:
; codeLenInByte = 0
; NumSgprs: 4
; NumVgprs: 0
; NumAgprs: 0
; TotalNumVgprs: 0
; ScratchSize: 0
; MemoryBound: 0
; FloatMode: 240
; IeeeMode: 1
; LDSByteSize: 0 bytes/workgroup (compile time only)
; SGPRBlocks: 0
; VGPRBlocks: 0
; NumSGPRsForWavesPerEU: 4
; NumVGPRsForWavesPerEU: 1
; AccumOffset: 4
; Occupancy: 8
; WaveLimiterHint : 0
; COMPUTE_PGM_RSRC2:SCRATCH_EN: 0
; COMPUTE_PGM_RSRC2:USER_SGPR: 6
; COMPUTE_PGM_RSRC2:TRAP_HANDLER: 0
; COMPUTE_PGM_RSRC2:TGID_X_EN: 1
; COMPUTE_PGM_RSRC2:TGID_Y_EN: 0
; COMPUTE_PGM_RSRC2:TGID_Z_EN: 0
; COMPUTE_PGM_RSRC2:TIDIG_COMP_CNT: 0
; COMPUTE_PGM_RSRC3_GFX90A:ACCUM_OFFSET: 0
; COMPUTE_PGM_RSRC3_GFX90A:TG_SPLIT: 0
	.section	.text._ZN7rocprim17ROCPRIM_400000_NS6detail17trampoline_kernelINS0_14default_configENS1_20scan_config_selectorIN3c107complexIdEEEEZZNS1_9scan_implILNS1_25lookback_scan_determinismE0ELb0ELb0ES3_PKS7_PS7_S7_ZZZN2at6native31launch_logcumsumexp_cuda_kernelERKNSE_10TensorBaseESI_lENKUlvE_clEvENKUlvE1_clEvEUlS7_S7_E_S7_EEDaPvRmT3_T4_T5_mT6_P12ihipStream_tbENKUlT_T0_E_clISt17integral_constantIbLb0EESY_IbLb1EEEEDaSU_SV_EUlSU_E0_NS1_11comp_targetILNS1_3genE10ELNS1_11target_archE1200ELNS1_3gpuE4ELNS1_3repE0EEENS1_30default_config_static_selectorELNS0_4arch9wavefront6targetE1EEEvT1_,"axG",@progbits,_ZN7rocprim17ROCPRIM_400000_NS6detail17trampoline_kernelINS0_14default_configENS1_20scan_config_selectorIN3c107complexIdEEEEZZNS1_9scan_implILNS1_25lookback_scan_determinismE0ELb0ELb0ES3_PKS7_PS7_S7_ZZZN2at6native31launch_logcumsumexp_cuda_kernelERKNSE_10TensorBaseESI_lENKUlvE_clEvENKUlvE1_clEvEUlS7_S7_E_S7_EEDaPvRmT3_T4_T5_mT6_P12ihipStream_tbENKUlT_T0_E_clISt17integral_constantIbLb0EESY_IbLb1EEEEDaSU_SV_EUlSU_E0_NS1_11comp_targetILNS1_3genE10ELNS1_11target_archE1200ELNS1_3gpuE4ELNS1_3repE0EEENS1_30default_config_static_selectorELNS0_4arch9wavefront6targetE1EEEvT1_,comdat
	.globl	_ZN7rocprim17ROCPRIM_400000_NS6detail17trampoline_kernelINS0_14default_configENS1_20scan_config_selectorIN3c107complexIdEEEEZZNS1_9scan_implILNS1_25lookback_scan_determinismE0ELb0ELb0ES3_PKS7_PS7_S7_ZZZN2at6native31launch_logcumsumexp_cuda_kernelERKNSE_10TensorBaseESI_lENKUlvE_clEvENKUlvE1_clEvEUlS7_S7_E_S7_EEDaPvRmT3_T4_T5_mT6_P12ihipStream_tbENKUlT_T0_E_clISt17integral_constantIbLb0EESY_IbLb1EEEEDaSU_SV_EUlSU_E0_NS1_11comp_targetILNS1_3genE10ELNS1_11target_archE1200ELNS1_3gpuE4ELNS1_3repE0EEENS1_30default_config_static_selectorELNS0_4arch9wavefront6targetE1EEEvT1_ ; -- Begin function _ZN7rocprim17ROCPRIM_400000_NS6detail17trampoline_kernelINS0_14default_configENS1_20scan_config_selectorIN3c107complexIdEEEEZZNS1_9scan_implILNS1_25lookback_scan_determinismE0ELb0ELb0ES3_PKS7_PS7_S7_ZZZN2at6native31launch_logcumsumexp_cuda_kernelERKNSE_10TensorBaseESI_lENKUlvE_clEvENKUlvE1_clEvEUlS7_S7_E_S7_EEDaPvRmT3_T4_T5_mT6_P12ihipStream_tbENKUlT_T0_E_clISt17integral_constantIbLb0EESY_IbLb1EEEEDaSU_SV_EUlSU_E0_NS1_11comp_targetILNS1_3genE10ELNS1_11target_archE1200ELNS1_3gpuE4ELNS1_3repE0EEENS1_30default_config_static_selectorELNS0_4arch9wavefront6targetE1EEEvT1_
	.p2align	8
	.type	_ZN7rocprim17ROCPRIM_400000_NS6detail17trampoline_kernelINS0_14default_configENS1_20scan_config_selectorIN3c107complexIdEEEEZZNS1_9scan_implILNS1_25lookback_scan_determinismE0ELb0ELb0ES3_PKS7_PS7_S7_ZZZN2at6native31launch_logcumsumexp_cuda_kernelERKNSE_10TensorBaseESI_lENKUlvE_clEvENKUlvE1_clEvEUlS7_S7_E_S7_EEDaPvRmT3_T4_T5_mT6_P12ihipStream_tbENKUlT_T0_E_clISt17integral_constantIbLb0EESY_IbLb1EEEEDaSU_SV_EUlSU_E0_NS1_11comp_targetILNS1_3genE10ELNS1_11target_archE1200ELNS1_3gpuE4ELNS1_3repE0EEENS1_30default_config_static_selectorELNS0_4arch9wavefront6targetE1EEEvT1_,@function
_ZN7rocprim17ROCPRIM_400000_NS6detail17trampoline_kernelINS0_14default_configENS1_20scan_config_selectorIN3c107complexIdEEEEZZNS1_9scan_implILNS1_25lookback_scan_determinismE0ELb0ELb0ES3_PKS7_PS7_S7_ZZZN2at6native31launch_logcumsumexp_cuda_kernelERKNSE_10TensorBaseESI_lENKUlvE_clEvENKUlvE1_clEvEUlS7_S7_E_S7_EEDaPvRmT3_T4_T5_mT6_P12ihipStream_tbENKUlT_T0_E_clISt17integral_constantIbLb0EESY_IbLb1EEEEDaSU_SV_EUlSU_E0_NS1_11comp_targetILNS1_3genE10ELNS1_11target_archE1200ELNS1_3gpuE4ELNS1_3repE0EEENS1_30default_config_static_selectorELNS0_4arch9wavefront6targetE1EEEvT1_: ; @_ZN7rocprim17ROCPRIM_400000_NS6detail17trampoline_kernelINS0_14default_configENS1_20scan_config_selectorIN3c107complexIdEEEEZZNS1_9scan_implILNS1_25lookback_scan_determinismE0ELb0ELb0ES3_PKS7_PS7_S7_ZZZN2at6native31launch_logcumsumexp_cuda_kernelERKNSE_10TensorBaseESI_lENKUlvE_clEvENKUlvE1_clEvEUlS7_S7_E_S7_EEDaPvRmT3_T4_T5_mT6_P12ihipStream_tbENKUlT_T0_E_clISt17integral_constantIbLb0EESY_IbLb1EEEEDaSU_SV_EUlSU_E0_NS1_11comp_targetILNS1_3genE10ELNS1_11target_archE1200ELNS1_3gpuE4ELNS1_3repE0EEENS1_30default_config_static_selectorELNS0_4arch9wavefront6targetE1EEEvT1_
; %bb.0:
	.section	.rodata,"a",@progbits
	.p2align	6, 0x0
	.amdhsa_kernel _ZN7rocprim17ROCPRIM_400000_NS6detail17trampoline_kernelINS0_14default_configENS1_20scan_config_selectorIN3c107complexIdEEEEZZNS1_9scan_implILNS1_25lookback_scan_determinismE0ELb0ELb0ES3_PKS7_PS7_S7_ZZZN2at6native31launch_logcumsumexp_cuda_kernelERKNSE_10TensorBaseESI_lENKUlvE_clEvENKUlvE1_clEvEUlS7_S7_E_S7_EEDaPvRmT3_T4_T5_mT6_P12ihipStream_tbENKUlT_T0_E_clISt17integral_constantIbLb0EESY_IbLb1EEEEDaSU_SV_EUlSU_E0_NS1_11comp_targetILNS1_3genE10ELNS1_11target_archE1200ELNS1_3gpuE4ELNS1_3repE0EEENS1_30default_config_static_selectorELNS0_4arch9wavefront6targetE1EEEvT1_
		.amdhsa_group_segment_fixed_size 0
		.amdhsa_private_segment_fixed_size 0
		.amdhsa_kernarg_size 48
		.amdhsa_user_sgpr_count 6
		.amdhsa_user_sgpr_private_segment_buffer 1
		.amdhsa_user_sgpr_dispatch_ptr 0
		.amdhsa_user_sgpr_queue_ptr 0
		.amdhsa_user_sgpr_kernarg_segment_ptr 1
		.amdhsa_user_sgpr_dispatch_id 0
		.amdhsa_user_sgpr_flat_scratch_init 0
		.amdhsa_user_sgpr_kernarg_preload_length 0
		.amdhsa_user_sgpr_kernarg_preload_offset 0
		.amdhsa_user_sgpr_private_segment_size 0
		.amdhsa_uses_dynamic_stack 0
		.amdhsa_system_sgpr_private_segment_wavefront_offset 0
		.amdhsa_system_sgpr_workgroup_id_x 1
		.amdhsa_system_sgpr_workgroup_id_y 0
		.amdhsa_system_sgpr_workgroup_id_z 0
		.amdhsa_system_sgpr_workgroup_info 0
		.amdhsa_system_vgpr_workitem_id 0
		.amdhsa_next_free_vgpr 1
		.amdhsa_next_free_sgpr 0
		.amdhsa_accum_offset 4
		.amdhsa_reserve_vcc 0
		.amdhsa_reserve_flat_scratch 0
		.amdhsa_float_round_mode_32 0
		.amdhsa_float_round_mode_16_64 0
		.amdhsa_float_denorm_mode_32 3
		.amdhsa_float_denorm_mode_16_64 3
		.amdhsa_dx10_clamp 1
		.amdhsa_ieee_mode 1
		.amdhsa_fp16_overflow 0
		.amdhsa_tg_split 0
		.amdhsa_exception_fp_ieee_invalid_op 0
		.amdhsa_exception_fp_denorm_src 0
		.amdhsa_exception_fp_ieee_div_zero 0
		.amdhsa_exception_fp_ieee_overflow 0
		.amdhsa_exception_fp_ieee_underflow 0
		.amdhsa_exception_fp_ieee_inexact 0
		.amdhsa_exception_int_div_zero 0
	.end_amdhsa_kernel
	.section	.text._ZN7rocprim17ROCPRIM_400000_NS6detail17trampoline_kernelINS0_14default_configENS1_20scan_config_selectorIN3c107complexIdEEEEZZNS1_9scan_implILNS1_25lookback_scan_determinismE0ELb0ELb0ES3_PKS7_PS7_S7_ZZZN2at6native31launch_logcumsumexp_cuda_kernelERKNSE_10TensorBaseESI_lENKUlvE_clEvENKUlvE1_clEvEUlS7_S7_E_S7_EEDaPvRmT3_T4_T5_mT6_P12ihipStream_tbENKUlT_T0_E_clISt17integral_constantIbLb0EESY_IbLb1EEEEDaSU_SV_EUlSU_E0_NS1_11comp_targetILNS1_3genE10ELNS1_11target_archE1200ELNS1_3gpuE4ELNS1_3repE0EEENS1_30default_config_static_selectorELNS0_4arch9wavefront6targetE1EEEvT1_,"axG",@progbits,_ZN7rocprim17ROCPRIM_400000_NS6detail17trampoline_kernelINS0_14default_configENS1_20scan_config_selectorIN3c107complexIdEEEEZZNS1_9scan_implILNS1_25lookback_scan_determinismE0ELb0ELb0ES3_PKS7_PS7_S7_ZZZN2at6native31launch_logcumsumexp_cuda_kernelERKNSE_10TensorBaseESI_lENKUlvE_clEvENKUlvE1_clEvEUlS7_S7_E_S7_EEDaPvRmT3_T4_T5_mT6_P12ihipStream_tbENKUlT_T0_E_clISt17integral_constantIbLb0EESY_IbLb1EEEEDaSU_SV_EUlSU_E0_NS1_11comp_targetILNS1_3genE10ELNS1_11target_archE1200ELNS1_3gpuE4ELNS1_3repE0EEENS1_30default_config_static_selectorELNS0_4arch9wavefront6targetE1EEEvT1_,comdat
.Lfunc_end256:
	.size	_ZN7rocprim17ROCPRIM_400000_NS6detail17trampoline_kernelINS0_14default_configENS1_20scan_config_selectorIN3c107complexIdEEEEZZNS1_9scan_implILNS1_25lookback_scan_determinismE0ELb0ELb0ES3_PKS7_PS7_S7_ZZZN2at6native31launch_logcumsumexp_cuda_kernelERKNSE_10TensorBaseESI_lENKUlvE_clEvENKUlvE1_clEvEUlS7_S7_E_S7_EEDaPvRmT3_T4_T5_mT6_P12ihipStream_tbENKUlT_T0_E_clISt17integral_constantIbLb0EESY_IbLb1EEEEDaSU_SV_EUlSU_E0_NS1_11comp_targetILNS1_3genE10ELNS1_11target_archE1200ELNS1_3gpuE4ELNS1_3repE0EEENS1_30default_config_static_selectorELNS0_4arch9wavefront6targetE1EEEvT1_, .Lfunc_end256-_ZN7rocprim17ROCPRIM_400000_NS6detail17trampoline_kernelINS0_14default_configENS1_20scan_config_selectorIN3c107complexIdEEEEZZNS1_9scan_implILNS1_25lookback_scan_determinismE0ELb0ELb0ES3_PKS7_PS7_S7_ZZZN2at6native31launch_logcumsumexp_cuda_kernelERKNSE_10TensorBaseESI_lENKUlvE_clEvENKUlvE1_clEvEUlS7_S7_E_S7_EEDaPvRmT3_T4_T5_mT6_P12ihipStream_tbENKUlT_T0_E_clISt17integral_constantIbLb0EESY_IbLb1EEEEDaSU_SV_EUlSU_E0_NS1_11comp_targetILNS1_3genE10ELNS1_11target_archE1200ELNS1_3gpuE4ELNS1_3repE0EEENS1_30default_config_static_selectorELNS0_4arch9wavefront6targetE1EEEvT1_
                                        ; -- End function
	.section	.AMDGPU.csdata,"",@progbits
; Kernel info:
; codeLenInByte = 0
; NumSgprs: 4
; NumVgprs: 0
; NumAgprs: 0
; TotalNumVgprs: 0
; ScratchSize: 0
; MemoryBound: 0
; FloatMode: 240
; IeeeMode: 1
; LDSByteSize: 0 bytes/workgroup (compile time only)
; SGPRBlocks: 0
; VGPRBlocks: 0
; NumSGPRsForWavesPerEU: 4
; NumVGPRsForWavesPerEU: 1
; AccumOffset: 4
; Occupancy: 8
; WaveLimiterHint : 0
; COMPUTE_PGM_RSRC2:SCRATCH_EN: 0
; COMPUTE_PGM_RSRC2:USER_SGPR: 6
; COMPUTE_PGM_RSRC2:TRAP_HANDLER: 0
; COMPUTE_PGM_RSRC2:TGID_X_EN: 1
; COMPUTE_PGM_RSRC2:TGID_Y_EN: 0
; COMPUTE_PGM_RSRC2:TGID_Z_EN: 0
; COMPUTE_PGM_RSRC2:TIDIG_COMP_CNT: 0
; COMPUTE_PGM_RSRC3_GFX90A:ACCUM_OFFSET: 0
; COMPUTE_PGM_RSRC3_GFX90A:TG_SPLIT: 0
	.section	.text._ZN7rocprim17ROCPRIM_400000_NS6detail17trampoline_kernelINS0_14default_configENS1_20scan_config_selectorIN3c107complexIdEEEEZZNS1_9scan_implILNS1_25lookback_scan_determinismE0ELb0ELb0ES3_PKS7_PS7_S7_ZZZN2at6native31launch_logcumsumexp_cuda_kernelERKNSE_10TensorBaseESI_lENKUlvE_clEvENKUlvE1_clEvEUlS7_S7_E_S7_EEDaPvRmT3_T4_T5_mT6_P12ihipStream_tbENKUlT_T0_E_clISt17integral_constantIbLb0EESY_IbLb1EEEEDaSU_SV_EUlSU_E0_NS1_11comp_targetILNS1_3genE9ELNS1_11target_archE1100ELNS1_3gpuE3ELNS1_3repE0EEENS1_30default_config_static_selectorELNS0_4arch9wavefront6targetE1EEEvT1_,"axG",@progbits,_ZN7rocprim17ROCPRIM_400000_NS6detail17trampoline_kernelINS0_14default_configENS1_20scan_config_selectorIN3c107complexIdEEEEZZNS1_9scan_implILNS1_25lookback_scan_determinismE0ELb0ELb0ES3_PKS7_PS7_S7_ZZZN2at6native31launch_logcumsumexp_cuda_kernelERKNSE_10TensorBaseESI_lENKUlvE_clEvENKUlvE1_clEvEUlS7_S7_E_S7_EEDaPvRmT3_T4_T5_mT6_P12ihipStream_tbENKUlT_T0_E_clISt17integral_constantIbLb0EESY_IbLb1EEEEDaSU_SV_EUlSU_E0_NS1_11comp_targetILNS1_3genE9ELNS1_11target_archE1100ELNS1_3gpuE3ELNS1_3repE0EEENS1_30default_config_static_selectorELNS0_4arch9wavefront6targetE1EEEvT1_,comdat
	.globl	_ZN7rocprim17ROCPRIM_400000_NS6detail17trampoline_kernelINS0_14default_configENS1_20scan_config_selectorIN3c107complexIdEEEEZZNS1_9scan_implILNS1_25lookback_scan_determinismE0ELb0ELb0ES3_PKS7_PS7_S7_ZZZN2at6native31launch_logcumsumexp_cuda_kernelERKNSE_10TensorBaseESI_lENKUlvE_clEvENKUlvE1_clEvEUlS7_S7_E_S7_EEDaPvRmT3_T4_T5_mT6_P12ihipStream_tbENKUlT_T0_E_clISt17integral_constantIbLb0EESY_IbLb1EEEEDaSU_SV_EUlSU_E0_NS1_11comp_targetILNS1_3genE9ELNS1_11target_archE1100ELNS1_3gpuE3ELNS1_3repE0EEENS1_30default_config_static_selectorELNS0_4arch9wavefront6targetE1EEEvT1_ ; -- Begin function _ZN7rocprim17ROCPRIM_400000_NS6detail17trampoline_kernelINS0_14default_configENS1_20scan_config_selectorIN3c107complexIdEEEEZZNS1_9scan_implILNS1_25lookback_scan_determinismE0ELb0ELb0ES3_PKS7_PS7_S7_ZZZN2at6native31launch_logcumsumexp_cuda_kernelERKNSE_10TensorBaseESI_lENKUlvE_clEvENKUlvE1_clEvEUlS7_S7_E_S7_EEDaPvRmT3_T4_T5_mT6_P12ihipStream_tbENKUlT_T0_E_clISt17integral_constantIbLb0EESY_IbLb1EEEEDaSU_SV_EUlSU_E0_NS1_11comp_targetILNS1_3genE9ELNS1_11target_archE1100ELNS1_3gpuE3ELNS1_3repE0EEENS1_30default_config_static_selectorELNS0_4arch9wavefront6targetE1EEEvT1_
	.p2align	8
	.type	_ZN7rocprim17ROCPRIM_400000_NS6detail17trampoline_kernelINS0_14default_configENS1_20scan_config_selectorIN3c107complexIdEEEEZZNS1_9scan_implILNS1_25lookback_scan_determinismE0ELb0ELb0ES3_PKS7_PS7_S7_ZZZN2at6native31launch_logcumsumexp_cuda_kernelERKNSE_10TensorBaseESI_lENKUlvE_clEvENKUlvE1_clEvEUlS7_S7_E_S7_EEDaPvRmT3_T4_T5_mT6_P12ihipStream_tbENKUlT_T0_E_clISt17integral_constantIbLb0EESY_IbLb1EEEEDaSU_SV_EUlSU_E0_NS1_11comp_targetILNS1_3genE9ELNS1_11target_archE1100ELNS1_3gpuE3ELNS1_3repE0EEENS1_30default_config_static_selectorELNS0_4arch9wavefront6targetE1EEEvT1_,@function
_ZN7rocprim17ROCPRIM_400000_NS6detail17trampoline_kernelINS0_14default_configENS1_20scan_config_selectorIN3c107complexIdEEEEZZNS1_9scan_implILNS1_25lookback_scan_determinismE0ELb0ELb0ES3_PKS7_PS7_S7_ZZZN2at6native31launch_logcumsumexp_cuda_kernelERKNSE_10TensorBaseESI_lENKUlvE_clEvENKUlvE1_clEvEUlS7_S7_E_S7_EEDaPvRmT3_T4_T5_mT6_P12ihipStream_tbENKUlT_T0_E_clISt17integral_constantIbLb0EESY_IbLb1EEEEDaSU_SV_EUlSU_E0_NS1_11comp_targetILNS1_3genE9ELNS1_11target_archE1100ELNS1_3gpuE3ELNS1_3repE0EEENS1_30default_config_static_selectorELNS0_4arch9wavefront6targetE1EEEvT1_: ; @_ZN7rocprim17ROCPRIM_400000_NS6detail17trampoline_kernelINS0_14default_configENS1_20scan_config_selectorIN3c107complexIdEEEEZZNS1_9scan_implILNS1_25lookback_scan_determinismE0ELb0ELb0ES3_PKS7_PS7_S7_ZZZN2at6native31launch_logcumsumexp_cuda_kernelERKNSE_10TensorBaseESI_lENKUlvE_clEvENKUlvE1_clEvEUlS7_S7_E_S7_EEDaPvRmT3_T4_T5_mT6_P12ihipStream_tbENKUlT_T0_E_clISt17integral_constantIbLb0EESY_IbLb1EEEEDaSU_SV_EUlSU_E0_NS1_11comp_targetILNS1_3genE9ELNS1_11target_archE1100ELNS1_3gpuE3ELNS1_3repE0EEENS1_30default_config_static_selectorELNS0_4arch9wavefront6targetE1EEEvT1_
; %bb.0:
	.section	.rodata,"a",@progbits
	.p2align	6, 0x0
	.amdhsa_kernel _ZN7rocprim17ROCPRIM_400000_NS6detail17trampoline_kernelINS0_14default_configENS1_20scan_config_selectorIN3c107complexIdEEEEZZNS1_9scan_implILNS1_25lookback_scan_determinismE0ELb0ELb0ES3_PKS7_PS7_S7_ZZZN2at6native31launch_logcumsumexp_cuda_kernelERKNSE_10TensorBaseESI_lENKUlvE_clEvENKUlvE1_clEvEUlS7_S7_E_S7_EEDaPvRmT3_T4_T5_mT6_P12ihipStream_tbENKUlT_T0_E_clISt17integral_constantIbLb0EESY_IbLb1EEEEDaSU_SV_EUlSU_E0_NS1_11comp_targetILNS1_3genE9ELNS1_11target_archE1100ELNS1_3gpuE3ELNS1_3repE0EEENS1_30default_config_static_selectorELNS0_4arch9wavefront6targetE1EEEvT1_
		.amdhsa_group_segment_fixed_size 0
		.amdhsa_private_segment_fixed_size 0
		.amdhsa_kernarg_size 48
		.amdhsa_user_sgpr_count 6
		.amdhsa_user_sgpr_private_segment_buffer 1
		.amdhsa_user_sgpr_dispatch_ptr 0
		.amdhsa_user_sgpr_queue_ptr 0
		.amdhsa_user_sgpr_kernarg_segment_ptr 1
		.amdhsa_user_sgpr_dispatch_id 0
		.amdhsa_user_sgpr_flat_scratch_init 0
		.amdhsa_user_sgpr_kernarg_preload_length 0
		.amdhsa_user_sgpr_kernarg_preload_offset 0
		.amdhsa_user_sgpr_private_segment_size 0
		.amdhsa_uses_dynamic_stack 0
		.amdhsa_system_sgpr_private_segment_wavefront_offset 0
		.amdhsa_system_sgpr_workgroup_id_x 1
		.amdhsa_system_sgpr_workgroup_id_y 0
		.amdhsa_system_sgpr_workgroup_id_z 0
		.amdhsa_system_sgpr_workgroup_info 0
		.amdhsa_system_vgpr_workitem_id 0
		.amdhsa_next_free_vgpr 1
		.amdhsa_next_free_sgpr 0
		.amdhsa_accum_offset 4
		.amdhsa_reserve_vcc 0
		.amdhsa_reserve_flat_scratch 0
		.amdhsa_float_round_mode_32 0
		.amdhsa_float_round_mode_16_64 0
		.amdhsa_float_denorm_mode_32 3
		.amdhsa_float_denorm_mode_16_64 3
		.amdhsa_dx10_clamp 1
		.amdhsa_ieee_mode 1
		.amdhsa_fp16_overflow 0
		.amdhsa_tg_split 0
		.amdhsa_exception_fp_ieee_invalid_op 0
		.amdhsa_exception_fp_denorm_src 0
		.amdhsa_exception_fp_ieee_div_zero 0
		.amdhsa_exception_fp_ieee_overflow 0
		.amdhsa_exception_fp_ieee_underflow 0
		.amdhsa_exception_fp_ieee_inexact 0
		.amdhsa_exception_int_div_zero 0
	.end_amdhsa_kernel
	.section	.text._ZN7rocprim17ROCPRIM_400000_NS6detail17trampoline_kernelINS0_14default_configENS1_20scan_config_selectorIN3c107complexIdEEEEZZNS1_9scan_implILNS1_25lookback_scan_determinismE0ELb0ELb0ES3_PKS7_PS7_S7_ZZZN2at6native31launch_logcumsumexp_cuda_kernelERKNSE_10TensorBaseESI_lENKUlvE_clEvENKUlvE1_clEvEUlS7_S7_E_S7_EEDaPvRmT3_T4_T5_mT6_P12ihipStream_tbENKUlT_T0_E_clISt17integral_constantIbLb0EESY_IbLb1EEEEDaSU_SV_EUlSU_E0_NS1_11comp_targetILNS1_3genE9ELNS1_11target_archE1100ELNS1_3gpuE3ELNS1_3repE0EEENS1_30default_config_static_selectorELNS0_4arch9wavefront6targetE1EEEvT1_,"axG",@progbits,_ZN7rocprim17ROCPRIM_400000_NS6detail17trampoline_kernelINS0_14default_configENS1_20scan_config_selectorIN3c107complexIdEEEEZZNS1_9scan_implILNS1_25lookback_scan_determinismE0ELb0ELb0ES3_PKS7_PS7_S7_ZZZN2at6native31launch_logcumsumexp_cuda_kernelERKNSE_10TensorBaseESI_lENKUlvE_clEvENKUlvE1_clEvEUlS7_S7_E_S7_EEDaPvRmT3_T4_T5_mT6_P12ihipStream_tbENKUlT_T0_E_clISt17integral_constantIbLb0EESY_IbLb1EEEEDaSU_SV_EUlSU_E0_NS1_11comp_targetILNS1_3genE9ELNS1_11target_archE1100ELNS1_3gpuE3ELNS1_3repE0EEENS1_30default_config_static_selectorELNS0_4arch9wavefront6targetE1EEEvT1_,comdat
.Lfunc_end257:
	.size	_ZN7rocprim17ROCPRIM_400000_NS6detail17trampoline_kernelINS0_14default_configENS1_20scan_config_selectorIN3c107complexIdEEEEZZNS1_9scan_implILNS1_25lookback_scan_determinismE0ELb0ELb0ES3_PKS7_PS7_S7_ZZZN2at6native31launch_logcumsumexp_cuda_kernelERKNSE_10TensorBaseESI_lENKUlvE_clEvENKUlvE1_clEvEUlS7_S7_E_S7_EEDaPvRmT3_T4_T5_mT6_P12ihipStream_tbENKUlT_T0_E_clISt17integral_constantIbLb0EESY_IbLb1EEEEDaSU_SV_EUlSU_E0_NS1_11comp_targetILNS1_3genE9ELNS1_11target_archE1100ELNS1_3gpuE3ELNS1_3repE0EEENS1_30default_config_static_selectorELNS0_4arch9wavefront6targetE1EEEvT1_, .Lfunc_end257-_ZN7rocprim17ROCPRIM_400000_NS6detail17trampoline_kernelINS0_14default_configENS1_20scan_config_selectorIN3c107complexIdEEEEZZNS1_9scan_implILNS1_25lookback_scan_determinismE0ELb0ELb0ES3_PKS7_PS7_S7_ZZZN2at6native31launch_logcumsumexp_cuda_kernelERKNSE_10TensorBaseESI_lENKUlvE_clEvENKUlvE1_clEvEUlS7_S7_E_S7_EEDaPvRmT3_T4_T5_mT6_P12ihipStream_tbENKUlT_T0_E_clISt17integral_constantIbLb0EESY_IbLb1EEEEDaSU_SV_EUlSU_E0_NS1_11comp_targetILNS1_3genE9ELNS1_11target_archE1100ELNS1_3gpuE3ELNS1_3repE0EEENS1_30default_config_static_selectorELNS0_4arch9wavefront6targetE1EEEvT1_
                                        ; -- End function
	.section	.AMDGPU.csdata,"",@progbits
; Kernel info:
; codeLenInByte = 0
; NumSgprs: 4
; NumVgprs: 0
; NumAgprs: 0
; TotalNumVgprs: 0
; ScratchSize: 0
; MemoryBound: 0
; FloatMode: 240
; IeeeMode: 1
; LDSByteSize: 0 bytes/workgroup (compile time only)
; SGPRBlocks: 0
; VGPRBlocks: 0
; NumSGPRsForWavesPerEU: 4
; NumVGPRsForWavesPerEU: 1
; AccumOffset: 4
; Occupancy: 8
; WaveLimiterHint : 0
; COMPUTE_PGM_RSRC2:SCRATCH_EN: 0
; COMPUTE_PGM_RSRC2:USER_SGPR: 6
; COMPUTE_PGM_RSRC2:TRAP_HANDLER: 0
; COMPUTE_PGM_RSRC2:TGID_X_EN: 1
; COMPUTE_PGM_RSRC2:TGID_Y_EN: 0
; COMPUTE_PGM_RSRC2:TGID_Z_EN: 0
; COMPUTE_PGM_RSRC2:TIDIG_COMP_CNT: 0
; COMPUTE_PGM_RSRC3_GFX90A:ACCUM_OFFSET: 0
; COMPUTE_PGM_RSRC3_GFX90A:TG_SPLIT: 0
	.section	.text._ZN7rocprim17ROCPRIM_400000_NS6detail17trampoline_kernelINS0_14default_configENS1_20scan_config_selectorIN3c107complexIdEEEEZZNS1_9scan_implILNS1_25lookback_scan_determinismE0ELb0ELb0ES3_PKS7_PS7_S7_ZZZN2at6native31launch_logcumsumexp_cuda_kernelERKNSE_10TensorBaseESI_lENKUlvE_clEvENKUlvE1_clEvEUlS7_S7_E_S7_EEDaPvRmT3_T4_T5_mT6_P12ihipStream_tbENKUlT_T0_E_clISt17integral_constantIbLb0EESY_IbLb1EEEEDaSU_SV_EUlSU_E0_NS1_11comp_targetILNS1_3genE8ELNS1_11target_archE1030ELNS1_3gpuE2ELNS1_3repE0EEENS1_30default_config_static_selectorELNS0_4arch9wavefront6targetE1EEEvT1_,"axG",@progbits,_ZN7rocprim17ROCPRIM_400000_NS6detail17trampoline_kernelINS0_14default_configENS1_20scan_config_selectorIN3c107complexIdEEEEZZNS1_9scan_implILNS1_25lookback_scan_determinismE0ELb0ELb0ES3_PKS7_PS7_S7_ZZZN2at6native31launch_logcumsumexp_cuda_kernelERKNSE_10TensorBaseESI_lENKUlvE_clEvENKUlvE1_clEvEUlS7_S7_E_S7_EEDaPvRmT3_T4_T5_mT6_P12ihipStream_tbENKUlT_T0_E_clISt17integral_constantIbLb0EESY_IbLb1EEEEDaSU_SV_EUlSU_E0_NS1_11comp_targetILNS1_3genE8ELNS1_11target_archE1030ELNS1_3gpuE2ELNS1_3repE0EEENS1_30default_config_static_selectorELNS0_4arch9wavefront6targetE1EEEvT1_,comdat
	.globl	_ZN7rocprim17ROCPRIM_400000_NS6detail17trampoline_kernelINS0_14default_configENS1_20scan_config_selectorIN3c107complexIdEEEEZZNS1_9scan_implILNS1_25lookback_scan_determinismE0ELb0ELb0ES3_PKS7_PS7_S7_ZZZN2at6native31launch_logcumsumexp_cuda_kernelERKNSE_10TensorBaseESI_lENKUlvE_clEvENKUlvE1_clEvEUlS7_S7_E_S7_EEDaPvRmT3_T4_T5_mT6_P12ihipStream_tbENKUlT_T0_E_clISt17integral_constantIbLb0EESY_IbLb1EEEEDaSU_SV_EUlSU_E0_NS1_11comp_targetILNS1_3genE8ELNS1_11target_archE1030ELNS1_3gpuE2ELNS1_3repE0EEENS1_30default_config_static_selectorELNS0_4arch9wavefront6targetE1EEEvT1_ ; -- Begin function _ZN7rocprim17ROCPRIM_400000_NS6detail17trampoline_kernelINS0_14default_configENS1_20scan_config_selectorIN3c107complexIdEEEEZZNS1_9scan_implILNS1_25lookback_scan_determinismE0ELb0ELb0ES3_PKS7_PS7_S7_ZZZN2at6native31launch_logcumsumexp_cuda_kernelERKNSE_10TensorBaseESI_lENKUlvE_clEvENKUlvE1_clEvEUlS7_S7_E_S7_EEDaPvRmT3_T4_T5_mT6_P12ihipStream_tbENKUlT_T0_E_clISt17integral_constantIbLb0EESY_IbLb1EEEEDaSU_SV_EUlSU_E0_NS1_11comp_targetILNS1_3genE8ELNS1_11target_archE1030ELNS1_3gpuE2ELNS1_3repE0EEENS1_30default_config_static_selectorELNS0_4arch9wavefront6targetE1EEEvT1_
	.p2align	8
	.type	_ZN7rocprim17ROCPRIM_400000_NS6detail17trampoline_kernelINS0_14default_configENS1_20scan_config_selectorIN3c107complexIdEEEEZZNS1_9scan_implILNS1_25lookback_scan_determinismE0ELb0ELb0ES3_PKS7_PS7_S7_ZZZN2at6native31launch_logcumsumexp_cuda_kernelERKNSE_10TensorBaseESI_lENKUlvE_clEvENKUlvE1_clEvEUlS7_S7_E_S7_EEDaPvRmT3_T4_T5_mT6_P12ihipStream_tbENKUlT_T0_E_clISt17integral_constantIbLb0EESY_IbLb1EEEEDaSU_SV_EUlSU_E0_NS1_11comp_targetILNS1_3genE8ELNS1_11target_archE1030ELNS1_3gpuE2ELNS1_3repE0EEENS1_30default_config_static_selectorELNS0_4arch9wavefront6targetE1EEEvT1_,@function
_ZN7rocprim17ROCPRIM_400000_NS6detail17trampoline_kernelINS0_14default_configENS1_20scan_config_selectorIN3c107complexIdEEEEZZNS1_9scan_implILNS1_25lookback_scan_determinismE0ELb0ELb0ES3_PKS7_PS7_S7_ZZZN2at6native31launch_logcumsumexp_cuda_kernelERKNSE_10TensorBaseESI_lENKUlvE_clEvENKUlvE1_clEvEUlS7_S7_E_S7_EEDaPvRmT3_T4_T5_mT6_P12ihipStream_tbENKUlT_T0_E_clISt17integral_constantIbLb0EESY_IbLb1EEEEDaSU_SV_EUlSU_E0_NS1_11comp_targetILNS1_3genE8ELNS1_11target_archE1030ELNS1_3gpuE2ELNS1_3repE0EEENS1_30default_config_static_selectorELNS0_4arch9wavefront6targetE1EEEvT1_: ; @_ZN7rocprim17ROCPRIM_400000_NS6detail17trampoline_kernelINS0_14default_configENS1_20scan_config_selectorIN3c107complexIdEEEEZZNS1_9scan_implILNS1_25lookback_scan_determinismE0ELb0ELb0ES3_PKS7_PS7_S7_ZZZN2at6native31launch_logcumsumexp_cuda_kernelERKNSE_10TensorBaseESI_lENKUlvE_clEvENKUlvE1_clEvEUlS7_S7_E_S7_EEDaPvRmT3_T4_T5_mT6_P12ihipStream_tbENKUlT_T0_E_clISt17integral_constantIbLb0EESY_IbLb1EEEEDaSU_SV_EUlSU_E0_NS1_11comp_targetILNS1_3genE8ELNS1_11target_archE1030ELNS1_3gpuE2ELNS1_3repE0EEENS1_30default_config_static_selectorELNS0_4arch9wavefront6targetE1EEEvT1_
; %bb.0:
	.section	.rodata,"a",@progbits
	.p2align	6, 0x0
	.amdhsa_kernel _ZN7rocprim17ROCPRIM_400000_NS6detail17trampoline_kernelINS0_14default_configENS1_20scan_config_selectorIN3c107complexIdEEEEZZNS1_9scan_implILNS1_25lookback_scan_determinismE0ELb0ELb0ES3_PKS7_PS7_S7_ZZZN2at6native31launch_logcumsumexp_cuda_kernelERKNSE_10TensorBaseESI_lENKUlvE_clEvENKUlvE1_clEvEUlS7_S7_E_S7_EEDaPvRmT3_T4_T5_mT6_P12ihipStream_tbENKUlT_T0_E_clISt17integral_constantIbLb0EESY_IbLb1EEEEDaSU_SV_EUlSU_E0_NS1_11comp_targetILNS1_3genE8ELNS1_11target_archE1030ELNS1_3gpuE2ELNS1_3repE0EEENS1_30default_config_static_selectorELNS0_4arch9wavefront6targetE1EEEvT1_
		.amdhsa_group_segment_fixed_size 0
		.amdhsa_private_segment_fixed_size 0
		.amdhsa_kernarg_size 48
		.amdhsa_user_sgpr_count 6
		.amdhsa_user_sgpr_private_segment_buffer 1
		.amdhsa_user_sgpr_dispatch_ptr 0
		.amdhsa_user_sgpr_queue_ptr 0
		.amdhsa_user_sgpr_kernarg_segment_ptr 1
		.amdhsa_user_sgpr_dispatch_id 0
		.amdhsa_user_sgpr_flat_scratch_init 0
		.amdhsa_user_sgpr_kernarg_preload_length 0
		.amdhsa_user_sgpr_kernarg_preload_offset 0
		.amdhsa_user_sgpr_private_segment_size 0
		.amdhsa_uses_dynamic_stack 0
		.amdhsa_system_sgpr_private_segment_wavefront_offset 0
		.amdhsa_system_sgpr_workgroup_id_x 1
		.amdhsa_system_sgpr_workgroup_id_y 0
		.amdhsa_system_sgpr_workgroup_id_z 0
		.amdhsa_system_sgpr_workgroup_info 0
		.amdhsa_system_vgpr_workitem_id 0
		.amdhsa_next_free_vgpr 1
		.amdhsa_next_free_sgpr 0
		.amdhsa_accum_offset 4
		.amdhsa_reserve_vcc 0
		.amdhsa_reserve_flat_scratch 0
		.amdhsa_float_round_mode_32 0
		.amdhsa_float_round_mode_16_64 0
		.amdhsa_float_denorm_mode_32 3
		.amdhsa_float_denorm_mode_16_64 3
		.amdhsa_dx10_clamp 1
		.amdhsa_ieee_mode 1
		.amdhsa_fp16_overflow 0
		.amdhsa_tg_split 0
		.amdhsa_exception_fp_ieee_invalid_op 0
		.amdhsa_exception_fp_denorm_src 0
		.amdhsa_exception_fp_ieee_div_zero 0
		.amdhsa_exception_fp_ieee_overflow 0
		.amdhsa_exception_fp_ieee_underflow 0
		.amdhsa_exception_fp_ieee_inexact 0
		.amdhsa_exception_int_div_zero 0
	.end_amdhsa_kernel
	.section	.text._ZN7rocprim17ROCPRIM_400000_NS6detail17trampoline_kernelINS0_14default_configENS1_20scan_config_selectorIN3c107complexIdEEEEZZNS1_9scan_implILNS1_25lookback_scan_determinismE0ELb0ELb0ES3_PKS7_PS7_S7_ZZZN2at6native31launch_logcumsumexp_cuda_kernelERKNSE_10TensorBaseESI_lENKUlvE_clEvENKUlvE1_clEvEUlS7_S7_E_S7_EEDaPvRmT3_T4_T5_mT6_P12ihipStream_tbENKUlT_T0_E_clISt17integral_constantIbLb0EESY_IbLb1EEEEDaSU_SV_EUlSU_E0_NS1_11comp_targetILNS1_3genE8ELNS1_11target_archE1030ELNS1_3gpuE2ELNS1_3repE0EEENS1_30default_config_static_selectorELNS0_4arch9wavefront6targetE1EEEvT1_,"axG",@progbits,_ZN7rocprim17ROCPRIM_400000_NS6detail17trampoline_kernelINS0_14default_configENS1_20scan_config_selectorIN3c107complexIdEEEEZZNS1_9scan_implILNS1_25lookback_scan_determinismE0ELb0ELb0ES3_PKS7_PS7_S7_ZZZN2at6native31launch_logcumsumexp_cuda_kernelERKNSE_10TensorBaseESI_lENKUlvE_clEvENKUlvE1_clEvEUlS7_S7_E_S7_EEDaPvRmT3_T4_T5_mT6_P12ihipStream_tbENKUlT_T0_E_clISt17integral_constantIbLb0EESY_IbLb1EEEEDaSU_SV_EUlSU_E0_NS1_11comp_targetILNS1_3genE8ELNS1_11target_archE1030ELNS1_3gpuE2ELNS1_3repE0EEENS1_30default_config_static_selectorELNS0_4arch9wavefront6targetE1EEEvT1_,comdat
.Lfunc_end258:
	.size	_ZN7rocprim17ROCPRIM_400000_NS6detail17trampoline_kernelINS0_14default_configENS1_20scan_config_selectorIN3c107complexIdEEEEZZNS1_9scan_implILNS1_25lookback_scan_determinismE0ELb0ELb0ES3_PKS7_PS7_S7_ZZZN2at6native31launch_logcumsumexp_cuda_kernelERKNSE_10TensorBaseESI_lENKUlvE_clEvENKUlvE1_clEvEUlS7_S7_E_S7_EEDaPvRmT3_T4_T5_mT6_P12ihipStream_tbENKUlT_T0_E_clISt17integral_constantIbLb0EESY_IbLb1EEEEDaSU_SV_EUlSU_E0_NS1_11comp_targetILNS1_3genE8ELNS1_11target_archE1030ELNS1_3gpuE2ELNS1_3repE0EEENS1_30default_config_static_selectorELNS0_4arch9wavefront6targetE1EEEvT1_, .Lfunc_end258-_ZN7rocprim17ROCPRIM_400000_NS6detail17trampoline_kernelINS0_14default_configENS1_20scan_config_selectorIN3c107complexIdEEEEZZNS1_9scan_implILNS1_25lookback_scan_determinismE0ELb0ELb0ES3_PKS7_PS7_S7_ZZZN2at6native31launch_logcumsumexp_cuda_kernelERKNSE_10TensorBaseESI_lENKUlvE_clEvENKUlvE1_clEvEUlS7_S7_E_S7_EEDaPvRmT3_T4_T5_mT6_P12ihipStream_tbENKUlT_T0_E_clISt17integral_constantIbLb0EESY_IbLb1EEEEDaSU_SV_EUlSU_E0_NS1_11comp_targetILNS1_3genE8ELNS1_11target_archE1030ELNS1_3gpuE2ELNS1_3repE0EEENS1_30default_config_static_selectorELNS0_4arch9wavefront6targetE1EEEvT1_
                                        ; -- End function
	.section	.AMDGPU.csdata,"",@progbits
; Kernel info:
; codeLenInByte = 0
; NumSgprs: 4
; NumVgprs: 0
; NumAgprs: 0
; TotalNumVgprs: 0
; ScratchSize: 0
; MemoryBound: 0
; FloatMode: 240
; IeeeMode: 1
; LDSByteSize: 0 bytes/workgroup (compile time only)
; SGPRBlocks: 0
; VGPRBlocks: 0
; NumSGPRsForWavesPerEU: 4
; NumVGPRsForWavesPerEU: 1
; AccumOffset: 4
; Occupancy: 8
; WaveLimiterHint : 0
; COMPUTE_PGM_RSRC2:SCRATCH_EN: 0
; COMPUTE_PGM_RSRC2:USER_SGPR: 6
; COMPUTE_PGM_RSRC2:TRAP_HANDLER: 0
; COMPUTE_PGM_RSRC2:TGID_X_EN: 1
; COMPUTE_PGM_RSRC2:TGID_Y_EN: 0
; COMPUTE_PGM_RSRC2:TGID_Z_EN: 0
; COMPUTE_PGM_RSRC2:TIDIG_COMP_CNT: 0
; COMPUTE_PGM_RSRC3_GFX90A:ACCUM_OFFSET: 0
; COMPUTE_PGM_RSRC3_GFX90A:TG_SPLIT: 0
	.section	.text._ZN2at6native32tensor_kernel_scan_innermost_dimIN3c107complexIdEEZZZNS0_31launch_logcumsumexp_cuda_kernelERKNS_10TensorBaseES7_lENKUlvE_clEvENKUlvE1_clEvEUlS4_S4_E_EEvPT_PKSB_jjjSB_T0_,"axG",@progbits,_ZN2at6native32tensor_kernel_scan_innermost_dimIN3c107complexIdEEZZZNS0_31launch_logcumsumexp_cuda_kernelERKNS_10TensorBaseES7_lENKUlvE_clEvENKUlvE1_clEvEUlS4_S4_E_EEvPT_PKSB_jjjSB_T0_,comdat
	.globl	_ZN2at6native32tensor_kernel_scan_innermost_dimIN3c107complexIdEEZZZNS0_31launch_logcumsumexp_cuda_kernelERKNS_10TensorBaseES7_lENKUlvE_clEvENKUlvE1_clEvEUlS4_S4_E_EEvPT_PKSB_jjjSB_T0_ ; -- Begin function _ZN2at6native32tensor_kernel_scan_innermost_dimIN3c107complexIdEEZZZNS0_31launch_logcumsumexp_cuda_kernelERKNS_10TensorBaseES7_lENKUlvE_clEvENKUlvE1_clEvEUlS4_S4_E_EEvPT_PKSB_jjjSB_T0_
	.p2align	8
	.type	_ZN2at6native32tensor_kernel_scan_innermost_dimIN3c107complexIdEEZZZNS0_31launch_logcumsumexp_cuda_kernelERKNS_10TensorBaseES7_lENKUlvE_clEvENKUlvE1_clEvEUlS4_S4_E_EEvPT_PKSB_jjjSB_T0_,@function
_ZN2at6native32tensor_kernel_scan_innermost_dimIN3c107complexIdEEZZZNS0_31launch_logcumsumexp_cuda_kernelERKNS_10TensorBaseES7_lENKUlvE_clEvENKUlvE1_clEvEUlS4_S4_E_EEvPT_PKSB_jjjSB_T0_: ; @_ZN2at6native32tensor_kernel_scan_innermost_dimIN3c107complexIdEEZZZNS0_31launch_logcumsumexp_cuda_kernelERKNS_10TensorBaseES7_lENKUlvE_clEvENKUlvE1_clEvEUlS4_S4_E_EEvPT_PKSB_jjjSB_T0_
; %bb.0:
	s_load_dwordx8 s[48:55], s[4:5], 0x0
	s_load_dwordx4 s[56:59], s[4:5], 0x20
	s_add_u32 flat_scratch_lo, s6, s9
	s_addc_u32 flat_scratch_hi, s7, 0
	s_add_u32 s0, s0, s9
	v_mov_b32_e32 v41, v0
	s_addc_u32 s1, s1, 0
	s_waitcnt lgkmcnt(0)
	s_lshl_b32 s37, 2, s54
	v_bfe_u32 v42, v41, 10, 10
	s_mov_b64 s[38:39], s[4:5]
	v_mul_lo_u32 v0, s37, v42
	s_mul_hi_u32 s4, s52, s53
	s_mov_b32 s33, s8
	s_mov_b32 s60, s52
	v_lshl_add_u32 v43, v0, 4, 0
	s_cmp_lg_u32 s4, 0
	s_mov_b64 s[4:5], -1
	s_mov_b32 s32, 0
	s_cbranch_scc1 .LBB259_30
; %bb.1:
	s_load_dword s6, s[38:39], 0x44
	s_add_u32 s4, s38, 56
	s_addc_u32 s5, s39, 0
	s_waitcnt lgkmcnt(0)
	s_lshr_b32 s6, s6, 16
	s_mul_i32 s55, s33, s6
	s_cmp_ge_u32 s55, s52
	s_cbranch_scc1 .LBB259_29
; %bb.2:
	s_load_dword s66, s[4:5], 0x0
	s_lshl_b32 s61, 1, s54
	s_cmp_lg_u32 s53, 0
	v_and_b32_e32 v52, 0x3ff, v41
	s_cselect_b64 s[4:5], -1, 0
	v_lshl_add_u32 v53, v52, 4, v43
	s_lshl_b32 s7, s37, 4
	v_cndmask_b32_e64 v0, 0, 1, s[4:5]
	v_lshl_add_u32 v54, s61, 4, v53
	v_cmp_eq_u32_e64 s[40:41], 0, v52
	v_add3_u32 v55, v43, s7, -16
	s_waitcnt lgkmcnt(0)
	s_mul_i32 s66, s66, s6
	s_add_i32 s67, s54, 1
	v_cmp_ne_u32_e64 s[42:43], 1, v0
	v_mov_b32_e32 v45, 0
	s_branch .LBB259_4
.LBB259_3:                              ;   in Loop: Header=BB259_4 Depth=1
	s_add_i32 s55, s55, s66
	s_cmp_ge_u32 s55, s52
	s_cbranch_scc1 .LBB259_29
.LBB259_4:                              ; =>This Loop Header: Depth=1
                                        ;     Child Loop BB259_7 Depth 2
                                        ;       Child Loop BB259_18 Depth 3
	s_and_b64 vcc, exec, s[42:43]
	s_cbranch_vccnz .LBB259_3
; %bb.5:                                ;   in Loop: Header=BB259_4 Depth=1
	v_add_u32_e32 v2, s55, v42
	v_mul_lo_u32 v44, v2, s53
	v_lshlrev_b64 v[0:1], 4, v[44:45]
	v_mov_b32_e32 v3, s51
	v_add_co_u32_e32 v56, vcc, s50, v0
	v_addc_co_u32_e32 v57, vcc, v3, v1, vcc
	v_mov_b32_e32 v3, s49
	v_add_co_u32_e32 v58, vcc, s48, v0
	v_addc_co_u32_e32 v59, vcc, v3, v1, vcc
	v_cmp_gt_u32_e64 s[44:45], s52, v2
	v_cmp_le_u32_e64 s[46:47], s52, v2
	s_mov_b32 s68, 0
	v_pk_mov_b32 v[6:7], s[58:59], s[58:59] op_sel:[0,1]
	v_pk_mov_b32 v[4:5], s[56:57], s[56:57] op_sel:[0,1]
	s_branch .LBB259_7
.LBB259_6:                              ;   in Loop: Header=BB259_7 Depth=2
	s_or_b64 exec, exec, s[4:5]
	ds_read_b128 v[4:7], v55
	s_add_i32 s68, s68, s37
	s_cmp_ge_u32 s68, s53
	s_waitcnt lgkmcnt(0)
	s_barrier
	s_cbranch_scc1 .LBB259_3
.LBB259_7:                              ;   Parent Loop BB259_4 Depth=1
                                        ; =>  This Loop Header: Depth=2
                                        ;       Child Loop BB259_18 Depth 3
	v_add_u32_e32 v44, s68, v52
	v_add_u32_e32 v46, s61, v44
	s_and_saveexec_b64 s[62:63], s[44:45]
	s_cbranch_execz .LBB259_16
; %bb.8:                                ;   in Loop: Header=BB259_7 Depth=2
	v_cmp_le_u32_e32 vcc, s53, v44
	s_and_saveexec_b64 s[4:5], vcc
	s_xor_b64 s[4:5], exec, s[4:5]
	s_cbranch_execz .LBB259_10
; %bb.9:                                ;   in Loop: Header=BB259_7 Depth=2
	v_mov_b32_e32 v0, s56
	v_mov_b32_e32 v1, s57
	;; [unrolled: 1-line block ×4, first 2 shown]
	ds_write_b128 v53, v[0:3]
.LBB259_10:                             ;   in Loop: Header=BB259_7 Depth=2
	s_andn2_saveexec_b64 s[4:5], s[4:5]
	s_cbranch_execz .LBB259_12
; %bb.11:                               ;   in Loop: Header=BB259_7 Depth=2
	v_lshlrev_b64 v[0:1], 4, v[44:45]
	v_add_co_u32_e32 v0, vcc, v56, v0
	v_addc_co_u32_e32 v1, vcc, v57, v1, vcc
	global_load_dwordx4 v[0:3], v[0:1], off
	s_waitcnt vmcnt(0)
	ds_write_b128 v53, v[0:3]
.LBB259_12:                             ;   in Loop: Header=BB259_7 Depth=2
	s_or_b64 exec, exec, s[4:5]
	v_cmp_le_u32_e32 vcc, s53, v46
	s_and_saveexec_b64 s[4:5], vcc
	s_xor_b64 s[4:5], exec, s[4:5]
	s_cbranch_execnz .LBB259_27
; %bb.13:                               ;   in Loop: Header=BB259_7 Depth=2
	s_andn2_saveexec_b64 s[4:5], s[4:5]
	s_cbranch_execnz .LBB259_28
.LBB259_14:                             ;   in Loop: Header=BB259_7 Depth=2
	s_or_b64 exec, exec, s[4:5]
	s_and_b64 exec, exec, s[40:41]
	s_cbranch_execz .LBB259_16
.LBB259_15:                             ;   in Loop: Header=BB259_7 Depth=2
	ds_read_b128 v[0:3], v43
	s_getpc_b64 s[4:5]
	s_add_u32 s4, s4, _ZZZZN2at6native31launch_logcumsumexp_cuda_kernelERKNS_10TensorBaseES3_lENKUlvE_clEvENKUlvE1_clEvENKUlN3c107complexIdEES8_E_clES8_S8_@rel32@lo+4
	s_addc_u32 s5, s5, _ZZZZN2at6native31launch_logcumsumexp_cuda_kernelERKNS_10TensorBaseES3_lENKUlvE_clEvENKUlvE1_clEvENKUlN3c107complexIdEES8_E_clES8_S8_@rel32@hi+12
	s_swappc_b64 s[30:31], s[4:5]
	ds_write_b128 v43, v[0:3]
.LBB259_16:                             ;   in Loop: Header=BB259_7 Depth=2
	s_or_b64 exec, exec, s[62:63]
	s_mov_b64 s[62:63], 0
	v_mov_b32_e32 v0, 0
	s_waitcnt lgkmcnt(0)
	s_barrier
	s_branch .LBB259_18
.LBB259_17:                             ;   in Loop: Header=BB259_18 Depth=3
	s_or_b64 exec, exec, s[64:65]
	v_cmp_eq_u32_e32 vcc, s67, v0
	s_or_b64 s[62:63], vcc, s[62:63]
	s_waitcnt lgkmcnt(0)
	s_barrier
	s_andn2_b64 exec, exec, s[62:63]
	s_cbranch_execz .LBB259_22
.LBB259_18:                             ;   Parent Loop BB259_4 Depth=1
                                        ;     Parent Loop BB259_7 Depth=2
                                        ; =>    This Inner Loop Header: Depth=3
	v_add_u32_e32 v47, 1, v0
	s_and_saveexec_b64 s[4:5], s[46:47]
	s_xor_b64 s[4:5], exec, s[4:5]
; %bb.19:                               ;   in Loop: Header=BB259_18 Depth=3
	v_add_u32_e32 v0, 1, v0
                                        ; implicit-def: $vgpr47
; %bb.20:                               ;   in Loop: Header=BB259_18 Depth=3
	s_andn2_saveexec_b64 s[64:65], s[4:5]
	s_cbranch_execz .LBB259_17
; %bb.21:                               ;   in Loop: Header=BB259_18 Depth=3
	v_lshlrev_b32_e64 v1, v0, 1
	v_lshrrev_b32_e32 v2, v0, v52
	v_lshl_or_b32 v1, v2, v47, v1
	v_bfm_b32 v0, v0, 0
	v_and_b32_e32 v0, v0, v52
	v_lshl_add_u32 v4, v1, 4, v43
	v_lshl_add_u32 v60, v0, 4, v4
	v_add_u32_e32 v4, -16, v4
	ds_read_b128 v[0:3], v60
	ds_read_b128 v[4:7], v4
	s_getpc_b64 s[4:5]
	s_add_u32 s4, s4, _ZZZZN2at6native31launch_logcumsumexp_cuda_kernelERKNS_10TensorBaseES3_lENKUlvE_clEvENKUlvE1_clEvENKUlN3c107complexIdEES8_E_clES8_S8_@rel32@lo+4
	s_addc_u32 s5, s5, _ZZZZN2at6native31launch_logcumsumexp_cuda_kernelERKNS_10TensorBaseES3_lENKUlvE_clEvENKUlvE1_clEvENKUlN3c107complexIdEES8_E_clES8_S8_@rel32@hi+12
	s_swappc_b64 s[30:31], s[4:5]
	ds_write_b128 v60, v[0:3]
	v_mov_b32_e32 v0, v47
	s_branch .LBB259_17
.LBB259_22:                             ;   in Loop: Header=BB259_7 Depth=2
	s_or_b64 exec, exec, s[62:63]
	s_and_saveexec_b64 s[4:5], s[44:45]
	s_cbranch_execz .LBB259_6
; %bb.23:                               ;   in Loop: Header=BB259_7 Depth=2
	v_cmp_gt_u32_e32 vcc, s53, v44
	s_and_saveexec_b64 s[6:7], vcc
	s_cbranch_execz .LBB259_25
; %bb.24:                               ;   in Loop: Header=BB259_7 Depth=2
	ds_read_b128 v[0:3], v53
	v_lshlrev_b64 v[4:5], 4, v[44:45]
	v_add_co_u32_e32 v4, vcc, v58, v4
	v_addc_co_u32_e32 v5, vcc, v59, v5, vcc
	s_waitcnt lgkmcnt(0)
	global_store_dwordx4 v[4:5], v[0:3], off
.LBB259_25:                             ;   in Loop: Header=BB259_7 Depth=2
	s_or_b64 exec, exec, s[6:7]
	v_cmp_gt_u32_e32 vcc, s53, v46
	s_and_b64 exec, exec, vcc
	s_cbranch_execz .LBB259_6
; %bb.26:                               ;   in Loop: Header=BB259_7 Depth=2
	ds_read_b128 v[0:3], v54
	v_mov_b32_e32 v47, v45
	v_lshlrev_b64 v[4:5], 4, v[46:47]
	v_add_co_u32_e32 v4, vcc, v58, v4
	v_addc_co_u32_e32 v5, vcc, v59, v5, vcc
	s_waitcnt lgkmcnt(0)
	global_store_dwordx4 v[4:5], v[0:3], off
	s_branch .LBB259_6
.LBB259_27:                             ;   in Loop: Header=BB259_7 Depth=2
	v_mov_b32_e32 v0, s56
	v_mov_b32_e32 v1, s57
	;; [unrolled: 1-line block ×4, first 2 shown]
	ds_write_b128 v54, v[0:3]
	s_andn2_saveexec_b64 s[4:5], s[4:5]
	s_cbranch_execz .LBB259_14
.LBB259_28:                             ;   in Loop: Header=BB259_7 Depth=2
	v_mov_b32_e32 v47, v45
	v_lshlrev_b64 v[0:1], 4, v[46:47]
	v_add_co_u32_e32 v0, vcc, v56, v0
	v_addc_co_u32_e32 v1, vcc, v57, v1, vcc
	global_load_dwordx4 v[0:3], v[0:1], off
	s_waitcnt vmcnt(0)
	ds_write_b128 v54, v[0:3]
	s_or_b64 exec, exec, s[4:5]
	s_and_b64 exec, exec, s[40:41]
	s_cbranch_execnz .LBB259_15
	s_branch .LBB259_16
.LBB259_29:
	s_mov_b64 s[4:5], 0
.LBB259_30:
	s_andn2_b64 vcc, exec, s[4:5]
	s_cbranch_vccnz .LBB259_61
; %bb.31:
	s_load_dword s6, s[38:39], 0x44
	s_add_u32 s4, s38, 56
	s_mov_b32 s61, 0
	s_addc_u32 s5, s39, 0
	v_pk_mov_b32 v[0:1], s[60:61], s[60:61] op_sel:[0,1]
	s_waitcnt lgkmcnt(0)
	s_lshr_b32 s6, s6, 16
	s_mul_hi_u32 s47, s6, s33
	s_mul_i32 s46, s6, s33
	v_cmp_ge_u64_e32 vcc, s[46:47], v[0:1]
	s_cbranch_vccnz .LBB259_61
; %bb.32:
	s_lshl_b32 s62, 1, s54
	s_load_dword s7, s[4:5], 0x0
	s_and_b32 s6, 0xffff, s6
	s_ashr_i32 s63, s62, 31
	s_cmp_lg_u32 s53, 0
	s_mov_b32 s64, s53
	v_and_b32_e32 v44, 0x3ff, v41
	s_cselect_b64 s[4:5], -1, 0
	s_lshl_b64 s[52:53], s[62:63], 1
	v_lshl_add_u32 v41, v44, 4, v43
	s_lshl_b32 s8, s52, 4
	v_cndmask_b32_e64 v0, 0, 1, s[4:5]
	v_mov_b32_e32 v45, 0
	s_mov_b32 s65, s61
	v_lshl_add_u32 v54, s62, 4, v41
	v_cmp_eq_u32_e64 s[38:39], 0, v44
	v_add3_u32 v55, v43, s8, -16
	s_waitcnt lgkmcnt(0)
	s_mul_i32 s33, s7, s6
	s_add_i32 s37, s54, 1
	v_cmp_ne_u32_e64 s[40:41], 1, v0
	s_branch .LBB259_34
.LBB259_33:                             ;   in Loop: Header=BB259_34 Depth=1
	s_add_u32 s46, s46, s33
	s_addc_u32 s47, s47, 0
	v_pk_mov_b32 v[0:1], s[60:61], s[60:61] op_sel:[0,1]
	v_cmp_ge_u64_e32 vcc, s[46:47], v[0:1]
	s_cbranch_vccnz .LBB259_61
.LBB259_34:                             ; =>This Loop Header: Depth=1
                                        ;     Child Loop BB259_37 Depth 2
                                        ;       Child Loop BB259_49 Depth 3
	s_and_b64 vcc, exec, s[40:41]
	s_cbranch_vccnz .LBB259_33
; %bb.35:                               ;   in Loop: Header=BB259_34 Depth=1
	v_add_co_u32_e32 v0, vcc, s46, v42
	v_mov_b32_e32 v1, s47
	v_mad_u64_u32 v[2:3], s[4:5], v0, s64, 0
	v_addc_co_u32_e32 v1, vcc, 0, v1, vcc
	v_mov_b32_e32 v4, v3
	v_mad_u64_u32 v[4:5], s[4:5], v1, s64, v[4:5]
	v_mov_b32_e32 v3, v4
	v_lshlrev_b64 v[2:3], 4, v[2:3]
	v_mov_b32_e32 v4, s51
	v_add_co_u32_e32 v56, vcc, s50, v2
	v_addc_co_u32_e32 v57, vcc, v4, v3, vcc
	v_mov_b32_e32 v4, s49
	v_add_co_u32_e32 v58, vcc, s48, v2
	v_addc_co_u32_e32 v59, vcc, v4, v3, vcc
	v_cmp_gt_u64_e64 s[42:43], s[60:61], v[0:1]
	v_cmp_le_u64_e64 s[44:45], s[60:61], v[0:1]
	s_mov_b64 s[54:55], 0
	v_pk_mov_b32 v[6:7], s[58:59], s[58:59] op_sel:[0,1]
	v_pk_mov_b32 v[4:5], s[56:57], s[56:57] op_sel:[0,1]
	s_branch .LBB259_37
.LBB259_36:                             ;   in Loop: Header=BB259_37 Depth=2
	s_or_b64 exec, exec, s[4:5]
	ds_read_b128 v[4:7], v55
	s_add_u32 s54, s54, s52
	s_addc_u32 s55, s55, s53
	v_pk_mov_b32 v[0:1], s[64:65], s[64:65] op_sel:[0,1]
	v_cmp_ge_u64_e32 vcc, s[54:55], v[0:1]
	s_waitcnt lgkmcnt(0)
	s_barrier
	s_cbranch_vccnz .LBB259_33
.LBB259_37:                             ;   Parent Loop BB259_34 Depth=1
                                        ; =>  This Loop Header: Depth=2
                                        ;       Child Loop BB259_49 Depth 3
	v_mov_b32_e32 v0, s55
	v_add_co_u32_e32 v52, vcc, s54, v44
	v_addc_co_u32_e32 v53, vcc, 0, v0, vcc
	v_mov_b32_e32 v0, s63
	v_add_co_u32_e32 v46, vcc, s62, v52
	v_addc_co_u32_e32 v47, vcc, v53, v0, vcc
	s_and_saveexec_b64 s[66:67], s[42:43]
	s_cbranch_execz .LBB259_46
; %bb.38:                               ;   in Loop: Header=BB259_37 Depth=2
	v_cmp_le_u64_e32 vcc, s[64:65], v[52:53]
	s_and_saveexec_b64 s[4:5], vcc
	s_xor_b64 s[4:5], exec, s[4:5]
	s_cbranch_execz .LBB259_40
; %bb.39:                               ;   in Loop: Header=BB259_37 Depth=2
	v_mov_b32_e32 v0, s56
	v_mov_b32_e32 v1, s57
	;; [unrolled: 1-line block ×4, first 2 shown]
	ds_write_b128 v41, v[0:3]
.LBB259_40:                             ;   in Loop: Header=BB259_37 Depth=2
	s_andn2_saveexec_b64 s[4:5], s[4:5]
	s_cbranch_execz .LBB259_42
; %bb.41:                               ;   in Loop: Header=BB259_37 Depth=2
	v_lshlrev_b64 v[0:1], 4, v[52:53]
	v_add_co_u32_e32 v0, vcc, v56, v0
	v_addc_co_u32_e32 v1, vcc, v57, v1, vcc
	global_load_dwordx4 v[0:3], v[0:1], off
	s_waitcnt vmcnt(0)
	ds_write_b128 v41, v[0:3]
.LBB259_42:                             ;   in Loop: Header=BB259_37 Depth=2
	s_or_b64 exec, exec, s[4:5]
	v_cmp_le_u64_e32 vcc, s[64:65], v[46:47]
	s_and_saveexec_b64 s[4:5], vcc
	s_xor_b64 s[4:5], exec, s[4:5]
	s_cbranch_execnz .LBB259_59
; %bb.43:                               ;   in Loop: Header=BB259_37 Depth=2
	s_andn2_saveexec_b64 s[4:5], s[4:5]
	s_cbranch_execnz .LBB259_60
.LBB259_44:                             ;   in Loop: Header=BB259_37 Depth=2
	s_or_b64 exec, exec, s[4:5]
	s_and_b64 exec, exec, s[38:39]
	s_cbranch_execz .LBB259_46
.LBB259_45:                             ;   in Loop: Header=BB259_37 Depth=2
	ds_read_b128 v[0:3], v43
	s_getpc_b64 s[4:5]
	s_add_u32 s4, s4, _ZZZZN2at6native31launch_logcumsumexp_cuda_kernelERKNS_10TensorBaseES3_lENKUlvE_clEvENKUlvE1_clEvENKUlN3c107complexIdEES8_E_clES8_S8_@rel32@lo+4
	s_addc_u32 s5, s5, _ZZZZN2at6native31launch_logcumsumexp_cuda_kernelERKNS_10TensorBaseES3_lENKUlvE_clEvENKUlvE1_clEvENKUlN3c107complexIdEES8_E_clES8_S8_@rel32@hi+12
	s_swappc_b64 s[30:31], s[4:5]
	ds_write_b128 v43, v[0:3]
.LBB259_46:                             ;   in Loop: Header=BB259_37 Depth=2
	s_or_b64 exec, exec, s[66:67]
	s_mov_b64 s[66:67], 0
	v_mov_b32_e32 v4, 0
	s_waitcnt lgkmcnt(0)
	s_barrier
	s_branch .LBB259_49
.LBB259_47:                             ;   in Loop: Header=BB259_49 Depth=3
	s_or_b64 exec, exec, s[4:5]
	v_lshrrev_b32_e32 v1, v4, v44
	v_lshl_or_b32 v0, v1, v60, v0
	v_lshl_add_u32 v4, v0, 4, v43
	v_lshl_add_u32 v61, v2, 4, v4
	v_add_u32_e32 v4, -16, v4
	ds_read_b128 v[0:3], v61
	ds_read_b128 v[4:7], v4
	s_getpc_b64 s[4:5]
	s_add_u32 s4, s4, _ZZZZN2at6native31launch_logcumsumexp_cuda_kernelERKNS_10TensorBaseES3_lENKUlvE_clEvENKUlvE1_clEvENKUlN3c107complexIdEES8_E_clES8_S8_@rel32@lo+4
	s_addc_u32 s5, s5, _ZZZZN2at6native31launch_logcumsumexp_cuda_kernelERKNS_10TensorBaseES3_lENKUlvE_clEvENKUlvE1_clEvENKUlN3c107complexIdEES8_E_clES8_S8_@rel32@hi+12
	s_swappc_b64 s[30:31], s[4:5]
	ds_write_b128 v61, v[0:3]
.LBB259_48:                             ;   in Loop: Header=BB259_49 Depth=3
	s_or_b64 exec, exec, s[68:69]
	v_cmp_eq_u32_e32 vcc, s37, v60
	s_or_b64 s[66:67], vcc, s[66:67]
	v_mov_b32_e32 v4, v60
	s_waitcnt lgkmcnt(0)
	s_barrier
	s_andn2_b64 exec, exec, s[66:67]
	s_cbranch_execz .LBB259_54
.LBB259_49:                             ;   Parent Loop BB259_34 Depth=1
                                        ;     Parent Loop BB259_37 Depth=2
                                        ; =>    This Inner Loop Header: Depth=3
	v_add_u32_e32 v60, 1, v4
	s_and_saveexec_b64 s[4:5], s[44:45]
	s_xor_b64 s[4:5], exec, s[4:5]
; %bb.50:                               ;   in Loop: Header=BB259_49 Depth=3
	v_add_u32_e32 v60, 1, v4
                                        ; implicit-def: $vgpr4
; %bb.51:                               ;   in Loop: Header=BB259_49 Depth=3
	s_andn2_saveexec_b64 s[68:69], s[4:5]
	s_cbranch_execz .LBB259_48
; %bb.52:                               ;   in Loop: Header=BB259_49 Depth=3
	v_lshlrev_b32_e64 v0, v4, 1
	v_ashrrev_i32_e32 v1, 31, v0
	v_cmp_ge_u64_e32 vcc, v[44:45], v[0:1]
	v_pk_mov_b32 v[2:3], v[44:45], v[44:45] op_sel:[0,1]
	s_and_saveexec_b64 s[4:5], vcc
	s_cbranch_execz .LBB259_47
; %bb.53:                               ;   in Loop: Header=BB259_49 Depth=3
	v_cvt_f32_u32_e32 v1, v0
	v_sub_u32_e32 v2, 0, v0
	v_rcp_iflag_f32_e32 v1, v1
	v_mul_f32_e32 v1, 0x4f7ffffe, v1
	v_cvt_u32_f32_e32 v1, v1
	v_mul_lo_u32 v2, v2, v1
	v_mul_hi_u32 v2, v1, v2
	v_add_u32_e32 v1, v1, v2
	v_mul_hi_u32 v1, v44, v1
	v_mul_lo_u32 v1, v1, v0
	v_sub_u32_e32 v1, v44, v1
	v_sub_u32_e32 v2, v1, v0
	v_cmp_ge_u32_e32 vcc, v1, v0
	v_cndmask_b32_e32 v1, v1, v2, vcc
	v_sub_u32_e32 v2, v1, v0
	v_cmp_ge_u32_e32 vcc, v1, v0
	v_cndmask_b32_e32 v2, v1, v2, vcc
	s_branch .LBB259_47
.LBB259_54:                             ;   in Loop: Header=BB259_37 Depth=2
	s_or_b64 exec, exec, s[66:67]
	s_and_saveexec_b64 s[4:5], s[42:43]
	s_cbranch_execz .LBB259_36
; %bb.55:                               ;   in Loop: Header=BB259_37 Depth=2
	v_cmp_gt_u64_e32 vcc, s[64:65], v[52:53]
	s_and_saveexec_b64 s[6:7], vcc
	s_cbranch_execz .LBB259_57
; %bb.56:                               ;   in Loop: Header=BB259_37 Depth=2
	ds_read_b128 v[0:3], v41
	v_lshlrev_b64 v[4:5], 4, v[52:53]
	v_add_co_u32_e32 v4, vcc, v58, v4
	v_addc_co_u32_e32 v5, vcc, v59, v5, vcc
	s_waitcnt lgkmcnt(0)
	global_store_dwordx4 v[4:5], v[0:3], off
.LBB259_57:                             ;   in Loop: Header=BB259_37 Depth=2
	s_or_b64 exec, exec, s[6:7]
	v_cmp_gt_u64_e32 vcc, s[64:65], v[46:47]
	s_and_b64 exec, exec, vcc
	s_cbranch_execz .LBB259_36
; %bb.58:                               ;   in Loop: Header=BB259_37 Depth=2
	ds_read_b128 v[0:3], v54
	v_lshlrev_b64 v[4:5], 4, v[46:47]
	v_add_co_u32_e32 v4, vcc, v58, v4
	v_addc_co_u32_e32 v5, vcc, v59, v5, vcc
	s_waitcnt lgkmcnt(0)
	global_store_dwordx4 v[4:5], v[0:3], off
	s_branch .LBB259_36
.LBB259_59:                             ;   in Loop: Header=BB259_37 Depth=2
	v_mov_b32_e32 v0, s56
	v_mov_b32_e32 v1, s57
	;; [unrolled: 1-line block ×4, first 2 shown]
	ds_write_b128 v54, v[0:3]
	s_andn2_saveexec_b64 s[4:5], s[4:5]
	s_cbranch_execz .LBB259_44
.LBB259_60:                             ;   in Loop: Header=BB259_37 Depth=2
	v_lshlrev_b64 v[0:1], 4, v[46:47]
	v_add_co_u32_e32 v0, vcc, v56, v0
	v_addc_co_u32_e32 v1, vcc, v57, v1, vcc
	global_load_dwordx4 v[0:3], v[0:1], off
	s_waitcnt vmcnt(0)
	ds_write_b128 v54, v[0:3]
	s_or_b64 exec, exec, s[4:5]
	s_and_b64 exec, exec, s[38:39]
	s_cbranch_execnz .LBB259_45
	s_branch .LBB259_46
.LBB259_61:
	s_endpgm
	.section	.rodata,"a",@progbits
	.p2align	6, 0x0
	.amdhsa_kernel _ZN2at6native32tensor_kernel_scan_innermost_dimIN3c107complexIdEEZZZNS0_31launch_logcumsumexp_cuda_kernelERKNS_10TensorBaseES7_lENKUlvE_clEvENKUlvE1_clEvEUlS4_S4_E_EEvPT_PKSB_jjjSB_T0_
		.amdhsa_group_segment_fixed_size 0
		.amdhsa_private_segment_fixed_size 8
		.amdhsa_kernarg_size 312
		.amdhsa_user_sgpr_count 8
		.amdhsa_user_sgpr_private_segment_buffer 1
		.amdhsa_user_sgpr_dispatch_ptr 0
		.amdhsa_user_sgpr_queue_ptr 0
		.amdhsa_user_sgpr_kernarg_segment_ptr 1
		.amdhsa_user_sgpr_dispatch_id 0
		.amdhsa_user_sgpr_flat_scratch_init 1
		.amdhsa_user_sgpr_kernarg_preload_length 0
		.amdhsa_user_sgpr_kernarg_preload_offset 0
		.amdhsa_user_sgpr_private_segment_size 0
		.amdhsa_uses_dynamic_stack 0
		.amdhsa_system_sgpr_private_segment_wavefront_offset 1
		.amdhsa_system_sgpr_workgroup_id_x 1
		.amdhsa_system_sgpr_workgroup_id_y 0
		.amdhsa_system_sgpr_workgroup_id_z 0
		.amdhsa_system_sgpr_workgroup_info 0
		.amdhsa_system_vgpr_workitem_id 1
		.amdhsa_next_free_vgpr 62
		.amdhsa_next_free_sgpr 70
		.amdhsa_accum_offset 64
		.amdhsa_reserve_vcc 1
		.amdhsa_reserve_flat_scratch 1
		.amdhsa_float_round_mode_32 0
		.amdhsa_float_round_mode_16_64 0
		.amdhsa_float_denorm_mode_32 3
		.amdhsa_float_denorm_mode_16_64 3
		.amdhsa_dx10_clamp 1
		.amdhsa_ieee_mode 1
		.amdhsa_fp16_overflow 0
		.amdhsa_tg_split 0
		.amdhsa_exception_fp_ieee_invalid_op 0
		.amdhsa_exception_fp_denorm_src 0
		.amdhsa_exception_fp_ieee_div_zero 0
		.amdhsa_exception_fp_ieee_overflow 0
		.amdhsa_exception_fp_ieee_underflow 0
		.amdhsa_exception_fp_ieee_inexact 0
		.amdhsa_exception_int_div_zero 0
	.end_amdhsa_kernel
	.section	.text._ZN2at6native32tensor_kernel_scan_innermost_dimIN3c107complexIdEEZZZNS0_31launch_logcumsumexp_cuda_kernelERKNS_10TensorBaseES7_lENKUlvE_clEvENKUlvE1_clEvEUlS4_S4_E_EEvPT_PKSB_jjjSB_T0_,"axG",@progbits,_ZN2at6native32tensor_kernel_scan_innermost_dimIN3c107complexIdEEZZZNS0_31launch_logcumsumexp_cuda_kernelERKNS_10TensorBaseES7_lENKUlvE_clEvENKUlvE1_clEvEUlS4_S4_E_EEvPT_PKSB_jjjSB_T0_,comdat
.Lfunc_end259:
	.size	_ZN2at6native32tensor_kernel_scan_innermost_dimIN3c107complexIdEEZZZNS0_31launch_logcumsumexp_cuda_kernelERKNS_10TensorBaseES7_lENKUlvE_clEvENKUlvE1_clEvEUlS4_S4_E_EEvPT_PKSB_jjjSB_T0_, .Lfunc_end259-_ZN2at6native32tensor_kernel_scan_innermost_dimIN3c107complexIdEEZZZNS0_31launch_logcumsumexp_cuda_kernelERKNS_10TensorBaseES7_lENKUlvE_clEvENKUlvE1_clEvEUlS4_S4_E_EEvPT_PKSB_jjjSB_T0_
                                        ; -- End function
	.section	.AMDGPU.csdata,"",@progbits
; Kernel info:
; codeLenInByte = 2004
; NumSgprs: 76
; NumVgprs: 62
; NumAgprs: 0
; TotalNumVgprs: 62
; ScratchSize: 8
; MemoryBound: 0
; FloatMode: 240
; IeeeMode: 1
; LDSByteSize: 0 bytes/workgroup (compile time only)
; SGPRBlocks: 9
; VGPRBlocks: 7
; NumSGPRsForWavesPerEU: 76
; NumVGPRsForWavesPerEU: 62
; AccumOffset: 64
; Occupancy: 8
; WaveLimiterHint : 0
; COMPUTE_PGM_RSRC2:SCRATCH_EN: 1
; COMPUTE_PGM_RSRC2:USER_SGPR: 8
; COMPUTE_PGM_RSRC2:TRAP_HANDLER: 0
; COMPUTE_PGM_RSRC2:TGID_X_EN: 1
; COMPUTE_PGM_RSRC2:TGID_Y_EN: 0
; COMPUTE_PGM_RSRC2:TGID_Z_EN: 0
; COMPUTE_PGM_RSRC2:TIDIG_COMP_CNT: 1
; COMPUTE_PGM_RSRC3_GFX90A:ACCUM_OFFSET: 15
; COMPUTE_PGM_RSRC3_GFX90A:TG_SPLIT: 0
	.section	.text._ZN2at6native28tensor_kernel_scan_outer_dimIN3c107complexIdEEjZZZNS0_31launch_logcumsumexp_cuda_kernelERKNS_10TensorBaseES7_lENKUlvE_clEvENKUlvE1_clEvEUlS4_S4_E_EEvPT_PKSB_jjjSB_T1_,"axG",@progbits,_ZN2at6native28tensor_kernel_scan_outer_dimIN3c107complexIdEEjZZZNS0_31launch_logcumsumexp_cuda_kernelERKNS_10TensorBaseES7_lENKUlvE_clEvENKUlvE1_clEvEUlS4_S4_E_EEvPT_PKSB_jjjSB_T1_,comdat
	.globl	_ZN2at6native28tensor_kernel_scan_outer_dimIN3c107complexIdEEjZZZNS0_31launch_logcumsumexp_cuda_kernelERKNS_10TensorBaseES7_lENKUlvE_clEvENKUlvE1_clEvEUlS4_S4_E_EEvPT_PKSB_jjjSB_T1_ ; -- Begin function _ZN2at6native28tensor_kernel_scan_outer_dimIN3c107complexIdEEjZZZNS0_31launch_logcumsumexp_cuda_kernelERKNS_10TensorBaseES7_lENKUlvE_clEvENKUlvE1_clEvEUlS4_S4_E_EEvPT_PKSB_jjjSB_T1_
	.p2align	8
	.type	_ZN2at6native28tensor_kernel_scan_outer_dimIN3c107complexIdEEjZZZNS0_31launch_logcumsumexp_cuda_kernelERKNS_10TensorBaseES7_lENKUlvE_clEvENKUlvE1_clEvEUlS4_S4_E_EEvPT_PKSB_jjjSB_T1_,@function
_ZN2at6native28tensor_kernel_scan_outer_dimIN3c107complexIdEEjZZZNS0_31launch_logcumsumexp_cuda_kernelERKNS_10TensorBaseES7_lENKUlvE_clEvENKUlvE1_clEvEUlS4_S4_E_EEvPT_PKSB_jjjSB_T1_: ; @_ZN2at6native28tensor_kernel_scan_outer_dimIN3c107complexIdEEjZZZNS0_31launch_logcumsumexp_cuda_kernelERKNS_10TensorBaseES7_lENKUlvE_clEvENKUlvE1_clEvEUlS4_S4_E_EEvPT_PKSB_jjjSB_T1_
; %bb.0:
	s_load_dwordx4 s[44:47], s[4:5], 0x10
	s_add_u32 flat_scratch_lo, s6, s10
	s_addc_u32 flat_scratch_hi, s7, 0
	s_add_u32 s0, s0, s10
	s_addc_u32 s1, s1, 0
	s_waitcnt lgkmcnt(0)
	s_cmp_ge_u32 s8, s44
	s_mov_b32 s32, 0
	s_cbranch_scc1 .LBB260_9
; %bb.1:
	s_load_dword s37, s[4:5], 0x38
	s_load_dword s6, s[4:5], 0x44
	s_load_dwordx4 s[48:51], s[4:5], 0x0
	s_load_dwordx4 s[52:55], s[4:5], 0x20
	s_add_u32 s42, s4, 56
	s_addc_u32 s43, s5, 0
	s_waitcnt lgkmcnt(0)
	s_and_b32 s47, s6, 0xffff
	s_cmp_lg_u32 s46, 0
	s_mul_i32 s4, s8, s46
	s_mul_i32 s9, s9, s47
	;; [unrolled: 1-line block ×3, first 2 shown]
	s_cselect_b64 s[4:5], -1, 0
	v_add_u32_e32 v41, s9, v0
	s_mov_b32 s57, 0
	s_mov_b32 s56, s45
	s_mul_i32 s66, s37, s46
	v_cndmask_b32_e64 v0, 0, 1, s[4:5]
	s_mov_b32 s33, s8
	v_cmp_gt_u32_e64 s[38:39], s45, v41
	s_mul_i32 s66, s66, s45
	s_lshl_b64 s[58:59], s[56:57], 4
	v_cmp_ne_u32_e64 s[40:41], 1, v0
	v_mov_b32_e32 v43, 0
	s_mov_b32 s56, s6
	s_branch .LBB260_3
.LBB260_2:                              ;   in Loop: Header=BB260_3 Depth=1
	s_or_b64 exec, exec, s[60:61]
	s_add_i32 s33, s37, s33
	s_add_i32 s56, s56, s66
	s_cmp_ge_u32 s33, s44
	s_cbranch_scc1 .LBB260_9
.LBB260_3:                              ; =>This Loop Header: Depth=1
                                        ;     Child Loop BB260_6 Depth 2
                                        ;       Child Loop BB260_8 Depth 3
	s_and_saveexec_b64 s[60:61], s[38:39]
	s_cbranch_execz .LBB260_2
; %bb.4:                                ;   in Loop: Header=BB260_3 Depth=1
	s_load_dword s67, s[42:43], 0x4
	s_lshl_b64 s[62:63], s[56:57], 4
	s_mov_b64 s[64:65], 0
	v_mov_b32_e32 v42, v41
	s_waitcnt lgkmcnt(0)
	s_mul_i32 s67, s67, s47
	s_branch .LBB260_6
.LBB260_5:                              ;   in Loop: Header=BB260_6 Depth=2
	v_add_u32_e32 v42, s67, v42
	v_cmp_le_u32_e32 vcc, s45, v42
	s_or_b64 s[64:65], vcc, s[64:65]
	s_andn2_b64 exec, exec, s[64:65]
	s_cbranch_execz .LBB260_2
.LBB260_6:                              ;   Parent Loop BB260_3 Depth=1
                                        ; =>  This Loop Header: Depth=2
                                        ;       Child Loop BB260_8 Depth 3
	s_and_b64 vcc, exec, s[40:41]
	s_cbranch_vccnz .LBB260_5
; %bb.7:                                ;   in Loop: Header=BB260_6 Depth=2
	v_lshlrev_b64 v[0:1], 4, v[42:43]
	v_mov_b32_e32 v2, s63
	v_add_co_u32_e32 v44, vcc, s62, v0
	v_addc_co_u32_e32 v45, vcc, v2, v1, vcc
	v_pk_mov_b32 v[2:3], s[54:55], s[54:55] op_sel:[0,1]
	v_pk_mov_b32 v[0:1], s[52:53], s[52:53] op_sel:[0,1]
	s_mov_b32 s68, s46
.LBB260_8:                              ;   Parent Loop BB260_3 Depth=1
                                        ;     Parent Loop BB260_6 Depth=2
                                        ; =>    This Inner Loop Header: Depth=3
	v_mov_b32_e32 v5, s51
	v_add_co_u32_e32 v4, vcc, s50, v44
	v_addc_co_u32_e32 v5, vcc, v5, v45, vcc
	global_load_dwordx4 v[4:7], v[4:5], off
	v_mov_b32_e32 v8, s49
	v_add_co_u32_e32 v46, vcc, s48, v44
	s_getpc_b64 s[4:5]
	s_add_u32 s4, s4, _ZZZZN2at6native31launch_logcumsumexp_cuda_kernelERKNS_10TensorBaseES3_lENKUlvE_clEvENKUlvE1_clEvENKUlN3c107complexIdEES8_E_clES8_S8_@rel32@lo+4
	s_addc_u32 s5, s5, _ZZZZN2at6native31launch_logcumsumexp_cuda_kernelERKNS_10TensorBaseES3_lENKUlvE_clEvENKUlvE1_clEvENKUlN3c107complexIdEES8_E_clES8_S8_@rel32@hi+12
	v_addc_co_u32_e32 v47, vcc, v8, v45, vcc
	s_swappc_b64 s[30:31], s[4:5]
	s_add_i32 s68, s68, -1
	v_mov_b32_e32 v4, s59
	v_add_co_u32_e32 v44, vcc, s58, v44
	s_cmp_eq_u32 s68, 0
	v_addc_co_u32_e32 v45, vcc, v45, v4, vcc
	global_store_dwordx4 v[46:47], v[0:3], off
	s_cbranch_scc0 .LBB260_8
	s_branch .LBB260_5
.LBB260_9:
	s_endpgm
	.section	.rodata,"a",@progbits
	.p2align	6, 0x0
	.amdhsa_kernel _ZN2at6native28tensor_kernel_scan_outer_dimIN3c107complexIdEEjZZZNS0_31launch_logcumsumexp_cuda_kernelERKNS_10TensorBaseES7_lENKUlvE_clEvENKUlvE1_clEvEUlS4_S4_E_EEvPT_PKSB_jjjSB_T1_
		.amdhsa_group_segment_fixed_size 0
		.amdhsa_private_segment_fixed_size 8
		.amdhsa_kernarg_size 312
		.amdhsa_user_sgpr_count 8
		.amdhsa_user_sgpr_private_segment_buffer 1
		.amdhsa_user_sgpr_dispatch_ptr 0
		.amdhsa_user_sgpr_queue_ptr 0
		.amdhsa_user_sgpr_kernarg_segment_ptr 1
		.amdhsa_user_sgpr_dispatch_id 0
		.amdhsa_user_sgpr_flat_scratch_init 1
		.amdhsa_user_sgpr_kernarg_preload_length 0
		.amdhsa_user_sgpr_kernarg_preload_offset 0
		.amdhsa_user_sgpr_private_segment_size 0
		.amdhsa_uses_dynamic_stack 0
		.amdhsa_system_sgpr_private_segment_wavefront_offset 1
		.amdhsa_system_sgpr_workgroup_id_x 1
		.amdhsa_system_sgpr_workgroup_id_y 1
		.amdhsa_system_sgpr_workgroup_id_z 0
		.amdhsa_system_sgpr_workgroup_info 0
		.amdhsa_system_vgpr_workitem_id 0
		.amdhsa_next_free_vgpr 52
		.amdhsa_next_free_sgpr 69
		.amdhsa_accum_offset 52
		.amdhsa_reserve_vcc 1
		.amdhsa_reserve_flat_scratch 1
		.amdhsa_float_round_mode_32 0
		.amdhsa_float_round_mode_16_64 0
		.amdhsa_float_denorm_mode_32 3
		.amdhsa_float_denorm_mode_16_64 3
		.amdhsa_dx10_clamp 1
		.amdhsa_ieee_mode 1
		.amdhsa_fp16_overflow 0
		.amdhsa_tg_split 0
		.amdhsa_exception_fp_ieee_invalid_op 0
		.amdhsa_exception_fp_denorm_src 0
		.amdhsa_exception_fp_ieee_div_zero 0
		.amdhsa_exception_fp_ieee_overflow 0
		.amdhsa_exception_fp_ieee_underflow 0
		.amdhsa_exception_fp_ieee_inexact 0
		.amdhsa_exception_int_div_zero 0
	.end_amdhsa_kernel
	.section	.text._ZN2at6native28tensor_kernel_scan_outer_dimIN3c107complexIdEEjZZZNS0_31launch_logcumsumexp_cuda_kernelERKNS_10TensorBaseES7_lENKUlvE_clEvENKUlvE1_clEvEUlS4_S4_E_EEvPT_PKSB_jjjSB_T1_,"axG",@progbits,_ZN2at6native28tensor_kernel_scan_outer_dimIN3c107complexIdEEjZZZNS0_31launch_logcumsumexp_cuda_kernelERKNS_10TensorBaseES7_lENKUlvE_clEvENKUlvE1_clEvEUlS4_S4_E_EEvPT_PKSB_jjjSB_T1_,comdat
.Lfunc_end260:
	.size	_ZN2at6native28tensor_kernel_scan_outer_dimIN3c107complexIdEEjZZZNS0_31launch_logcumsumexp_cuda_kernelERKNS_10TensorBaseES7_lENKUlvE_clEvENKUlvE1_clEvEUlS4_S4_E_EEvPT_PKSB_jjjSB_T1_, .Lfunc_end260-_ZN2at6native28tensor_kernel_scan_outer_dimIN3c107complexIdEEjZZZNS0_31launch_logcumsumexp_cuda_kernelERKNS_10TensorBaseES7_lENKUlvE_clEvENKUlvE1_clEvEUlS4_S4_E_EEvPT_PKSB_jjjSB_T1_
                                        ; -- End function
	.section	.AMDGPU.csdata,"",@progbits
; Kernel info:
; codeLenInByte = 400
; NumSgprs: 75
; NumVgprs: 52
; NumAgprs: 0
; TotalNumVgprs: 52
; ScratchSize: 8
; MemoryBound: 0
; FloatMode: 240
; IeeeMode: 1
; LDSByteSize: 0 bytes/workgroup (compile time only)
; SGPRBlocks: 9
; VGPRBlocks: 6
; NumSGPRsForWavesPerEU: 75
; NumVGPRsForWavesPerEU: 52
; AccumOffset: 52
; Occupancy: 8
; WaveLimiterHint : 0
; COMPUTE_PGM_RSRC2:SCRATCH_EN: 1
; COMPUTE_PGM_RSRC2:USER_SGPR: 8
; COMPUTE_PGM_RSRC2:TRAP_HANDLER: 0
; COMPUTE_PGM_RSRC2:TGID_X_EN: 1
; COMPUTE_PGM_RSRC2:TGID_Y_EN: 1
; COMPUTE_PGM_RSRC2:TGID_Z_EN: 0
; COMPUTE_PGM_RSRC2:TIDIG_COMP_CNT: 0
; COMPUTE_PGM_RSRC3_GFX90A:ACCUM_OFFSET: 12
; COMPUTE_PGM_RSRC3_GFX90A:TG_SPLIT: 0
	.section	.text._ZN2at6native28tensor_kernel_scan_outer_dimIN3c107complexIdEEmZZZNS0_31launch_logcumsumexp_cuda_kernelERKNS_10TensorBaseES7_lENKUlvE_clEvENKUlvE1_clEvEUlS4_S4_E_EEvPT_PKSB_jjjSB_T1_,"axG",@progbits,_ZN2at6native28tensor_kernel_scan_outer_dimIN3c107complexIdEEmZZZNS0_31launch_logcumsumexp_cuda_kernelERKNS_10TensorBaseES7_lENKUlvE_clEvENKUlvE1_clEvEUlS4_S4_E_EEvPT_PKSB_jjjSB_T1_,comdat
	.globl	_ZN2at6native28tensor_kernel_scan_outer_dimIN3c107complexIdEEmZZZNS0_31launch_logcumsumexp_cuda_kernelERKNS_10TensorBaseES7_lENKUlvE_clEvENKUlvE1_clEvEUlS4_S4_E_EEvPT_PKSB_jjjSB_T1_ ; -- Begin function _ZN2at6native28tensor_kernel_scan_outer_dimIN3c107complexIdEEmZZZNS0_31launch_logcumsumexp_cuda_kernelERKNS_10TensorBaseES7_lENKUlvE_clEvENKUlvE1_clEvEUlS4_S4_E_EEvPT_PKSB_jjjSB_T1_
	.p2align	8
	.type	_ZN2at6native28tensor_kernel_scan_outer_dimIN3c107complexIdEEmZZZNS0_31launch_logcumsumexp_cuda_kernelERKNS_10TensorBaseES7_lENKUlvE_clEvENKUlvE1_clEvEUlS4_S4_E_EEvPT_PKSB_jjjSB_T1_,@function
_ZN2at6native28tensor_kernel_scan_outer_dimIN3c107complexIdEEmZZZNS0_31launch_logcumsumexp_cuda_kernelERKNS_10TensorBaseES7_lENKUlvE_clEvENKUlvE1_clEvEUlS4_S4_E_EEvPT_PKSB_jjjSB_T1_: ; @_ZN2at6native28tensor_kernel_scan_outer_dimIN3c107complexIdEEmZZZNS0_31launch_logcumsumexp_cuda_kernelERKNS_10TensorBaseES7_lENKUlvE_clEvENKUlvE1_clEvEUlS4_S4_E_EEvPT_PKSB_jjjSB_T1_
; %bb.0:
	s_load_dwordx4 s[44:47], s[4:5], 0x10
	s_add_u32 flat_scratch_lo, s6, s10
	s_addc_u32 flat_scratch_hi, s7, 0
	s_add_u32 s0, s0, s10
	s_addc_u32 s1, s1, 0
	s_waitcnt lgkmcnt(0)
	s_cmp_ge_u32 s8, s44
	s_mov_b32 s32, 0
	s_cbranch_scc1 .LBB261_9
; %bb.1:
	s_load_dword s37, s[4:5], 0x38
	s_load_dword s6, s[4:5], 0x44
	s_load_dwordx4 s[48:51], s[4:5], 0x0
	s_load_dwordx4 s[52:55], s[4:5], 0x20
	s_add_u32 s42, s4, 56
	s_addc_u32 s43, s5, 0
	s_waitcnt lgkmcnt(0)
	s_and_b32 s47, s6, 0xffff
	s_mul_i32 s9, s9, s47
	s_cmp_lg_u32 s46, 0
	s_mov_b32 s33, s8
	v_add_u32_e32 v41, s9, v0
	s_cselect_b64 s[8:9], -1, 0
	s_mov_b32 s5, 0
	s_mov_b32 s4, s45
	s_mul_hi_u32 s7, s46, s45
	s_mul_i32 s6, s46, s45
	v_cndmask_b32_e64 v0, 0, 1, s[8:9]
	v_cmp_gt_u32_e64 s[38:39], s45, v41
	s_lshl_b64 s[56:57], s[6:7], 4
	s_lshl_b64 s[58:59], s[4:5], 4
	v_cmp_ne_u32_e64 s[40:41], 1, v0
	v_mov_b32_e32 v43, 0
	s_branch .LBB261_3
.LBB261_2:                              ;   in Loop: Header=BB261_3 Depth=1
	s_or_b64 exec, exec, s[60:61]
	s_add_i32 s33, s33, s37
	s_cmp_ge_u32 s33, s44
	s_cbranch_scc1 .LBB261_9
.LBB261_3:                              ; =>This Loop Header: Depth=1
                                        ;     Child Loop BB261_6 Depth 2
                                        ;       Child Loop BB261_8 Depth 3
	s_and_saveexec_b64 s[60:61], s[38:39]
	s_cbranch_execz .LBB261_2
; %bb.4:                                ;   in Loop: Header=BB261_3 Depth=1
	s_load_dword s66, s[42:43], 0x4
	s_mul_i32 s4, s57, s33
	s_mul_hi_u32 s5, s56, s33
	s_mul_i32 s64, s56, s33
	s_add_i32 s65, s5, s4
	s_waitcnt lgkmcnt(0)
	s_mul_i32 s66, s66, s47
	s_mov_b64 s[62:63], 0
	v_mov_b32_e32 v42, v41
	s_branch .LBB261_6
.LBB261_5:                              ;   in Loop: Header=BB261_6 Depth=2
	v_add_u32_e32 v42, s66, v42
	v_cmp_le_u32_e32 vcc, s45, v42
	s_or_b64 s[62:63], vcc, s[62:63]
	s_andn2_b64 exec, exec, s[62:63]
	s_cbranch_execz .LBB261_2
.LBB261_6:                              ;   Parent Loop BB261_3 Depth=1
                                        ; =>  This Loop Header: Depth=2
                                        ;       Child Loop BB261_8 Depth 3
	s_and_b64 vcc, exec, s[40:41]
	s_cbranch_vccnz .LBB261_5
; %bb.7:                                ;   in Loop: Header=BB261_6 Depth=2
	v_lshlrev_b64 v[0:1], 4, v[42:43]
	v_mov_b32_e32 v2, s65
	v_add_co_u32_e32 v44, vcc, s64, v0
	v_addc_co_u32_e32 v45, vcc, v2, v1, vcc
	v_pk_mov_b32 v[2:3], s[54:55], s[54:55] op_sel:[0,1]
	v_pk_mov_b32 v[0:1], s[52:53], s[52:53] op_sel:[0,1]
	s_mov_b32 s67, s46
.LBB261_8:                              ;   Parent Loop BB261_3 Depth=1
                                        ;     Parent Loop BB261_6 Depth=2
                                        ; =>    This Inner Loop Header: Depth=3
	v_mov_b32_e32 v5, s51
	v_add_co_u32_e32 v4, vcc, s50, v44
	v_addc_co_u32_e32 v5, vcc, v5, v45, vcc
	global_load_dwordx4 v[4:7], v[4:5], off
	v_mov_b32_e32 v8, s49
	v_add_co_u32_e32 v46, vcc, s48, v44
	s_getpc_b64 s[4:5]
	s_add_u32 s4, s4, _ZZZZN2at6native31launch_logcumsumexp_cuda_kernelERKNS_10TensorBaseES3_lENKUlvE_clEvENKUlvE1_clEvENKUlN3c107complexIdEES8_E_clES8_S8_@rel32@lo+4
	s_addc_u32 s5, s5, _ZZZZN2at6native31launch_logcumsumexp_cuda_kernelERKNS_10TensorBaseES3_lENKUlvE_clEvENKUlvE1_clEvENKUlN3c107complexIdEES8_E_clES8_S8_@rel32@hi+12
	v_addc_co_u32_e32 v47, vcc, v8, v45, vcc
	s_swappc_b64 s[30:31], s[4:5]
	s_add_i32 s67, s67, -1
	v_mov_b32_e32 v4, s59
	v_add_co_u32_e32 v44, vcc, s58, v44
	s_cmp_eq_u32 s67, 0
	v_addc_co_u32_e32 v45, vcc, v45, v4, vcc
	global_store_dwordx4 v[46:47], v[0:3], off
	s_cbranch_scc0 .LBB261_8
	s_branch .LBB261_5
.LBB261_9:
	s_endpgm
	.section	.rodata,"a",@progbits
	.p2align	6, 0x0
	.amdhsa_kernel _ZN2at6native28tensor_kernel_scan_outer_dimIN3c107complexIdEEmZZZNS0_31launch_logcumsumexp_cuda_kernelERKNS_10TensorBaseES7_lENKUlvE_clEvENKUlvE1_clEvEUlS4_S4_E_EEvPT_PKSB_jjjSB_T1_
		.amdhsa_group_segment_fixed_size 0
		.amdhsa_private_segment_fixed_size 8
		.amdhsa_kernarg_size 312
		.amdhsa_user_sgpr_count 8
		.amdhsa_user_sgpr_private_segment_buffer 1
		.amdhsa_user_sgpr_dispatch_ptr 0
		.amdhsa_user_sgpr_queue_ptr 0
		.amdhsa_user_sgpr_kernarg_segment_ptr 1
		.amdhsa_user_sgpr_dispatch_id 0
		.amdhsa_user_sgpr_flat_scratch_init 1
		.amdhsa_user_sgpr_kernarg_preload_length 0
		.amdhsa_user_sgpr_kernarg_preload_offset 0
		.amdhsa_user_sgpr_private_segment_size 0
		.amdhsa_uses_dynamic_stack 0
		.amdhsa_system_sgpr_private_segment_wavefront_offset 1
		.amdhsa_system_sgpr_workgroup_id_x 1
		.amdhsa_system_sgpr_workgroup_id_y 1
		.amdhsa_system_sgpr_workgroup_id_z 0
		.amdhsa_system_sgpr_workgroup_info 0
		.amdhsa_system_vgpr_workitem_id 0
		.amdhsa_next_free_vgpr 52
		.amdhsa_next_free_sgpr 68
		.amdhsa_accum_offset 52
		.amdhsa_reserve_vcc 1
		.amdhsa_reserve_flat_scratch 1
		.amdhsa_float_round_mode_32 0
		.amdhsa_float_round_mode_16_64 0
		.amdhsa_float_denorm_mode_32 3
		.amdhsa_float_denorm_mode_16_64 3
		.amdhsa_dx10_clamp 1
		.amdhsa_ieee_mode 1
		.amdhsa_fp16_overflow 0
		.amdhsa_tg_split 0
		.amdhsa_exception_fp_ieee_invalid_op 0
		.amdhsa_exception_fp_denorm_src 0
		.amdhsa_exception_fp_ieee_div_zero 0
		.amdhsa_exception_fp_ieee_overflow 0
		.amdhsa_exception_fp_ieee_underflow 0
		.amdhsa_exception_fp_ieee_inexact 0
		.amdhsa_exception_int_div_zero 0
	.end_amdhsa_kernel
	.section	.text._ZN2at6native28tensor_kernel_scan_outer_dimIN3c107complexIdEEmZZZNS0_31launch_logcumsumexp_cuda_kernelERKNS_10TensorBaseES7_lENKUlvE_clEvENKUlvE1_clEvEUlS4_S4_E_EEvPT_PKSB_jjjSB_T1_,"axG",@progbits,_ZN2at6native28tensor_kernel_scan_outer_dimIN3c107complexIdEEmZZZNS0_31launch_logcumsumexp_cuda_kernelERKNS_10TensorBaseES7_lENKUlvE_clEvENKUlvE1_clEvEUlS4_S4_E_EEvPT_PKSB_jjjSB_T1_,comdat
.Lfunc_end261:
	.size	_ZN2at6native28tensor_kernel_scan_outer_dimIN3c107complexIdEEmZZZNS0_31launch_logcumsumexp_cuda_kernelERKNS_10TensorBaseES7_lENKUlvE_clEvENKUlvE1_clEvEUlS4_S4_E_EEvPT_PKSB_jjjSB_T1_, .Lfunc_end261-_ZN2at6native28tensor_kernel_scan_outer_dimIN3c107complexIdEEmZZZNS0_31launch_logcumsumexp_cuda_kernelERKNS_10TensorBaseES7_lENKUlvE_clEvENKUlvE1_clEvEUlS4_S4_E_EEvPT_PKSB_jjjSB_T1_
                                        ; -- End function
	.section	.AMDGPU.csdata,"",@progbits
; Kernel info:
; codeLenInByte = 400
; NumSgprs: 74
; NumVgprs: 52
; NumAgprs: 0
; TotalNumVgprs: 52
; ScratchSize: 8
; MemoryBound: 0
; FloatMode: 240
; IeeeMode: 1
; LDSByteSize: 0 bytes/workgroup (compile time only)
; SGPRBlocks: 9
; VGPRBlocks: 6
; NumSGPRsForWavesPerEU: 74
; NumVGPRsForWavesPerEU: 52
; AccumOffset: 52
; Occupancy: 8
; WaveLimiterHint : 0
; COMPUTE_PGM_RSRC2:SCRATCH_EN: 1
; COMPUTE_PGM_RSRC2:USER_SGPR: 8
; COMPUTE_PGM_RSRC2:TRAP_HANDLER: 0
; COMPUTE_PGM_RSRC2:TGID_X_EN: 1
; COMPUTE_PGM_RSRC2:TGID_Y_EN: 1
; COMPUTE_PGM_RSRC2:TGID_Z_EN: 0
; COMPUTE_PGM_RSRC2:TIDIG_COMP_CNT: 0
; COMPUTE_PGM_RSRC3_GFX90A:ACCUM_OFFSET: 12
; COMPUTE_PGM_RSRC3_GFX90A:TG_SPLIT: 0
	.section	.text._ZN7rocprim17ROCPRIM_400000_NS6detail31init_lookback_scan_state_kernelINS1_19lookback_scan_stateIN3c107complexIfEELb0ELb1EEENS1_16block_id_wrapperIjLb0EEEEEvT_jT0_jPNSA_10value_typeE,"axG",@progbits,_ZN7rocprim17ROCPRIM_400000_NS6detail31init_lookback_scan_state_kernelINS1_19lookback_scan_stateIN3c107complexIfEELb0ELb1EEENS1_16block_id_wrapperIjLb0EEEEEvT_jT0_jPNSA_10value_typeE,comdat
	.protected	_ZN7rocprim17ROCPRIM_400000_NS6detail31init_lookback_scan_state_kernelINS1_19lookback_scan_stateIN3c107complexIfEELb0ELb1EEENS1_16block_id_wrapperIjLb0EEEEEvT_jT0_jPNSA_10value_typeE ; -- Begin function _ZN7rocprim17ROCPRIM_400000_NS6detail31init_lookback_scan_state_kernelINS1_19lookback_scan_stateIN3c107complexIfEELb0ELb1EEENS1_16block_id_wrapperIjLb0EEEEEvT_jT0_jPNSA_10value_typeE
	.globl	_ZN7rocprim17ROCPRIM_400000_NS6detail31init_lookback_scan_state_kernelINS1_19lookback_scan_stateIN3c107complexIfEELb0ELb1EEENS1_16block_id_wrapperIjLb0EEEEEvT_jT0_jPNSA_10value_typeE
	.p2align	8
	.type	_ZN7rocprim17ROCPRIM_400000_NS6detail31init_lookback_scan_state_kernelINS1_19lookback_scan_stateIN3c107complexIfEELb0ELb1EEENS1_16block_id_wrapperIjLb0EEEEEvT_jT0_jPNSA_10value_typeE,@function
_ZN7rocprim17ROCPRIM_400000_NS6detail31init_lookback_scan_state_kernelINS1_19lookback_scan_stateIN3c107complexIfEELb0ELb1EEENS1_16block_id_wrapperIjLb0EEEEEvT_jT0_jPNSA_10value_typeE: ; @_ZN7rocprim17ROCPRIM_400000_NS6detail31init_lookback_scan_state_kernelINS1_19lookback_scan_stateIN3c107complexIfEELb0ELb1EEENS1_16block_id_wrapperIjLb0EEEEEvT_jT0_jPNSA_10value_typeE
; %bb.0:
	s_load_dword s7, s[4:5], 0x2c
	s_load_dwordx2 s[2:3], s[4:5], 0x18
	s_load_dwordx2 s[0:1], s[4:5], 0x0
	s_load_dword s12, s[4:5], 0x8
	s_waitcnt lgkmcnt(0)
	s_and_b32 s7, s7, 0xffff
	s_mul_i32 s6, s6, s7
	s_cmp_eq_u64 s[2:3], 0
	v_add_u32_e32 v0, s6, v0
	s_cbranch_scc1 .LBB262_8
; %bb.1:
	s_load_dword s6, s[4:5], 0x10
	s_mov_b32 s7, 0
	s_waitcnt lgkmcnt(0)
	s_cmp_lt_u32 s6, s12
	s_cselect_b32 s4, s6, 0
	v_cmp_eq_u32_e32 vcc, s4, v0
	s_and_saveexec_b64 s[4:5], vcc
	s_cbranch_execz .LBB262_7
; %bb.2:
	s_add_i32 s6, s6, 64
	s_lshl_b64 s[6:7], s[6:7], 4
	s_add_u32 s10, s0, s6
	s_addc_u32 s11, s1, s7
	v_pk_mov_b32 v[2:3], s[10:11], s[10:11] op_sel:[0,1]
	;;#ASMSTART
	global_load_dwordx4 v[2:5], v[2:3] off glc	
s_waitcnt vmcnt(0)
	;;#ASMEND
	v_mov_b32_e32 v7, 0
	v_and_b32_e32 v6, 0xff, v4
	v_mov_b32_e32 v8, v3
	s_mov_b64 s[8:9], 0
	v_cmp_eq_u64_e32 vcc, 0, v[6:7]
	s_and_saveexec_b64 s[6:7], vcc
	s_cbranch_execz .LBB262_6
; %bb.3:
	v_pk_mov_b32 v[8:9], s[10:11], s[10:11] op_sel:[0,1]
.LBB262_4:                              ; =>This Inner Loop Header: Depth=1
	;;#ASMSTART
	global_load_dwordx4 v[2:5], v[8:9] off glc	
s_waitcnt vmcnt(0)
	;;#ASMEND
	v_and_b32_e32 v6, 0xff, v4
	v_cmp_ne_u64_e32 vcc, 0, v[6:7]
	s_or_b64 s[8:9], vcc, s[8:9]
	s_andn2_b64 exec, exec, s[8:9]
	s_cbranch_execnz .LBB262_4
; %bb.5:
	s_or_b64 exec, exec, s[8:9]
	v_mov_b32_e32 v8, v3
.LBB262_6:
	s_or_b64 exec, exec, s[6:7]
	v_mov_b32_e32 v3, v8
	v_mov_b32_e32 v1, 0
	global_store_dwordx2 v1, v[2:3], s[2:3]
.LBB262_7:
	s_or_b64 exec, exec, s[4:5]
.LBB262_8:
	v_cmp_gt_u32_e32 vcc, s12, v0
	s_and_saveexec_b64 s[2:3], vcc
	s_cbranch_execnz .LBB262_11
; %bb.9:
	s_or_b64 exec, exec, s[2:3]
	v_cmp_gt_u32_e32 vcc, 64, v0
	s_and_saveexec_b64 s[2:3], vcc
	s_cbranch_execnz .LBB262_12
.LBB262_10:
	s_endpgm
.LBB262_11:
	v_add_u32_e32 v2, 64, v0
	v_mov_b32_e32 v3, 0
	v_lshlrev_b64 v[4:5], 4, v[2:3]
	v_mov_b32_e32 v1, s1
	v_add_co_u32_e32 v6, vcc, s0, v4
	v_addc_co_u32_e32 v7, vcc, v1, v5, vcc
	v_mov_b32_e32 v2, v3
	v_mov_b32_e32 v4, v3
	;; [unrolled: 1-line block ×3, first 2 shown]
	global_store_dwordx4 v[6:7], v[2:5], off
	s_or_b64 exec, exec, s[2:3]
	v_cmp_gt_u32_e32 vcc, 64, v0
	s_and_saveexec_b64 s[2:3], vcc
	s_cbranch_execz .LBB262_10
.LBB262_12:
	v_mov_b32_e32 v1, 0
	v_lshlrev_b64 v[2:3], 4, v[0:1]
	v_mov_b32_e32 v0, s1
	v_add_co_u32_e32 v4, vcc, s0, v2
	v_addc_co_u32_e32 v5, vcc, v0, v3, vcc
	v_mov_b32_e32 v2, 0xff
	v_mov_b32_e32 v0, v1
	;; [unrolled: 1-line block ×3, first 2 shown]
	global_store_dwordx4 v[4:5], v[0:3], off
	s_endpgm
	.section	.rodata,"a",@progbits
	.p2align	6, 0x0
	.amdhsa_kernel _ZN7rocprim17ROCPRIM_400000_NS6detail31init_lookback_scan_state_kernelINS1_19lookback_scan_stateIN3c107complexIfEELb0ELb1EEENS1_16block_id_wrapperIjLb0EEEEEvT_jT0_jPNSA_10value_typeE
		.amdhsa_group_segment_fixed_size 0
		.amdhsa_private_segment_fixed_size 0
		.amdhsa_kernarg_size 288
		.amdhsa_user_sgpr_count 6
		.amdhsa_user_sgpr_private_segment_buffer 1
		.amdhsa_user_sgpr_dispatch_ptr 0
		.amdhsa_user_sgpr_queue_ptr 0
		.amdhsa_user_sgpr_kernarg_segment_ptr 1
		.amdhsa_user_sgpr_dispatch_id 0
		.amdhsa_user_sgpr_flat_scratch_init 0
		.amdhsa_user_sgpr_kernarg_preload_length 0
		.amdhsa_user_sgpr_kernarg_preload_offset 0
		.amdhsa_user_sgpr_private_segment_size 0
		.amdhsa_uses_dynamic_stack 0
		.amdhsa_system_sgpr_private_segment_wavefront_offset 0
		.amdhsa_system_sgpr_workgroup_id_x 1
		.amdhsa_system_sgpr_workgroup_id_y 0
		.amdhsa_system_sgpr_workgroup_id_z 0
		.amdhsa_system_sgpr_workgroup_info 0
		.amdhsa_system_vgpr_workitem_id 0
		.amdhsa_next_free_vgpr 10
		.amdhsa_next_free_sgpr 13
		.amdhsa_accum_offset 12
		.amdhsa_reserve_vcc 1
		.amdhsa_reserve_flat_scratch 0
		.amdhsa_float_round_mode_32 0
		.amdhsa_float_round_mode_16_64 0
		.amdhsa_float_denorm_mode_32 3
		.amdhsa_float_denorm_mode_16_64 3
		.amdhsa_dx10_clamp 1
		.amdhsa_ieee_mode 1
		.amdhsa_fp16_overflow 0
		.amdhsa_tg_split 0
		.amdhsa_exception_fp_ieee_invalid_op 0
		.amdhsa_exception_fp_denorm_src 0
		.amdhsa_exception_fp_ieee_div_zero 0
		.amdhsa_exception_fp_ieee_overflow 0
		.amdhsa_exception_fp_ieee_underflow 0
		.amdhsa_exception_fp_ieee_inexact 0
		.amdhsa_exception_int_div_zero 0
	.end_amdhsa_kernel
	.section	.text._ZN7rocprim17ROCPRIM_400000_NS6detail31init_lookback_scan_state_kernelINS1_19lookback_scan_stateIN3c107complexIfEELb0ELb1EEENS1_16block_id_wrapperIjLb0EEEEEvT_jT0_jPNSA_10value_typeE,"axG",@progbits,_ZN7rocprim17ROCPRIM_400000_NS6detail31init_lookback_scan_state_kernelINS1_19lookback_scan_stateIN3c107complexIfEELb0ELb1EEENS1_16block_id_wrapperIjLb0EEEEEvT_jT0_jPNSA_10value_typeE,comdat
.Lfunc_end262:
	.size	_ZN7rocprim17ROCPRIM_400000_NS6detail31init_lookback_scan_state_kernelINS1_19lookback_scan_stateIN3c107complexIfEELb0ELb1EEENS1_16block_id_wrapperIjLb0EEEEEvT_jT0_jPNSA_10value_typeE, .Lfunc_end262-_ZN7rocprim17ROCPRIM_400000_NS6detail31init_lookback_scan_state_kernelINS1_19lookback_scan_stateIN3c107complexIfEELb0ELb1EEENS1_16block_id_wrapperIjLb0EEEEEvT_jT0_jPNSA_10value_typeE
                                        ; -- End function
	.section	.AMDGPU.csdata,"",@progbits
; Kernel info:
; codeLenInByte = 396
; NumSgprs: 17
; NumVgprs: 10
; NumAgprs: 0
; TotalNumVgprs: 10
; ScratchSize: 0
; MemoryBound: 0
; FloatMode: 240
; IeeeMode: 1
; LDSByteSize: 0 bytes/workgroup (compile time only)
; SGPRBlocks: 2
; VGPRBlocks: 1
; NumSGPRsForWavesPerEU: 17
; NumVGPRsForWavesPerEU: 10
; AccumOffset: 12
; Occupancy: 8
; WaveLimiterHint : 0
; COMPUTE_PGM_RSRC2:SCRATCH_EN: 0
; COMPUTE_PGM_RSRC2:USER_SGPR: 6
; COMPUTE_PGM_RSRC2:TRAP_HANDLER: 0
; COMPUTE_PGM_RSRC2:TGID_X_EN: 1
; COMPUTE_PGM_RSRC2:TGID_Y_EN: 0
; COMPUTE_PGM_RSRC2:TGID_Z_EN: 0
; COMPUTE_PGM_RSRC2:TIDIG_COMP_CNT: 0
; COMPUTE_PGM_RSRC3_GFX90A:ACCUM_OFFSET: 2
; COMPUTE_PGM_RSRC3_GFX90A:TG_SPLIT: 0
	.section	.text._ZN7rocprim17ROCPRIM_400000_NS6detail17trampoline_kernelINS0_14default_configENS1_20scan_config_selectorIN3c107complexIfEEEEZZNS1_9scan_implILNS1_25lookback_scan_determinismE0ELb0ELb0ES3_PKS7_PS7_S7_ZZZN2at6native31launch_logcumsumexp_cuda_kernelERKNSE_10TensorBaseESI_lENKUlvE_clEvENKUlvE2_clEvEUlS7_S7_E_S7_EEDaPvRmT3_T4_T5_mT6_P12ihipStream_tbENKUlT_T0_E_clISt17integral_constantIbLb0EESZ_EEDaSU_SV_EUlSU_E_NS1_11comp_targetILNS1_3genE0ELNS1_11target_archE4294967295ELNS1_3gpuE0ELNS1_3repE0EEENS1_30default_config_static_selectorELNS0_4arch9wavefront6targetE1EEEvT1_,"axG",@progbits,_ZN7rocprim17ROCPRIM_400000_NS6detail17trampoline_kernelINS0_14default_configENS1_20scan_config_selectorIN3c107complexIfEEEEZZNS1_9scan_implILNS1_25lookback_scan_determinismE0ELb0ELb0ES3_PKS7_PS7_S7_ZZZN2at6native31launch_logcumsumexp_cuda_kernelERKNSE_10TensorBaseESI_lENKUlvE_clEvENKUlvE2_clEvEUlS7_S7_E_S7_EEDaPvRmT3_T4_T5_mT6_P12ihipStream_tbENKUlT_T0_E_clISt17integral_constantIbLb0EESZ_EEDaSU_SV_EUlSU_E_NS1_11comp_targetILNS1_3genE0ELNS1_11target_archE4294967295ELNS1_3gpuE0ELNS1_3repE0EEENS1_30default_config_static_selectorELNS0_4arch9wavefront6targetE1EEEvT1_,comdat
	.globl	_ZN7rocprim17ROCPRIM_400000_NS6detail17trampoline_kernelINS0_14default_configENS1_20scan_config_selectorIN3c107complexIfEEEEZZNS1_9scan_implILNS1_25lookback_scan_determinismE0ELb0ELb0ES3_PKS7_PS7_S7_ZZZN2at6native31launch_logcumsumexp_cuda_kernelERKNSE_10TensorBaseESI_lENKUlvE_clEvENKUlvE2_clEvEUlS7_S7_E_S7_EEDaPvRmT3_T4_T5_mT6_P12ihipStream_tbENKUlT_T0_E_clISt17integral_constantIbLb0EESZ_EEDaSU_SV_EUlSU_E_NS1_11comp_targetILNS1_3genE0ELNS1_11target_archE4294967295ELNS1_3gpuE0ELNS1_3repE0EEENS1_30default_config_static_selectorELNS0_4arch9wavefront6targetE1EEEvT1_ ; -- Begin function _ZN7rocprim17ROCPRIM_400000_NS6detail17trampoline_kernelINS0_14default_configENS1_20scan_config_selectorIN3c107complexIfEEEEZZNS1_9scan_implILNS1_25lookback_scan_determinismE0ELb0ELb0ES3_PKS7_PS7_S7_ZZZN2at6native31launch_logcumsumexp_cuda_kernelERKNSE_10TensorBaseESI_lENKUlvE_clEvENKUlvE2_clEvEUlS7_S7_E_S7_EEDaPvRmT3_T4_T5_mT6_P12ihipStream_tbENKUlT_T0_E_clISt17integral_constantIbLb0EESZ_EEDaSU_SV_EUlSU_E_NS1_11comp_targetILNS1_3genE0ELNS1_11target_archE4294967295ELNS1_3gpuE0ELNS1_3repE0EEENS1_30default_config_static_selectorELNS0_4arch9wavefront6targetE1EEEvT1_
	.p2align	8
	.type	_ZN7rocprim17ROCPRIM_400000_NS6detail17trampoline_kernelINS0_14default_configENS1_20scan_config_selectorIN3c107complexIfEEEEZZNS1_9scan_implILNS1_25lookback_scan_determinismE0ELb0ELb0ES3_PKS7_PS7_S7_ZZZN2at6native31launch_logcumsumexp_cuda_kernelERKNSE_10TensorBaseESI_lENKUlvE_clEvENKUlvE2_clEvEUlS7_S7_E_S7_EEDaPvRmT3_T4_T5_mT6_P12ihipStream_tbENKUlT_T0_E_clISt17integral_constantIbLb0EESZ_EEDaSU_SV_EUlSU_E_NS1_11comp_targetILNS1_3genE0ELNS1_11target_archE4294967295ELNS1_3gpuE0ELNS1_3repE0EEENS1_30default_config_static_selectorELNS0_4arch9wavefront6targetE1EEEvT1_,@function
_ZN7rocprim17ROCPRIM_400000_NS6detail17trampoline_kernelINS0_14default_configENS1_20scan_config_selectorIN3c107complexIfEEEEZZNS1_9scan_implILNS1_25lookback_scan_determinismE0ELb0ELb0ES3_PKS7_PS7_S7_ZZZN2at6native31launch_logcumsumexp_cuda_kernelERKNSE_10TensorBaseESI_lENKUlvE_clEvENKUlvE2_clEvEUlS7_S7_E_S7_EEDaPvRmT3_T4_T5_mT6_P12ihipStream_tbENKUlT_T0_E_clISt17integral_constantIbLb0EESZ_EEDaSU_SV_EUlSU_E_NS1_11comp_targetILNS1_3genE0ELNS1_11target_archE4294967295ELNS1_3gpuE0ELNS1_3repE0EEENS1_30default_config_static_selectorELNS0_4arch9wavefront6targetE1EEEvT1_: ; @_ZN7rocprim17ROCPRIM_400000_NS6detail17trampoline_kernelINS0_14default_configENS1_20scan_config_selectorIN3c107complexIfEEEEZZNS1_9scan_implILNS1_25lookback_scan_determinismE0ELb0ELb0ES3_PKS7_PS7_S7_ZZZN2at6native31launch_logcumsumexp_cuda_kernelERKNSE_10TensorBaseESI_lENKUlvE_clEvENKUlvE2_clEvEUlS7_S7_E_S7_EEDaPvRmT3_T4_T5_mT6_P12ihipStream_tbENKUlT_T0_E_clISt17integral_constantIbLb0EESZ_EEDaSU_SV_EUlSU_E_NS1_11comp_targetILNS1_3genE0ELNS1_11target_archE4294967295ELNS1_3gpuE0ELNS1_3repE0EEENS1_30default_config_static_selectorELNS0_4arch9wavefront6targetE1EEEvT1_
; %bb.0:
	.section	.rodata,"a",@progbits
	.p2align	6, 0x0
	.amdhsa_kernel _ZN7rocprim17ROCPRIM_400000_NS6detail17trampoline_kernelINS0_14default_configENS1_20scan_config_selectorIN3c107complexIfEEEEZZNS1_9scan_implILNS1_25lookback_scan_determinismE0ELb0ELb0ES3_PKS7_PS7_S7_ZZZN2at6native31launch_logcumsumexp_cuda_kernelERKNSE_10TensorBaseESI_lENKUlvE_clEvENKUlvE2_clEvEUlS7_S7_E_S7_EEDaPvRmT3_T4_T5_mT6_P12ihipStream_tbENKUlT_T0_E_clISt17integral_constantIbLb0EESZ_EEDaSU_SV_EUlSU_E_NS1_11comp_targetILNS1_3genE0ELNS1_11target_archE4294967295ELNS1_3gpuE0ELNS1_3repE0EEENS1_30default_config_static_selectorELNS0_4arch9wavefront6targetE1EEEvT1_
		.amdhsa_group_segment_fixed_size 0
		.amdhsa_private_segment_fixed_size 0
		.amdhsa_kernarg_size 104
		.amdhsa_user_sgpr_count 6
		.amdhsa_user_sgpr_private_segment_buffer 1
		.amdhsa_user_sgpr_dispatch_ptr 0
		.amdhsa_user_sgpr_queue_ptr 0
		.amdhsa_user_sgpr_kernarg_segment_ptr 1
		.amdhsa_user_sgpr_dispatch_id 0
		.amdhsa_user_sgpr_flat_scratch_init 0
		.amdhsa_user_sgpr_kernarg_preload_length 0
		.amdhsa_user_sgpr_kernarg_preload_offset 0
		.amdhsa_user_sgpr_private_segment_size 0
		.amdhsa_uses_dynamic_stack 0
		.amdhsa_system_sgpr_private_segment_wavefront_offset 0
		.amdhsa_system_sgpr_workgroup_id_x 1
		.amdhsa_system_sgpr_workgroup_id_y 0
		.amdhsa_system_sgpr_workgroup_id_z 0
		.amdhsa_system_sgpr_workgroup_info 0
		.amdhsa_system_vgpr_workitem_id 0
		.amdhsa_next_free_vgpr 1
		.amdhsa_next_free_sgpr 0
		.amdhsa_accum_offset 4
		.amdhsa_reserve_vcc 0
		.amdhsa_reserve_flat_scratch 0
		.amdhsa_float_round_mode_32 0
		.amdhsa_float_round_mode_16_64 0
		.amdhsa_float_denorm_mode_32 3
		.amdhsa_float_denorm_mode_16_64 3
		.amdhsa_dx10_clamp 1
		.amdhsa_ieee_mode 1
		.amdhsa_fp16_overflow 0
		.amdhsa_tg_split 0
		.amdhsa_exception_fp_ieee_invalid_op 0
		.amdhsa_exception_fp_denorm_src 0
		.amdhsa_exception_fp_ieee_div_zero 0
		.amdhsa_exception_fp_ieee_overflow 0
		.amdhsa_exception_fp_ieee_underflow 0
		.amdhsa_exception_fp_ieee_inexact 0
		.amdhsa_exception_int_div_zero 0
	.end_amdhsa_kernel
	.section	.text._ZN7rocprim17ROCPRIM_400000_NS6detail17trampoline_kernelINS0_14default_configENS1_20scan_config_selectorIN3c107complexIfEEEEZZNS1_9scan_implILNS1_25lookback_scan_determinismE0ELb0ELb0ES3_PKS7_PS7_S7_ZZZN2at6native31launch_logcumsumexp_cuda_kernelERKNSE_10TensorBaseESI_lENKUlvE_clEvENKUlvE2_clEvEUlS7_S7_E_S7_EEDaPvRmT3_T4_T5_mT6_P12ihipStream_tbENKUlT_T0_E_clISt17integral_constantIbLb0EESZ_EEDaSU_SV_EUlSU_E_NS1_11comp_targetILNS1_3genE0ELNS1_11target_archE4294967295ELNS1_3gpuE0ELNS1_3repE0EEENS1_30default_config_static_selectorELNS0_4arch9wavefront6targetE1EEEvT1_,"axG",@progbits,_ZN7rocprim17ROCPRIM_400000_NS6detail17trampoline_kernelINS0_14default_configENS1_20scan_config_selectorIN3c107complexIfEEEEZZNS1_9scan_implILNS1_25lookback_scan_determinismE0ELb0ELb0ES3_PKS7_PS7_S7_ZZZN2at6native31launch_logcumsumexp_cuda_kernelERKNSE_10TensorBaseESI_lENKUlvE_clEvENKUlvE2_clEvEUlS7_S7_E_S7_EEDaPvRmT3_T4_T5_mT6_P12ihipStream_tbENKUlT_T0_E_clISt17integral_constantIbLb0EESZ_EEDaSU_SV_EUlSU_E_NS1_11comp_targetILNS1_3genE0ELNS1_11target_archE4294967295ELNS1_3gpuE0ELNS1_3repE0EEENS1_30default_config_static_selectorELNS0_4arch9wavefront6targetE1EEEvT1_,comdat
.Lfunc_end263:
	.size	_ZN7rocprim17ROCPRIM_400000_NS6detail17trampoline_kernelINS0_14default_configENS1_20scan_config_selectorIN3c107complexIfEEEEZZNS1_9scan_implILNS1_25lookback_scan_determinismE0ELb0ELb0ES3_PKS7_PS7_S7_ZZZN2at6native31launch_logcumsumexp_cuda_kernelERKNSE_10TensorBaseESI_lENKUlvE_clEvENKUlvE2_clEvEUlS7_S7_E_S7_EEDaPvRmT3_T4_T5_mT6_P12ihipStream_tbENKUlT_T0_E_clISt17integral_constantIbLb0EESZ_EEDaSU_SV_EUlSU_E_NS1_11comp_targetILNS1_3genE0ELNS1_11target_archE4294967295ELNS1_3gpuE0ELNS1_3repE0EEENS1_30default_config_static_selectorELNS0_4arch9wavefront6targetE1EEEvT1_, .Lfunc_end263-_ZN7rocprim17ROCPRIM_400000_NS6detail17trampoline_kernelINS0_14default_configENS1_20scan_config_selectorIN3c107complexIfEEEEZZNS1_9scan_implILNS1_25lookback_scan_determinismE0ELb0ELb0ES3_PKS7_PS7_S7_ZZZN2at6native31launch_logcumsumexp_cuda_kernelERKNSE_10TensorBaseESI_lENKUlvE_clEvENKUlvE2_clEvEUlS7_S7_E_S7_EEDaPvRmT3_T4_T5_mT6_P12ihipStream_tbENKUlT_T0_E_clISt17integral_constantIbLb0EESZ_EEDaSU_SV_EUlSU_E_NS1_11comp_targetILNS1_3genE0ELNS1_11target_archE4294967295ELNS1_3gpuE0ELNS1_3repE0EEENS1_30default_config_static_selectorELNS0_4arch9wavefront6targetE1EEEvT1_
                                        ; -- End function
	.section	.AMDGPU.csdata,"",@progbits
; Kernel info:
; codeLenInByte = 0
; NumSgprs: 4
; NumVgprs: 0
; NumAgprs: 0
; TotalNumVgprs: 0
; ScratchSize: 0
; MemoryBound: 0
; FloatMode: 240
; IeeeMode: 1
; LDSByteSize: 0 bytes/workgroup (compile time only)
; SGPRBlocks: 0
; VGPRBlocks: 0
; NumSGPRsForWavesPerEU: 4
; NumVGPRsForWavesPerEU: 1
; AccumOffset: 4
; Occupancy: 8
; WaveLimiterHint : 0
; COMPUTE_PGM_RSRC2:SCRATCH_EN: 0
; COMPUTE_PGM_RSRC2:USER_SGPR: 6
; COMPUTE_PGM_RSRC2:TRAP_HANDLER: 0
; COMPUTE_PGM_RSRC2:TGID_X_EN: 1
; COMPUTE_PGM_RSRC2:TGID_Y_EN: 0
; COMPUTE_PGM_RSRC2:TGID_Z_EN: 0
; COMPUTE_PGM_RSRC2:TIDIG_COMP_CNT: 0
; COMPUTE_PGM_RSRC3_GFX90A:ACCUM_OFFSET: 0
; COMPUTE_PGM_RSRC3_GFX90A:TG_SPLIT: 0
	.section	.text._ZN7rocprim17ROCPRIM_400000_NS6detail17trampoline_kernelINS0_14default_configENS1_20scan_config_selectorIN3c107complexIfEEEEZZNS1_9scan_implILNS1_25lookback_scan_determinismE0ELb0ELb0ES3_PKS7_PS7_S7_ZZZN2at6native31launch_logcumsumexp_cuda_kernelERKNSE_10TensorBaseESI_lENKUlvE_clEvENKUlvE2_clEvEUlS7_S7_E_S7_EEDaPvRmT3_T4_T5_mT6_P12ihipStream_tbENKUlT_T0_E_clISt17integral_constantIbLb0EESZ_EEDaSU_SV_EUlSU_E_NS1_11comp_targetILNS1_3genE5ELNS1_11target_archE942ELNS1_3gpuE9ELNS1_3repE0EEENS1_30default_config_static_selectorELNS0_4arch9wavefront6targetE1EEEvT1_,"axG",@progbits,_ZN7rocprim17ROCPRIM_400000_NS6detail17trampoline_kernelINS0_14default_configENS1_20scan_config_selectorIN3c107complexIfEEEEZZNS1_9scan_implILNS1_25lookback_scan_determinismE0ELb0ELb0ES3_PKS7_PS7_S7_ZZZN2at6native31launch_logcumsumexp_cuda_kernelERKNSE_10TensorBaseESI_lENKUlvE_clEvENKUlvE2_clEvEUlS7_S7_E_S7_EEDaPvRmT3_T4_T5_mT6_P12ihipStream_tbENKUlT_T0_E_clISt17integral_constantIbLb0EESZ_EEDaSU_SV_EUlSU_E_NS1_11comp_targetILNS1_3genE5ELNS1_11target_archE942ELNS1_3gpuE9ELNS1_3repE0EEENS1_30default_config_static_selectorELNS0_4arch9wavefront6targetE1EEEvT1_,comdat
	.globl	_ZN7rocprim17ROCPRIM_400000_NS6detail17trampoline_kernelINS0_14default_configENS1_20scan_config_selectorIN3c107complexIfEEEEZZNS1_9scan_implILNS1_25lookback_scan_determinismE0ELb0ELb0ES3_PKS7_PS7_S7_ZZZN2at6native31launch_logcumsumexp_cuda_kernelERKNSE_10TensorBaseESI_lENKUlvE_clEvENKUlvE2_clEvEUlS7_S7_E_S7_EEDaPvRmT3_T4_T5_mT6_P12ihipStream_tbENKUlT_T0_E_clISt17integral_constantIbLb0EESZ_EEDaSU_SV_EUlSU_E_NS1_11comp_targetILNS1_3genE5ELNS1_11target_archE942ELNS1_3gpuE9ELNS1_3repE0EEENS1_30default_config_static_selectorELNS0_4arch9wavefront6targetE1EEEvT1_ ; -- Begin function _ZN7rocprim17ROCPRIM_400000_NS6detail17trampoline_kernelINS0_14default_configENS1_20scan_config_selectorIN3c107complexIfEEEEZZNS1_9scan_implILNS1_25lookback_scan_determinismE0ELb0ELb0ES3_PKS7_PS7_S7_ZZZN2at6native31launch_logcumsumexp_cuda_kernelERKNSE_10TensorBaseESI_lENKUlvE_clEvENKUlvE2_clEvEUlS7_S7_E_S7_EEDaPvRmT3_T4_T5_mT6_P12ihipStream_tbENKUlT_T0_E_clISt17integral_constantIbLb0EESZ_EEDaSU_SV_EUlSU_E_NS1_11comp_targetILNS1_3genE5ELNS1_11target_archE942ELNS1_3gpuE9ELNS1_3repE0EEENS1_30default_config_static_selectorELNS0_4arch9wavefront6targetE1EEEvT1_
	.p2align	8
	.type	_ZN7rocprim17ROCPRIM_400000_NS6detail17trampoline_kernelINS0_14default_configENS1_20scan_config_selectorIN3c107complexIfEEEEZZNS1_9scan_implILNS1_25lookback_scan_determinismE0ELb0ELb0ES3_PKS7_PS7_S7_ZZZN2at6native31launch_logcumsumexp_cuda_kernelERKNSE_10TensorBaseESI_lENKUlvE_clEvENKUlvE2_clEvEUlS7_S7_E_S7_EEDaPvRmT3_T4_T5_mT6_P12ihipStream_tbENKUlT_T0_E_clISt17integral_constantIbLb0EESZ_EEDaSU_SV_EUlSU_E_NS1_11comp_targetILNS1_3genE5ELNS1_11target_archE942ELNS1_3gpuE9ELNS1_3repE0EEENS1_30default_config_static_selectorELNS0_4arch9wavefront6targetE1EEEvT1_,@function
_ZN7rocprim17ROCPRIM_400000_NS6detail17trampoline_kernelINS0_14default_configENS1_20scan_config_selectorIN3c107complexIfEEEEZZNS1_9scan_implILNS1_25lookback_scan_determinismE0ELb0ELb0ES3_PKS7_PS7_S7_ZZZN2at6native31launch_logcumsumexp_cuda_kernelERKNSE_10TensorBaseESI_lENKUlvE_clEvENKUlvE2_clEvEUlS7_S7_E_S7_EEDaPvRmT3_T4_T5_mT6_P12ihipStream_tbENKUlT_T0_E_clISt17integral_constantIbLb0EESZ_EEDaSU_SV_EUlSU_E_NS1_11comp_targetILNS1_3genE5ELNS1_11target_archE942ELNS1_3gpuE9ELNS1_3repE0EEENS1_30default_config_static_selectorELNS0_4arch9wavefront6targetE1EEEvT1_: ; @_ZN7rocprim17ROCPRIM_400000_NS6detail17trampoline_kernelINS0_14default_configENS1_20scan_config_selectorIN3c107complexIfEEEEZZNS1_9scan_implILNS1_25lookback_scan_determinismE0ELb0ELb0ES3_PKS7_PS7_S7_ZZZN2at6native31launch_logcumsumexp_cuda_kernelERKNSE_10TensorBaseESI_lENKUlvE_clEvENKUlvE2_clEvEUlS7_S7_E_S7_EEDaPvRmT3_T4_T5_mT6_P12ihipStream_tbENKUlT_T0_E_clISt17integral_constantIbLb0EESZ_EEDaSU_SV_EUlSU_E_NS1_11comp_targetILNS1_3genE5ELNS1_11target_archE942ELNS1_3gpuE9ELNS1_3repE0EEENS1_30default_config_static_selectorELNS0_4arch9wavefront6targetE1EEEvT1_
; %bb.0:
	.section	.rodata,"a",@progbits
	.p2align	6, 0x0
	.amdhsa_kernel _ZN7rocprim17ROCPRIM_400000_NS6detail17trampoline_kernelINS0_14default_configENS1_20scan_config_selectorIN3c107complexIfEEEEZZNS1_9scan_implILNS1_25lookback_scan_determinismE0ELb0ELb0ES3_PKS7_PS7_S7_ZZZN2at6native31launch_logcumsumexp_cuda_kernelERKNSE_10TensorBaseESI_lENKUlvE_clEvENKUlvE2_clEvEUlS7_S7_E_S7_EEDaPvRmT3_T4_T5_mT6_P12ihipStream_tbENKUlT_T0_E_clISt17integral_constantIbLb0EESZ_EEDaSU_SV_EUlSU_E_NS1_11comp_targetILNS1_3genE5ELNS1_11target_archE942ELNS1_3gpuE9ELNS1_3repE0EEENS1_30default_config_static_selectorELNS0_4arch9wavefront6targetE1EEEvT1_
		.amdhsa_group_segment_fixed_size 0
		.amdhsa_private_segment_fixed_size 0
		.amdhsa_kernarg_size 104
		.amdhsa_user_sgpr_count 6
		.amdhsa_user_sgpr_private_segment_buffer 1
		.amdhsa_user_sgpr_dispatch_ptr 0
		.amdhsa_user_sgpr_queue_ptr 0
		.amdhsa_user_sgpr_kernarg_segment_ptr 1
		.amdhsa_user_sgpr_dispatch_id 0
		.amdhsa_user_sgpr_flat_scratch_init 0
		.amdhsa_user_sgpr_kernarg_preload_length 0
		.amdhsa_user_sgpr_kernarg_preload_offset 0
		.amdhsa_user_sgpr_private_segment_size 0
		.amdhsa_uses_dynamic_stack 0
		.amdhsa_system_sgpr_private_segment_wavefront_offset 0
		.amdhsa_system_sgpr_workgroup_id_x 1
		.amdhsa_system_sgpr_workgroup_id_y 0
		.amdhsa_system_sgpr_workgroup_id_z 0
		.amdhsa_system_sgpr_workgroup_info 0
		.amdhsa_system_vgpr_workitem_id 0
		.amdhsa_next_free_vgpr 1
		.amdhsa_next_free_sgpr 0
		.amdhsa_accum_offset 4
		.amdhsa_reserve_vcc 0
		.amdhsa_reserve_flat_scratch 0
		.amdhsa_float_round_mode_32 0
		.amdhsa_float_round_mode_16_64 0
		.amdhsa_float_denorm_mode_32 3
		.amdhsa_float_denorm_mode_16_64 3
		.amdhsa_dx10_clamp 1
		.amdhsa_ieee_mode 1
		.amdhsa_fp16_overflow 0
		.amdhsa_tg_split 0
		.amdhsa_exception_fp_ieee_invalid_op 0
		.amdhsa_exception_fp_denorm_src 0
		.amdhsa_exception_fp_ieee_div_zero 0
		.amdhsa_exception_fp_ieee_overflow 0
		.amdhsa_exception_fp_ieee_underflow 0
		.amdhsa_exception_fp_ieee_inexact 0
		.amdhsa_exception_int_div_zero 0
	.end_amdhsa_kernel
	.section	.text._ZN7rocprim17ROCPRIM_400000_NS6detail17trampoline_kernelINS0_14default_configENS1_20scan_config_selectorIN3c107complexIfEEEEZZNS1_9scan_implILNS1_25lookback_scan_determinismE0ELb0ELb0ES3_PKS7_PS7_S7_ZZZN2at6native31launch_logcumsumexp_cuda_kernelERKNSE_10TensorBaseESI_lENKUlvE_clEvENKUlvE2_clEvEUlS7_S7_E_S7_EEDaPvRmT3_T4_T5_mT6_P12ihipStream_tbENKUlT_T0_E_clISt17integral_constantIbLb0EESZ_EEDaSU_SV_EUlSU_E_NS1_11comp_targetILNS1_3genE5ELNS1_11target_archE942ELNS1_3gpuE9ELNS1_3repE0EEENS1_30default_config_static_selectorELNS0_4arch9wavefront6targetE1EEEvT1_,"axG",@progbits,_ZN7rocprim17ROCPRIM_400000_NS6detail17trampoline_kernelINS0_14default_configENS1_20scan_config_selectorIN3c107complexIfEEEEZZNS1_9scan_implILNS1_25lookback_scan_determinismE0ELb0ELb0ES3_PKS7_PS7_S7_ZZZN2at6native31launch_logcumsumexp_cuda_kernelERKNSE_10TensorBaseESI_lENKUlvE_clEvENKUlvE2_clEvEUlS7_S7_E_S7_EEDaPvRmT3_T4_T5_mT6_P12ihipStream_tbENKUlT_T0_E_clISt17integral_constantIbLb0EESZ_EEDaSU_SV_EUlSU_E_NS1_11comp_targetILNS1_3genE5ELNS1_11target_archE942ELNS1_3gpuE9ELNS1_3repE0EEENS1_30default_config_static_selectorELNS0_4arch9wavefront6targetE1EEEvT1_,comdat
.Lfunc_end264:
	.size	_ZN7rocprim17ROCPRIM_400000_NS6detail17trampoline_kernelINS0_14default_configENS1_20scan_config_selectorIN3c107complexIfEEEEZZNS1_9scan_implILNS1_25lookback_scan_determinismE0ELb0ELb0ES3_PKS7_PS7_S7_ZZZN2at6native31launch_logcumsumexp_cuda_kernelERKNSE_10TensorBaseESI_lENKUlvE_clEvENKUlvE2_clEvEUlS7_S7_E_S7_EEDaPvRmT3_T4_T5_mT6_P12ihipStream_tbENKUlT_T0_E_clISt17integral_constantIbLb0EESZ_EEDaSU_SV_EUlSU_E_NS1_11comp_targetILNS1_3genE5ELNS1_11target_archE942ELNS1_3gpuE9ELNS1_3repE0EEENS1_30default_config_static_selectorELNS0_4arch9wavefront6targetE1EEEvT1_, .Lfunc_end264-_ZN7rocprim17ROCPRIM_400000_NS6detail17trampoline_kernelINS0_14default_configENS1_20scan_config_selectorIN3c107complexIfEEEEZZNS1_9scan_implILNS1_25lookback_scan_determinismE0ELb0ELb0ES3_PKS7_PS7_S7_ZZZN2at6native31launch_logcumsumexp_cuda_kernelERKNSE_10TensorBaseESI_lENKUlvE_clEvENKUlvE2_clEvEUlS7_S7_E_S7_EEDaPvRmT3_T4_T5_mT6_P12ihipStream_tbENKUlT_T0_E_clISt17integral_constantIbLb0EESZ_EEDaSU_SV_EUlSU_E_NS1_11comp_targetILNS1_3genE5ELNS1_11target_archE942ELNS1_3gpuE9ELNS1_3repE0EEENS1_30default_config_static_selectorELNS0_4arch9wavefront6targetE1EEEvT1_
                                        ; -- End function
	.section	.AMDGPU.csdata,"",@progbits
; Kernel info:
; codeLenInByte = 0
; NumSgprs: 4
; NumVgprs: 0
; NumAgprs: 0
; TotalNumVgprs: 0
; ScratchSize: 0
; MemoryBound: 0
; FloatMode: 240
; IeeeMode: 1
; LDSByteSize: 0 bytes/workgroup (compile time only)
; SGPRBlocks: 0
; VGPRBlocks: 0
; NumSGPRsForWavesPerEU: 4
; NumVGPRsForWavesPerEU: 1
; AccumOffset: 4
; Occupancy: 8
; WaveLimiterHint : 0
; COMPUTE_PGM_RSRC2:SCRATCH_EN: 0
; COMPUTE_PGM_RSRC2:USER_SGPR: 6
; COMPUTE_PGM_RSRC2:TRAP_HANDLER: 0
; COMPUTE_PGM_RSRC2:TGID_X_EN: 1
; COMPUTE_PGM_RSRC2:TGID_Y_EN: 0
; COMPUTE_PGM_RSRC2:TGID_Z_EN: 0
; COMPUTE_PGM_RSRC2:TIDIG_COMP_CNT: 0
; COMPUTE_PGM_RSRC3_GFX90A:ACCUM_OFFSET: 0
; COMPUTE_PGM_RSRC3_GFX90A:TG_SPLIT: 0
	.text
	.p2align	2                               ; -- Begin function _ZZZZN2at6native31launch_logcumsumexp_cuda_kernelERKNS_10TensorBaseES3_lENKUlvE_clEvENKUlvE2_clEvENKUlN3c107complexIfEES8_E_clES8_S8_
	.type	_ZZZZN2at6native31launch_logcumsumexp_cuda_kernelERKNS_10TensorBaseES3_lENKUlvE_clEvENKUlvE2_clEvENKUlN3c107complexIfEES8_E_clES8_S8_,@function
_ZZZZN2at6native31launch_logcumsumexp_cuda_kernelERKNS_10TensorBaseES3_lENKUlvE_clEvENKUlvE2_clEvENKUlN3c107complexIfEES8_E_clES8_S8_: ; @_ZZZZN2at6native31launch_logcumsumexp_cuda_kernelERKNS_10TensorBaseES3_lENKUlvE_clEvENKUlvE2_clEvENKUlN3c107complexIfEES8_E_clES8_S8_
; %bb.0:
	s_waitcnt vmcnt(0) expcnt(0) lgkmcnt(0)
	v_mov_b32_e32 v4, v3
	v_mov_b32_e32 v5, v2
	v_cmp_o_f32_e32 vcc, v5, v5
	v_cmp_o_f32_e64 s[4:5], v4, v4
	s_and_b64 s[6:7], vcc, s[4:5]
	v_mov_b32_e32 v6, v3
	v_pk_mov_b32 v[2:3], v[4:5], v[4:5] op_sel:[0,1]
	s_and_saveexec_b64 s[8:9], s[6:7]
; %bb.1:
	v_cmp_u_f32_e32 vcc, v0, v0
	v_cmp_u_f32_e64 s[4:5], v1, v1
	s_or_b64 s[4:5], vcc, s[4:5]
	v_cmp_lt_f32_e32 vcc, v0, v5
	s_or_b64 vcc, s[4:5], vcc
	v_cndmask_b32_e32 v7, v5, v0, vcc
	v_cndmask_b32_e32 v6, v4, v1, vcc
	v_pk_mov_b32 v[2:3], v[6:7], v[6:7] op_sel:[0,1]
; %bb.2:
	s_or_b64 exec, exec, s[8:9]
	s_and_saveexec_b64 s[8:9], s[6:7]
; %bb.3:
	v_cmp_u_f32_e32 vcc, v0, v0
	v_cmp_u_f32_e64 s[4:5], v1, v1
	s_or_b64 s[4:5], vcc, s[4:5]
	v_cmp_ge_f32_e32 vcc, v0, v5
	s_or_b64 vcc, s[4:5], vcc
	v_cndmask_b32_e32 v4, v4, v1, vcc
	v_cndmask_b32_e32 v5, v5, v0, vcc
; %bb.4:
	s_or_b64 exec, exec, s[8:9]
	s_mov_b32 s6, 0x7fc00000
	v_cmp_o_f32_e32 vcc, v3, v3
	v_cmp_o_f32_e64 s[4:5], v2, v2
	s_mov_b32 s7, s6
	s_and_b64 s[4:5], vcc, s[4:5]
	v_pk_mov_b32 v[8:9], s[6:7], s[6:7] op_sel:[0,1]
	s_and_saveexec_b64 s[10:11], s[4:5]
	s_cbranch_execz .LBB265_48
; %bb.5:
	s_movk_i32 s4, 0x1f8
	v_cmp_class_f32_e64 s[4:5], v3, s4
	v_cmp_neq_f32_e32 vcc, v5, v3
	s_or_b64 s[4:5], s[4:5], vcc
	s_and_saveexec_b64 s[6:7], s[4:5]
	s_xor_b64 s[12:13], exec, s[6:7]
	s_cbranch_execz .LBB265_21
; %bb.6:
	v_pk_add_f32 v[0:1], v[2:3], v[4:5] neg_lo:[0,1] neg_hi:[0,1]
	v_and_b32_e32 v8, 0x7fffffff, v0
	s_brev_b32 s4, 18
	v_cmp_nlt_f32_e64 s[14:15], |v0|, s4
	v_lshrrev_b32_e32 v6, 23, v8
                                        ; implicit-def: $vgpr3
                                        ; implicit-def: $vgpr2
	s_and_saveexec_b64 s[4:5], s[14:15]
	s_xor_b64 s[16:17], exec, s[4:5]
	s_cbranch_execz .LBB265_8
; %bb.7:
	v_add_u32_e32 v2, 0xffffff88, v6
	v_not_b32_e32 v7, 63
	v_cmp_lt_u32_e32 vcc, 63, v2
	v_cndmask_b32_e32 v7, 0, v7, vcc
	v_add_u32_e32 v2, v7, v2
	v_not_b32_e32 v7, 31
	v_cmp_lt_u32_e64 s[4:5], 31, v2
	v_cndmask_b32_e64 v9, 0, v7, s[4:5]
	v_add_u32_e32 v2, v9, v2
	v_cmp_lt_u32_e64 s[6:7], 31, v2
	v_cndmask_b32_e64 v7, 0, v7, s[6:7]
	v_add_u32_e32 v7, v7, v2
	v_and_b32_e32 v2, 0x7fffff, v8
	v_or_b32_e32 v9, 0x800000, v2
	s_mov_b32 s8, 0xfe5163ab
	v_mad_u64_u32 v[10:11], s[8:9], v9, s8, 0
	v_mov_b32_e32 v3, 0
	v_mov_b32_e32 v2, v11
	s_mov_b32 s8, 0x3c439041
	v_mad_u64_u32 v[12:13], s[8:9], v9, s8, v[2:3]
	v_mov_b32_e32 v2, v13
	s_mov_b32 s8, 0xdb629599
	v_mad_u64_u32 v[14:15], s[8:9], v9, s8, v[2:3]
	;; [unrolled: 3-line block ×6, first 2 shown]
	v_cndmask_b32_e32 v11, v20, v16, vcc
	v_cndmask_b32_e32 v2, v2, v18, vcc
	v_cndmask_b32_e32 v3, v3, v20, vcc
	v_cndmask_b32_e64 v9, v2, v11, s[4:5]
	v_cndmask_b32_e64 v2, v3, v2, s[4:5]
	v_cndmask_b32_e32 v3, v18, v14, vcc
	v_cndmask_b32_e64 v11, v11, v3, s[4:5]
	v_cndmask_b32_e64 v2, v2, v9, s[6:7]
	;; [unrolled: 1-line block ×3, first 2 shown]
	v_sub_u32_e32 v13, 32, v7
	v_alignbit_b32 v15, v2, v9, v13
	v_cmp_eq_u32_e64 s[8:9], 0, v7
	v_cndmask_b32_e64 v7, v15, v2, s[8:9]
	v_cndmask_b32_e32 v2, v16, v12, vcc
	v_cndmask_b32_e64 v3, v3, v2, s[4:5]
	v_cndmask_b32_e64 v11, v11, v3, s[6:7]
	v_alignbit_b32 v12, v9, v11, v13
	v_cndmask_b32_e64 v9, v12, v9, s[8:9]
	v_bfe_u32 v16, v7, 29, 1
	v_cndmask_b32_e32 v10, v14, v10, vcc
	v_alignbit_b32 v12, v7, v9, 30
	v_sub_u32_e32 v17, 0, v16
	v_cndmask_b32_e64 v2, v2, v10, s[4:5]
	v_xor_b32_e32 v18, v12, v17
	v_cndmask_b32_e64 v2, v3, v2, s[6:7]
	v_alignbit_b32 v3, v11, v2, v13
	v_ffbh_u32_e32 v10, v18
	v_cndmask_b32_e64 v3, v3, v11, s[8:9]
	v_add_u32_e32 v10, 1, v10
	v_cmp_ne_u32_e32 vcc, v12, v17
	v_alignbit_b32 v9, v9, v3, 30
	v_cndmask_b32_e32 v10, 33, v10, vcc
	v_alignbit_b32 v2, v3, v2, 30
	v_xor_b32_e32 v9, v9, v17
	v_sub_u32_e32 v11, 32, v10
	v_xor_b32_e32 v2, v2, v17
	v_alignbit_b32 v12, v18, v9, v11
	v_alignbit_b32 v2, v9, v2, v11
	;; [unrolled: 1-line block ×3, first 2 shown]
	v_ffbh_u32_e32 v9, v3
	v_min_u32_e32 v9, 32, v9
	v_lshrrev_b32_e32 v15, 29, v7
	v_sub_u32_e32 v11, 31, v9
	v_alignbit_b32 v2, v3, v2, v11
	v_lshlrev_b32_e32 v3, 31, v15
	v_or_b32_e32 v11, 0x33800000, v3
	v_add_lshl_u32 v9, v9, v10, 23
	v_lshrrev_b32_e32 v2, 9, v2
	v_sub_u32_e32 v9, v11, v9
	v_or_b32_e32 v2, v9, v2
	v_alignbit_b32 v9, v10, v12, 9
	v_or_b32_e32 v3, v9, v3
	v_xor_b32_e32 v3, 1.0, v3
	s_mov_b32 s4, 0x3fc90fda
	v_mul_f32_e32 v9, 0x3fc90fda, v3
	v_fma_f32 v10, v3, s4, -v9
	v_fmac_f32_e32 v10, 0x33a22168, v3
	v_fmac_f32_e32 v10, 0x3fc90fda, v2
	v_lshrrev_b32_e32 v3, 30, v7
	v_add_f32_e32 v2, v9, v10
	v_add_u32_e32 v3, v16, v3
	s_andn2_saveexec_b64 s[4:5], s[16:17]
	s_branch .LBB265_9
.LBB265_8:
	s_andn2_saveexec_b64 s[4:5], s[16:17]
.LBB265_9:
	s_mov_b32 s6, 0x3f22f983
	v_mul_f32_e64 v2, |v0|, s6
	v_rndne_f32_e32 v7, v2
	s_mov_b32 s6, 0xbfc90fda
	v_cvt_i32_f32_e32 v3, v7
	v_fma_f32 v2, v7, s6, |v0|
	v_fmac_f32_e32 v2, 0xb3a22168, v7
	v_fmac_f32_e32 v2, 0xa7c234c4, v7
; %bb.10:
	s_or_b64 exec, exec, s[4:5]
                                        ; implicit-def: $vgpr10
                                        ; implicit-def: $vgpr7
	s_and_saveexec_b64 s[4:5], s[14:15]
	s_xor_b64 s[14:15], exec, s[4:5]
	s_cbranch_execz .LBB265_12
; %bb.11:
	v_add_u32_e32 v6, 0xffffff88, v6
	v_not_b32_e32 v9, 63
	v_cmp_lt_u32_e32 vcc, 63, v6
	v_cndmask_b32_e32 v9, 0, v9, vcc
	v_add_u32_e32 v6, v9, v6
	v_not_b32_e32 v9, 31
	v_cmp_lt_u32_e64 s[4:5], 31, v6
	v_cndmask_b32_e64 v10, 0, v9, s[4:5]
	v_add_u32_e32 v6, v10, v6
	v_cmp_lt_u32_e64 s[6:7], 31, v6
	v_cndmask_b32_e64 v9, 0, v9, s[6:7]
	v_add_u32_e32 v9, v9, v6
	v_and_b32_e32 v6, 0x7fffff, v8
	v_or_b32_e32 v22, 0x800000, v6
	s_mov_b32 s8, 0xfe5163ab
	v_mad_u64_u32 v[10:11], s[8:9], v22, s8, 0
	v_mov_b32_e32 v7, 0
	v_mov_b32_e32 v6, v11
	s_mov_b32 s8, 0x3c439041
	v_mad_u64_u32 v[12:13], s[8:9], v22, s8, v[6:7]
	v_mov_b32_e32 v6, v13
	s_mov_b32 s8, 0xdb629599
	v_mad_u64_u32 v[14:15], s[8:9], v22, s8, v[6:7]
	v_mov_b32_e32 v6, v15
	s_mov_b32 s8, 0xf534ddc0
	v_mad_u64_u32 v[16:17], s[8:9], v22, s8, v[6:7]
	v_mov_b32_e32 v6, v17
	s_mov_b32 s8, 0xfc2757d1
	v_mad_u64_u32 v[18:19], s[8:9], v22, s8, v[6:7]
	v_mov_b32_e32 v6, v19
	s_mov_b32 s8, 0x4e441529
	v_mad_u64_u32 v[20:21], s[8:9], v22, s8, v[6:7]
	v_mov_b32_e32 v6, v21
	s_mov_b32 s8, 0xa2f9836e
	v_mad_u64_u32 v[6:7], s[8:9], v22, s8, v[6:7]
	v_cndmask_b32_e32 v11, v20, v16, vcc
	v_cndmask_b32_e32 v6, v6, v18, vcc
	;; [unrolled: 1-line block ×3, first 2 shown]
	v_cndmask_b32_e64 v13, v6, v11, s[4:5]
	v_cndmask_b32_e64 v6, v7, v6, s[4:5]
	v_cndmask_b32_e32 v7, v18, v14, vcc
	v_cndmask_b32_e64 v11, v11, v7, s[4:5]
	v_sub_u32_e32 v15, 32, v9
	v_cmp_eq_u32_e64 s[8:9], 0, v9
	v_cndmask_b32_e32 v9, v16, v12, vcc
	v_cndmask_b32_e64 v6, v6, v13, s[6:7]
	v_cndmask_b32_e64 v13, v13, v11, s[6:7]
	;; [unrolled: 1-line block ×3, first 2 shown]
	v_alignbit_b32 v17, v6, v13, v15
	v_cndmask_b32_e64 v11, v11, v7, s[6:7]
	v_cndmask_b32_e64 v6, v17, v6, s[8:9]
	v_alignbit_b32 v12, v13, v11, v15
	v_cndmask_b32_e32 v10, v14, v10, vcc
	v_cndmask_b32_e64 v12, v12, v13, s[8:9]
	v_bfe_u32 v17, v6, 29, 1
	v_cndmask_b32_e64 v9, v9, v10, s[4:5]
	v_alignbit_b32 v13, v6, v12, 30
	v_sub_u32_e32 v18, 0, v17
	v_cndmask_b32_e64 v7, v7, v9, s[6:7]
	v_xor_b32_e32 v19, v13, v18
	v_alignbit_b32 v9, v11, v7, v15
	v_cndmask_b32_e64 v9, v9, v11, s[8:9]
	v_ffbh_u32_e32 v11, v19
	v_add_u32_e32 v11, 1, v11
	v_cmp_ne_u32_e32 vcc, v13, v18
	v_alignbit_b32 v10, v12, v9, 30
	v_cndmask_b32_e32 v11, 33, v11, vcc
	v_alignbit_b32 v7, v9, v7, 30
	v_xor_b32_e32 v10, v10, v18
	v_sub_u32_e32 v12, 32, v11
	v_xor_b32_e32 v7, v7, v18
	v_alignbit_b32 v13, v19, v10, v12
	v_alignbit_b32 v7, v10, v7, v12
	;; [unrolled: 1-line block ×3, first 2 shown]
	v_ffbh_u32_e32 v10, v9
	v_min_u32_e32 v10, 32, v10
	v_lshrrev_b32_e32 v16, 29, v6
	v_sub_u32_e32 v12, 31, v10
	v_alignbit_b32 v7, v9, v7, v12
	v_lshlrev_b32_e32 v9, 31, v16
	v_or_b32_e32 v12, 0x33800000, v9
	v_add_lshl_u32 v10, v10, v11, 23
	v_lshrrev_b32_e32 v7, 9, v7
	v_sub_u32_e32 v10, v12, v10
	v_or_b32_e32 v7, v10, v7
	v_alignbit_b32 v10, v11, v13, 9
	v_or_b32_e32 v9, v10, v9
	v_xor_b32_e32 v9, 1.0, v9
	s_mov_b32 s4, 0x3fc90fda
	v_mul_f32_e32 v10, 0x3fc90fda, v9
	v_fma_f32 v11, v9, s4, -v10
	v_fmac_f32_e32 v11, 0x33a22168, v9
	v_fmac_f32_e32 v11, 0x3fc90fda, v7
	v_lshrrev_b32_e32 v6, 30, v6
	v_add_f32_e32 v7, v10, v11
	v_add_u32_e32 v10, v17, v6
	s_andn2_saveexec_b64 s[4:5], s[14:15]
	s_cbranch_execnz .LBB265_13
	s_branch .LBB265_14
.LBB265_12:
	s_andn2_saveexec_b64 s[4:5], s[14:15]
.LBB265_13:
	s_mov_b32 s6, 0x3f22f983
	v_mul_f32_e64 v6, |v0|, s6
	v_rndne_f32_e32 v6, v6
	s_mov_b32 s6, 0xbfc90fda
	v_cvt_i32_f32_e32 v10, v6
	v_fma_f32 v7, v6, s6, |v0|
	v_fmac_f32_e32 v7, 0xb3a22168, v6
	v_fmac_f32_e32 v7, 0xa7c234c4, v6
.LBB265_14:
	s_or_b64 exec, exec, s[4:5]
	v_mul_f32_e32 v6, 0x3fb8aa3b, v1
	s_mov_b32 s4, 0x3fb8aa3b
	v_rndne_f32_e32 v9, v6
	v_sub_f32_e32 v11, v6, v9
	v_fma_f32 v6, v1, s4, -v6
	v_fmac_f32_e32 v6, 0x32a5705f, v1
	v_add_f32_e32 v6, v11, v6
	v_exp_f32_e32 v6, v6
	v_cvt_i32_f32_e32 v9, v9
	s_mov_b32 s4, 0xc2ce8ed0
	v_cmp_ngt_f32_e32 vcc, s4, v1
	s_mov_b32 s4, 0x42b17218
	v_ldexp_f32 v6, v6, v9
	v_cndmask_b32_e32 v6, 0, v6, vcc
	v_mov_b32_e32 v9, 0x7f800000
	v_cmp_nlt_f32_e32 vcc, s4, v1
	v_cndmask_b32_e32 v12, v9, v6, vcc
	v_lshlrev_b32_e32 v1, 30, v3
	v_and_b32_e32 v13, 1, v10
	v_and_b32_e32 v16, 1, v3
	v_mul_f32_e32 v3, v7, v7
	v_mov_b32_e32 v6, 0x3c0881c4
	v_lshlrev_b32_e32 v10, 30, v10
	v_fmac_f32_e32 v6, 0xb94c1982, v3
	v_mov_b32_e32 v17, 0xbe2aaa9d
	v_and_b32_e32 v10, 0x80000000, v10
	v_xor_b32_e32 v8, v8, v0
	v_fma_f32 v11, v3, v6, v17
	v_xor_b32_e32 v8, v8, v10
	v_mov_b32_e32 v10, v2
	v_mov_b32_e32 v18, 0xbab64f3b
	v_mov_b32_e32 v6, 0xbab64f3b
	v_pk_mul_f32 v[10:11], v[2:3], v[10:11]
	v_mov_b32_e32 v15, 0x3c0881c4
	v_fmac_f32_e32 v6, 0x37d75334, v3
	v_mov_b32_e32 v19, 0x3d2aabf7
	v_fmac_f32_e32 v18, 0x37d75334, v10
	v_fma_f32 v14, v3, v6, v19
	v_mov_b32_e32 v6, 0xbf000004
	v_fmac_f32_e32 v19, v10, v18
	v_fmac_f32_e32 v15, 0xb94c1982, v10
	v_fma_f32 v20, v3, v14, v6
	v_mov_b32_e32 v14, 1.0
	v_fmac_f32_e32 v6, v10, v19
	v_fmac_f32_e32 v17, v10, v15
	v_mov_b32_e32 v15, v7
	v_fma_f32 v20, v3, v20, 1.0
	v_mul_f32_e32 v3, v10, v17
	v_pk_fma_f32 v[6:7], v[10:11], v[6:7], v[14:15]
	v_cmp_eq_u32_e32 vcc, 0, v13
	v_fmac_f32_e32 v2, v2, v3
	v_cndmask_b32_e32 v3, v20, v7, vcc
	v_cmp_eq_u32_e32 vcc, 0, v16
	s_movk_i32 s4, 0x1f8
	v_and_b32_e32 v1, 0x80000000, v1
	v_cndmask_b32_e64 v2, -v2, v6, vcc
	v_xor_b32_e32 v2, v1, v2
	v_xor_b32_e32 v1, v8, v3
	v_mov_b32_e32 v3, 0x7fc00000
	v_cmp_class_f32_e64 vcc, v0, s4
	v_cndmask_b32_e32 v1, v3, v1, vcc
	v_cndmask_b32_e32 v0, v3, v2, vcc
	v_pk_mul_f32 v[0:1], v[12:13], v[0:1] op_sel_hi:[0,1]
	v_max_f32_e64 v6, |v0|, |v1|
	v_cvt_f64_f32_e32 v[2:3], v6
	v_frexp_exp_i32_f64_e32 v2, v[2:3]
	v_sub_u32_e32 v3, 0, v2
	v_ldexp_f32 v7, |v0|, v3
	v_ldexp_f32 v3, |v1|, v3
	v_mul_f32_e32 v3, v3, v3
	v_fmac_f32_e32 v3, v7, v7
	v_sqrt_f32_e32 v3, v3
	s_mov_b32 s8, 0x7f800000
	v_cmp_eq_f32_e32 vcc, s8, v6
	v_ldexp_f32 v2, v3, v2
	v_cmp_ngt_f32_e64 s[4:5], 0.5, v2
	v_add_f32_e32 v2, 1.0, v0
	v_max_f32_e64 v6, |v2|, |v1|
	s_or_b64 s[4:5], vcc, s[4:5]
                                        ; implicit-def: $vgpr3
	s_and_saveexec_b64 s[6:7], s[4:5]
	s_xor_b64 s[6:7], exec, s[6:7]
	s_cbranch_execz .LBB265_16
; %bb.15:
	v_cvt_f64_f32_e32 v[10:11], v6
	v_frexp_exp_i32_f64_e32 v3, v[10:11]
	v_sub_u32_e32 v7, 0, v3
	v_ldexp_f32 v8, |v2|, v7
	v_ldexp_f32 v7, |v1|, v7
	v_mul_f32_e32 v7, v7, v7
	v_fmac_f32_e32 v7, v8, v8
	v_sqrt_f32_e32 v7, v7
	v_cmp_neq_f32_e32 vcc, s8, v6
	s_mov_b32 s4, 0x800000
	v_ldexp_f32 v3, v7, v3
	v_cndmask_b32_e32 v3, v9, v3, vcc
	v_mov_b32_e32 v7, 0x4f800000
	v_cmp_gt_f32_e32 vcc, s4, v3
	v_cndmask_b32_e32 v7, 1.0, v7, vcc
	v_mul_f32_e32 v3, v3, v7
	v_log_f32_e32 v3, v3
	s_mov_b32 s4, 0x3f317217
	v_mul_f32_e32 v7, 0x3f317217, v3
	v_fma_f32 v8, v3, s4, -v7
	v_fmac_f32_e32 v8, 0x3377d1cf, v3
	v_add_f32_e32 v7, v7, v8
	v_cmp_lt_f32_e64 s[4:5], |v3|, s8
	v_cndmask_b32_e64 v3, v3, v7, s[4:5]
	v_mov_b32_e32 v7, 0x41b17218
	v_cndmask_b32_e32 v7, 0, v7, vcc
	v_sub_f32_e32 v3, v3, v7
.LBB265_16:
	s_andn2_saveexec_b64 s[4:5], s[6:7]
	s_cbranch_execz .LBB265_20
; %bb.17:
	v_add_f32_e32 v8, 2.0, v0
	v_mov_b32_e32 v9, v1
	v_pk_mul_f32 v[8:9], v[0:1], v[8:9]
	v_add_f32_e32 v3, v8, v9
	v_cmp_neq_f32_e32 vcc, 0, v3
	s_and_saveexec_b64 s[6:7], vcc
	s_cbranch_execz .LBB265_19
; %bb.18:
	v_add_f32_e32 v0, 1.0, v3
	v_add_f32_e32 v7, -1.0, v0
	v_sub_f32_e32 v8, v7, v0
	v_add_f32_e32 v8, 1.0, v8
	v_sub_f32_e32 v7, v3, v7
	v_add_f32_e32 v7, v7, v8
	v_frexp_mant_f32_e32 v10, v0
	s_mov_b32 s8, 0x3f2aaaab
	v_cvt_f64_f32_e32 v[8:9], v0
	v_frexp_exp_i32_f64_e32 v8, v[8:9]
	v_cmp_gt_f32_e32 vcc, s8, v10
	v_subbrev_co_u32_e32 v16, vcc, 0, v8, vcc
	v_sub_u32_e32 v8, 0, v16
	v_ldexp_f32 v0, v0, v8
	v_ldexp_f32 v7, v7, v8
	v_add_f32_e32 v8, -1.0, v0
	v_add_f32_e32 v9, 1.0, v8
	v_sub_f32_e32 v9, v0, v9
	v_add_f32_e32 v10, v7, v9
	v_add_f32_e32 v9, 1.0, v0
	v_add_f32_e32 v11, -1.0, v9
	v_sub_f32_e32 v0, v0, v11
	v_add_f32_e32 v0, v7, v0
	v_add_f32_e32 v7, v9, v0
	v_rcp_f32_e32 v17, v7
	v_sub_f32_e32 v9, v7, v9
	v_sub_f32_e32 v0, v0, v9
	v_add_f32_e32 v9, v8, v10
	v_sub_f32_e32 v8, v9, v8
	v_mul_f32_e32 v19, v9, v17
	v_sub_f32_e32 v18, v10, v8
	v_mul_f32_e32 v10, v7, v19
	v_fma_f32 v12, v19, v7, -v10
	v_fmac_f32_e32 v12, v19, v0
	v_add_f32_e32 v8, v10, v12
	v_sub_f32_e32 v11, v9, v8
	v_pk_add_f32 v[14:15], v[8:9], v[10:11] neg_lo:[0,1] neg_hi:[0,1]
	v_mov_b32_e32 v13, v8
	v_pk_add_f32 v[8:9], v[14:15], v[12:13] neg_lo:[0,1] neg_hi:[0,1]
	v_add_f32_e32 v9, v18, v9
	v_add_f32_e32 v8, v8, v9
	v_add_f32_e32 v9, v11, v8
	v_mul_f32_e32 v18, v17, v9
	v_mul_f32_e32 v10, v7, v18
	v_fma_f32 v12, v18, v7, -v10
	v_fmac_f32_e32 v12, v18, v0
	v_sub_f32_e32 v0, v11, v9
	v_add_f32_e32 v0, v8, v0
	v_add_f32_e32 v8, v10, v12
	v_sub_f32_e32 v11, v9, v8
	v_pk_add_f32 v[14:15], v[8:9], v[10:11] neg_lo:[0,1] neg_hi:[0,1]
	v_mov_b32_e32 v13, v8
	v_pk_add_f32 v[8:9], v[14:15], v[12:13] neg_lo:[0,1] neg_hi:[0,1]
	v_add_f32_e32 v0, v0, v9
	v_add_f32_e32 v0, v8, v0
	;; [unrolled: 1-line block ×4, first 2 shown]
	v_sub_f32_e32 v8, v7, v19
	v_mul_f32_e32 v0, v17, v0
	v_sub_f32_e32 v8, v18, v8
	v_add_f32_e32 v0, v8, v0
	v_add_f32_e32 v8, v7, v0
	v_mul_f32_e32 v11, v8, v8
	v_mov_b32_e32 v10, 0x3ecc95a3
	v_fmac_f32_e32 v10, 0x3e9b6dac, v11
	v_mov_b32_e32 v9, 0x3f2aaada
	v_fmac_f32_e32 v9, v11, v10
	v_cvt_f32_i32_e32 v10, v16
	v_sub_f32_e32 v7, v8, v7
	v_ldexp_f32 v13, v8, 1
	v_mul_f32_e32 v11, v8, v11
	v_mov_b32_e32 v8, 0x3f317218
	s_mov_b32 s8, 0x3f317218
	v_pk_mul_f32 v[8:9], v[10:11], v[8:9]
	v_fma_f32 v12, v10, s8, -v8
	v_fmac_f32_e32 v12, 0xb102e308, v10
	v_pk_add_f32 v[10:11], v[8:9], v[12:13]
	v_sub_f32_e32 v0, v0, v7
	v_sub_f32_e32 v7, v11, v13
	v_ldexp_f32 v0, v0, 1
	v_sub_f32_e32 v7, v9, v7
	v_add_f32_e32 v15, v0, v7
	v_mov_b32_e32 v14, v8
	v_pk_add_f32 v[8:9], v[10:11], v[8:9] neg_lo:[0,1] neg_hi:[0,1]
	v_pk_add_f32 v[16:17], v[10:11], v[14:15]
	v_mov_b32_e32 v9, v17
	v_mov_b32_e32 v13, v10
	v_pk_add_f32 v[18:19], v[12:13], v[8:9] neg_lo:[0,1] neg_hi:[0,1]
	v_pk_add_f32 v[8:9], v[12:13], v[8:9]
	v_mov_b32_e32 v0, v9
	v_pk_add_f32 v[12:13], v[0:1], v[10:11] neg_lo:[0,1] neg_hi:[0,1]
	v_mov_b32_e32 v7, v12
	v_pk_add_f32 v[20:21], v[16:17], v[6:7] neg_lo:[0,1] neg_hi:[0,1]
	v_mov_b32_e32 v8, v17
	v_mov_b32_e32 v16, v11
	;; [unrolled: 1-line block ×4, first 2 shown]
	v_pk_add_f32 v[8:9], v[8:9], v[16:17] neg_lo:[0,1] neg_hi:[0,1]
	v_mov_b32_e32 v12, v15
	v_mov_b32_e32 v13, v10
	v_pk_add_f32 v[8:9], v[12:13], v[8:9] neg_lo:[0,1] neg_hi:[0,1]
	v_mov_b32_e32 v20, v18
	v_pk_add_f32 v[10:11], v[20:21], v[8:9]
	v_mov_b32_e32 v12, v11
	v_pk_add_f32 v[12:13], v[10:11], v[12:13]
	v_pk_add_f32 v[14:15], v[0:1], v[12:13]
	v_mov_b32_e32 v11, v14
	v_pk_add_f32 v[16:17], v[10:11], v[18:19] neg_lo:[0,1] neg_hi:[0,1]
	v_mov_b32_e32 v9, v12
	v_sub_f32_e32 v0, v10, v16
	v_pk_add_f32 v[8:9], v[8:9], v[16:17] neg_lo:[0,1] neg_hi:[0,1]
	v_sub_f32_e32 v0, v18, v0
	v_add_f32_e32 v0, v8, v0
	v_add_f32_e32 v0, v0, v9
	s_mov_b32 s8, 0x7f800000
	v_add_f32_e32 v0, v14, v0
	v_cmp_eq_f32_e32 vcc, s8, v3
	v_cndmask_b32_e32 v0, v0, v3, vcc
	v_mov_b32_e32 v7, 0x7fc00000
	v_cmp_ngt_f32_e32 vcc, -1.0, v3
	v_cndmask_b32_e32 v0, v7, v0, vcc
	v_mov_b32_e32 v7, 0xff800000
	v_cmp_neq_f32_e32 vcc, -1.0, v3
	s_mov_b32 s8, 0x33800000
	v_cndmask_b32_e32 v0, v7, v0, vcc
	v_cmp_lt_f32_e64 vcc, |v3|, s8
	v_cndmask_b32_e32 v0, v0, v3, vcc
	v_mul_f32_e32 v0, 0.5, v0
.LBB265_19:
	s_or_b64 exec, exec, s[6:7]
	v_mov_b32_e32 v3, v0
.LBB265_20:
	s_or_b64 exec, exec, s[4:5]
	v_max_f32_e64 v8, |v1|, |v1|
	v_max_f32_e64 v9, |v2|, |v2|
	v_min_f32_e32 v8, v9, v8
	v_frexp_mant_f32_e32 v9, v6
	v_rcp_f32_e32 v9, v9
	v_frexp_exp_i32_f32_e32 v6, v6
	v_frexp_exp_i32_f32_e32 v10, v8
	v_frexp_mant_f32_e32 v8, v8
	v_mul_f32_e32 v8, v8, v9
	v_sub_u32_e32 v6, v10, v6
	v_ldexp_f32 v6, v8, v6
	v_mul_f32_e32 v8, v6, v6
	v_mov_b32_e32 v9, 0xbc7a590c
	v_fmac_f32_e32 v9, 0x3b2d2a58, v8
	v_mov_b32_e32 v10, 0x3d29fb3f
	v_fmac_f32_e32 v10, v8, v9
	;; [unrolled: 2-line block ×7, first 2 shown]
	s_movk_i32 s4, 0x204
	v_mov_b32_e32 v0, 0x3f490fdb
	v_mov_b32_e32 v7, 0x4016cbe4
	v_cmp_gt_f32_e32 vcc, 0, v2
	v_mul_f32_e32 v8, v8, v9
	v_cmp_class_f32_e64 s[6:7], v1, s4
	v_cmp_class_f32_e64 s[8:9], v2, s4
	v_cndmask_b32_e32 v0, v0, v7, vcc
	v_mov_b32_e32 v7, 0x40490fdb
	v_cmp_gt_i32_e64 s[4:5], 0, v2
	v_fmac_f32_e32 v6, v6, v8
	v_cndmask_b32_e64 v7, 0, v7, s[4:5]
	v_sub_f32_e32 v8, 0x3fc90fdb, v6
	v_cmp_gt_f32_e64 s[4:5], |v1|, |v2|
	v_cndmask_b32_e64 v6, v6, v8, s[4:5]
	v_sub_f32_e32 v8, 0x40490fdb, v6
	v_cndmask_b32_e32 v6, v6, v8, vcc
	v_cmp_eq_f32_e32 vcc, 0, v1
	v_cndmask_b32_e32 v6, v6, v7, vcc
	s_and_b64 vcc, s[8:9], s[6:7]
	v_cndmask_b32_e32 v0, v6, v0, vcc
	v_mov_b32_e32 v6, 0x7fc00000
	v_cmp_o_f32_e32 vcc, v2, v1
	v_cndmask_b32_e32 v0, v6, v0, vcc
	s_brev_b32 s4, -2
	v_bfi_b32 v2, s4, v0, v1
	v_pk_add_f32 v[2:3], v[2:3], v[4:5]
                                        ; implicit-def: $vgpr6
                                        ; implicit-def: $vgpr4_vgpr5
.LBB265_21:
	s_andn2_saveexec_b64 s[12:13], s[12:13]
	s_cbranch_execz .LBB265_47
; %bb.22:
	v_cmp_ngt_f32_e32 vcc, 0, v3
	s_and_saveexec_b64 s[14:15], vcc
	s_cbranch_execz .LBB265_46
; %bb.23:
	v_and_b32_e32 v0, 0x7fffffff, v2
	s_brev_b32 s4, 18
	v_cmp_nlt_f32_e64 s[16:17], |v2|, s4
	v_lshrrev_b32_e32 v8, 23, v0
                                        ; implicit-def: $vgpr3
                                        ; implicit-def: $vgpr1
	s_and_saveexec_b64 s[4:5], s[16:17]
	s_xor_b64 s[18:19], exec, s[4:5]
	s_cbranch_execz .LBB265_25
; %bb.24:
	v_add_u32_e32 v1, 0xffffff88, v8
	v_not_b32_e32 v3, 63
	v_cmp_lt_u32_e32 vcc, 63, v1
	v_cndmask_b32_e32 v3, 0, v3, vcc
	v_add_u32_e32 v1, v3, v1
	v_not_b32_e32 v3, 31
	v_cmp_lt_u32_e64 s[4:5], 31, v1
	v_cndmask_b32_e64 v5, 0, v3, s[4:5]
	v_add_u32_e32 v1, v5, v1
	v_cmp_lt_u32_e64 s[6:7], 31, v1
	v_cndmask_b32_e64 v3, 0, v3, s[6:7]
	v_add_u32_e32 v1, v3, v1
	v_and_b32_e32 v3, 0x7fffff, v0
	v_or_b32_e32 v3, 0x800000, v3
	s_mov_b32 s8, 0xfe5163ab
	v_mad_u64_u32 v[12:13], s[8:9], v3, s8, 0
	v_mov_b32_e32 v11, 0
	v_mov_b32_e32 v10, v13
	s_mov_b32 s8, 0x3c439041
	v_mad_u64_u32 v[14:15], s[8:9], v3, s8, v[10:11]
	v_mov_b32_e32 v10, v15
	s_mov_b32 s8, 0xdb629599
	v_mad_u64_u32 v[16:17], s[8:9], v3, s8, v[10:11]
	v_mov_b32_e32 v10, v17
	s_mov_b32 s8, 0xf534ddc0
	v_mad_u64_u32 v[18:19], s[8:9], v3, s8, v[10:11]
	v_mov_b32_e32 v10, v19
	s_mov_b32 s8, 0xfc2757d1
	v_mad_u64_u32 v[20:21], s[8:9], v3, s8, v[10:11]
	v_mov_b32_e32 v10, v21
	s_mov_b32 s8, 0x4e441529
	v_mad_u64_u32 v[22:23], s[8:9], v3, s8, v[10:11]
	v_mov_b32_e32 v10, v23
	s_mov_b32 s8, 0xa2f9836e
	v_mad_u64_u32 v[10:11], s[8:9], v3, s8, v[10:11]
	v_cndmask_b32_e32 v5, v22, v18, vcc
	v_cndmask_b32_e32 v3, v10, v20, vcc
	v_cndmask_b32_e32 v9, v11, v22, vcc
	v_cndmask_b32_e64 v7, v3, v5, s[4:5]
	v_cndmask_b32_e64 v3, v9, v3, s[4:5]
	v_cndmask_b32_e32 v9, v20, v16, vcc
	v_cndmask_b32_e64 v5, v5, v9, s[4:5]
	v_sub_u32_e32 v10, 32, v1
	v_cmp_eq_u32_e64 s[8:9], 0, v1
	v_cndmask_b32_e32 v1, v18, v14, vcc
	v_cndmask_b32_e64 v3, v3, v7, s[6:7]
	v_cndmask_b32_e64 v7, v7, v5, s[6:7]
	;; [unrolled: 1-line block ×3, first 2 shown]
	v_alignbit_b32 v11, v3, v7, v10
	v_cndmask_b32_e64 v5, v5, v9, s[6:7]
	v_cndmask_b32_e64 v3, v11, v3, s[8:9]
	v_alignbit_b32 v11, v7, v5, v10
	v_cndmask_b32_e32 v12, v16, v12, vcc
	v_cndmask_b32_e64 v7, v11, v7, s[8:9]
	v_bfe_u32 v14, v3, 29, 1
	v_cndmask_b32_e64 v1, v1, v12, s[4:5]
	v_alignbit_b32 v11, v3, v7, 30
	v_sub_u32_e32 v15, 0, v14
	v_cndmask_b32_e64 v1, v9, v1, s[6:7]
	v_xor_b32_e32 v17, v11, v15
	v_alignbit_b32 v9, v5, v1, v10
	v_cndmask_b32_e64 v5, v9, v5, s[8:9]
	v_ffbh_u32_e32 v9, v17
	v_add_u32_e32 v9, 1, v9
	v_cmp_ne_u32_e32 vcc, v11, v15
	v_alignbit_b32 v7, v7, v5, 30
	v_cndmask_b32_e32 v9, 33, v9, vcc
	v_alignbit_b32 v1, v5, v1, 30
	v_xor_b32_e32 v7, v7, v15
	v_sub_u32_e32 v10, 32, v9
	v_xor_b32_e32 v1, v1, v15
	v_alignbit_b32 v11, v17, v7, v10
	v_alignbit_b32 v1, v7, v1, v10
	;; [unrolled: 1-line block ×3, first 2 shown]
	v_ffbh_u32_e32 v7, v5
	v_min_u32_e32 v7, 32, v7
	v_lshrrev_b32_e32 v13, 29, v3
	v_sub_u32_e32 v10, 31, v7
	v_alignbit_b32 v1, v5, v1, v10
	v_lshlrev_b32_e32 v5, 31, v13
	v_or_b32_e32 v10, 0x33800000, v5
	v_add_lshl_u32 v7, v7, v9, 23
	v_lshrrev_b32_e32 v1, 9, v1
	v_sub_u32_e32 v7, v10, v7
	v_or_b32_e32 v1, v7, v1
	v_alignbit_b32 v7, v9, v11, 9
	v_or_b32_e32 v5, v7, v5
	v_xor_b32_e32 v5, 1.0, v5
	s_mov_b32 s4, 0x3fc90fda
	v_mul_f32_e32 v7, 0x3fc90fda, v5
	v_fma_f32 v9, v5, s4, -v7
	v_fmac_f32_e32 v9, 0x33a22168, v5
	v_fmac_f32_e32 v9, 0x3fc90fda, v1
	v_lshrrev_b32_e32 v3, 30, v3
	v_add_f32_e32 v1, v7, v9
	v_add_u32_e32 v3, v14, v3
	s_andn2_saveexec_b64 s[4:5], s[18:19]
	s_branch .LBB265_26
.LBB265_25:
	s_andn2_saveexec_b64 s[4:5], s[18:19]
.LBB265_26:
	s_mov_b32 s6, 0x3f22f983
	v_mul_f32_e64 v1, |v2|, s6
	v_rndne_f32_e32 v5, v1
	s_mov_b32 s6, 0xbfc90fda
	v_cvt_i32_f32_e32 v3, v5
	v_fma_f32 v1, v5, s6, |v2|
	v_fmac_f32_e32 v1, 0xb3a22168, v5
	v_fmac_f32_e32 v1, 0xa7c234c4, v5
; %bb.27:
	s_or_b64 exec, exec, s[4:5]
                                        ; implicit-def: $vgpr5
                                        ; implicit-def: $vgpr7
	s_and_saveexec_b64 s[4:5], s[16:17]
	s_xor_b64 s[16:17], exec, s[4:5]
	s_cbranch_execz .LBB265_29
; %bb.28:
	v_add_u32_e32 v5, 0xffffff88, v8
	v_not_b32_e32 v7, 63
	v_cmp_lt_u32_e32 vcc, 63, v5
	v_cndmask_b32_e32 v7, 0, v7, vcc
	v_add_u32_e32 v5, v7, v5
	v_not_b32_e32 v7, 31
	v_cmp_lt_u32_e64 s[4:5], 31, v5
	v_cndmask_b32_e64 v8, 0, v7, s[4:5]
	v_add_u32_e32 v5, v8, v5
	v_cmp_lt_u32_e64 s[6:7], 31, v5
	v_cndmask_b32_e64 v7, 0, v7, s[6:7]
	v_add_u32_e32 v5, v7, v5
	v_and_b32_e32 v7, 0x7fffff, v0
	v_or_b32_e32 v7, 0x800000, v7
	s_mov_b32 s8, 0xfe5163ab
	v_mad_u64_u32 v[10:11], s[8:9], v7, s8, 0
	v_mov_b32_e32 v9, 0
	v_mov_b32_e32 v8, v11
	s_mov_b32 s8, 0x3c439041
	v_mad_u64_u32 v[12:13], s[8:9], v7, s8, v[8:9]
	v_mov_b32_e32 v8, v13
	s_mov_b32 s8, 0xdb629599
	v_mad_u64_u32 v[14:15], s[8:9], v7, s8, v[8:9]
	;; [unrolled: 3-line block ×6, first 2 shown]
	v_cndmask_b32_e32 v11, v20, v16, vcc
	v_cndmask_b32_e32 v7, v8, v18, vcc
	;; [unrolled: 1-line block ×3, first 2 shown]
	v_cndmask_b32_e64 v8, v7, v11, s[4:5]
	v_cndmask_b32_e64 v7, v9, v7, s[4:5]
	v_cndmask_b32_e32 v9, v18, v14, vcc
	v_cndmask_b32_e64 v11, v11, v9, s[4:5]
	v_cndmask_b32_e64 v7, v7, v8, s[6:7]
	;; [unrolled: 1-line block ×3, first 2 shown]
	v_sub_u32_e32 v13, 32, v5
	v_alignbit_b32 v15, v7, v8, v13
	v_cmp_eq_u32_e64 s[8:9], 0, v5
	v_cndmask_b32_e64 v5, v15, v7, s[8:9]
	v_cndmask_b32_e32 v7, v16, v12, vcc
	v_cndmask_b32_e64 v9, v9, v7, s[4:5]
	v_cndmask_b32_e64 v11, v11, v9, s[6:7]
	v_alignbit_b32 v12, v8, v11, v13
	v_cndmask_b32_e64 v8, v12, v8, s[8:9]
	v_bfe_u32 v16, v5, 29, 1
	v_cndmask_b32_e32 v10, v14, v10, vcc
	v_alignbit_b32 v12, v5, v8, 30
	v_sub_u32_e32 v17, 0, v16
	v_cndmask_b32_e64 v7, v7, v10, s[4:5]
	v_xor_b32_e32 v18, v12, v17
	v_cndmask_b32_e64 v7, v9, v7, s[6:7]
	v_alignbit_b32 v9, v11, v7, v13
	v_ffbh_u32_e32 v10, v18
	v_cndmask_b32_e64 v9, v9, v11, s[8:9]
	v_add_u32_e32 v10, 1, v10
	v_cmp_ne_u32_e32 vcc, v12, v17
	v_alignbit_b32 v8, v8, v9, 30
	v_cndmask_b32_e32 v10, 33, v10, vcc
	v_alignbit_b32 v7, v9, v7, 30
	v_xor_b32_e32 v8, v8, v17
	v_sub_u32_e32 v11, 32, v10
	v_xor_b32_e32 v7, v7, v17
	v_alignbit_b32 v12, v18, v8, v11
	v_alignbit_b32 v7, v8, v7, v11
	;; [unrolled: 1-line block ×3, first 2 shown]
	v_ffbh_u32_e32 v9, v8
	v_min_u32_e32 v9, 32, v9
	v_lshrrev_b32_e32 v15, 29, v5
	v_sub_u32_e32 v11, 31, v9
	v_alignbit_b32 v7, v8, v7, v11
	v_lshlrev_b32_e32 v8, 31, v15
	v_or_b32_e32 v11, 0x33800000, v8
	v_add_lshl_u32 v9, v9, v10, 23
	v_lshrrev_b32_e32 v7, 9, v7
	v_sub_u32_e32 v9, v11, v9
	v_or_b32_e32 v7, v9, v7
	v_alignbit_b32 v9, v10, v12, 9
	v_or_b32_e32 v8, v9, v8
	v_xor_b32_e32 v8, 1.0, v8
	s_mov_b32 s4, 0x3fc90fda
	v_mul_f32_e32 v9, 0x3fc90fda, v8
	v_fma_f32 v10, v8, s4, -v9
	v_fmac_f32_e32 v10, 0x33a22168, v8
	v_fmac_f32_e32 v10, 0x3fc90fda, v7
	v_lshrrev_b32_e32 v5, 30, v5
	v_add_f32_e32 v7, v9, v10
	v_add_u32_e32 v5, v16, v5
	s_andn2_saveexec_b64 s[4:5], s[16:17]
	s_cbranch_execnz .LBB265_30
	s_branch .LBB265_31
.LBB265_29:
	s_andn2_saveexec_b64 s[4:5], s[16:17]
.LBB265_30:
	s_mov_b32 s6, 0x3f22f983
	v_mul_f32_e64 v5, |v2|, s6
	v_rndne_f32_e32 v8, v5
	s_mov_b32 s6, 0xbfc90fda
	v_cvt_i32_f32_e32 v5, v8
	v_fma_f32 v7, v8, s6, |v2|
	v_fmac_f32_e32 v7, 0xb3a22168, v8
	v_fmac_f32_e32 v7, 0xa7c234c4, v8
.LBB265_31:
	s_or_b64 exec, exec, s[4:5]
	v_and_b32_e32 v8, 0x7fffffff, v4
	s_brev_b32 s4, 18
	v_cmp_nlt_f32_e64 s[16:17], |v4|, s4
	v_lshrrev_b32_e32 v11, 23, v8
                                        ; implicit-def: $vgpr10
                                        ; implicit-def: $vgpr9
	s_and_saveexec_b64 s[4:5], s[16:17]
	s_xor_b64 s[18:19], exec, s[4:5]
	s_cbranch_execz .LBB265_33
; %bb.32:
	v_add_u32_e32 v9, 0xffffff88, v11
	v_not_b32_e32 v10, 63
	v_cmp_lt_u32_e32 vcc, 63, v9
	v_cndmask_b32_e32 v10, 0, v10, vcc
	v_add_u32_e32 v9, v10, v9
	v_not_b32_e32 v10, 31
	v_cmp_lt_u32_e64 s[4:5], 31, v9
	v_cndmask_b32_e64 v12, 0, v10, s[4:5]
	v_add_u32_e32 v9, v12, v9
	v_cmp_lt_u32_e64 s[6:7], 31, v9
	v_cndmask_b32_e64 v10, 0, v10, s[6:7]
	v_add_u32_e32 v9, v10, v9
	v_and_b32_e32 v10, 0x7fffff, v8
	v_or_b32_e32 v10, 0x800000, v10
	s_mov_b32 s8, 0xfe5163ab
	v_mad_u64_u32 v[14:15], s[8:9], v10, s8, 0
	v_mov_b32_e32 v13, 0
	v_mov_b32_e32 v12, v15
	s_mov_b32 s8, 0x3c439041
	v_mad_u64_u32 v[16:17], s[8:9], v10, s8, v[12:13]
	v_mov_b32_e32 v12, v17
	s_mov_b32 s8, 0xdb629599
	v_mad_u64_u32 v[18:19], s[8:9], v10, s8, v[12:13]
	;; [unrolled: 3-line block ×6, first 2 shown]
	v_cndmask_b32_e32 v15, v24, v20, vcc
	v_cndmask_b32_e32 v10, v12, v22, vcc
	;; [unrolled: 1-line block ×3, first 2 shown]
	v_cndmask_b32_e64 v12, v10, v15, s[4:5]
	v_cndmask_b32_e64 v10, v13, v10, s[4:5]
	v_cndmask_b32_e32 v13, v22, v18, vcc
	v_cndmask_b32_e64 v15, v15, v13, s[4:5]
	v_sub_u32_e32 v17, 32, v9
	v_cmp_eq_u32_e64 s[8:9], 0, v9
	v_cndmask_b32_e32 v9, v20, v16, vcc
	v_cndmask_b32_e64 v10, v10, v12, s[6:7]
	v_cndmask_b32_e64 v12, v12, v15, s[6:7]
	;; [unrolled: 1-line block ×3, first 2 shown]
	v_alignbit_b32 v19, v10, v12, v17
	v_cndmask_b32_e64 v15, v15, v13, s[6:7]
	v_cndmask_b32_e64 v10, v19, v10, s[8:9]
	v_alignbit_b32 v16, v12, v15, v17
	v_cndmask_b32_e64 v12, v16, v12, s[8:9]
	v_bfe_u32 v20, v10, 29, 1
	v_cndmask_b32_e32 v14, v18, v14, vcc
	v_alignbit_b32 v16, v10, v12, 30
	v_sub_u32_e32 v21, 0, v20
	v_cndmask_b32_e64 v9, v9, v14, s[4:5]
	v_xor_b32_e32 v22, v16, v21
	v_cndmask_b32_e64 v9, v13, v9, s[6:7]
	v_alignbit_b32 v13, v15, v9, v17
	v_ffbh_u32_e32 v14, v22
	v_cndmask_b32_e64 v13, v13, v15, s[8:9]
	v_add_u32_e32 v14, 1, v14
	v_cmp_ne_u32_e32 vcc, v16, v21
	v_alignbit_b32 v12, v12, v13, 30
	v_cndmask_b32_e32 v14, 33, v14, vcc
	v_alignbit_b32 v9, v13, v9, 30
	v_xor_b32_e32 v12, v12, v21
	v_sub_u32_e32 v15, 32, v14
	v_xor_b32_e32 v9, v9, v21
	v_alignbit_b32 v16, v22, v12, v15
	v_alignbit_b32 v9, v12, v9, v15
	;; [unrolled: 1-line block ×3, first 2 shown]
	v_ffbh_u32_e32 v13, v12
	v_min_u32_e32 v13, 32, v13
	v_lshrrev_b32_e32 v19, 29, v10
	v_sub_u32_e32 v15, 31, v13
	v_alignbit_b32 v9, v12, v9, v15
	v_lshlrev_b32_e32 v12, 31, v19
	v_or_b32_e32 v15, 0x33800000, v12
	v_add_lshl_u32 v13, v13, v14, 23
	v_lshrrev_b32_e32 v9, 9, v9
	v_sub_u32_e32 v13, v15, v13
	v_or_b32_e32 v9, v13, v9
	v_alignbit_b32 v13, v14, v16, 9
	v_or_b32_e32 v12, v13, v12
	v_xor_b32_e32 v12, 1.0, v12
	s_mov_b32 s4, 0x3fc90fda
	v_mul_f32_e32 v13, 0x3fc90fda, v12
	v_fma_f32 v14, v12, s4, -v13
	v_fmac_f32_e32 v14, 0x33a22168, v12
	v_fmac_f32_e32 v14, 0x3fc90fda, v9
	v_lshrrev_b32_e32 v10, 30, v10
	v_add_f32_e32 v9, v13, v14
	v_add_u32_e32 v10, v20, v10
	s_andn2_saveexec_b64 s[4:5], s[18:19]
	s_branch .LBB265_34
.LBB265_33:
	s_andn2_saveexec_b64 s[4:5], s[18:19]
.LBB265_34:
	s_mov_b32 s6, 0x3f22f983
	v_mul_f32_e64 v9, |v4|, s6
	v_rndne_f32_e32 v12, v9
	s_mov_b32 s6, 0xbfc90fda
	v_cvt_i32_f32_e32 v10, v12
	v_fma_f32 v9, v12, s6, |v4|
	v_fmac_f32_e32 v9, 0xb3a22168, v12
	v_fmac_f32_e32 v9, 0xa7c234c4, v12
; %bb.35:
	s_or_b64 exec, exec, s[4:5]
                                        ; implicit-def: $vgpr12
                                        ; implicit-def: $vgpr13
	s_and_saveexec_b64 s[4:5], s[16:17]
	s_xor_b64 s[16:17], exec, s[4:5]
	s_cbranch_execz .LBB265_37
; %bb.36:
	v_add_u32_e32 v11, 0xffffff88, v11
	v_not_b32_e32 v12, 63
	v_cmp_lt_u32_e32 vcc, 63, v11
	v_cndmask_b32_e32 v12, 0, v12, vcc
	v_add_u32_e32 v11, v12, v11
	v_not_b32_e32 v12, 31
	v_cmp_lt_u32_e64 s[4:5], 31, v11
	v_cndmask_b32_e64 v14, 0, v12, s[4:5]
	v_add_u32_e32 v11, v14, v11
	v_cmp_lt_u32_e64 s[6:7], 31, v11
	v_cndmask_b32_e64 v12, 0, v12, s[6:7]
	v_add_u32_e32 v11, v12, v11
	v_and_b32_e32 v12, 0x7fffff, v8
	v_or_b32_e32 v26, 0x800000, v12
	s_mov_b32 s8, 0xfe5163ab
	v_mad_u64_u32 v[14:15], s[8:9], v26, s8, 0
	v_mov_b32_e32 v13, 0
	v_mov_b32_e32 v12, v15
	s_mov_b32 s8, 0x3c439041
	v_mad_u64_u32 v[16:17], s[8:9], v26, s8, v[12:13]
	v_mov_b32_e32 v12, v17
	s_mov_b32 s8, 0xdb629599
	v_mad_u64_u32 v[18:19], s[8:9], v26, s8, v[12:13]
	;; [unrolled: 3-line block ×6, first 2 shown]
	v_cndmask_b32_e32 v15, v24, v20, vcc
	v_cndmask_b32_e32 v12, v12, v22, vcc
	;; [unrolled: 1-line block ×3, first 2 shown]
	v_cndmask_b32_e64 v17, v12, v15, s[4:5]
	v_cndmask_b32_e64 v12, v13, v12, s[4:5]
	v_cndmask_b32_e32 v13, v22, v18, vcc
	v_cndmask_b32_e64 v15, v15, v13, s[4:5]
	v_cndmask_b32_e64 v12, v12, v17, s[6:7]
	;; [unrolled: 1-line block ×3, first 2 shown]
	v_sub_u32_e32 v19, 32, v11
	v_alignbit_b32 v21, v12, v17, v19
	v_cmp_eq_u32_e64 s[8:9], 0, v11
	v_cndmask_b32_e64 v11, v21, v12, s[8:9]
	v_cndmask_b32_e32 v12, v20, v16, vcc
	v_cndmask_b32_e64 v13, v13, v12, s[4:5]
	v_cndmask_b32_e64 v15, v15, v13, s[6:7]
	v_alignbit_b32 v16, v17, v15, v19
	v_cndmask_b32_e32 v14, v18, v14, vcc
	v_cndmask_b32_e64 v16, v16, v17, s[8:9]
	v_bfe_u32 v21, v11, 29, 1
	v_cndmask_b32_e64 v12, v12, v14, s[4:5]
	v_alignbit_b32 v17, v11, v16, 30
	v_sub_u32_e32 v22, 0, v21
	v_cndmask_b32_e64 v12, v13, v12, s[6:7]
	v_xor_b32_e32 v23, v17, v22
	v_alignbit_b32 v13, v15, v12, v19
	v_cndmask_b32_e64 v13, v13, v15, s[8:9]
	v_ffbh_u32_e32 v15, v23
	v_add_u32_e32 v15, 1, v15
	v_cmp_ne_u32_e32 vcc, v17, v22
	v_alignbit_b32 v14, v16, v13, 30
	v_cndmask_b32_e32 v15, 33, v15, vcc
	v_alignbit_b32 v12, v13, v12, 30
	v_xor_b32_e32 v14, v14, v22
	v_sub_u32_e32 v16, 32, v15
	v_xor_b32_e32 v12, v12, v22
	v_alignbit_b32 v17, v23, v14, v16
	v_alignbit_b32 v12, v14, v12, v16
	;; [unrolled: 1-line block ×3, first 2 shown]
	v_ffbh_u32_e32 v14, v13
	v_min_u32_e32 v14, 32, v14
	v_lshrrev_b32_e32 v20, 29, v11
	v_sub_u32_e32 v16, 31, v14
	v_alignbit_b32 v12, v13, v12, v16
	v_lshlrev_b32_e32 v13, 31, v20
	v_or_b32_e32 v16, 0x33800000, v13
	v_add_lshl_u32 v14, v14, v15, 23
	v_lshrrev_b32_e32 v12, 9, v12
	v_sub_u32_e32 v14, v16, v14
	v_or_b32_e32 v12, v14, v12
	v_alignbit_b32 v14, v15, v17, 9
	v_or_b32_e32 v13, v14, v13
	v_xor_b32_e32 v13, 1.0, v13
	s_mov_b32 s4, 0x3fc90fda
	v_mul_f32_e32 v14, 0x3fc90fda, v13
	v_fma_f32 v15, v13, s4, -v14
	v_fmac_f32_e32 v15, 0x33a22168, v13
	v_fmac_f32_e32 v15, 0x3fc90fda, v12
	v_lshrrev_b32_e32 v11, 30, v11
	v_add_f32_e32 v13, v14, v15
	v_add_u32_e32 v12, v21, v11
	s_andn2_saveexec_b64 s[4:5], s[16:17]
	s_cbranch_execnz .LBB265_38
	s_branch .LBB265_39
.LBB265_37:
	s_andn2_saveexec_b64 s[4:5], s[16:17]
.LBB265_38:
	s_mov_b32 s6, 0x3f22f983
	v_mul_f32_e64 v11, |v4|, s6
	v_rndne_f32_e32 v11, v11
	s_mov_b32 s6, 0xbfc90fda
	v_cvt_i32_f32_e32 v12, v11
	v_fma_f32 v13, v11, s6, |v4|
	v_fmac_f32_e32 v13, 0xb3a22168, v11
	v_fmac_f32_e32 v13, 0xa7c234c4, v11
.LBB265_39:
	s_or_b64 exec, exec, s[4:5]
	v_mul_f32_e32 v14, v1, v1
	v_mov_b32_e32 v16, 0x3c0881c4
	v_mov_b32_e32 v18, 0xbab64f3b
	v_fmac_f32_e32 v16, 0xb94c1982, v14
	v_mov_b32_e32 v17, 0xbe2aaa9d
	v_fmac_f32_e32 v18, 0x37d75334, v14
	v_mov_b32_e32 v19, 0x3d2aabf7
	v_fma_f32 v16, v14, v16, v17
	v_fma_f32 v18, v14, v18, v19
	v_mov_b32_e32 v20, 0xbf000004
	v_lshlrev_b32_e32 v11, 30, v3
	v_and_b32_e32 v3, 1, v3
	v_mul_f32_e32 v16, v14, v16
	v_fma_f32 v18, v14, v18, v20
	s_movk_i32 s6, 0x1f8
	v_fmac_f32_e32 v1, v1, v16
	v_fma_f32 v14, v14, v18, 1.0
	v_cmp_eq_u32_e32 vcc, 0, v3
	v_cndmask_b32_e32 v1, v14, v1, vcc
	v_cmp_class_f32_e64 vcc, v2, s6
	v_mul_f32_e32 v2, v7, v7
	v_mov_b32_e32 v3, 0x3c0881c4
	v_fmac_f32_e32 v3, 0xb94c1982, v2
	v_fma_f32 v3, v2, v3, v17
	v_mul_f32_e32 v3, v2, v3
	v_fmac_f32_e32 v7, v7, v3
	v_mov_b32_e32 v3, 0xbab64f3b
	v_fmac_f32_e32 v3, 0x37d75334, v2
	v_fma_f32 v3, v2, v3, v19
	v_and_b32_e32 v11, 0x80000000, v11
	v_fma_f32 v3, v2, v3, v20
	v_xor_b32_e32 v0, v0, v11
	v_fma_f32 v2, v2, v3, 1.0
	v_and_b32_e32 v3, 1, v5
	v_xor_b32_e32 v0, v0, v1
	v_cmp_eq_u32_e64 s[4:5], 0, v3
	v_xor_b32_e32 v0, v0, v6
	v_cndmask_b32_e64 v2, -v7, v2, s[4:5]
	v_mul_f32_e32 v6, v9, v9
	v_mov_b32_e32 v7, 0x3c0881c4
	v_lshlrev_b32_e32 v3, 30, v5
	v_fmac_f32_e32 v7, 0xb94c1982, v6
	v_and_b32_e32 v3, 0x80000000, v3
	v_fma_f32 v7, v6, v7, v17
	v_mov_b32_e32 v1, 0x7fc00000
	v_xor_b32_e32 v2, v3, v2
	v_mul_f32_e32 v7, v6, v7
	v_cndmask_b32_e32 v2, v1, v2, vcc
	v_fmac_f32_e32 v9, v9, v7
	v_mov_b32_e32 v7, 0xbab64f3b
	v_cndmask_b32_e32 v0, v1, v0, vcc
	v_mul_f32_e32 v3, 0x7f800000, v2
	v_cmp_neq_f32_e32 vcc, 0, v2
	v_fmac_f32_e32 v7, 0x37d75334, v6
	v_cndmask_b32_e32 v2, 0, v3, vcc
	v_mul_f32_e32 v3, 0x7f800000, v0
	v_cmp_neq_f32_e32 vcc, 0, v0
	v_fma_f32 v7, v6, v7, v19
	v_cndmask_b32_e32 v0, 0, v3, vcc
	v_lshlrev_b32_e32 v3, 30, v10
	v_and_b32_e32 v5, 1, v10
	v_fma_f32 v7, v6, v7, v20
	v_and_b32_e32 v3, 0x80000000, v3
	v_fma_f32 v6, v6, v7, 1.0
	v_cmp_eq_u32_e32 vcc, 0, v5
	v_cndmask_b32_e32 v5, v6, v9, vcc
	v_xor_b32_e32 v3, v8, v3
	v_xor_b32_e32 v3, v3, v5
	v_mov_b32_e32 v15, 0x3c0881c4
	v_xor_b32_e32 v3, v3, v4
	v_cmp_class_f32_e64 vcc, v4, s6
	v_mul_f32_e32 v4, v13, v13
	v_mov_b32_e32 v16, 0xbab64f3b
	v_fmac_f32_e32 v15, 0xb94c1982, v4
	v_fmac_f32_e32 v17, v4, v15
	;; [unrolled: 1-line block ×3, first 2 shown]
	v_mul_f32_e32 v5, v4, v17
	v_fmac_f32_e32 v19, v4, v16
	v_fmac_f32_e32 v13, v13, v5
	;; [unrolled: 1-line block ×3, first 2 shown]
	v_and_b32_e32 v5, 1, v12
	v_fma_f32 v4, v4, v20, 1.0
	v_cmp_eq_u32_e64 s[4:5], 0, v5
	v_lshlrev_b32_e32 v5, 30, v12
	v_cndmask_b32_e64 v4, -v13, v4, s[4:5]
	v_and_b32_e32 v5, 0x80000000, v5
	v_xor_b32_e32 v4, v5, v4
	v_cndmask_b32_e32 v3, v1, v3, vcc
	v_cndmask_b32_e32 v1, v1, v4, vcc
	v_mul_f32_e32 v4, 0x7f800000, v1
	v_cmp_neq_f32_e32 vcc, 0, v1
	v_cndmask_b32_e32 v1, 0, v4, vcc
	v_mul_f32_e32 v4, 0x7f800000, v3
	v_cmp_neq_f32_e32 vcc, 0, v3
	v_cndmask_b32_e32 v3, 0, v4, vcc
	v_add_f32_e32 v1, v2, v1
	v_add_f32_e32 v0, v0, v3
	v_add_f32_e32 v3, -1.0, v1
	v_max_f32_e64 v1, |v3|, |v0|
	v_cvt_f64_f32_e32 v[4:5], v1
	v_frexp_exp_i32_f64_e32 v2, v[4:5]
	v_sub_u32_e32 v4, 0, v2
	v_ldexp_f32 v5, |v3|, v4
	v_ldexp_f32 v4, |v0|, v4
	v_mul_f32_e32 v4, v4, v4
	v_fmac_f32_e32 v4, v5, v5
	v_sqrt_f32_e32 v4, v4
	s_mov_b32 s8, 0x7f800000
	v_cmp_eq_f32_e32 vcc, s8, v1
	v_add_f32_e32 v1, 1.0, v3
	v_ldexp_f32 v2, v4, v2
	v_cmp_ngt_f32_e64 s[4:5], 0.5, v2
	v_max_f32_e64 v2, |v1|, |v0|
	s_or_b64 s[4:5], vcc, s[4:5]
	s_and_saveexec_b64 s[6:7], s[4:5]
	s_xor_b64 s[6:7], exec, s[6:7]
	s_cbranch_execz .LBB265_41
; %bb.40:
	v_cvt_f64_f32_e32 v[4:5], v2
	v_frexp_exp_i32_f64_e32 v3, v[4:5]
	v_sub_u32_e32 v4, 0, v3
	v_ldexp_f32 v5, |v1|, v4
	v_ldexp_f32 v4, |v0|, v4
	v_mul_f32_e32 v4, v4, v4
	v_fmac_f32_e32 v4, v5, v5
	v_sqrt_f32_e32 v4, v4
	v_mov_b32_e32 v5, 0x7f800000
	v_cmp_neq_f32_e32 vcc, s8, v2
	s_mov_b32 s4, 0x800000
	v_ldexp_f32 v3, v4, v3
	v_cndmask_b32_e32 v3, v5, v3, vcc
	v_mov_b32_e32 v4, 0x4f800000
	v_cmp_gt_f32_e32 vcc, s4, v3
	v_cndmask_b32_e32 v4, 1.0, v4, vcc
	v_mul_f32_e32 v3, v3, v4
	v_log_f32_e32 v3, v3
	s_mov_b32 s4, 0x3f317217
	v_mul_f32_e32 v4, 0x3f317217, v3
	v_fma_f32 v5, v3, s4, -v4
	v_fmac_f32_e32 v5, 0x3377d1cf, v3
	v_add_f32_e32 v4, v4, v5
	v_cmp_lt_f32_e64 s[4:5], |v3|, s8
	v_cndmask_b32_e64 v3, v3, v4, s[4:5]
	v_mov_b32_e32 v4, 0x41b17218
	v_cndmask_b32_e32 v4, 0, v4, vcc
	v_sub_f32_e32 v3, v3, v4
.LBB265_41:
	s_andn2_saveexec_b64 s[4:5], s[6:7]
	s_cbranch_execz .LBB265_45
; %bb.42:
	v_add_f32_e32 v4, 2.0, v3
	v_mul_f32_e32 v4, v3, v4
	v_fmac_f32_e32 v4, v0, v0
	v_cmp_neq_f32_e32 vcc, 0, v4
	s_and_saveexec_b64 s[6:7], vcc
	s_cbranch_execz .LBB265_44
; %bb.43:
	v_add_f32_e32 v3, 1.0, v4
	v_add_f32_e32 v5, -1.0, v3
	v_sub_f32_e32 v6, v5, v3
	v_add_f32_e32 v6, 1.0, v6
	v_sub_f32_e32 v5, v4, v5
	v_add_f32_e32 v5, v5, v6
	v_frexp_mant_f32_e32 v8, v3
	s_mov_b32 s8, 0x3f2aaaab
	v_cvt_f64_f32_e32 v[6:7], v3
	v_frexp_exp_i32_f64_e32 v6, v[6:7]
	v_cmp_gt_f32_e32 vcc, s8, v8
	v_subbrev_co_u32_e32 v14, vcc, 0, v6, vcc
	v_sub_u32_e32 v6, 0, v14
	v_ldexp_f32 v3, v3, v6
	v_ldexp_f32 v5, v5, v6
	v_add_f32_e32 v6, -1.0, v3
	v_add_f32_e32 v7, 1.0, v6
	v_sub_f32_e32 v7, v3, v7
	v_add_f32_e32 v8, v5, v7
	v_add_f32_e32 v7, 1.0, v3
	v_add_f32_e32 v9, -1.0, v7
	v_sub_f32_e32 v3, v3, v9
	v_add_f32_e32 v3, v5, v3
	v_add_f32_e32 v5, v7, v3
	v_rcp_f32_e32 v15, v5
	v_sub_f32_e32 v7, v5, v7
	v_sub_f32_e32 v3, v3, v7
	v_add_f32_e32 v7, v6, v8
	v_sub_f32_e32 v6, v7, v6
	v_mul_f32_e32 v17, v7, v15
	v_sub_f32_e32 v16, v8, v6
	v_mul_f32_e32 v8, v5, v17
	v_fma_f32 v10, v17, v5, -v8
	v_fmac_f32_e32 v10, v17, v3
	v_add_f32_e32 v6, v8, v10
	v_sub_f32_e32 v9, v7, v6
	v_pk_add_f32 v[12:13], v[6:7], v[8:9] neg_lo:[0,1] neg_hi:[0,1]
	v_mov_b32_e32 v11, v6
	v_pk_add_f32 v[6:7], v[12:13], v[10:11] neg_lo:[0,1] neg_hi:[0,1]
	v_add_f32_e32 v7, v16, v7
	v_add_f32_e32 v6, v6, v7
	v_add_f32_e32 v7, v9, v6
	v_mul_f32_e32 v16, v15, v7
	v_mul_f32_e32 v8, v5, v16
	v_fma_f32 v10, v16, v5, -v8
	v_fmac_f32_e32 v10, v16, v3
	v_sub_f32_e32 v3, v9, v7
	v_add_f32_e32 v3, v6, v3
	v_add_f32_e32 v6, v8, v10
	v_sub_f32_e32 v9, v7, v6
	v_pk_add_f32 v[12:13], v[6:7], v[8:9] neg_lo:[0,1] neg_hi:[0,1]
	v_mov_b32_e32 v11, v6
	v_pk_add_f32 v[6:7], v[12:13], v[10:11] neg_lo:[0,1] neg_hi:[0,1]
	v_add_f32_e32 v3, v3, v7
	v_add_f32_e32 v3, v6, v3
	;; [unrolled: 1-line block ×4, first 2 shown]
	v_sub_f32_e32 v6, v5, v17
	v_mul_f32_e32 v3, v15, v3
	v_sub_f32_e32 v6, v16, v6
	v_add_f32_e32 v3, v6, v3
	v_add_f32_e32 v6, v5, v3
	v_mul_f32_e32 v9, v6, v6
	v_mov_b32_e32 v8, 0x3ecc95a3
	v_fmac_f32_e32 v8, 0x3e9b6dac, v9
	v_mov_b32_e32 v7, 0x3f2aaada
	v_fmac_f32_e32 v7, v9, v8
	v_cvt_f32_i32_e32 v8, v14
	v_sub_f32_e32 v5, v6, v5
	v_ldexp_f32 v11, v6, 1
	v_mul_f32_e32 v9, v6, v9
	v_mov_b32_e32 v6, 0x3f317218
	s_mov_b32 s8, 0x3f317218
	v_pk_mul_f32 v[6:7], v[8:9], v[6:7]
	v_fma_f32 v10, v8, s8, -v6
	v_fmac_f32_e32 v10, 0xb102e308, v8
	v_pk_add_f32 v[8:9], v[6:7], v[10:11]
	v_sub_f32_e32 v3, v3, v5
	v_sub_f32_e32 v5, v9, v11
	v_ldexp_f32 v3, v3, 1
	v_sub_f32_e32 v5, v7, v5
	v_add_f32_e32 v13, v3, v5
	v_mov_b32_e32 v12, v6
	v_pk_add_f32 v[6:7], v[8:9], v[6:7] neg_lo:[0,1] neg_hi:[0,1]
	v_pk_add_f32 v[14:15], v[8:9], v[12:13]
	v_mov_b32_e32 v7, v15
	v_mov_b32_e32 v11, v8
	v_pk_add_f32 v[16:17], v[10:11], v[6:7] neg_lo:[0,1] neg_hi:[0,1]
	v_pk_add_f32 v[6:7], v[10:11], v[6:7]
	v_mov_b32_e32 v10, v7
	v_pk_add_f32 v[18:19], v[10:11], v[8:9] neg_lo:[0,1] neg_hi:[0,1]
	v_mov_b32_e32 v3, v18
	v_pk_add_f32 v[20:21], v[14:15], v[2:3] neg_lo:[0,1] neg_hi:[0,1]
	v_mov_b32_e32 v6, v15
	v_mov_b32_e32 v14, v9
	;; [unrolled: 1-line block ×4, first 2 shown]
	v_pk_add_f32 v[6:7], v[6:7], v[14:15] neg_lo:[0,1] neg_hi:[0,1]
	v_mov_b32_e32 v12, v13
	v_mov_b32_e32 v13, v8
	v_pk_add_f32 v[6:7], v[12:13], v[6:7] neg_lo:[0,1] neg_hi:[0,1]
	v_mov_b32_e32 v20, v16
	v_pk_add_f32 v[8:9], v[20:21], v[6:7]
	v_mov_b32_e32 v12, v9
	v_pk_add_f32 v[12:13], v[8:9], v[12:13]
	v_pk_add_f32 v[10:11], v[10:11], v[12:13]
	v_mov_b32_e32 v9, v10
	v_pk_add_f32 v[14:15], v[8:9], v[16:17] neg_lo:[0,1] neg_hi:[0,1]
	v_mov_b32_e32 v7, v12
	v_sub_f32_e32 v3, v8, v14
	v_pk_add_f32 v[6:7], v[6:7], v[14:15] neg_lo:[0,1] neg_hi:[0,1]
	v_sub_f32_e32 v3, v16, v3
	v_add_f32_e32 v3, v6, v3
	v_add_f32_e32 v3, v3, v7
	s_mov_b32 s8, 0x7f800000
	v_add_f32_e32 v3, v10, v3
	v_cmp_eq_f32_e32 vcc, s8, v4
	v_cndmask_b32_e32 v3, v3, v4, vcc
	v_mov_b32_e32 v5, 0x7fc00000
	v_cmp_ngt_f32_e32 vcc, -1.0, v4
	v_cndmask_b32_e32 v3, v5, v3, vcc
	v_mov_b32_e32 v5, 0xff800000
	v_cmp_neq_f32_e32 vcc, -1.0, v4
	s_mov_b32 s8, 0x33800000
	v_cndmask_b32_e32 v3, v5, v3, vcc
	v_cmp_lt_f32_e64 vcc, |v4|, s8
	v_cndmask_b32_e32 v3, v3, v4, vcc
	v_mul_f32_e32 v3, 0.5, v3
.LBB265_44:
	s_or_b64 exec, exec, s[6:7]
.LBB265_45:
	s_or_b64 exec, exec, s[4:5]
	v_max_f32_e64 v6, |v0|, |v0|
	v_max_f32_e64 v7, |v1|, |v1|
	v_min_f32_e32 v6, v7, v6
	v_frexp_mant_f32_e32 v7, v2
	v_rcp_f32_e32 v7, v7
	v_frexp_exp_i32_f32_e32 v2, v2
	v_frexp_exp_i32_f32_e32 v8, v6
	v_frexp_mant_f32_e32 v6, v6
	v_mul_f32_e32 v6, v6, v7
	v_sub_u32_e32 v2, v8, v2
	v_ldexp_f32 v2, v6, v2
	v_mul_f32_e32 v6, v2, v2
	v_mov_b32_e32 v7, 0xbc7a590c
	v_fmac_f32_e32 v7, 0x3b2d2a58, v6
	v_mov_b32_e32 v8, 0x3d29fb3f
	v_fmac_f32_e32 v8, v6, v7
	v_mov_b32_e32 v7, 0xbd97d4d7
	v_fmac_f32_e32 v7, v6, v8
	v_mov_b32_e32 v8, 0x3dd931b2
	v_fmac_f32_e32 v8, v6, v7
	v_mov_b32_e32 v7, 0xbe1160e6
	v_fmac_f32_e32 v7, v6, v8
	v_mov_b32_e32 v8, 0x3e4cb8bf
	v_fmac_f32_e32 v8, v6, v7
	v_mov_b32_e32 v7, 0xbeaaaa62
	v_fmac_f32_e32 v7, v6, v8
	s_movk_i32 s4, 0x204
	v_mov_b32_e32 v4, 0x3f490fdb
	v_mov_b32_e32 v5, 0x4016cbe4
	v_cmp_gt_f32_e32 vcc, 0, v1
	v_mul_f32_e32 v6, v6, v7
	v_cmp_class_f32_e64 s[6:7], v0, s4
	v_cmp_class_f32_e64 s[8:9], v1, s4
	v_cndmask_b32_e32 v4, v4, v5, vcc
	v_mov_b32_e32 v5, 0x40490fdb
	v_cmp_gt_i32_e64 s[4:5], 0, v1
	v_fmac_f32_e32 v2, v2, v6
	v_cndmask_b32_e64 v5, 0, v5, s[4:5]
	v_sub_f32_e32 v6, 0x3fc90fdb, v2
	v_cmp_gt_f32_e64 s[4:5], |v0|, |v1|
	v_cndmask_b32_e64 v2, v2, v6, s[4:5]
	v_sub_f32_e32 v6, 0x40490fdb, v2
	v_cndmask_b32_e32 v2, v2, v6, vcc
	v_cmp_eq_f32_e32 vcc, 0, v0
	v_cndmask_b32_e32 v2, v2, v5, vcc
	s_and_b64 vcc, s[6:7], s[8:9]
	v_cndmask_b32_e32 v2, v2, v4, vcc
	v_mov_b32_e32 v4, 0x7fc00000
	v_cmp_o_f32_e32 vcc, v1, v0
	v_cndmask_b32_e32 v1, v4, v2, vcc
	s_brev_b32 s4, -2
	v_bfi_b32 v2, s4, v1, v0
.LBB265_46:
	s_or_b64 exec, exec, s[14:15]
.LBB265_47:
	s_or_b64 exec, exec, s[12:13]
	v_pk_mov_b32 v[8:9], v[2:3], v[2:3] op_sel:[0,1]
.LBB265_48:
	s_or_b64 exec, exec, s[10:11]
	v_mov_b32_e32 v0, v9
	v_mov_b32_e32 v1, v8
	s_setpc_b64 s[30:31]
.Lfunc_end265:
	.size	_ZZZZN2at6native31launch_logcumsumexp_cuda_kernelERKNS_10TensorBaseES3_lENKUlvE_clEvENKUlvE2_clEvENKUlN3c107complexIfEES8_E_clES8_S8_, .Lfunc_end265-_ZZZZN2at6native31launch_logcumsumexp_cuda_kernelERKNS_10TensorBaseES3_lENKUlvE_clEvENKUlvE2_clEvENKUlN3c107complexIfEES8_E_clES8_S8_
                                        ; -- End function
	.section	.AMDGPU.csdata,"",@progbits
; Function info:
; codeLenInByte = 7948
; NumSgprs: 36
; NumVgprs: 27
; NumAgprs: 0
; TotalNumVgprs: 27
; ScratchSize: 0
; MemoryBound: 0
	.section	.text._ZN7rocprim17ROCPRIM_400000_NS6detail17trampoline_kernelINS0_14default_configENS1_20scan_config_selectorIN3c107complexIfEEEEZZNS1_9scan_implILNS1_25lookback_scan_determinismE0ELb0ELb0ES3_PKS7_PS7_S7_ZZZN2at6native31launch_logcumsumexp_cuda_kernelERKNSE_10TensorBaseESI_lENKUlvE_clEvENKUlvE2_clEvEUlS7_S7_E_S7_EEDaPvRmT3_T4_T5_mT6_P12ihipStream_tbENKUlT_T0_E_clISt17integral_constantIbLb0EESZ_EEDaSU_SV_EUlSU_E_NS1_11comp_targetILNS1_3genE4ELNS1_11target_archE910ELNS1_3gpuE8ELNS1_3repE0EEENS1_30default_config_static_selectorELNS0_4arch9wavefront6targetE1EEEvT1_,"axG",@progbits,_ZN7rocprim17ROCPRIM_400000_NS6detail17trampoline_kernelINS0_14default_configENS1_20scan_config_selectorIN3c107complexIfEEEEZZNS1_9scan_implILNS1_25lookback_scan_determinismE0ELb0ELb0ES3_PKS7_PS7_S7_ZZZN2at6native31launch_logcumsumexp_cuda_kernelERKNSE_10TensorBaseESI_lENKUlvE_clEvENKUlvE2_clEvEUlS7_S7_E_S7_EEDaPvRmT3_T4_T5_mT6_P12ihipStream_tbENKUlT_T0_E_clISt17integral_constantIbLb0EESZ_EEDaSU_SV_EUlSU_E_NS1_11comp_targetILNS1_3genE4ELNS1_11target_archE910ELNS1_3gpuE8ELNS1_3repE0EEENS1_30default_config_static_selectorELNS0_4arch9wavefront6targetE1EEEvT1_,comdat
	.globl	_ZN7rocprim17ROCPRIM_400000_NS6detail17trampoline_kernelINS0_14default_configENS1_20scan_config_selectorIN3c107complexIfEEEEZZNS1_9scan_implILNS1_25lookback_scan_determinismE0ELb0ELb0ES3_PKS7_PS7_S7_ZZZN2at6native31launch_logcumsumexp_cuda_kernelERKNSE_10TensorBaseESI_lENKUlvE_clEvENKUlvE2_clEvEUlS7_S7_E_S7_EEDaPvRmT3_T4_T5_mT6_P12ihipStream_tbENKUlT_T0_E_clISt17integral_constantIbLb0EESZ_EEDaSU_SV_EUlSU_E_NS1_11comp_targetILNS1_3genE4ELNS1_11target_archE910ELNS1_3gpuE8ELNS1_3repE0EEENS1_30default_config_static_selectorELNS0_4arch9wavefront6targetE1EEEvT1_ ; -- Begin function _ZN7rocprim17ROCPRIM_400000_NS6detail17trampoline_kernelINS0_14default_configENS1_20scan_config_selectorIN3c107complexIfEEEEZZNS1_9scan_implILNS1_25lookback_scan_determinismE0ELb0ELb0ES3_PKS7_PS7_S7_ZZZN2at6native31launch_logcumsumexp_cuda_kernelERKNSE_10TensorBaseESI_lENKUlvE_clEvENKUlvE2_clEvEUlS7_S7_E_S7_EEDaPvRmT3_T4_T5_mT6_P12ihipStream_tbENKUlT_T0_E_clISt17integral_constantIbLb0EESZ_EEDaSU_SV_EUlSU_E_NS1_11comp_targetILNS1_3genE4ELNS1_11target_archE910ELNS1_3gpuE8ELNS1_3repE0EEENS1_30default_config_static_selectorELNS0_4arch9wavefront6targetE1EEEvT1_
	.p2align	8
	.type	_ZN7rocprim17ROCPRIM_400000_NS6detail17trampoline_kernelINS0_14default_configENS1_20scan_config_selectorIN3c107complexIfEEEEZZNS1_9scan_implILNS1_25lookback_scan_determinismE0ELb0ELb0ES3_PKS7_PS7_S7_ZZZN2at6native31launch_logcumsumexp_cuda_kernelERKNSE_10TensorBaseESI_lENKUlvE_clEvENKUlvE2_clEvEUlS7_S7_E_S7_EEDaPvRmT3_T4_T5_mT6_P12ihipStream_tbENKUlT_T0_E_clISt17integral_constantIbLb0EESZ_EEDaSU_SV_EUlSU_E_NS1_11comp_targetILNS1_3genE4ELNS1_11target_archE910ELNS1_3gpuE8ELNS1_3repE0EEENS1_30default_config_static_selectorELNS0_4arch9wavefront6targetE1EEEvT1_,@function
_ZN7rocprim17ROCPRIM_400000_NS6detail17trampoline_kernelINS0_14default_configENS1_20scan_config_selectorIN3c107complexIfEEEEZZNS1_9scan_implILNS1_25lookback_scan_determinismE0ELb0ELb0ES3_PKS7_PS7_S7_ZZZN2at6native31launch_logcumsumexp_cuda_kernelERKNSE_10TensorBaseESI_lENKUlvE_clEvENKUlvE2_clEvEUlS7_S7_E_S7_EEDaPvRmT3_T4_T5_mT6_P12ihipStream_tbENKUlT_T0_E_clISt17integral_constantIbLb0EESZ_EEDaSU_SV_EUlSU_E_NS1_11comp_targetILNS1_3genE4ELNS1_11target_archE910ELNS1_3gpuE8ELNS1_3repE0EEENS1_30default_config_static_selectorELNS0_4arch9wavefront6targetE1EEEvT1_: ; @_ZN7rocprim17ROCPRIM_400000_NS6detail17trampoline_kernelINS0_14default_configENS1_20scan_config_selectorIN3c107complexIfEEEEZZNS1_9scan_implILNS1_25lookback_scan_determinismE0ELb0ELb0ES3_PKS7_PS7_S7_ZZZN2at6native31launch_logcumsumexp_cuda_kernelERKNSE_10TensorBaseESI_lENKUlvE_clEvENKUlvE2_clEvEUlS7_S7_E_S7_EEDaPvRmT3_T4_T5_mT6_P12ihipStream_tbENKUlT_T0_E_clISt17integral_constantIbLb0EESZ_EEDaSU_SV_EUlSU_E_NS1_11comp_targetILNS1_3genE4ELNS1_11target_archE910ELNS1_3gpuE8ELNS1_3repE0EEENS1_30default_config_static_selectorELNS0_4arch9wavefront6targetE1EEEvT1_
; %bb.0:
	s_mov_b64 s[20:21], s[4:5]
	s_load_dwordx8 s[36:43], s[4:5], 0x0
	s_nop 0
	s_load_dword s4, s[4:5], 0x38
	s_add_u32 flat_scratch_lo, s6, s9
	s_addc_u32 flat_scratch_hi, s7, 0
	s_add_u32 s0, s0, s9
	s_addc_u32 s1, s1, 0
	s_waitcnt lgkmcnt(0)
	s_lshl_b64 s[38:39], s[38:39], 3
	s_add_u32 s6, s36, s38
	s_mov_b32 s28, s8
	s_addc_u32 s7, s37, s39
	s_add_i32 s8, s4, -1
	s_mul_i32 s9, s8, 0x380
	s_sub_u32 s29, s42, s9
	s_subb_u32 s33, s43, 0
	s_mov_b32 s5, 0
	s_mul_i32 s4, s28, 0x380
	s_cmp_lg_u32 s28, s8
	s_cselect_b64 s[34:35], -1, 0
	s_lshl_b64 s[36:37], s[4:5], 3
	v_mov_b32_e32 v48, v0
	s_add_u32 s6, s6, s36
	s_addc_u32 s7, s7, s37
	s_mov_b64 s[4:5], -1
	s_and_b64 vcc, exec, s[34:35]
	v_lshlrev_b32_e32 v63, 3, v48
	s_mov_b32 s32, 0
	s_cbranch_vccz .LBB266_2
; %bb.1:
	v_mov_b32_e32 v0, s7
	v_add_co_u32_e32 v8, vcc, s6, v63
	v_addc_co_u32_e32 v9, vcc, 0, v0, vcc
	v_add_co_u32_e32 v8, vcc, 0x1000, v8
	v_addc_co_u32_e32 v9, vcc, 0, v9, vcc
	global_load_dwordx2 v[0:1], v63, s[6:7]
	global_load_dwordx2 v[2:3], v63, s[6:7] offset:1024
	global_load_dwordx2 v[4:5], v63, s[6:7] offset:2048
	;; [unrolled: 1-line block ×3, first 2 shown]
	global_load_dwordx2 v[10:11], v[8:9], off
	global_load_dwordx2 v[12:13], v[8:9], off offset:1024
	global_load_dwordx2 v[14:15], v[8:9], off offset:2048
	s_mov_b64 s[4:5], 0
	s_waitcnt vmcnt(5)
	ds_write2st64_b64 v63, v[0:1], v[2:3] offset1:2
	s_waitcnt vmcnt(3)
	ds_write2st64_b64 v63, v[4:5], v[6:7] offset0:4 offset1:6
	s_waitcnt vmcnt(1)
	ds_write2st64_b64 v63, v[10:11], v[12:13] offset0:8 offset1:10
	s_waitcnt vmcnt(0)
	ds_write_b64 v63, v[14:15] offset:6144
	s_waitcnt lgkmcnt(0)
	s_barrier
.LBB266_2:
	s_load_dwordx2 s[42:43], s[20:21], 0x30
	s_andn2_b64 vcc, exec, s[4:5]
	v_cmp_gt_u32_e64 s[4:5], s29, v48
	s_cbranch_vccnz .LBB266_18
; %bb.3:
	s_load_dwordx2 s[8:9], s[6:7], 0x0
	s_waitcnt lgkmcnt(0)
	v_pk_mov_b32 v[0:1], s[8:9], s[8:9] op_sel:[0,1]
	s_and_saveexec_b64 s[10:11], s[4:5]
	s_cbranch_execz .LBB266_5
; %bb.4:
	global_load_dwordx2 v[0:1], v63, s[6:7]
.LBB266_5:
	s_or_b64 exec, exec, s[10:11]
	v_or_b32_e32 v2, 0x80, v48
	v_cmp_gt_u32_e32 vcc, s29, v2
	v_pk_mov_b32 v[2:3], s[8:9], s[8:9] op_sel:[0,1]
	s_and_saveexec_b64 s[4:5], vcc
	s_cbranch_execz .LBB266_7
; %bb.6:
	global_load_dwordx2 v[2:3], v63, s[6:7] offset:1024
.LBB266_7:
	s_or_b64 exec, exec, s[4:5]
	v_or_b32_e32 v4, 0x100, v48
	v_cmp_gt_u32_e32 vcc, s29, v4
	v_pk_mov_b32 v[4:5], s[8:9], s[8:9] op_sel:[0,1]
	s_and_saveexec_b64 s[4:5], vcc
	s_cbranch_execz .LBB266_9
; %bb.8:
	global_load_dwordx2 v[4:5], v63, s[6:7] offset:2048
.LBB266_9:
	s_or_b64 exec, exec, s[4:5]
	v_or_b32_e32 v6, 0x180, v48
	v_cmp_gt_u32_e32 vcc, s29, v6
	v_pk_mov_b32 v[6:7], s[8:9], s[8:9] op_sel:[0,1]
	s_and_saveexec_b64 s[4:5], vcc
	s_cbranch_execz .LBB266_11
; %bb.10:
	global_load_dwordx2 v[6:7], v63, s[6:7] offset:3072
.LBB266_11:
	s_or_b64 exec, exec, s[4:5]
	v_or_b32_e32 v10, 0x200, v48
	v_cmp_gt_u32_e32 vcc, s29, v10
	v_pk_mov_b32 v[8:9], s[8:9], s[8:9] op_sel:[0,1]
	s_and_saveexec_b64 s[4:5], vcc
	s_cbranch_execz .LBB266_13
; %bb.12:
	v_lshlrev_b32_e32 v8, 3, v10
	global_load_dwordx2 v[8:9], v8, s[6:7]
.LBB266_13:
	s_or_b64 exec, exec, s[4:5]
	v_or_b32_e32 v12, 0x280, v48
	v_cmp_gt_u32_e32 vcc, s29, v12
	v_pk_mov_b32 v[10:11], s[8:9], s[8:9] op_sel:[0,1]
	s_and_saveexec_b64 s[4:5], vcc
	s_cbranch_execz .LBB266_15
; %bb.14:
	v_lshlrev_b32_e32 v10, 3, v12
	global_load_dwordx2 v[10:11], v10, s[6:7]
.LBB266_15:
	;; [unrolled: 10-line block ×3, first 2 shown]
	s_or_b64 exec, exec, s[4:5]
	s_waitcnt vmcnt(0)
	ds_write2st64_b64 v63, v[0:1], v[2:3] offset1:2
	ds_write2st64_b64 v63, v[4:5], v[6:7] offset0:4 offset1:6
	ds_write2st64_b64 v63, v[8:9], v[10:11] offset0:8 offset1:10
	ds_write_b64 v63, v[12:13] offset:6144
	s_waitcnt lgkmcnt(0)
	s_barrier
.LBB266_18:
	v_mul_u32_u24_e32 v62, 7, v48
	v_lshlrev_b32_e32 v64, 3, v62
	s_waitcnt lgkmcnt(0)
	ds_read2_b64 v[28:31], v64 offset1:1
	ds_read2_b64 v[36:39], v64 offset0:2 offset1:3
	ds_read2_b64 v[32:35], v64 offset0:4 offset1:5
	ds_read_b64 v[50:51], v64 offset:48
	s_cmp_lg_u32 s28, 0
	s_waitcnt lgkmcnt(0)
	s_barrier
	s_cbranch_scc0 .LBB266_76
; %bb.19:
	v_mov_b32_e32 v0, v28
	v_mov_b32_e32 v1, v29
	;; [unrolled: 1-line block ×4, first 2 shown]
	s_getpc_b64 s[24:25]
	s_add_u32 s24, s24, _ZZZZN2at6native31launch_logcumsumexp_cuda_kernelERKNS_10TensorBaseES3_lENKUlvE_clEvENKUlvE2_clEvENKUlN3c107complexIfEES8_E_clES8_S8_@rel32@lo+4
	s_addc_u32 s25, s25, _ZZZZN2at6native31launch_logcumsumexp_cuda_kernelERKNS_10TensorBaseES3_lENKUlvE_clEvENKUlvE2_clEvENKUlN3c107complexIfEES8_E_clES8_S8_@rel32@hi+12
	s_swappc_b64 s[30:31], s[24:25]
	v_mov_b32_e32 v2, v36
	v_mov_b32_e32 v3, v37
	s_swappc_b64 s[30:31], s[24:25]
	v_mov_b32_e32 v2, v38
	v_mov_b32_e32 v3, v39
	;; [unrolled: 3-line block ×5, first 2 shown]
	s_swappc_b64 s[30:31], s[24:25]
	v_mov_b32_e32 v52, v0
	v_lshrrev_b32_e32 v0, 5, v48
	v_mov_b32_e32 v53, v1
	v_add_lshl_u32 v0, v0, v48, 3
	v_cmp_gt_u32_e64 s[26:27], 64, v48
	ds_write_b64 v0, v[52:53]
	s_waitcnt lgkmcnt(0)
	s_barrier
	s_and_saveexec_b64 s[22:23], s[26:27]
	s_cbranch_execz .LBB266_33
; %bb.20:
	v_lshlrev_b32_e32 v0, 1, v48
	v_lshrrev_b32_e32 v1, 4, v48
	v_add_lshl_u32 v27, v1, v0, 3
	ds_read2_b64 v[40:43], v27 offset1:1
	s_waitcnt lgkmcnt(0)
	v_mov_b32_e32 v0, v40
	v_mov_b32_e32 v1, v41
	;; [unrolled: 1-line block ×4, first 2 shown]
	s_swappc_b64 s[30:31], s[24:25]
	v_mov_b32_e32 v2, v0
	v_mbcnt_lo_u32_b32 v0, -1, 0
	v_mbcnt_hi_u32_b32 v42, -1, v0
	v_mov_b32_e32 v3, v1
	v_and_b32_e32 v43, 15, v42
	v_mov_b32_dpp v0, v2 row_shr:1 row_mask:0xf bank_mask:0xf
	v_mov_b32_dpp v1, v3 row_shr:1 row_mask:0xf bank_mask:0xf
	v_cmp_ne_u32_e32 vcc, 0, v43
	s_and_saveexec_b64 s[24:25], vcc
	s_cbranch_execz .LBB266_22
; %bb.21:
	s_getpc_b64 s[4:5]
	s_add_u32 s4, s4, _ZZZZN2at6native31launch_logcumsumexp_cuda_kernelERKNS_10TensorBaseES3_lENKUlvE_clEvENKUlvE2_clEvENKUlN3c107complexIfEES8_E_clES8_S8_@rel32@lo+4
	s_addc_u32 s5, s5, _ZZZZN2at6native31launch_logcumsumexp_cuda_kernelERKNS_10TensorBaseES3_lENKUlvE_clEvENKUlvE2_clEvENKUlN3c107complexIfEES8_E_clES8_S8_@rel32@hi+12
	s_swappc_b64 s[30:31], s[4:5]
	v_mov_b32_e32 v2, v0
	v_mov_b32_e32 v3, v1
.LBB266_22:
	s_or_b64 exec, exec, s[24:25]
	v_mov_b32_dpp v0, v2 row_shr:2 row_mask:0xf bank_mask:0xf
	v_mov_b32_dpp v1, v3 row_shr:2 row_mask:0xf bank_mask:0xf
	v_cmp_lt_u32_e32 vcc, 1, v43
	s_and_saveexec_b64 s[24:25], vcc
	s_cbranch_execz .LBB266_24
; %bb.23:
	s_getpc_b64 s[4:5]
	s_add_u32 s4, s4, _ZZZZN2at6native31launch_logcumsumexp_cuda_kernelERKNS_10TensorBaseES3_lENKUlvE_clEvENKUlvE2_clEvENKUlN3c107complexIfEES8_E_clES8_S8_@rel32@lo+4
	s_addc_u32 s5, s5, _ZZZZN2at6native31launch_logcumsumexp_cuda_kernelERKNS_10TensorBaseES3_lENKUlvE_clEvENKUlvE2_clEvENKUlN3c107complexIfEES8_E_clES8_S8_@rel32@hi+12
	s_swappc_b64 s[30:31], s[4:5]
	v_mov_b32_e32 v2, v0
	v_mov_b32_e32 v3, v1
.LBB266_24:
	s_or_b64 exec, exec, s[24:25]
	v_mov_b32_dpp v0, v2 row_shr:4 row_mask:0xf bank_mask:0xf
	v_mov_b32_dpp v1, v3 row_shr:4 row_mask:0xf bank_mask:0xf
	v_cmp_lt_u32_e32 vcc, 3, v43
	s_and_saveexec_b64 s[24:25], vcc
	s_cbranch_execz .LBB266_26
; %bb.25:
	s_getpc_b64 s[4:5]
	s_add_u32 s4, s4, _ZZZZN2at6native31launch_logcumsumexp_cuda_kernelERKNS_10TensorBaseES3_lENKUlvE_clEvENKUlvE2_clEvENKUlN3c107complexIfEES8_E_clES8_S8_@rel32@lo+4
	s_addc_u32 s5, s5, _ZZZZN2at6native31launch_logcumsumexp_cuda_kernelERKNS_10TensorBaseES3_lENKUlvE_clEvENKUlvE2_clEvENKUlN3c107complexIfEES8_E_clES8_S8_@rel32@hi+12
	s_swappc_b64 s[30:31], s[4:5]
	v_mov_b32_e32 v2, v0
	v_mov_b32_e32 v3, v1
.LBB266_26:
	s_or_b64 exec, exec, s[24:25]
	v_mov_b32_dpp v0, v2 row_shr:8 row_mask:0xf bank_mask:0xf
	v_mov_b32_dpp v1, v3 row_shr:8 row_mask:0xf bank_mask:0xf
	v_cmp_lt_u32_e32 vcc, 7, v43
	s_and_saveexec_b64 s[24:25], vcc
	s_cbranch_execz .LBB266_28
; %bb.27:
	s_getpc_b64 s[4:5]
	s_add_u32 s4, s4, _ZZZZN2at6native31launch_logcumsumexp_cuda_kernelERKNS_10TensorBaseES3_lENKUlvE_clEvENKUlvE2_clEvENKUlN3c107complexIfEES8_E_clES8_S8_@rel32@lo+4
	s_addc_u32 s5, s5, _ZZZZN2at6native31launch_logcumsumexp_cuda_kernelERKNS_10TensorBaseES3_lENKUlvE_clEvENKUlvE2_clEvENKUlN3c107complexIfEES8_E_clES8_S8_@rel32@hi+12
	s_swappc_b64 s[30:31], s[4:5]
	v_mov_b32_e32 v2, v0
	v_mov_b32_e32 v3, v1
.LBB266_28:
	s_or_b64 exec, exec, s[24:25]
	v_and_b32_e32 v4, 16, v42
	v_mov_b32_dpp v0, v2 row_bcast:15 row_mask:0xf bank_mask:0xf
	v_mov_b32_dpp v1, v3 row_bcast:15 row_mask:0xf bank_mask:0xf
	v_cmp_ne_u32_e32 vcc, 0, v4
	s_and_saveexec_b64 s[24:25], vcc
	s_cbranch_execz .LBB266_30
; %bb.29:
	s_getpc_b64 s[4:5]
	s_add_u32 s4, s4, _ZZZZN2at6native31launch_logcumsumexp_cuda_kernelERKNS_10TensorBaseES3_lENKUlvE_clEvENKUlvE2_clEvENKUlN3c107complexIfEES8_E_clES8_S8_@rel32@lo+4
	s_addc_u32 s5, s5, _ZZZZN2at6native31launch_logcumsumexp_cuda_kernelERKNS_10TensorBaseES3_lENKUlvE_clEvENKUlvE2_clEvENKUlN3c107complexIfEES8_E_clES8_S8_@rel32@hi+12
	s_swappc_b64 s[30:31], s[4:5]
	v_mov_b32_e32 v2, v0
	v_mov_b32_e32 v3, v1
.LBB266_30:
	s_or_b64 exec, exec, s[24:25]
	v_mov_b32_dpp v0, v2 row_bcast:31 row_mask:0xf bank_mask:0xf
	v_mov_b32_dpp v1, v3 row_bcast:31 row_mask:0xf bank_mask:0xf
	v_cmp_lt_u32_e32 vcc, 31, v42
	s_and_saveexec_b64 s[24:25], vcc
	s_cbranch_execz .LBB266_32
; %bb.31:
	s_getpc_b64 s[4:5]
	s_add_u32 s4, s4, _ZZZZN2at6native31launch_logcumsumexp_cuda_kernelERKNS_10TensorBaseES3_lENKUlvE_clEvENKUlvE2_clEvENKUlN3c107complexIfEES8_E_clES8_S8_@rel32@lo+4
	s_addc_u32 s5, s5, _ZZZZN2at6native31launch_logcumsumexp_cuda_kernelERKNS_10TensorBaseES3_lENKUlvE_clEvENKUlvE2_clEvENKUlN3c107complexIfEES8_E_clES8_S8_@rel32@hi+12
	s_swappc_b64 s[30:31], s[4:5]
	v_mov_b32_e32 v2, v0
	v_mov_b32_e32 v3, v1
.LBB266_32:
	s_or_b64 exec, exec, s[24:25]
	v_add_u32_e32 v0, -1, v42
	v_and_b32_e32 v1, 64, v42
	v_cmp_lt_i32_e32 vcc, v0, v1
	v_cndmask_b32_e32 v0, v0, v42, vcc
	v_lshlrev_b32_e32 v1, 2, v0
	ds_bpermute_b32 v0, v1, v2
	ds_bpermute_b32 v1, v1, v3
	v_mov_b32_e32 v2, v40
	v_mov_b32_e32 v3, v41
	s_getpc_b64 s[24:25]
	s_add_u32 s24, s24, _ZZZZN2at6native31launch_logcumsumexp_cuda_kernelERKNS_10TensorBaseES3_lENKUlvE_clEvENKUlvE2_clEvENKUlN3c107complexIfEES8_E_clES8_S8_@rel32@lo+4
	s_addc_u32 s25, s25, _ZZZZN2at6native31launch_logcumsumexp_cuda_kernelERKNS_10TensorBaseES3_lENKUlvE_clEvENKUlvE2_clEvENKUlN3c107complexIfEES8_E_clES8_S8_@rel32@hi+12
	s_swappc_b64 s[30:31], s[24:25]
	v_cmp_eq_u32_e32 vcc, 0, v48
	v_cndmask_b32_e32 v0, v0, v52, vcc
	v_cndmask_b32_e32 v1, v1, v53, vcc
	; wave barrier
	ds_write_b64 v27, v[0:1]
	; wave barrier
	ds_read_b64 v[2:3], v27 offset:8
	s_swappc_b64 s[30:31], s[24:25]
	ds_write_b64 v27, v[0:1] offset:8
.LBB266_33:
	s_or_b64 exec, exec, s[22:23]
	v_cmp_eq_u32_e64 s[24:25], 0, v48
	v_cmp_ne_u32_e64 s[22:23], 0, v48
	s_waitcnt lgkmcnt(0)
	s_barrier
	s_and_saveexec_b64 s[4:5], s[22:23]
	s_cbranch_execz .LBB266_35
; %bb.34:
	v_add_u32_e32 v0, -1, v48
	v_lshrrev_b32_e32 v1, 5, v0
	v_add_lshl_u32 v0, v1, v0, 3
	ds_read_b64 v[52:53], v0
.LBB266_35:
	s_or_b64 exec, exec, s[4:5]
	s_and_saveexec_b64 s[44:45], s[26:27]
	s_cbranch_execz .LBB266_81
; %bb.36:
	v_mov_b32_e32 v43, 0
	ds_read_b64 v[40:41], v43 offset:1040
	v_mbcnt_lo_u32_b32 v0, -1, 0
	v_mbcnt_hi_u32_b32 v55, -1, v0
	s_mov_b32 s7, 0
	v_cmp_eq_u32_e64 s[26:27], 0, v55
	s_waitcnt lgkmcnt(0)
	v_readfirstlane_b32 s52, v41
	s_and_saveexec_b64 s[4:5], s[26:27]
	s_cbranch_execz .LBB266_38
; %bb.37:
	s_add_i32 s6, s28, 64
	s_lshl_b64 s[8:9], s[6:7], 4
	s_add_u32 s8, s42, s8
	s_addc_u32 s9, s43, s9
	s_and_b32 s11, s52, 0xff000000
	s_mov_b32 s10, s7
	s_and_b32 s13, s52, 0xff0000
	s_mov_b32 s12, s7
	s_or_b64 s[10:11], s[12:13], s[10:11]
	s_and_b32 s13, s52, 0xff00
	s_or_b64 s[10:11], s[10:11], s[12:13]
	s_and_b32 s13, s52, 0xff
	s_or_b64 s[6:7], s[10:11], s[12:13]
	v_mov_b32_e32 v41, s7
	v_mov_b32_e32 v42, 1
	v_pk_mov_b32 v[0:1], s[8:9], s[8:9] op_sel:[0,1]
	;;#ASMSTART
	global_store_dwordx4 v[0:1], v[40:43] off	
s_waitcnt vmcnt(0)
	;;#ASMEND
.LBB266_38:
	s_or_b64 exec, exec, s[4:5]
	v_xad_u32 v54, v55, -1, s28
	v_add_u32_e32 v42, 64, v54
	v_lshlrev_b64 v[0:1], 4, v[42:43]
	v_mov_b32_e32 v2, s43
	v_add_co_u32_e32 v0, vcc, s42, v0
	s_mov_b32 s4, 0x1000706
	v_addc_co_u32_e32 v1, vcc, v2, v1, vcc
	;;#ASMSTART
	global_load_dwordx4 v[44:47], v[0:1] off glc	
s_waitcnt vmcnt(0)
	;;#ASMEND
	v_perm_b32 v2, v45, v46, s4
	v_lshlrev_b32_e32 v2, 16, v2
	s_mov_b32 s4, 0x7020504
	v_perm_b32 v27, v45, v2, s4
	s_mov_b32 s4, 0x3060504
	v_perm_b32 v45, v44, v44, s4
	v_cmp_eq_u16_sdwa s[6:7], v46, v43 src0_sel:BYTE_0 src1_sel:DWORD
	s_and_saveexec_b64 s[4:5], s[6:7]
	s_cbranch_execz .LBB266_42
; %bb.39:
	s_mov_b64 s[6:7], 0
	v_mov_b32_e32 v2, 0
.LBB266_40:                             ; =>This Inner Loop Header: Depth=1
	;;#ASMSTART
	global_load_dwordx4 v[44:47], v[0:1] off glc	
s_waitcnt vmcnt(0)
	;;#ASMEND
	v_cmp_ne_u16_sdwa s[8:9], v46, v2 src0_sel:BYTE_0 src1_sel:DWORD
	s_or_b64 s[6:7], s[8:9], s[6:7]
	s_andn2_b64 exec, exec, s[6:7]
	s_cbranch_execnz .LBB266_40
; %bb.41:
	s_or_b64 exec, exec, s[6:7]
	s_mov_b32 s6, 0x2010007
	v_perm_b32 v0, v45, v46, s6
	s_mov_b32 s6, 0x1000706
	v_perm_b32 v1, v45, v46, s6
	v_lshlrev_b32_e32 v1, 16, v1
	s_mov_b32 s6, 0xc060100
	v_perm_b32 v1, v1, v45, s6
	s_mov_b32 s6, 0x3020504
	v_lshl_or_b32 v27, v0, 24, v1
	v_perm_b32 v45, v44, v44, s6
.LBB266_42:
	s_or_b64 exec, exec, s[4:5]
	v_mov_b32_e32 v0, 2
	v_cmp_eq_u16_sdwa s[4:5], v46, v0 src0_sel:BYTE_0 src1_sel:DWORD
	v_lshlrev_b64 v[56:57], v55, -1
	v_and_b32_e32 v0, s5, v57
	v_and_b32_e32 v49, 63, v55
	v_or_b32_e32 v0, 0x80000000, v0
	v_cmp_ne_u32_e32 vcc, 63, v49
	v_ffbl_b32_e32 v3, v0
	v_addc_co_u32_e32 v0, vcc, 0, v55, vcc
	v_lshlrev_b32_e32 v58, 2, v0
	ds_bpermute_b32 v0, v58, v45
	ds_bpermute_b32 v1, v58, v27
	v_and_b32_e32 v2, s4, v56
	v_add_u32_e32 v3, 32, v3
	v_ffbl_b32_e32 v2, v2
	v_min_u32_e32 v42, v2, v3
	v_cmp_lt_u32_e32 vcc, v49, v42
	s_and_saveexec_b64 s[46:47], vcc
	s_cbranch_execz .LBB266_44
; %bb.43:
	v_mov_b32_e32 v2, v45
	v_mov_b32_e32 v3, v27
	s_getpc_b64 s[4:5]
	s_add_u32 s4, s4, _ZZZZN2at6native31launch_logcumsumexp_cuda_kernelERKNS_10TensorBaseES3_lENKUlvE_clEvENKUlvE2_clEvENKUlN3c107complexIfEES8_E_clES8_S8_@rel32@lo+4
	s_addc_u32 s5, s5, _ZZZZN2at6native31launch_logcumsumexp_cuda_kernelERKNS_10TensorBaseES3_lENKUlvE_clEvENKUlvE2_clEvENKUlN3c107complexIfEES8_E_clES8_S8_@rel32@hi+12
	s_swappc_b64 s[30:31], s[4:5]
	v_mov_b32_e32 v45, v0
	v_mov_b32_e32 v27, v1
.LBB266_44:
	s_or_b64 exec, exec, s[46:47]
	v_cmp_gt_u32_e32 vcc, 62, v49
	s_waitcnt lgkmcnt(1)
	v_cndmask_b32_e64 v0, 0, 1, vcc
	v_lshlrev_b32_e32 v0, 1, v0
	v_add_lshl_u32 v59, v0, v55, 2
	ds_bpermute_b32 v0, v59, v45
	s_waitcnt lgkmcnt(1)
	ds_bpermute_b32 v1, v59, v27
	v_add_u32_e32 v60, 2, v49
	v_cmp_le_u32_e32 vcc, v60, v42
	s_and_saveexec_b64 s[46:47], vcc
	s_cbranch_execz .LBB266_46
; %bb.45:
	v_mov_b32_e32 v2, v45
	v_mov_b32_e32 v3, v27
	s_getpc_b64 s[4:5]
	s_add_u32 s4, s4, _ZZZZN2at6native31launch_logcumsumexp_cuda_kernelERKNS_10TensorBaseES3_lENKUlvE_clEvENKUlvE2_clEvENKUlN3c107complexIfEES8_E_clES8_S8_@rel32@lo+4
	s_addc_u32 s5, s5, _ZZZZN2at6native31launch_logcumsumexp_cuda_kernelERKNS_10TensorBaseES3_lENKUlvE_clEvENKUlvE2_clEvENKUlN3c107complexIfEES8_E_clES8_S8_@rel32@hi+12
	s_swappc_b64 s[30:31], s[4:5]
	v_mov_b32_e32 v45, v0
	v_mov_b32_e32 v27, v1
.LBB266_46:
	s_or_b64 exec, exec, s[46:47]
	v_cmp_gt_u32_e32 vcc, 60, v49
	s_waitcnt lgkmcnt(1)
	v_cndmask_b32_e64 v0, 0, 1, vcc
	v_lshlrev_b32_e32 v0, 2, v0
	v_add_lshl_u32 v61, v0, v55, 2
	ds_bpermute_b32 v0, v61, v45
	s_waitcnt lgkmcnt(1)
	ds_bpermute_b32 v1, v61, v27
	v_add_u32_e32 v65, 4, v49
	v_cmp_le_u32_e32 vcc, v65, v42
	;; [unrolled: 23-line block ×4, first 2 shown]
	s_and_saveexec_b64 s[46:47], vcc
	s_cbranch_execz .LBB266_52
; %bb.51:
	v_mov_b32_e32 v2, v45
	v_mov_b32_e32 v3, v27
	s_getpc_b64 s[4:5]
	s_add_u32 s4, s4, _ZZZZN2at6native31launch_logcumsumexp_cuda_kernelERKNS_10TensorBaseES3_lENKUlvE_clEvENKUlvE2_clEvENKUlN3c107complexIfEES8_E_clES8_S8_@rel32@lo+4
	s_addc_u32 s5, s5, _ZZZZN2at6native31launch_logcumsumexp_cuda_kernelERKNS_10TensorBaseES3_lENKUlvE_clEvENKUlvE2_clEvENKUlN3c107complexIfEES8_E_clES8_S8_@rel32@hi+12
	s_swappc_b64 s[30:31], s[4:5]
	v_mov_b32_e32 v45, v0
	v_mov_b32_e32 v27, v1
.LBB266_52:
	s_or_b64 exec, exec, s[46:47]
	v_cmp_gt_u32_e32 vcc, 32, v49
	s_waitcnt lgkmcnt(1)
	v_cndmask_b32_e64 v0, 0, 1, vcc
	v_lshlrev_b32_e32 v0, 5, v0
	v_add_lshl_u32 v71, v0, v55, 2
	ds_bpermute_b32 v44, v71, v45
	ds_bpermute_b32 v41, v71, v27
	v_add_u32_e32 v70, 32, v49
	v_cmp_gt_u32_e64 s[4:5], v70, v42
	s_mov_b64 s[46:47], 0
	v_mov_b32_e32 v55, 0
	s_mov_b32 s53, 0x70605
	s_mov_b32 s54, 0x1000706
	;; [unrolled: 1-line block ×4, first 2 shown]
	v_mov_b32_e32 v72, 2
	s_waitcnt lgkmcnt(2)
	v_mov_b32_e32 v1, v27
	v_mov_b32_e32 v0, v45
                                        ; implicit-def: $sgpr48_sgpr49
	s_branch .LBB266_55
.LBB266_53:                             ;   in Loop: Header=BB266_55 Depth=1
	s_or_b64 exec, exec, s[46:47]
	v_subrev_u32_e32 v54, 64, v54
	s_mov_b64 s[4:5], 0
.LBB266_54:                             ;   in Loop: Header=BB266_55 Depth=1
	s_and_b64 vcc, exec, s[4:5]
	s_mov_b64 s[46:47], 0
	v_mov_b32_e32 v27, v43
	v_mov_b32_e32 v45, v42
                                        ; implicit-def: $sgpr48_sgpr49
                                        ; implicit-def: $vgpr1
                                        ; implicit-def: $vgpr0
	s_cbranch_vccnz .LBB266_77
.LBB266_55:                             ; =>This Loop Header: Depth=1
                                        ;     Child Loop BB266_61 Depth 2
	s_waitcnt lgkmcnt(1)
	v_mov_b32_e32 v42, v0
	s_waitcnt lgkmcnt(0)
	v_mov_b32_e32 v43, v1
	s_xor_b64 s[8:9], s[4:5], -1
	s_or_b64 s[48:49], s[48:49], exec
                                        ; implicit-def: $sgpr6_sgpr7
                                        ; implicit-def: $vgpr0
                                        ; implicit-def: $vgpr1
	s_and_saveexec_b64 s[10:11], s[8:9]
	s_xor_b64 s[50:51], exec, s[10:11]
	s_cbranch_execz .LBB266_57
; %bb.56:                               ;   in Loop: Header=BB266_55 Depth=1
	s_waitcnt lgkmcnt(1)
	v_mov_b32_e32 v0, v44
	s_waitcnt lgkmcnt(0)
	v_mov_b32_e32 v1, v41
	v_mov_b32_e32 v2, v45
	;; [unrolled: 1-line block ×3, first 2 shown]
	s_getpc_b64 s[4:5]
	s_add_u32 s4, s4, _ZZZZN2at6native31launch_logcumsumexp_cuda_kernelERKNS_10TensorBaseES3_lENKUlvE_clEvENKUlvE2_clEvENKUlN3c107complexIfEES8_E_clES8_S8_@rel32@lo+4
	s_addc_u32 s5, s5, _ZZZZN2at6native31launch_logcumsumexp_cuda_kernelERKNS_10TensorBaseES3_lENKUlvE_clEvENKUlvE2_clEvENKUlN3c107complexIfEES8_E_clES8_S8_@rel32@hi+12
	s_swappc_b64 s[30:31], s[4:5]
	s_mov_b64 s[6:7], -1
	s_andn2_b64 s[48:49], s[48:49], exec
                                        ; implicit-def: $sgpr4_sgpr5
.LBB266_57:                             ;   in Loop: Header=BB266_55 Depth=1
	s_or_b64 exec, exec, s[50:51]
	s_and_b64 s[8:9], exec, s[48:49]
	s_or_b64 s[46:47], s[8:9], s[46:47]
	s_andn2_b64 s[4:5], s[4:5], exec
	s_and_b64 s[6:7], s[6:7], exec
	s_or_b64 s[4:5], s[4:5], s[6:7]
	s_andn2_b64 exec, exec, s[46:47]
	s_cbranch_execnz .LBB266_55
; %bb.58:                               ;   in Loop: Header=BB266_55 Depth=1
	s_or_b64 exec, exec, s[46:47]
	v_cmp_ne_u16_sdwa s[4:5], v46, v72 src0_sel:BYTE_0 src1_sel:DWORD
	v_cndmask_b32_e64 v0, 0, 1, s[4:5]
	;;#ASMSTART
	;;#ASMEND
	v_cmp_ne_u32_e32 vcc, 0, v0
	s_cmp_lg_u64 vcc, exec
	s_cbranch_scc1 .LBB266_75
; %bb.59:                               ;   in Loop: Header=BB266_55 Depth=1
	v_lshlrev_b64 v[0:1], 4, v[54:55]
	v_mov_b32_e32 v2, s43
	v_add_co_u32_e32 v0, vcc, s42, v0
	v_addc_co_u32_e32 v1, vcc, v2, v1, vcc
	s_waitcnt lgkmcnt(1)
	;;#ASMSTART
	global_load_dwordx4 v[44:47], v[0:1] off glc	
s_waitcnt vmcnt(0)
	;;#ASMEND
	v_perm_b32 v2, v45, v46, s53
	v_perm_b32 v3, v45, v46, s54
	;; [unrolled: 1-line block ×3, first 2 shown]
	v_lshlrev_b32_e32 v2, 8, v2
	v_lshlrev_b32_e32 v3, 16, v3
	v_perm_b32 v2, v2, v45, s56
	v_and_b32_e32 v3, 0xff0000, v3
	v_lshlrev_b32_e32 v4, 24, v4
	s_waitcnt lgkmcnt(0)
	v_or3_b32 v41, v2, v3, v4
	v_cmp_eq_u16_sdwa s[6:7], v46, v55 src0_sel:BYTE_0 src1_sel:DWORD
	s_and_saveexec_b64 s[4:5], s[6:7]
	s_cbranch_execz .LBB266_63
; %bb.60:                               ;   in Loop: Header=BB266_55 Depth=1
	s_mov_b64 s[6:7], 0
.LBB266_61:                             ;   Parent Loop BB266_55 Depth=1
                                        ; =>  This Inner Loop Header: Depth=2
	;;#ASMSTART
	global_load_dwordx4 v[44:47], v[0:1] off glc	
s_waitcnt vmcnt(0)
	;;#ASMEND
	v_cmp_ne_u16_sdwa s[8:9], v46, v55 src0_sel:BYTE_0 src1_sel:DWORD
	s_or_b64 s[6:7], s[8:9], s[6:7]
	s_andn2_b64 exec, exec, s[6:7]
	s_cbranch_execnz .LBB266_61
; %bb.62:                               ;   in Loop: Header=BB266_55 Depth=1
	s_or_b64 exec, exec, s[6:7]
	v_perm_b32 v0, v45, v46, s53
	v_perm_b32 v1, v45, v46, s54
	v_perm_b32 v2, v45, v46, s55
	v_lshlrev_b32_e32 v0, 8, v0
	v_lshlrev_b32_e32 v1, 16, v1
	v_perm_b32 v0, v0, v45, s56
	v_and_b32_e32 v1, 0xff0000, v1
	v_lshlrev_b32_e32 v2, 24, v2
	v_or3_b32 v41, v0, v1, v2
.LBB266_63:                             ;   in Loop: Header=BB266_55 Depth=1
	s_or_b64 exec, exec, s[4:5]
	v_cmp_eq_u16_sdwa s[4:5], v46, v72 src0_sel:BYTE_0 src1_sel:DWORD
	v_and_b32_e32 v0, s5, v57
	v_or_b32_e32 v0, 0x80000000, v0
	v_ffbl_b32_e32 v3, v0
	ds_bpermute_b32 v0, v58, v44
	ds_bpermute_b32 v1, v58, v41
	v_and_b32_e32 v2, s4, v56
	v_add_u32_e32 v3, 32, v3
	v_ffbl_b32_e32 v2, v2
	v_min_u32_e32 v27, v2, v3
	v_cmp_lt_u32_e32 vcc, v49, v27
	s_and_saveexec_b64 s[46:47], vcc
	s_cbranch_execz .LBB266_65
; %bb.64:                               ;   in Loop: Header=BB266_55 Depth=1
	v_mov_b32_e32 v2, v44
	v_mov_b32_e32 v3, v41
	s_getpc_b64 s[4:5]
	s_add_u32 s4, s4, _ZZZZN2at6native31launch_logcumsumexp_cuda_kernelERKNS_10TensorBaseES3_lENKUlvE_clEvENKUlvE2_clEvENKUlN3c107complexIfEES8_E_clES8_S8_@rel32@lo+4
	s_addc_u32 s5, s5, _ZZZZN2at6native31launch_logcumsumexp_cuda_kernelERKNS_10TensorBaseES3_lENKUlvE_clEvENKUlvE2_clEvENKUlN3c107complexIfEES8_E_clES8_S8_@rel32@hi+12
	s_swappc_b64 s[30:31], s[4:5]
	v_mov_b32_e32 v44, v0
	v_mov_b32_e32 v41, v1
.LBB266_65:                             ;   in Loop: Header=BB266_55 Depth=1
	s_or_b64 exec, exec, s[46:47]
	s_waitcnt lgkmcnt(1)
	ds_bpermute_b32 v0, v59, v44
	s_waitcnt lgkmcnt(1)
	ds_bpermute_b32 v1, v59, v41
	v_cmp_le_u32_e32 vcc, v60, v27
	s_and_saveexec_b64 s[46:47], vcc
	s_cbranch_execz .LBB266_67
; %bb.66:                               ;   in Loop: Header=BB266_55 Depth=1
	v_mov_b32_e32 v2, v44
	v_mov_b32_e32 v3, v41
	s_getpc_b64 s[4:5]
	s_add_u32 s4, s4, _ZZZZN2at6native31launch_logcumsumexp_cuda_kernelERKNS_10TensorBaseES3_lENKUlvE_clEvENKUlvE2_clEvENKUlN3c107complexIfEES8_E_clES8_S8_@rel32@lo+4
	s_addc_u32 s5, s5, _ZZZZN2at6native31launch_logcumsumexp_cuda_kernelERKNS_10TensorBaseES3_lENKUlvE_clEvENKUlvE2_clEvENKUlN3c107complexIfEES8_E_clES8_S8_@rel32@hi+12
	s_swappc_b64 s[30:31], s[4:5]
	v_mov_b32_e32 v44, v0
	v_mov_b32_e32 v41, v1
.LBB266_67:                             ;   in Loop: Header=BB266_55 Depth=1
	s_or_b64 exec, exec, s[46:47]
	s_waitcnt lgkmcnt(1)
	ds_bpermute_b32 v0, v61, v44
	s_waitcnt lgkmcnt(1)
	ds_bpermute_b32 v1, v61, v41
	v_cmp_le_u32_e32 vcc, v65, v27
	;; [unrolled: 18-line block ×5, first 2 shown]
	s_and_saveexec_b64 s[46:47], vcc
	s_cbranch_execz .LBB266_53
; %bb.74:                               ;   in Loop: Header=BB266_55 Depth=1
	v_mov_b32_e32 v2, v44
	v_mov_b32_e32 v3, v41
	s_getpc_b64 s[4:5]
	s_add_u32 s4, s4, _ZZZZN2at6native31launch_logcumsumexp_cuda_kernelERKNS_10TensorBaseES3_lENKUlvE_clEvENKUlvE2_clEvENKUlN3c107complexIfEES8_E_clES8_S8_@rel32@lo+4
	s_addc_u32 s5, s5, _ZZZZN2at6native31launch_logcumsumexp_cuda_kernelERKNS_10TensorBaseES3_lENKUlvE_clEvENKUlvE2_clEvENKUlN3c107complexIfEES8_E_clES8_S8_@rel32@hi+12
	s_swappc_b64 s[30:31], s[4:5]
	v_mov_b32_e32 v44, v0
	v_mov_b32_e32 v41, v1
	s_branch .LBB266_53
.LBB266_75:                             ;   in Loop: Header=BB266_55 Depth=1
	s_mov_b64 s[4:5], -1
                                        ; implicit-def: $vgpr44
                                        ; implicit-def: $vgpr41
	s_branch .LBB266_54
.LBB266_76:
                                        ; implicit-def: $vgpr58_vgpr59_vgpr60_vgpr61
                                        ; implicit-def: $vgpr56_vgpr57_vgpr58_vgpr59
                                        ; implicit-def: $vgpr53
                                        ; implicit-def: $vgpr41
                                        ; implicit-def: $vgpr44
                                        ; implicit-def: $vgpr46
                                        ; implicit-def: $vgpr54_vgpr55_vgpr56_vgpr57
	s_load_dwordx8 s[44:51], s[20:21], 0x40
	s_cbranch_execnz .LBB266_84
	s_branch .LBB266_107
.LBB266_77:
	s_and_saveexec_b64 s[46:47], s[26:27]
	s_cbranch_execz .LBB266_79
; %bb.78:
	s_waitcnt lgkmcnt(1)
	v_mov_b32_e32 v0, v42
	s_waitcnt lgkmcnt(0)
	v_mov_b32_e32 v1, v43
	v_mov_b32_e32 v2, v40
	;; [unrolled: 1-line block ×3, first 2 shown]
	s_getpc_b64 s[4:5]
	s_add_u32 s4, s4, _ZZZZN2at6native31launch_logcumsumexp_cuda_kernelERKNS_10TensorBaseES3_lENKUlvE_clEvENKUlvE2_clEvENKUlN3c107complexIfEES8_E_clES8_S8_@rel32@lo+4
	s_addc_u32 s5, s5, _ZZZZN2at6native31launch_logcumsumexp_cuda_kernelERKNS_10TensorBaseES3_lENKUlvE_clEvENKUlvE2_clEvENKUlN3c107complexIfEES8_E_clES8_S8_@rel32@hi+12
	s_swappc_b64 s[30:31], s[4:5]
	s_add_i32 s4, s28, 64
	s_mov_b32 s5, 0
	s_lshl_b64 s[4:5], s[4:5], 4
	s_add_u32 s4, s42, s4
	v_and_b32_e32 v2, 0xff000000, v1
	v_and_b32_e32 v4, 0xff0000, v1
	s_addc_u32 s5, s43, s5
	v_or_b32_e32 v2, v4, v2
	v_and_b32_e32 v4, 0xff00, v1
	v_and_b32_e32 v1, 0xff, v1
	v_mov_b32_e32 v3, 0
	v_or3_b32 v1, v2, v4, v1
	v_mov_b32_e32 v2, 2
	v_pk_mov_b32 v[4:5], s[4:5], s[4:5] op_sel:[0,1]
	;;#ASMSTART
	global_store_dwordx4 v[4:5], v[0:3] off	
s_waitcnt vmcnt(0)
	;;#ASMEND
.LBB266_79:
	s_or_b64 exec, exec, s[46:47]
	s_and_b64 exec, exec, s[24:25]
	s_cbranch_execz .LBB266_81
; %bb.80:
	s_waitcnt lgkmcnt(1)
	v_mov_b32_e32 v0, 0
	ds_write_b64 v0, v[42:43]
.LBB266_81:
	s_or_b64 exec, exec, s[44:45]
	s_waitcnt lgkmcnt(1)
	v_mov_b32_e32 v0, 0
	s_waitcnt lgkmcnt(0)
	s_barrier
	ds_read_b64 v[40:41], v0
	v_mov_b32_e32 v2, v28
	v_mov_b32_e32 v3, v29
	s_and_saveexec_b64 s[24:25], s[22:23]
	s_cbranch_execz .LBB266_83
; %bb.82:
	v_mov_b32_e32 v0, v52
	v_mov_b32_e32 v1, v53
	;; [unrolled: 1-line block ×4, first 2 shown]
	s_getpc_b64 s[4:5]
	s_add_u32 s4, s4, _ZZZZN2at6native31launch_logcumsumexp_cuda_kernelERKNS_10TensorBaseES3_lENKUlvE_clEvENKUlvE2_clEvENKUlN3c107complexIfEES8_E_clES8_S8_@rel32@lo+4
	s_addc_u32 s5, s5, _ZZZZN2at6native31launch_logcumsumexp_cuda_kernelERKNS_10TensorBaseES3_lENKUlvE_clEvENKUlvE2_clEvENKUlN3c107complexIfEES8_E_clES8_S8_@rel32@hi+12
	s_swappc_b64 s[30:31], s[4:5]
	v_mov_b32_e32 v2, v0
	v_mov_b32_e32 v3, v1
.LBB266_83:
	s_or_b64 exec, exec, s[24:25]
	s_waitcnt lgkmcnt(0)
	v_mov_b32_e32 v0, v40
	v_mov_b32_e32 v1, v41
	s_getpc_b64 s[22:23]
	s_add_u32 s22, s22, _ZZZZN2at6native31launch_logcumsumexp_cuda_kernelERKNS_10TensorBaseES3_lENKUlvE_clEvENKUlvE2_clEvENKUlN3c107complexIfEES8_E_clES8_S8_@rel32@lo+4
	s_addc_u32 s23, s23, _ZZZZN2at6native31launch_logcumsumexp_cuda_kernelERKNS_10TensorBaseES3_lENKUlvE_clEvENKUlvE2_clEvENKUlN3c107complexIfEES8_E_clES8_S8_@rel32@hi+12
	s_swappc_b64 s[30:31], s[22:23]
	v_mov_b32_e32 v2, v30
	v_mov_b32_e32 v3, v31
	v_mov_b32_e32 v40, v0
	v_mov_b32_e32 v41, v1
	s_swappc_b64 s[30:31], s[22:23]
	v_mov_b32_e32 v2, v36
	v_mov_b32_e32 v3, v37
	v_mov_b32_e32 v56, v0
	v_mov_b32_e32 v57, v1
	;; [unrolled: 5-line block ×6, first 2 shown]
	s_swappc_b64 s[30:31], s[22:23]
	v_mov_b32_e32 v52, v0
	v_mov_b32_e32 v53, v1
	s_load_dwordx8 s[44:51], s[20:21], 0x40
	s_branch .LBB266_107
.LBB266_84:
	s_waitcnt lgkmcnt(0)
	s_cmp_lg_u64 s[48:49], 0
	s_cselect_b64 s[4:5], -1, 0
	v_cmp_eq_u32_e64 s[22:23], 0, v48
	v_cmp_ne_u32_e64 s[20:21], 0, v48
	s_and_b64 s[4:5], s[22:23], s[4:5]
	s_and_saveexec_b64 s[24:25], s[4:5]
	s_cbranch_execz .LBB266_86
; %bb.85:
	v_mov_b32_e32 v0, 0
	global_load_dwordx2 v[0:1], v0, s[44:45]
	v_mov_b32_e32 v2, v28
	v_mov_b32_e32 v3, v29
	s_getpc_b64 s[4:5]
	s_add_u32 s4, s4, _ZZZZN2at6native31launch_logcumsumexp_cuda_kernelERKNS_10TensorBaseES3_lENKUlvE_clEvENKUlvE2_clEvENKUlN3c107complexIfEES8_E_clES8_S8_@rel32@lo+4
	s_addc_u32 s5, s5, _ZZZZN2at6native31launch_logcumsumexp_cuda_kernelERKNS_10TensorBaseES3_lENKUlvE_clEvENKUlvE2_clEvENKUlN3c107complexIfEES8_E_clES8_S8_@rel32@hi+12
	s_swappc_b64 s[30:31], s[4:5]
	v_mov_b32_e32 v28, v0
	v_mov_b32_e32 v29, v1
.LBB266_86:
	s_or_b64 exec, exec, s[24:25]
	v_mov_b32_e32 v0, v28
	v_mov_b32_e32 v1, v29
	;; [unrolled: 1-line block ×4, first 2 shown]
	s_getpc_b64 s[26:27]
	s_add_u32 s26, s26, _ZZZZN2at6native31launch_logcumsumexp_cuda_kernelERKNS_10TensorBaseES3_lENKUlvE_clEvENKUlvE2_clEvENKUlN3c107complexIfEES8_E_clES8_S8_@rel32@lo+4
	s_addc_u32 s27, s27, _ZZZZN2at6native31launch_logcumsumexp_cuda_kernelERKNS_10TensorBaseES3_lENKUlvE_clEvENKUlvE2_clEvENKUlN3c107complexIfEES8_E_clES8_S8_@rel32@hi+12
	s_swappc_b64 s[30:31], s[26:27]
	v_mov_b32_e32 v2, v36
	v_mov_b32_e32 v3, v37
	v_mov_b32_e32 v56, v0
	v_mov_b32_e32 v57, v1
	s_swappc_b64 s[30:31], s[26:27]
	v_mov_b32_e32 v2, v38
	v_mov_b32_e32 v3, v39
	v_mov_b32_e32 v44, v0
	v_mov_b32_e32 v45, v1
	;; [unrolled: 5-line block ×5, first 2 shown]
	s_swappc_b64 s[30:31], s[26:27]
	v_mov_b32_e32 v52, v0
	v_lshrrev_b32_e32 v0, 5, v48
	v_mov_b32_e32 v53, v1
	v_add_lshl_u32 v0, v0, v48, 3
	v_cmp_gt_u32_e32 vcc, 64, v48
	ds_write_b64 v0, v[52:53]
	s_waitcnt lgkmcnt(0)
	s_barrier
	s_and_saveexec_b64 s[24:25], vcc
	s_cbranch_execz .LBB266_100
; %bb.87:
	v_lshlrev_b32_e32 v0, 1, v48
	v_lshrrev_b32_e32 v1, 4, v48
	v_add_lshl_u32 v27, v1, v0, 3
	ds_read2_b64 v[40:43], v27 offset1:1
	s_waitcnt lgkmcnt(0)
	v_mov_b32_e32 v0, v40
	v_mov_b32_e32 v1, v41
	;; [unrolled: 1-line block ×4, first 2 shown]
	s_swappc_b64 s[30:31], s[26:27]
	v_mov_b32_e32 v2, v0
	v_mbcnt_lo_u32_b32 v0, -1, 0
	v_mbcnt_hi_u32_b32 v42, -1, v0
	v_mov_b32_e32 v3, v1
	v_and_b32_e32 v43, 15, v42
	v_mov_b32_dpp v0, v2 row_shr:1 row_mask:0xf bank_mask:0xf
	v_mov_b32_dpp v1, v3 row_shr:1 row_mask:0xf bank_mask:0xf
	v_cmp_ne_u32_e32 vcc, 0, v43
	s_and_saveexec_b64 s[26:27], vcc
	s_cbranch_execz .LBB266_89
; %bb.88:
	s_getpc_b64 s[4:5]
	s_add_u32 s4, s4, _ZZZZN2at6native31launch_logcumsumexp_cuda_kernelERKNS_10TensorBaseES3_lENKUlvE_clEvENKUlvE2_clEvENKUlN3c107complexIfEES8_E_clES8_S8_@rel32@lo+4
	s_addc_u32 s5, s5, _ZZZZN2at6native31launch_logcumsumexp_cuda_kernelERKNS_10TensorBaseES3_lENKUlvE_clEvENKUlvE2_clEvENKUlN3c107complexIfEES8_E_clES8_S8_@rel32@hi+12
	s_swappc_b64 s[30:31], s[4:5]
	v_mov_b32_e32 v2, v0
	v_mov_b32_e32 v3, v1
.LBB266_89:
	s_or_b64 exec, exec, s[26:27]
	v_mov_b32_dpp v0, v2 row_shr:2 row_mask:0xf bank_mask:0xf
	v_mov_b32_dpp v1, v3 row_shr:2 row_mask:0xf bank_mask:0xf
	v_cmp_lt_u32_e32 vcc, 1, v43
	s_and_saveexec_b64 s[26:27], vcc
	s_cbranch_execz .LBB266_91
; %bb.90:
	s_getpc_b64 s[4:5]
	s_add_u32 s4, s4, _ZZZZN2at6native31launch_logcumsumexp_cuda_kernelERKNS_10TensorBaseES3_lENKUlvE_clEvENKUlvE2_clEvENKUlN3c107complexIfEES8_E_clES8_S8_@rel32@lo+4
	s_addc_u32 s5, s5, _ZZZZN2at6native31launch_logcumsumexp_cuda_kernelERKNS_10TensorBaseES3_lENKUlvE_clEvENKUlvE2_clEvENKUlN3c107complexIfEES8_E_clES8_S8_@rel32@hi+12
	s_swappc_b64 s[30:31], s[4:5]
	v_mov_b32_e32 v2, v0
	v_mov_b32_e32 v3, v1
.LBB266_91:
	s_or_b64 exec, exec, s[26:27]
	v_mov_b32_dpp v0, v2 row_shr:4 row_mask:0xf bank_mask:0xf
	v_mov_b32_dpp v1, v3 row_shr:4 row_mask:0xf bank_mask:0xf
	v_cmp_lt_u32_e32 vcc, 3, v43
	;; [unrolled: 14-line block ×3, first 2 shown]
	s_and_saveexec_b64 s[26:27], vcc
	s_cbranch_execz .LBB266_95
; %bb.94:
	s_getpc_b64 s[4:5]
	s_add_u32 s4, s4, _ZZZZN2at6native31launch_logcumsumexp_cuda_kernelERKNS_10TensorBaseES3_lENKUlvE_clEvENKUlvE2_clEvENKUlN3c107complexIfEES8_E_clES8_S8_@rel32@lo+4
	s_addc_u32 s5, s5, _ZZZZN2at6native31launch_logcumsumexp_cuda_kernelERKNS_10TensorBaseES3_lENKUlvE_clEvENKUlvE2_clEvENKUlN3c107complexIfEES8_E_clES8_S8_@rel32@hi+12
	s_swappc_b64 s[30:31], s[4:5]
	v_mov_b32_e32 v2, v0
	v_mov_b32_e32 v3, v1
.LBB266_95:
	s_or_b64 exec, exec, s[26:27]
	v_and_b32_e32 v4, 16, v42
	v_mov_b32_dpp v0, v2 row_bcast:15 row_mask:0xf bank_mask:0xf
	v_mov_b32_dpp v1, v3 row_bcast:15 row_mask:0xf bank_mask:0xf
	v_cmp_ne_u32_e32 vcc, 0, v4
	s_and_saveexec_b64 s[26:27], vcc
	s_cbranch_execz .LBB266_97
; %bb.96:
	s_getpc_b64 s[4:5]
	s_add_u32 s4, s4, _ZZZZN2at6native31launch_logcumsumexp_cuda_kernelERKNS_10TensorBaseES3_lENKUlvE_clEvENKUlvE2_clEvENKUlN3c107complexIfEES8_E_clES8_S8_@rel32@lo+4
	s_addc_u32 s5, s5, _ZZZZN2at6native31launch_logcumsumexp_cuda_kernelERKNS_10TensorBaseES3_lENKUlvE_clEvENKUlvE2_clEvENKUlN3c107complexIfEES8_E_clES8_S8_@rel32@hi+12
	s_swappc_b64 s[30:31], s[4:5]
	v_mov_b32_e32 v2, v0
	v_mov_b32_e32 v3, v1
.LBB266_97:
	s_or_b64 exec, exec, s[26:27]
	v_mov_b32_dpp v0, v2 row_bcast:31 row_mask:0xf bank_mask:0xf
	v_mov_b32_dpp v1, v3 row_bcast:31 row_mask:0xf bank_mask:0xf
	v_cmp_lt_u32_e32 vcc, 31, v42
	s_and_saveexec_b64 s[26:27], vcc
	s_cbranch_execz .LBB266_99
; %bb.98:
	s_getpc_b64 s[4:5]
	s_add_u32 s4, s4, _ZZZZN2at6native31launch_logcumsumexp_cuda_kernelERKNS_10TensorBaseES3_lENKUlvE_clEvENKUlvE2_clEvENKUlN3c107complexIfEES8_E_clES8_S8_@rel32@lo+4
	s_addc_u32 s5, s5, _ZZZZN2at6native31launch_logcumsumexp_cuda_kernelERKNS_10TensorBaseES3_lENKUlvE_clEvENKUlvE2_clEvENKUlN3c107complexIfEES8_E_clES8_S8_@rel32@hi+12
	s_swappc_b64 s[30:31], s[4:5]
	v_mov_b32_e32 v2, v0
	v_mov_b32_e32 v3, v1
.LBB266_99:
	s_or_b64 exec, exec, s[26:27]
	v_add_u32_e32 v0, -1, v42
	v_and_b32_e32 v1, 64, v42
	v_cmp_lt_i32_e32 vcc, v0, v1
	v_cndmask_b32_e32 v0, v0, v42, vcc
	v_lshlrev_b32_e32 v1, 2, v0
	ds_bpermute_b32 v0, v1, v2
	ds_bpermute_b32 v1, v1, v3
	v_mov_b32_e32 v2, v40
	v_mov_b32_e32 v3, v41
	s_getpc_b64 s[26:27]
	s_add_u32 s26, s26, _ZZZZN2at6native31launch_logcumsumexp_cuda_kernelERKNS_10TensorBaseES3_lENKUlvE_clEvENKUlvE2_clEvENKUlN3c107complexIfEES8_E_clES8_S8_@rel32@lo+4
	s_addc_u32 s27, s27, _ZZZZN2at6native31launch_logcumsumexp_cuda_kernelERKNS_10TensorBaseES3_lENKUlvE_clEvENKUlvE2_clEvENKUlN3c107complexIfEES8_E_clES8_S8_@rel32@hi+12
	s_swappc_b64 s[30:31], s[26:27]
	v_cndmask_b32_e64 v0, v0, v52, s[22:23]
	v_cndmask_b32_e64 v1, v1, v53, s[22:23]
	; wave barrier
	ds_write_b64 v27, v[0:1]
	; wave barrier
	ds_read_b64 v[2:3], v27 offset:8
	s_swappc_b64 s[30:31], s[26:27]
	ds_write_b64 v27, v[0:1] offset:8
.LBB266_100:
	s_or_b64 exec, exec, s[24:25]
	v_mov_b32_e32 v1, v53
	v_mov_b32_e32 v0, v52
	s_waitcnt lgkmcnt(0)
	s_barrier
	s_and_saveexec_b64 s[4:5], s[20:21]
	s_cbranch_execz .LBB266_102
; %bb.101:
	v_add_u32_e32 v0, -1, v48
	v_lshrrev_b32_e32 v1, 5, v0
	v_add_lshl_u32 v0, v1, v0, 3
	ds_read_b64 v[0:1], v0
.LBB266_102:
	s_or_b64 exec, exec, s[4:5]
	s_and_saveexec_b64 s[22:23], s[20:21]
	s_cbranch_execz .LBB266_104
; %bb.103:
	v_mov_b32_e32 v2, v28
	v_mov_b32_e32 v3, v29
	s_getpc_b64 s[20:21]
	s_add_u32 s20, s20, _ZZZZN2at6native31launch_logcumsumexp_cuda_kernelERKNS_10TensorBaseES3_lENKUlvE_clEvENKUlvE2_clEvENKUlN3c107complexIfEES8_E_clES8_S8_@rel32@lo+4
	s_addc_u32 s21, s21, _ZZZZN2at6native31launch_logcumsumexp_cuda_kernelERKNS_10TensorBaseES3_lENKUlvE_clEvENKUlvE2_clEvENKUlN3c107complexIfEES8_E_clES8_S8_@rel32@hi+12
	s_swappc_b64 s[30:31], s[20:21]
	v_mov_b32_e32 v2, v30
	v_mov_b32_e32 v3, v31
	;; [unrolled: 1-line block ×4, first 2 shown]
	;;#ASMSTART
	;;#ASMEND
	s_swappc_b64 s[30:31], s[20:21]
	v_mov_b32_e32 v2, v36
	v_mov_b32_e32 v3, v37
	v_mov_b32_e32 v56, v0
	v_mov_b32_e32 v57, v1
	s_swappc_b64 s[30:31], s[20:21]
	v_mov_b32_e32 v2, v38
	v_mov_b32_e32 v3, v39
	v_mov_b32_e32 v44, v0
	v_mov_b32_e32 v45, v1
	;; [unrolled: 5-line block ×5, first 2 shown]
	s_swappc_b64 s[30:31], s[20:21]
	v_mov_b32_e32 v52, v0
	v_mov_b32_e32 v53, v1
.LBB266_104:
	s_or_b64 exec, exec, s[22:23]
	s_movk_i32 s4, 0x7f
	v_cmp_eq_u32_e32 vcc, s4, v48
	s_and_saveexec_b64 s[4:5], vcc
	s_cbranch_execz .LBB266_106
; %bb.105:
	s_add_u32 s6, s42, 0x400
	s_waitcnt lgkmcnt(0)
	v_and_b32_e32 v0, 0xff000000, v53
	v_and_b32_e32 v1, 0xff0000, v53
	s_addc_u32 s7, s43, 0
	v_or_b32_e32 v0, v1, v0
	v_and_b32_e32 v1, 0xff00, v53
	v_and_b32_e32 v2, 0xff, v53
	v_mov_b32_e32 v3, 0
	v_or3_b32 v1, v0, v1, v2
	v_mov_b32_e32 v2, 2
	v_mov_b32_e32 v0, v52
	v_pk_mov_b32 v[4:5], s[6:7], s[6:7] op_sel:[0,1]
	;;#ASMSTART
	global_store_dwordx4 v[4:5], v[0:3] off	
s_waitcnt vmcnt(0)
	;;#ASMEND
.LBB266_106:
	s_or_b64 exec, exec, s[4:5]
	v_mov_b32_e32 v41, v29
	v_mov_b32_e32 v40, v28
.LBB266_107:
	s_add_u32 s4, s40, s38
	s_addc_u32 s5, s41, s39
	s_add_u32 s4, s4, s36
	s_addc_u32 s5, s5, s37
	s_mov_b64 s[6:7], -1
	s_and_b64 vcc, exec, s[34:35]
	s_waitcnt lgkmcnt(0)
	s_barrier
	s_cbranch_vccz .LBB266_109
; %bb.108:
	v_mul_u32_u24_e32 v0, 56, v48
	ds_write2_b64 v0, v[40:41], v[56:57] offset1:1
	ds_write2_b64 v0, v[44:45], v[58:59] offset0:2 offset1:3
	ds_write2_b64 v0, v[46:47], v[60:61] offset0:4 offset1:5
	ds_write_b64 v0, v[52:53] offset:48
	v_mul_i32_i24_e32 v0, 0xffffffd0, v48
	v_mad_u32_u24 v12, v48, 56, v0
	s_waitcnt lgkmcnt(0)
	s_barrier
	ds_read2st64_b64 v[0:3], v12 offset1:2
	ds_read2st64_b64 v[4:7], v12 offset0:4 offset1:6
	ds_read2st64_b64 v[8:11], v12 offset0:8 offset1:10
	ds_read_b64 v[12:13], v12 offset:6144
	v_mov_b32_e32 v14, s5
	v_add_co_u32_e32 v15, vcc, s4, v63
	v_addc_co_u32_e32 v14, vcc, 0, v14, vcc
	s_waitcnt lgkmcnt(3)
	global_store_dwordx2 v63, v[0:1], s[4:5]
	global_store_dwordx2 v63, v[2:3], s[4:5] offset:1024
	s_waitcnt lgkmcnt(2)
	global_store_dwordx2 v63, v[4:5], s[4:5] offset:2048
	global_store_dwordx2 v63, v[6:7], s[4:5] offset:3072
	v_add_co_u32_e32 v0, vcc, 0x1000, v15
	v_addc_co_u32_e32 v1, vcc, 0, v14, vcc
	s_waitcnt lgkmcnt(1)
	global_store_dwordx2 v[0:1], v[8:9], off
	global_store_dwordx2 v[0:1], v[10:11], off offset:1024
	s_waitcnt lgkmcnt(0)
	global_store_dwordx2 v[0:1], v[12:13], off offset:2048
	s_mov_b64 s[6:7], 0
.LBB266_109:
	s_andn2_b64 vcc, exec, s[6:7]
	s_cbranch_vccnz .LBB266_148
; %bb.110:
	s_movk_i32 s6, 0xffd0
	v_mad_i32_i24 v12, v48, s6, v64
	ds_write2_b64 v64, v[40:41], v[56:57] offset1:1
	ds_write2_b64 v64, v[44:45], v[58:59] offset0:2 offset1:3
	ds_write2_b64 v64, v[46:47], v[60:61] offset0:4 offset1:5
	ds_write_b64 v64, v[52:53] offset:48
	s_waitcnt lgkmcnt(0)
	s_barrier
	ds_read2st64_b64 v[0:3], v12 offset1:2
	ds_read2st64_b64 v[4:7], v12 offset0:4 offset1:6
	ds_read2st64_b64 v[8:11], v12 offset0:8 offset1:10
	ds_read_b64 v[12:13], v12 offset:6144
	v_mov_b32_e32 v15, s5
	v_add_co_u32_e32 v14, vcc, s4, v63
	v_addc_co_u32_e32 v15, vcc, 0, v15, vcc
	v_mov_b32_e32 v49, 0
	v_cmp_gt_u32_e32 vcc, s29, v48
	s_and_saveexec_b64 s[4:5], vcc
	s_cbranch_execz .LBB266_112
; %bb.111:
	s_waitcnt lgkmcnt(3)
	global_store_dwordx2 v[14:15], v[0:1], off
.LBB266_112:
	s_or_b64 exec, exec, s[4:5]
	v_or_b32_e32 v16, 0x80, v48
	v_cmp_gt_u32_e32 vcc, s29, v16
	s_and_saveexec_b64 s[4:5], vcc
	s_cbranch_execz .LBB266_114
; %bb.113:
	s_waitcnt lgkmcnt(3)
	global_store_dwordx2 v[14:15], v[2:3], off offset:1024
.LBB266_114:
	s_or_b64 exec, exec, s[4:5]
	v_or_b32_e32 v16, 0x100, v48
	v_cmp_gt_u32_e32 vcc, s29, v16
	s_and_saveexec_b64 s[4:5], vcc
	s_cbranch_execz .LBB266_116
; %bb.115:
	s_waitcnt lgkmcnt(2)
	global_store_dwordx2 v[14:15], v[4:5], off offset:2048
.LBB266_116:
	;; [unrolled: 9-line block ×3, first 2 shown]
	s_or_b64 exec, exec, s[4:5]
	v_or_b32_e32 v16, 0x200, v48
	v_cmp_gt_u32_e32 vcc, s29, v16
	s_and_saveexec_b64 s[4:5], vcc
	s_cbranch_execz .LBB266_120
; %bb.119:
	v_add_co_u32_e32 v16, vcc, 0x1000, v14
	v_addc_co_u32_e32 v17, vcc, 0, v15, vcc
	s_waitcnt lgkmcnt(1)
	global_store_dwordx2 v[16:17], v[8:9], off
.LBB266_120:
	s_or_b64 exec, exec, s[4:5]
	v_or_b32_e32 v16, 0x280, v48
	v_cmp_gt_u32_e32 vcc, s29, v16
	s_and_saveexec_b64 s[4:5], vcc
	s_cbranch_execz .LBB266_122
; %bb.121:
	v_add_co_u32_e32 v16, vcc, 0x1000, v14
	v_addc_co_u32_e32 v17, vcc, 0, v15, vcc
	s_waitcnt lgkmcnt(1)
	global_store_dwordx2 v[16:17], v[10:11], off offset:1024
.LBB266_122:
	s_or_b64 exec, exec, s[4:5]
	v_or_b32_e32 v16, 0x300, v48
	v_cmp_gt_u32_e32 vcc, s29, v16
	s_and_saveexec_b64 s[4:5], vcc
	s_cbranch_execz .LBB266_124
; %bb.123:
	v_add_co_u32_e32 v14, vcc, 0x1000, v14
	v_addc_co_u32_e32 v15, vcc, 0, v15, vcc
	s_waitcnt lgkmcnt(0)
	global_store_dwordx2 v[14:15], v[12:13], off offset:2048
.LBB266_124:
	s_or_b64 exec, exec, s[4:5]
	v_cmp_lt_u64_e64 s[4:5], s[50:51], 2
	s_and_b64 vcc, exec, s[4:5]
	s_cbranch_vccnz .LBB266_148
; %bb.125:
	s_add_u32 s4, s29, -1
	s_addc_u32 s5, s33, -1
	s_add_u32 s6, 0, 0x92481000
	s_addc_u32 s7, 0, 0x64
	s_add_i32 s7, s7, 0x249248c0
	s_mul_hi_u32 s11, s6, -7
	s_sub_i32 s11, s11, s6
	s_mul_i32 s12, s7, -7
	s_mul_i32 s8, s6, -7
	s_add_i32 s11, s11, s12
	s_mul_hi_u32 s9, s7, s8
	s_mul_i32 s10, s7, s8
	s_mul_i32 s13, s6, s11
	s_mul_hi_u32 s8, s6, s8
	s_mul_hi_u32 s12, s6, s11
	s_add_u32 s8, s8, s13
	s_addc_u32 s12, 0, s12
	s_add_u32 s8, s8, s10
	s_mul_hi_u32 s13, s7, s11
	s_addc_u32 s8, s12, s9
	s_addc_u32 s9, s13, 0
	s_mul_i32 s10, s7, s11
	s_add_u32 s8, s8, s10
	v_mov_b32_e32 v14, s8
	s_addc_u32 s9, 0, s9
	v_add_co_u32_e32 v14, vcc, s6, v14
	s_cmp_lg_u64 vcc, 0
	s_addc_u32 s6, s7, s9
	v_readfirstlane_b32 s9, v14
	s_mul_i32 s8, s4, s6
	s_mul_hi_u32 s10, s4, s9
	s_mul_hi_u32 s7, s4, s6
	s_add_u32 s8, s10, s8
	s_addc_u32 s7, 0, s7
	s_mul_hi_u32 s11, s5, s9
	s_mul_i32 s9, s5, s9
	s_add_u32 s8, s8, s9
	s_mul_hi_u32 s10, s5, s6
	s_addc_u32 s7, s7, s11
	s_addc_u32 s8, s10, 0
	s_mul_i32 s6, s5, s6
	s_add_u32 s6, s7, s6
	s_addc_u32 s7, 0, s8
	s_add_u32 s8, s6, 1
	s_addc_u32 s9, s7, 0
	s_add_u32 s10, s6, 2
	s_mul_i32 s12, s7, 7
	s_mul_hi_u32 s13, s6, 7
	s_addc_u32 s11, s7, 0
	s_add_i32 s13, s13, s12
	s_mul_i32 s12, s6, 7
	v_mov_b32_e32 v14, s12
	v_sub_co_u32_e32 v14, vcc, s4, v14
	s_cmp_lg_u64 vcc, 0
	s_subb_u32 s12, s5, s13
	v_subrev_co_u32_e32 v15, vcc, 7, v14
	s_cmp_lg_u64 vcc, 0
	s_subb_u32 s13, s12, 0
	v_readfirstlane_b32 s14, v15
	s_cmp_gt_u32 s14, 6
	s_cselect_b32 s14, -1, 0
	s_cmp_eq_u32 s13, 0
	s_cselect_b32 s13, s14, -1
	s_cmp_lg_u32 s13, 0
	s_cselect_b32 s8, s10, s8
	v_readfirstlane_b32 s10, v14
	s_cselect_b32 s9, s11, s9
	s_cmp_gt_u32 s10, 6
	s_cselect_b32 s10, -1, 0
	s_cmp_eq_u32 s12, 0
	s_cselect_b32 s10, s10, -1
	s_cmp_lg_u32 s10, 0
	s_cselect_b32 s7, s9, s7
	s_cselect_b32 s6, s8, s6
	v_cmp_eq_u64_e32 vcc, s[6:7], v[48:49]
	s_and_saveexec_b64 s[6:7], vcc
	s_cbranch_execz .LBB266_148
; %bb.126:
	v_mul_hi_u32_u24_e32 v15, 7, v48
	v_mov_b32_e32 v16, s5
	v_sub_co_u32_e32 v14, vcc, s4, v62
	v_subb_co_u32_e32 v15, vcc, v16, v15, vcc
	v_cmp_lt_i64_e32 vcc, 3, v[14:15]
	s_and_saveexec_b64 s[4:5], vcc
	s_xor_b64 s[4:5], exec, s[4:5]
	s_cbranch_execz .LBB266_136
; %bb.127:
	v_cmp_lt_i64_e32 vcc, 4, v[14:15]
	s_and_saveexec_b64 s[6:7], vcc
	s_xor_b64 s[6:7], exec, s[6:7]
	s_cbranch_execz .LBB266_133
; %bb.128:
	;; [unrolled: 5-line block ×3, first 2 shown]
	s_waitcnt lgkmcnt(3)
	v_mov_b32_e32 v0, 0
	s_waitcnt lgkmcnt(0)
	global_store_dwordx2 v0, v[12:13], s[46:47]
                                        ; implicit-def: $vgpr8_vgpr9_vgpr10_vgpr11
.LBB266_130:
	s_andn2_saveexec_b64 s[8:9], s[8:9]
	s_cbranch_execz .LBB266_132
; %bb.131:
	s_waitcnt lgkmcnt(3)
	v_mov_b32_e32 v0, 0
	s_waitcnt lgkmcnt(1)
	global_store_dwordx2 v0, v[10:11], s[46:47]
.LBB266_132:
	s_or_b64 exec, exec, s[8:9]
                                        ; implicit-def: $vgpr8_vgpr9_vgpr10_vgpr11
.LBB266_133:
	s_andn2_saveexec_b64 s[6:7], s[6:7]
	s_cbranch_execz .LBB266_135
; %bb.134:
	s_waitcnt lgkmcnt(3)
	v_mov_b32_e32 v0, 0
	s_waitcnt lgkmcnt(1)
	global_store_dwordx2 v0, v[8:9], s[46:47]
.LBB266_135:
	s_or_b64 exec, exec, s[6:7]
                                        ; implicit-def: $vgpr14_vgpr15
                                        ; implicit-def: $vgpr0_vgpr1_vgpr2_vgpr3
                                        ; implicit-def: $vgpr4_vgpr5_vgpr6_vgpr7
.LBB266_136:
	s_andn2_saveexec_b64 s[4:5], s[4:5]
	s_cbranch_execz .LBB266_148
; %bb.137:
	v_cmp_lt_i64_e32 vcc, 1, v[14:15]
	s_and_saveexec_b64 s[4:5], vcc
	s_xor_b64 s[4:5], exec, s[4:5]
	s_cbranch_execz .LBB266_143
; %bb.138:
	v_cmp_lt_i64_e32 vcc, 2, v[14:15]
	s_and_saveexec_b64 s[6:7], vcc
	s_xor_b64 s[6:7], exec, s[6:7]
	s_cbranch_execz .LBB266_140
; %bb.139:
	s_waitcnt lgkmcnt(3)
	v_mov_b32_e32 v0, 0
	s_waitcnt lgkmcnt(2)
	global_store_dwordx2 v0, v[6:7], s[46:47]
                                        ; implicit-def: $vgpr4_vgpr5_vgpr6_vgpr7
.LBB266_140:
	s_andn2_saveexec_b64 s[6:7], s[6:7]
	s_cbranch_execz .LBB266_142
; %bb.141:
	s_waitcnt lgkmcnt(3)
	v_mov_b32_e32 v0, 0
	s_waitcnt lgkmcnt(2)
	global_store_dwordx2 v0, v[4:5], s[46:47]
.LBB266_142:
	s_or_b64 exec, exec, s[6:7]
                                        ; implicit-def: $vgpr0_vgpr1_vgpr2_vgpr3
                                        ; implicit-def: $vgpr14_vgpr15
.LBB266_143:
	s_andn2_saveexec_b64 s[4:5], s[4:5]
	s_cbranch_execz .LBB266_148
; %bb.144:
	v_cmp_ne_u64_e32 vcc, 1, v[14:15]
	s_and_saveexec_b64 s[4:5], vcc
	s_xor_b64 s[4:5], exec, s[4:5]
	s_cbranch_execz .LBB266_146
; %bb.145:
	s_waitcnt lgkmcnt(3)
	v_mov_b32_e32 v2, 0
	global_store_dwordx2 v2, v[0:1], s[46:47]
                                        ; implicit-def: $vgpr0_vgpr1_vgpr2_vgpr3
.LBB266_146:
	s_andn2_saveexec_b64 s[4:5], s[4:5]
	s_cbranch_execz .LBB266_148
; %bb.147:
	s_waitcnt lgkmcnt(3)
	v_mov_b32_e32 v0, 0
	global_store_dwordx2 v0, v[2:3], s[46:47]
.LBB266_148:
	s_endpgm
	.section	.rodata,"a",@progbits
	.p2align	6, 0x0
	.amdhsa_kernel _ZN7rocprim17ROCPRIM_400000_NS6detail17trampoline_kernelINS0_14default_configENS1_20scan_config_selectorIN3c107complexIfEEEEZZNS1_9scan_implILNS1_25lookback_scan_determinismE0ELb0ELb0ES3_PKS7_PS7_S7_ZZZN2at6native31launch_logcumsumexp_cuda_kernelERKNSE_10TensorBaseESI_lENKUlvE_clEvENKUlvE2_clEvEUlS7_S7_E_S7_EEDaPvRmT3_T4_T5_mT6_P12ihipStream_tbENKUlT_T0_E_clISt17integral_constantIbLb0EESZ_EEDaSU_SV_EUlSU_E_NS1_11comp_targetILNS1_3genE4ELNS1_11target_archE910ELNS1_3gpuE8ELNS1_3repE0EEENS1_30default_config_static_selectorELNS0_4arch9wavefront6targetE1EEEvT1_
		.amdhsa_group_segment_fixed_size 7168
		.amdhsa_private_segment_fixed_size 0
		.amdhsa_kernarg_size 104
		.amdhsa_user_sgpr_count 8
		.amdhsa_user_sgpr_private_segment_buffer 1
		.amdhsa_user_sgpr_dispatch_ptr 0
		.amdhsa_user_sgpr_queue_ptr 0
		.amdhsa_user_sgpr_kernarg_segment_ptr 1
		.amdhsa_user_sgpr_dispatch_id 0
		.amdhsa_user_sgpr_flat_scratch_init 1
		.amdhsa_user_sgpr_kernarg_preload_length 0
		.amdhsa_user_sgpr_kernarg_preload_offset 0
		.amdhsa_user_sgpr_private_segment_size 0
		.amdhsa_uses_dynamic_stack 0
		.amdhsa_system_sgpr_private_segment_wavefront_offset 0
		.amdhsa_system_sgpr_workgroup_id_x 1
		.amdhsa_system_sgpr_workgroup_id_y 0
		.amdhsa_system_sgpr_workgroup_id_z 0
		.amdhsa_system_sgpr_workgroup_info 0
		.amdhsa_system_vgpr_workitem_id 0
		.amdhsa_next_free_vgpr 73
		.amdhsa_next_free_sgpr 57
		.amdhsa_accum_offset 76
		.amdhsa_reserve_vcc 1
		.amdhsa_reserve_flat_scratch 1
		.amdhsa_float_round_mode_32 0
		.amdhsa_float_round_mode_16_64 0
		.amdhsa_float_denorm_mode_32 3
		.amdhsa_float_denorm_mode_16_64 3
		.amdhsa_dx10_clamp 1
		.amdhsa_ieee_mode 1
		.amdhsa_fp16_overflow 0
		.amdhsa_tg_split 0
		.amdhsa_exception_fp_ieee_invalid_op 0
		.amdhsa_exception_fp_denorm_src 0
		.amdhsa_exception_fp_ieee_div_zero 0
		.amdhsa_exception_fp_ieee_overflow 0
		.amdhsa_exception_fp_ieee_underflow 0
		.amdhsa_exception_fp_ieee_inexact 0
		.amdhsa_exception_int_div_zero 0
	.end_amdhsa_kernel
	.section	.text._ZN7rocprim17ROCPRIM_400000_NS6detail17trampoline_kernelINS0_14default_configENS1_20scan_config_selectorIN3c107complexIfEEEEZZNS1_9scan_implILNS1_25lookback_scan_determinismE0ELb0ELb0ES3_PKS7_PS7_S7_ZZZN2at6native31launch_logcumsumexp_cuda_kernelERKNSE_10TensorBaseESI_lENKUlvE_clEvENKUlvE2_clEvEUlS7_S7_E_S7_EEDaPvRmT3_T4_T5_mT6_P12ihipStream_tbENKUlT_T0_E_clISt17integral_constantIbLb0EESZ_EEDaSU_SV_EUlSU_E_NS1_11comp_targetILNS1_3genE4ELNS1_11target_archE910ELNS1_3gpuE8ELNS1_3repE0EEENS1_30default_config_static_selectorELNS0_4arch9wavefront6targetE1EEEvT1_,"axG",@progbits,_ZN7rocprim17ROCPRIM_400000_NS6detail17trampoline_kernelINS0_14default_configENS1_20scan_config_selectorIN3c107complexIfEEEEZZNS1_9scan_implILNS1_25lookback_scan_determinismE0ELb0ELb0ES3_PKS7_PS7_S7_ZZZN2at6native31launch_logcumsumexp_cuda_kernelERKNSE_10TensorBaseESI_lENKUlvE_clEvENKUlvE2_clEvEUlS7_S7_E_S7_EEDaPvRmT3_T4_T5_mT6_P12ihipStream_tbENKUlT_T0_E_clISt17integral_constantIbLb0EESZ_EEDaSU_SV_EUlSU_E_NS1_11comp_targetILNS1_3genE4ELNS1_11target_archE910ELNS1_3gpuE8ELNS1_3repE0EEENS1_30default_config_static_selectorELNS0_4arch9wavefront6targetE1EEEvT1_,comdat
.Lfunc_end266:
	.size	_ZN7rocprim17ROCPRIM_400000_NS6detail17trampoline_kernelINS0_14default_configENS1_20scan_config_selectorIN3c107complexIfEEEEZZNS1_9scan_implILNS1_25lookback_scan_determinismE0ELb0ELb0ES3_PKS7_PS7_S7_ZZZN2at6native31launch_logcumsumexp_cuda_kernelERKNSE_10TensorBaseESI_lENKUlvE_clEvENKUlvE2_clEvEUlS7_S7_E_S7_EEDaPvRmT3_T4_T5_mT6_P12ihipStream_tbENKUlT_T0_E_clISt17integral_constantIbLb0EESZ_EEDaSU_SV_EUlSU_E_NS1_11comp_targetILNS1_3genE4ELNS1_11target_archE910ELNS1_3gpuE8ELNS1_3repE0EEENS1_30default_config_static_selectorELNS0_4arch9wavefront6targetE1EEEvT1_, .Lfunc_end266-_ZN7rocprim17ROCPRIM_400000_NS6detail17trampoline_kernelINS0_14default_configENS1_20scan_config_selectorIN3c107complexIfEEEEZZNS1_9scan_implILNS1_25lookback_scan_determinismE0ELb0ELb0ES3_PKS7_PS7_S7_ZZZN2at6native31launch_logcumsumexp_cuda_kernelERKNSE_10TensorBaseESI_lENKUlvE_clEvENKUlvE2_clEvEUlS7_S7_E_S7_EEDaPvRmT3_T4_T5_mT6_P12ihipStream_tbENKUlT_T0_E_clISt17integral_constantIbLb0EESZ_EEDaSU_SV_EUlSU_E_NS1_11comp_targetILNS1_3genE4ELNS1_11target_archE910ELNS1_3gpuE8ELNS1_3repE0EEENS1_30default_config_static_selectorELNS0_4arch9wavefront6targetE1EEEvT1_
                                        ; -- End function
	.section	.AMDGPU.csdata,"",@progbits
; Kernel info:
; codeLenInByte = 6460
; NumSgprs: 63
; NumVgprs: 73
; NumAgprs: 0
; TotalNumVgprs: 73
; ScratchSize: 0
; MemoryBound: 0
; FloatMode: 240
; IeeeMode: 1
; LDSByteSize: 7168 bytes/workgroup (compile time only)
; SGPRBlocks: 7
; VGPRBlocks: 9
; NumSGPRsForWavesPerEU: 63
; NumVGPRsForWavesPerEU: 73
; AccumOffset: 76
; Occupancy: 5
; WaveLimiterHint : 0
; COMPUTE_PGM_RSRC2:SCRATCH_EN: 0
; COMPUTE_PGM_RSRC2:USER_SGPR: 8
; COMPUTE_PGM_RSRC2:TRAP_HANDLER: 0
; COMPUTE_PGM_RSRC2:TGID_X_EN: 1
; COMPUTE_PGM_RSRC2:TGID_Y_EN: 0
; COMPUTE_PGM_RSRC2:TGID_Z_EN: 0
; COMPUTE_PGM_RSRC2:TIDIG_COMP_CNT: 0
; COMPUTE_PGM_RSRC3_GFX90A:ACCUM_OFFSET: 18
; COMPUTE_PGM_RSRC3_GFX90A:TG_SPLIT: 0
	.section	.text._ZN7rocprim17ROCPRIM_400000_NS6detail17trampoline_kernelINS0_14default_configENS1_20scan_config_selectorIN3c107complexIfEEEEZZNS1_9scan_implILNS1_25lookback_scan_determinismE0ELb0ELb0ES3_PKS7_PS7_S7_ZZZN2at6native31launch_logcumsumexp_cuda_kernelERKNSE_10TensorBaseESI_lENKUlvE_clEvENKUlvE2_clEvEUlS7_S7_E_S7_EEDaPvRmT3_T4_T5_mT6_P12ihipStream_tbENKUlT_T0_E_clISt17integral_constantIbLb0EESZ_EEDaSU_SV_EUlSU_E_NS1_11comp_targetILNS1_3genE3ELNS1_11target_archE908ELNS1_3gpuE7ELNS1_3repE0EEENS1_30default_config_static_selectorELNS0_4arch9wavefront6targetE1EEEvT1_,"axG",@progbits,_ZN7rocprim17ROCPRIM_400000_NS6detail17trampoline_kernelINS0_14default_configENS1_20scan_config_selectorIN3c107complexIfEEEEZZNS1_9scan_implILNS1_25lookback_scan_determinismE0ELb0ELb0ES3_PKS7_PS7_S7_ZZZN2at6native31launch_logcumsumexp_cuda_kernelERKNSE_10TensorBaseESI_lENKUlvE_clEvENKUlvE2_clEvEUlS7_S7_E_S7_EEDaPvRmT3_T4_T5_mT6_P12ihipStream_tbENKUlT_T0_E_clISt17integral_constantIbLb0EESZ_EEDaSU_SV_EUlSU_E_NS1_11comp_targetILNS1_3genE3ELNS1_11target_archE908ELNS1_3gpuE7ELNS1_3repE0EEENS1_30default_config_static_selectorELNS0_4arch9wavefront6targetE1EEEvT1_,comdat
	.globl	_ZN7rocprim17ROCPRIM_400000_NS6detail17trampoline_kernelINS0_14default_configENS1_20scan_config_selectorIN3c107complexIfEEEEZZNS1_9scan_implILNS1_25lookback_scan_determinismE0ELb0ELb0ES3_PKS7_PS7_S7_ZZZN2at6native31launch_logcumsumexp_cuda_kernelERKNSE_10TensorBaseESI_lENKUlvE_clEvENKUlvE2_clEvEUlS7_S7_E_S7_EEDaPvRmT3_T4_T5_mT6_P12ihipStream_tbENKUlT_T0_E_clISt17integral_constantIbLb0EESZ_EEDaSU_SV_EUlSU_E_NS1_11comp_targetILNS1_3genE3ELNS1_11target_archE908ELNS1_3gpuE7ELNS1_3repE0EEENS1_30default_config_static_selectorELNS0_4arch9wavefront6targetE1EEEvT1_ ; -- Begin function _ZN7rocprim17ROCPRIM_400000_NS6detail17trampoline_kernelINS0_14default_configENS1_20scan_config_selectorIN3c107complexIfEEEEZZNS1_9scan_implILNS1_25lookback_scan_determinismE0ELb0ELb0ES3_PKS7_PS7_S7_ZZZN2at6native31launch_logcumsumexp_cuda_kernelERKNSE_10TensorBaseESI_lENKUlvE_clEvENKUlvE2_clEvEUlS7_S7_E_S7_EEDaPvRmT3_T4_T5_mT6_P12ihipStream_tbENKUlT_T0_E_clISt17integral_constantIbLb0EESZ_EEDaSU_SV_EUlSU_E_NS1_11comp_targetILNS1_3genE3ELNS1_11target_archE908ELNS1_3gpuE7ELNS1_3repE0EEENS1_30default_config_static_selectorELNS0_4arch9wavefront6targetE1EEEvT1_
	.p2align	8
	.type	_ZN7rocprim17ROCPRIM_400000_NS6detail17trampoline_kernelINS0_14default_configENS1_20scan_config_selectorIN3c107complexIfEEEEZZNS1_9scan_implILNS1_25lookback_scan_determinismE0ELb0ELb0ES3_PKS7_PS7_S7_ZZZN2at6native31launch_logcumsumexp_cuda_kernelERKNSE_10TensorBaseESI_lENKUlvE_clEvENKUlvE2_clEvEUlS7_S7_E_S7_EEDaPvRmT3_T4_T5_mT6_P12ihipStream_tbENKUlT_T0_E_clISt17integral_constantIbLb0EESZ_EEDaSU_SV_EUlSU_E_NS1_11comp_targetILNS1_3genE3ELNS1_11target_archE908ELNS1_3gpuE7ELNS1_3repE0EEENS1_30default_config_static_selectorELNS0_4arch9wavefront6targetE1EEEvT1_,@function
_ZN7rocprim17ROCPRIM_400000_NS6detail17trampoline_kernelINS0_14default_configENS1_20scan_config_selectorIN3c107complexIfEEEEZZNS1_9scan_implILNS1_25lookback_scan_determinismE0ELb0ELb0ES3_PKS7_PS7_S7_ZZZN2at6native31launch_logcumsumexp_cuda_kernelERKNSE_10TensorBaseESI_lENKUlvE_clEvENKUlvE2_clEvEUlS7_S7_E_S7_EEDaPvRmT3_T4_T5_mT6_P12ihipStream_tbENKUlT_T0_E_clISt17integral_constantIbLb0EESZ_EEDaSU_SV_EUlSU_E_NS1_11comp_targetILNS1_3genE3ELNS1_11target_archE908ELNS1_3gpuE7ELNS1_3repE0EEENS1_30default_config_static_selectorELNS0_4arch9wavefront6targetE1EEEvT1_: ; @_ZN7rocprim17ROCPRIM_400000_NS6detail17trampoline_kernelINS0_14default_configENS1_20scan_config_selectorIN3c107complexIfEEEEZZNS1_9scan_implILNS1_25lookback_scan_determinismE0ELb0ELb0ES3_PKS7_PS7_S7_ZZZN2at6native31launch_logcumsumexp_cuda_kernelERKNSE_10TensorBaseESI_lENKUlvE_clEvENKUlvE2_clEvEUlS7_S7_E_S7_EEDaPvRmT3_T4_T5_mT6_P12ihipStream_tbENKUlT_T0_E_clISt17integral_constantIbLb0EESZ_EEDaSU_SV_EUlSU_E_NS1_11comp_targetILNS1_3genE3ELNS1_11target_archE908ELNS1_3gpuE7ELNS1_3repE0EEENS1_30default_config_static_selectorELNS0_4arch9wavefront6targetE1EEEvT1_
; %bb.0:
	.section	.rodata,"a",@progbits
	.p2align	6, 0x0
	.amdhsa_kernel _ZN7rocprim17ROCPRIM_400000_NS6detail17trampoline_kernelINS0_14default_configENS1_20scan_config_selectorIN3c107complexIfEEEEZZNS1_9scan_implILNS1_25lookback_scan_determinismE0ELb0ELb0ES3_PKS7_PS7_S7_ZZZN2at6native31launch_logcumsumexp_cuda_kernelERKNSE_10TensorBaseESI_lENKUlvE_clEvENKUlvE2_clEvEUlS7_S7_E_S7_EEDaPvRmT3_T4_T5_mT6_P12ihipStream_tbENKUlT_T0_E_clISt17integral_constantIbLb0EESZ_EEDaSU_SV_EUlSU_E_NS1_11comp_targetILNS1_3genE3ELNS1_11target_archE908ELNS1_3gpuE7ELNS1_3repE0EEENS1_30default_config_static_selectorELNS0_4arch9wavefront6targetE1EEEvT1_
		.amdhsa_group_segment_fixed_size 0
		.amdhsa_private_segment_fixed_size 0
		.amdhsa_kernarg_size 104
		.amdhsa_user_sgpr_count 6
		.amdhsa_user_sgpr_private_segment_buffer 1
		.amdhsa_user_sgpr_dispatch_ptr 0
		.amdhsa_user_sgpr_queue_ptr 0
		.amdhsa_user_sgpr_kernarg_segment_ptr 1
		.amdhsa_user_sgpr_dispatch_id 0
		.amdhsa_user_sgpr_flat_scratch_init 0
		.amdhsa_user_sgpr_kernarg_preload_length 0
		.amdhsa_user_sgpr_kernarg_preload_offset 0
		.amdhsa_user_sgpr_private_segment_size 0
		.amdhsa_uses_dynamic_stack 0
		.amdhsa_system_sgpr_private_segment_wavefront_offset 0
		.amdhsa_system_sgpr_workgroup_id_x 1
		.amdhsa_system_sgpr_workgroup_id_y 0
		.amdhsa_system_sgpr_workgroup_id_z 0
		.amdhsa_system_sgpr_workgroup_info 0
		.amdhsa_system_vgpr_workitem_id 0
		.amdhsa_next_free_vgpr 1
		.amdhsa_next_free_sgpr 0
		.amdhsa_accum_offset 4
		.amdhsa_reserve_vcc 0
		.amdhsa_reserve_flat_scratch 0
		.amdhsa_float_round_mode_32 0
		.amdhsa_float_round_mode_16_64 0
		.amdhsa_float_denorm_mode_32 3
		.amdhsa_float_denorm_mode_16_64 3
		.amdhsa_dx10_clamp 1
		.amdhsa_ieee_mode 1
		.amdhsa_fp16_overflow 0
		.amdhsa_tg_split 0
		.amdhsa_exception_fp_ieee_invalid_op 0
		.amdhsa_exception_fp_denorm_src 0
		.amdhsa_exception_fp_ieee_div_zero 0
		.amdhsa_exception_fp_ieee_overflow 0
		.amdhsa_exception_fp_ieee_underflow 0
		.amdhsa_exception_fp_ieee_inexact 0
		.amdhsa_exception_int_div_zero 0
	.end_amdhsa_kernel
	.section	.text._ZN7rocprim17ROCPRIM_400000_NS6detail17trampoline_kernelINS0_14default_configENS1_20scan_config_selectorIN3c107complexIfEEEEZZNS1_9scan_implILNS1_25lookback_scan_determinismE0ELb0ELb0ES3_PKS7_PS7_S7_ZZZN2at6native31launch_logcumsumexp_cuda_kernelERKNSE_10TensorBaseESI_lENKUlvE_clEvENKUlvE2_clEvEUlS7_S7_E_S7_EEDaPvRmT3_T4_T5_mT6_P12ihipStream_tbENKUlT_T0_E_clISt17integral_constantIbLb0EESZ_EEDaSU_SV_EUlSU_E_NS1_11comp_targetILNS1_3genE3ELNS1_11target_archE908ELNS1_3gpuE7ELNS1_3repE0EEENS1_30default_config_static_selectorELNS0_4arch9wavefront6targetE1EEEvT1_,"axG",@progbits,_ZN7rocprim17ROCPRIM_400000_NS6detail17trampoline_kernelINS0_14default_configENS1_20scan_config_selectorIN3c107complexIfEEEEZZNS1_9scan_implILNS1_25lookback_scan_determinismE0ELb0ELb0ES3_PKS7_PS7_S7_ZZZN2at6native31launch_logcumsumexp_cuda_kernelERKNSE_10TensorBaseESI_lENKUlvE_clEvENKUlvE2_clEvEUlS7_S7_E_S7_EEDaPvRmT3_T4_T5_mT6_P12ihipStream_tbENKUlT_T0_E_clISt17integral_constantIbLb0EESZ_EEDaSU_SV_EUlSU_E_NS1_11comp_targetILNS1_3genE3ELNS1_11target_archE908ELNS1_3gpuE7ELNS1_3repE0EEENS1_30default_config_static_selectorELNS0_4arch9wavefront6targetE1EEEvT1_,comdat
.Lfunc_end267:
	.size	_ZN7rocprim17ROCPRIM_400000_NS6detail17trampoline_kernelINS0_14default_configENS1_20scan_config_selectorIN3c107complexIfEEEEZZNS1_9scan_implILNS1_25lookback_scan_determinismE0ELb0ELb0ES3_PKS7_PS7_S7_ZZZN2at6native31launch_logcumsumexp_cuda_kernelERKNSE_10TensorBaseESI_lENKUlvE_clEvENKUlvE2_clEvEUlS7_S7_E_S7_EEDaPvRmT3_T4_T5_mT6_P12ihipStream_tbENKUlT_T0_E_clISt17integral_constantIbLb0EESZ_EEDaSU_SV_EUlSU_E_NS1_11comp_targetILNS1_3genE3ELNS1_11target_archE908ELNS1_3gpuE7ELNS1_3repE0EEENS1_30default_config_static_selectorELNS0_4arch9wavefront6targetE1EEEvT1_, .Lfunc_end267-_ZN7rocprim17ROCPRIM_400000_NS6detail17trampoline_kernelINS0_14default_configENS1_20scan_config_selectorIN3c107complexIfEEEEZZNS1_9scan_implILNS1_25lookback_scan_determinismE0ELb0ELb0ES3_PKS7_PS7_S7_ZZZN2at6native31launch_logcumsumexp_cuda_kernelERKNSE_10TensorBaseESI_lENKUlvE_clEvENKUlvE2_clEvEUlS7_S7_E_S7_EEDaPvRmT3_T4_T5_mT6_P12ihipStream_tbENKUlT_T0_E_clISt17integral_constantIbLb0EESZ_EEDaSU_SV_EUlSU_E_NS1_11comp_targetILNS1_3genE3ELNS1_11target_archE908ELNS1_3gpuE7ELNS1_3repE0EEENS1_30default_config_static_selectorELNS0_4arch9wavefront6targetE1EEEvT1_
                                        ; -- End function
	.section	.AMDGPU.csdata,"",@progbits
; Kernel info:
; codeLenInByte = 0
; NumSgprs: 4
; NumVgprs: 0
; NumAgprs: 0
; TotalNumVgprs: 0
; ScratchSize: 0
; MemoryBound: 0
; FloatMode: 240
; IeeeMode: 1
; LDSByteSize: 0 bytes/workgroup (compile time only)
; SGPRBlocks: 0
; VGPRBlocks: 0
; NumSGPRsForWavesPerEU: 4
; NumVGPRsForWavesPerEU: 1
; AccumOffset: 4
; Occupancy: 8
; WaveLimiterHint : 0
; COMPUTE_PGM_RSRC2:SCRATCH_EN: 0
; COMPUTE_PGM_RSRC2:USER_SGPR: 6
; COMPUTE_PGM_RSRC2:TRAP_HANDLER: 0
; COMPUTE_PGM_RSRC2:TGID_X_EN: 1
; COMPUTE_PGM_RSRC2:TGID_Y_EN: 0
; COMPUTE_PGM_RSRC2:TGID_Z_EN: 0
; COMPUTE_PGM_RSRC2:TIDIG_COMP_CNT: 0
; COMPUTE_PGM_RSRC3_GFX90A:ACCUM_OFFSET: 0
; COMPUTE_PGM_RSRC3_GFX90A:TG_SPLIT: 0
	.section	.text._ZN7rocprim17ROCPRIM_400000_NS6detail17trampoline_kernelINS0_14default_configENS1_20scan_config_selectorIN3c107complexIfEEEEZZNS1_9scan_implILNS1_25lookback_scan_determinismE0ELb0ELb0ES3_PKS7_PS7_S7_ZZZN2at6native31launch_logcumsumexp_cuda_kernelERKNSE_10TensorBaseESI_lENKUlvE_clEvENKUlvE2_clEvEUlS7_S7_E_S7_EEDaPvRmT3_T4_T5_mT6_P12ihipStream_tbENKUlT_T0_E_clISt17integral_constantIbLb0EESZ_EEDaSU_SV_EUlSU_E_NS1_11comp_targetILNS1_3genE2ELNS1_11target_archE906ELNS1_3gpuE6ELNS1_3repE0EEENS1_30default_config_static_selectorELNS0_4arch9wavefront6targetE1EEEvT1_,"axG",@progbits,_ZN7rocprim17ROCPRIM_400000_NS6detail17trampoline_kernelINS0_14default_configENS1_20scan_config_selectorIN3c107complexIfEEEEZZNS1_9scan_implILNS1_25lookback_scan_determinismE0ELb0ELb0ES3_PKS7_PS7_S7_ZZZN2at6native31launch_logcumsumexp_cuda_kernelERKNSE_10TensorBaseESI_lENKUlvE_clEvENKUlvE2_clEvEUlS7_S7_E_S7_EEDaPvRmT3_T4_T5_mT6_P12ihipStream_tbENKUlT_T0_E_clISt17integral_constantIbLb0EESZ_EEDaSU_SV_EUlSU_E_NS1_11comp_targetILNS1_3genE2ELNS1_11target_archE906ELNS1_3gpuE6ELNS1_3repE0EEENS1_30default_config_static_selectorELNS0_4arch9wavefront6targetE1EEEvT1_,comdat
	.globl	_ZN7rocprim17ROCPRIM_400000_NS6detail17trampoline_kernelINS0_14default_configENS1_20scan_config_selectorIN3c107complexIfEEEEZZNS1_9scan_implILNS1_25lookback_scan_determinismE0ELb0ELb0ES3_PKS7_PS7_S7_ZZZN2at6native31launch_logcumsumexp_cuda_kernelERKNSE_10TensorBaseESI_lENKUlvE_clEvENKUlvE2_clEvEUlS7_S7_E_S7_EEDaPvRmT3_T4_T5_mT6_P12ihipStream_tbENKUlT_T0_E_clISt17integral_constantIbLb0EESZ_EEDaSU_SV_EUlSU_E_NS1_11comp_targetILNS1_3genE2ELNS1_11target_archE906ELNS1_3gpuE6ELNS1_3repE0EEENS1_30default_config_static_selectorELNS0_4arch9wavefront6targetE1EEEvT1_ ; -- Begin function _ZN7rocprim17ROCPRIM_400000_NS6detail17trampoline_kernelINS0_14default_configENS1_20scan_config_selectorIN3c107complexIfEEEEZZNS1_9scan_implILNS1_25lookback_scan_determinismE0ELb0ELb0ES3_PKS7_PS7_S7_ZZZN2at6native31launch_logcumsumexp_cuda_kernelERKNSE_10TensorBaseESI_lENKUlvE_clEvENKUlvE2_clEvEUlS7_S7_E_S7_EEDaPvRmT3_T4_T5_mT6_P12ihipStream_tbENKUlT_T0_E_clISt17integral_constantIbLb0EESZ_EEDaSU_SV_EUlSU_E_NS1_11comp_targetILNS1_3genE2ELNS1_11target_archE906ELNS1_3gpuE6ELNS1_3repE0EEENS1_30default_config_static_selectorELNS0_4arch9wavefront6targetE1EEEvT1_
	.p2align	8
	.type	_ZN7rocprim17ROCPRIM_400000_NS6detail17trampoline_kernelINS0_14default_configENS1_20scan_config_selectorIN3c107complexIfEEEEZZNS1_9scan_implILNS1_25lookback_scan_determinismE0ELb0ELb0ES3_PKS7_PS7_S7_ZZZN2at6native31launch_logcumsumexp_cuda_kernelERKNSE_10TensorBaseESI_lENKUlvE_clEvENKUlvE2_clEvEUlS7_S7_E_S7_EEDaPvRmT3_T4_T5_mT6_P12ihipStream_tbENKUlT_T0_E_clISt17integral_constantIbLb0EESZ_EEDaSU_SV_EUlSU_E_NS1_11comp_targetILNS1_3genE2ELNS1_11target_archE906ELNS1_3gpuE6ELNS1_3repE0EEENS1_30default_config_static_selectorELNS0_4arch9wavefront6targetE1EEEvT1_,@function
_ZN7rocprim17ROCPRIM_400000_NS6detail17trampoline_kernelINS0_14default_configENS1_20scan_config_selectorIN3c107complexIfEEEEZZNS1_9scan_implILNS1_25lookback_scan_determinismE0ELb0ELb0ES3_PKS7_PS7_S7_ZZZN2at6native31launch_logcumsumexp_cuda_kernelERKNSE_10TensorBaseESI_lENKUlvE_clEvENKUlvE2_clEvEUlS7_S7_E_S7_EEDaPvRmT3_T4_T5_mT6_P12ihipStream_tbENKUlT_T0_E_clISt17integral_constantIbLb0EESZ_EEDaSU_SV_EUlSU_E_NS1_11comp_targetILNS1_3genE2ELNS1_11target_archE906ELNS1_3gpuE6ELNS1_3repE0EEENS1_30default_config_static_selectorELNS0_4arch9wavefront6targetE1EEEvT1_: ; @_ZN7rocprim17ROCPRIM_400000_NS6detail17trampoline_kernelINS0_14default_configENS1_20scan_config_selectorIN3c107complexIfEEEEZZNS1_9scan_implILNS1_25lookback_scan_determinismE0ELb0ELb0ES3_PKS7_PS7_S7_ZZZN2at6native31launch_logcumsumexp_cuda_kernelERKNSE_10TensorBaseESI_lENKUlvE_clEvENKUlvE2_clEvEUlS7_S7_E_S7_EEDaPvRmT3_T4_T5_mT6_P12ihipStream_tbENKUlT_T0_E_clISt17integral_constantIbLb0EESZ_EEDaSU_SV_EUlSU_E_NS1_11comp_targetILNS1_3genE2ELNS1_11target_archE906ELNS1_3gpuE6ELNS1_3repE0EEENS1_30default_config_static_selectorELNS0_4arch9wavefront6targetE1EEEvT1_
; %bb.0:
	.section	.rodata,"a",@progbits
	.p2align	6, 0x0
	.amdhsa_kernel _ZN7rocprim17ROCPRIM_400000_NS6detail17trampoline_kernelINS0_14default_configENS1_20scan_config_selectorIN3c107complexIfEEEEZZNS1_9scan_implILNS1_25lookback_scan_determinismE0ELb0ELb0ES3_PKS7_PS7_S7_ZZZN2at6native31launch_logcumsumexp_cuda_kernelERKNSE_10TensorBaseESI_lENKUlvE_clEvENKUlvE2_clEvEUlS7_S7_E_S7_EEDaPvRmT3_T4_T5_mT6_P12ihipStream_tbENKUlT_T0_E_clISt17integral_constantIbLb0EESZ_EEDaSU_SV_EUlSU_E_NS1_11comp_targetILNS1_3genE2ELNS1_11target_archE906ELNS1_3gpuE6ELNS1_3repE0EEENS1_30default_config_static_selectorELNS0_4arch9wavefront6targetE1EEEvT1_
		.amdhsa_group_segment_fixed_size 0
		.amdhsa_private_segment_fixed_size 0
		.amdhsa_kernarg_size 104
		.amdhsa_user_sgpr_count 6
		.amdhsa_user_sgpr_private_segment_buffer 1
		.amdhsa_user_sgpr_dispatch_ptr 0
		.amdhsa_user_sgpr_queue_ptr 0
		.amdhsa_user_sgpr_kernarg_segment_ptr 1
		.amdhsa_user_sgpr_dispatch_id 0
		.amdhsa_user_sgpr_flat_scratch_init 0
		.amdhsa_user_sgpr_kernarg_preload_length 0
		.amdhsa_user_sgpr_kernarg_preload_offset 0
		.amdhsa_user_sgpr_private_segment_size 0
		.amdhsa_uses_dynamic_stack 0
		.amdhsa_system_sgpr_private_segment_wavefront_offset 0
		.amdhsa_system_sgpr_workgroup_id_x 1
		.amdhsa_system_sgpr_workgroup_id_y 0
		.amdhsa_system_sgpr_workgroup_id_z 0
		.amdhsa_system_sgpr_workgroup_info 0
		.amdhsa_system_vgpr_workitem_id 0
		.amdhsa_next_free_vgpr 1
		.amdhsa_next_free_sgpr 0
		.amdhsa_accum_offset 4
		.amdhsa_reserve_vcc 0
		.amdhsa_reserve_flat_scratch 0
		.amdhsa_float_round_mode_32 0
		.amdhsa_float_round_mode_16_64 0
		.amdhsa_float_denorm_mode_32 3
		.amdhsa_float_denorm_mode_16_64 3
		.amdhsa_dx10_clamp 1
		.amdhsa_ieee_mode 1
		.amdhsa_fp16_overflow 0
		.amdhsa_tg_split 0
		.amdhsa_exception_fp_ieee_invalid_op 0
		.amdhsa_exception_fp_denorm_src 0
		.amdhsa_exception_fp_ieee_div_zero 0
		.amdhsa_exception_fp_ieee_overflow 0
		.amdhsa_exception_fp_ieee_underflow 0
		.amdhsa_exception_fp_ieee_inexact 0
		.amdhsa_exception_int_div_zero 0
	.end_amdhsa_kernel
	.section	.text._ZN7rocprim17ROCPRIM_400000_NS6detail17trampoline_kernelINS0_14default_configENS1_20scan_config_selectorIN3c107complexIfEEEEZZNS1_9scan_implILNS1_25lookback_scan_determinismE0ELb0ELb0ES3_PKS7_PS7_S7_ZZZN2at6native31launch_logcumsumexp_cuda_kernelERKNSE_10TensorBaseESI_lENKUlvE_clEvENKUlvE2_clEvEUlS7_S7_E_S7_EEDaPvRmT3_T4_T5_mT6_P12ihipStream_tbENKUlT_T0_E_clISt17integral_constantIbLb0EESZ_EEDaSU_SV_EUlSU_E_NS1_11comp_targetILNS1_3genE2ELNS1_11target_archE906ELNS1_3gpuE6ELNS1_3repE0EEENS1_30default_config_static_selectorELNS0_4arch9wavefront6targetE1EEEvT1_,"axG",@progbits,_ZN7rocprim17ROCPRIM_400000_NS6detail17trampoline_kernelINS0_14default_configENS1_20scan_config_selectorIN3c107complexIfEEEEZZNS1_9scan_implILNS1_25lookback_scan_determinismE0ELb0ELb0ES3_PKS7_PS7_S7_ZZZN2at6native31launch_logcumsumexp_cuda_kernelERKNSE_10TensorBaseESI_lENKUlvE_clEvENKUlvE2_clEvEUlS7_S7_E_S7_EEDaPvRmT3_T4_T5_mT6_P12ihipStream_tbENKUlT_T0_E_clISt17integral_constantIbLb0EESZ_EEDaSU_SV_EUlSU_E_NS1_11comp_targetILNS1_3genE2ELNS1_11target_archE906ELNS1_3gpuE6ELNS1_3repE0EEENS1_30default_config_static_selectorELNS0_4arch9wavefront6targetE1EEEvT1_,comdat
.Lfunc_end268:
	.size	_ZN7rocprim17ROCPRIM_400000_NS6detail17trampoline_kernelINS0_14default_configENS1_20scan_config_selectorIN3c107complexIfEEEEZZNS1_9scan_implILNS1_25lookback_scan_determinismE0ELb0ELb0ES3_PKS7_PS7_S7_ZZZN2at6native31launch_logcumsumexp_cuda_kernelERKNSE_10TensorBaseESI_lENKUlvE_clEvENKUlvE2_clEvEUlS7_S7_E_S7_EEDaPvRmT3_T4_T5_mT6_P12ihipStream_tbENKUlT_T0_E_clISt17integral_constantIbLb0EESZ_EEDaSU_SV_EUlSU_E_NS1_11comp_targetILNS1_3genE2ELNS1_11target_archE906ELNS1_3gpuE6ELNS1_3repE0EEENS1_30default_config_static_selectorELNS0_4arch9wavefront6targetE1EEEvT1_, .Lfunc_end268-_ZN7rocprim17ROCPRIM_400000_NS6detail17trampoline_kernelINS0_14default_configENS1_20scan_config_selectorIN3c107complexIfEEEEZZNS1_9scan_implILNS1_25lookback_scan_determinismE0ELb0ELb0ES3_PKS7_PS7_S7_ZZZN2at6native31launch_logcumsumexp_cuda_kernelERKNSE_10TensorBaseESI_lENKUlvE_clEvENKUlvE2_clEvEUlS7_S7_E_S7_EEDaPvRmT3_T4_T5_mT6_P12ihipStream_tbENKUlT_T0_E_clISt17integral_constantIbLb0EESZ_EEDaSU_SV_EUlSU_E_NS1_11comp_targetILNS1_3genE2ELNS1_11target_archE906ELNS1_3gpuE6ELNS1_3repE0EEENS1_30default_config_static_selectorELNS0_4arch9wavefront6targetE1EEEvT1_
                                        ; -- End function
	.section	.AMDGPU.csdata,"",@progbits
; Kernel info:
; codeLenInByte = 0
; NumSgprs: 4
; NumVgprs: 0
; NumAgprs: 0
; TotalNumVgprs: 0
; ScratchSize: 0
; MemoryBound: 0
; FloatMode: 240
; IeeeMode: 1
; LDSByteSize: 0 bytes/workgroup (compile time only)
; SGPRBlocks: 0
; VGPRBlocks: 0
; NumSGPRsForWavesPerEU: 4
; NumVGPRsForWavesPerEU: 1
; AccumOffset: 4
; Occupancy: 8
; WaveLimiterHint : 0
; COMPUTE_PGM_RSRC2:SCRATCH_EN: 0
; COMPUTE_PGM_RSRC2:USER_SGPR: 6
; COMPUTE_PGM_RSRC2:TRAP_HANDLER: 0
; COMPUTE_PGM_RSRC2:TGID_X_EN: 1
; COMPUTE_PGM_RSRC2:TGID_Y_EN: 0
; COMPUTE_PGM_RSRC2:TGID_Z_EN: 0
; COMPUTE_PGM_RSRC2:TIDIG_COMP_CNT: 0
; COMPUTE_PGM_RSRC3_GFX90A:ACCUM_OFFSET: 0
; COMPUTE_PGM_RSRC3_GFX90A:TG_SPLIT: 0
	.section	.text._ZN7rocprim17ROCPRIM_400000_NS6detail17trampoline_kernelINS0_14default_configENS1_20scan_config_selectorIN3c107complexIfEEEEZZNS1_9scan_implILNS1_25lookback_scan_determinismE0ELb0ELb0ES3_PKS7_PS7_S7_ZZZN2at6native31launch_logcumsumexp_cuda_kernelERKNSE_10TensorBaseESI_lENKUlvE_clEvENKUlvE2_clEvEUlS7_S7_E_S7_EEDaPvRmT3_T4_T5_mT6_P12ihipStream_tbENKUlT_T0_E_clISt17integral_constantIbLb0EESZ_EEDaSU_SV_EUlSU_E_NS1_11comp_targetILNS1_3genE10ELNS1_11target_archE1201ELNS1_3gpuE5ELNS1_3repE0EEENS1_30default_config_static_selectorELNS0_4arch9wavefront6targetE1EEEvT1_,"axG",@progbits,_ZN7rocprim17ROCPRIM_400000_NS6detail17trampoline_kernelINS0_14default_configENS1_20scan_config_selectorIN3c107complexIfEEEEZZNS1_9scan_implILNS1_25lookback_scan_determinismE0ELb0ELb0ES3_PKS7_PS7_S7_ZZZN2at6native31launch_logcumsumexp_cuda_kernelERKNSE_10TensorBaseESI_lENKUlvE_clEvENKUlvE2_clEvEUlS7_S7_E_S7_EEDaPvRmT3_T4_T5_mT6_P12ihipStream_tbENKUlT_T0_E_clISt17integral_constantIbLb0EESZ_EEDaSU_SV_EUlSU_E_NS1_11comp_targetILNS1_3genE10ELNS1_11target_archE1201ELNS1_3gpuE5ELNS1_3repE0EEENS1_30default_config_static_selectorELNS0_4arch9wavefront6targetE1EEEvT1_,comdat
	.globl	_ZN7rocprim17ROCPRIM_400000_NS6detail17trampoline_kernelINS0_14default_configENS1_20scan_config_selectorIN3c107complexIfEEEEZZNS1_9scan_implILNS1_25lookback_scan_determinismE0ELb0ELb0ES3_PKS7_PS7_S7_ZZZN2at6native31launch_logcumsumexp_cuda_kernelERKNSE_10TensorBaseESI_lENKUlvE_clEvENKUlvE2_clEvEUlS7_S7_E_S7_EEDaPvRmT3_T4_T5_mT6_P12ihipStream_tbENKUlT_T0_E_clISt17integral_constantIbLb0EESZ_EEDaSU_SV_EUlSU_E_NS1_11comp_targetILNS1_3genE10ELNS1_11target_archE1201ELNS1_3gpuE5ELNS1_3repE0EEENS1_30default_config_static_selectorELNS0_4arch9wavefront6targetE1EEEvT1_ ; -- Begin function _ZN7rocprim17ROCPRIM_400000_NS6detail17trampoline_kernelINS0_14default_configENS1_20scan_config_selectorIN3c107complexIfEEEEZZNS1_9scan_implILNS1_25lookback_scan_determinismE0ELb0ELb0ES3_PKS7_PS7_S7_ZZZN2at6native31launch_logcumsumexp_cuda_kernelERKNSE_10TensorBaseESI_lENKUlvE_clEvENKUlvE2_clEvEUlS7_S7_E_S7_EEDaPvRmT3_T4_T5_mT6_P12ihipStream_tbENKUlT_T0_E_clISt17integral_constantIbLb0EESZ_EEDaSU_SV_EUlSU_E_NS1_11comp_targetILNS1_3genE10ELNS1_11target_archE1201ELNS1_3gpuE5ELNS1_3repE0EEENS1_30default_config_static_selectorELNS0_4arch9wavefront6targetE1EEEvT1_
	.p2align	8
	.type	_ZN7rocprim17ROCPRIM_400000_NS6detail17trampoline_kernelINS0_14default_configENS1_20scan_config_selectorIN3c107complexIfEEEEZZNS1_9scan_implILNS1_25lookback_scan_determinismE0ELb0ELb0ES3_PKS7_PS7_S7_ZZZN2at6native31launch_logcumsumexp_cuda_kernelERKNSE_10TensorBaseESI_lENKUlvE_clEvENKUlvE2_clEvEUlS7_S7_E_S7_EEDaPvRmT3_T4_T5_mT6_P12ihipStream_tbENKUlT_T0_E_clISt17integral_constantIbLb0EESZ_EEDaSU_SV_EUlSU_E_NS1_11comp_targetILNS1_3genE10ELNS1_11target_archE1201ELNS1_3gpuE5ELNS1_3repE0EEENS1_30default_config_static_selectorELNS0_4arch9wavefront6targetE1EEEvT1_,@function
_ZN7rocprim17ROCPRIM_400000_NS6detail17trampoline_kernelINS0_14default_configENS1_20scan_config_selectorIN3c107complexIfEEEEZZNS1_9scan_implILNS1_25lookback_scan_determinismE0ELb0ELb0ES3_PKS7_PS7_S7_ZZZN2at6native31launch_logcumsumexp_cuda_kernelERKNSE_10TensorBaseESI_lENKUlvE_clEvENKUlvE2_clEvEUlS7_S7_E_S7_EEDaPvRmT3_T4_T5_mT6_P12ihipStream_tbENKUlT_T0_E_clISt17integral_constantIbLb0EESZ_EEDaSU_SV_EUlSU_E_NS1_11comp_targetILNS1_3genE10ELNS1_11target_archE1201ELNS1_3gpuE5ELNS1_3repE0EEENS1_30default_config_static_selectorELNS0_4arch9wavefront6targetE1EEEvT1_: ; @_ZN7rocprim17ROCPRIM_400000_NS6detail17trampoline_kernelINS0_14default_configENS1_20scan_config_selectorIN3c107complexIfEEEEZZNS1_9scan_implILNS1_25lookback_scan_determinismE0ELb0ELb0ES3_PKS7_PS7_S7_ZZZN2at6native31launch_logcumsumexp_cuda_kernelERKNSE_10TensorBaseESI_lENKUlvE_clEvENKUlvE2_clEvEUlS7_S7_E_S7_EEDaPvRmT3_T4_T5_mT6_P12ihipStream_tbENKUlT_T0_E_clISt17integral_constantIbLb0EESZ_EEDaSU_SV_EUlSU_E_NS1_11comp_targetILNS1_3genE10ELNS1_11target_archE1201ELNS1_3gpuE5ELNS1_3repE0EEENS1_30default_config_static_selectorELNS0_4arch9wavefront6targetE1EEEvT1_
; %bb.0:
	.section	.rodata,"a",@progbits
	.p2align	6, 0x0
	.amdhsa_kernel _ZN7rocprim17ROCPRIM_400000_NS6detail17trampoline_kernelINS0_14default_configENS1_20scan_config_selectorIN3c107complexIfEEEEZZNS1_9scan_implILNS1_25lookback_scan_determinismE0ELb0ELb0ES3_PKS7_PS7_S7_ZZZN2at6native31launch_logcumsumexp_cuda_kernelERKNSE_10TensorBaseESI_lENKUlvE_clEvENKUlvE2_clEvEUlS7_S7_E_S7_EEDaPvRmT3_T4_T5_mT6_P12ihipStream_tbENKUlT_T0_E_clISt17integral_constantIbLb0EESZ_EEDaSU_SV_EUlSU_E_NS1_11comp_targetILNS1_3genE10ELNS1_11target_archE1201ELNS1_3gpuE5ELNS1_3repE0EEENS1_30default_config_static_selectorELNS0_4arch9wavefront6targetE1EEEvT1_
		.amdhsa_group_segment_fixed_size 0
		.amdhsa_private_segment_fixed_size 0
		.amdhsa_kernarg_size 104
		.amdhsa_user_sgpr_count 6
		.amdhsa_user_sgpr_private_segment_buffer 1
		.amdhsa_user_sgpr_dispatch_ptr 0
		.amdhsa_user_sgpr_queue_ptr 0
		.amdhsa_user_sgpr_kernarg_segment_ptr 1
		.amdhsa_user_sgpr_dispatch_id 0
		.amdhsa_user_sgpr_flat_scratch_init 0
		.amdhsa_user_sgpr_kernarg_preload_length 0
		.amdhsa_user_sgpr_kernarg_preload_offset 0
		.amdhsa_user_sgpr_private_segment_size 0
		.amdhsa_uses_dynamic_stack 0
		.amdhsa_system_sgpr_private_segment_wavefront_offset 0
		.amdhsa_system_sgpr_workgroup_id_x 1
		.amdhsa_system_sgpr_workgroup_id_y 0
		.amdhsa_system_sgpr_workgroup_id_z 0
		.amdhsa_system_sgpr_workgroup_info 0
		.amdhsa_system_vgpr_workitem_id 0
		.amdhsa_next_free_vgpr 1
		.amdhsa_next_free_sgpr 0
		.amdhsa_accum_offset 4
		.amdhsa_reserve_vcc 0
		.amdhsa_reserve_flat_scratch 0
		.amdhsa_float_round_mode_32 0
		.amdhsa_float_round_mode_16_64 0
		.amdhsa_float_denorm_mode_32 3
		.amdhsa_float_denorm_mode_16_64 3
		.amdhsa_dx10_clamp 1
		.amdhsa_ieee_mode 1
		.amdhsa_fp16_overflow 0
		.amdhsa_tg_split 0
		.amdhsa_exception_fp_ieee_invalid_op 0
		.amdhsa_exception_fp_denorm_src 0
		.amdhsa_exception_fp_ieee_div_zero 0
		.amdhsa_exception_fp_ieee_overflow 0
		.amdhsa_exception_fp_ieee_underflow 0
		.amdhsa_exception_fp_ieee_inexact 0
		.amdhsa_exception_int_div_zero 0
	.end_amdhsa_kernel
	.section	.text._ZN7rocprim17ROCPRIM_400000_NS6detail17trampoline_kernelINS0_14default_configENS1_20scan_config_selectorIN3c107complexIfEEEEZZNS1_9scan_implILNS1_25lookback_scan_determinismE0ELb0ELb0ES3_PKS7_PS7_S7_ZZZN2at6native31launch_logcumsumexp_cuda_kernelERKNSE_10TensorBaseESI_lENKUlvE_clEvENKUlvE2_clEvEUlS7_S7_E_S7_EEDaPvRmT3_T4_T5_mT6_P12ihipStream_tbENKUlT_T0_E_clISt17integral_constantIbLb0EESZ_EEDaSU_SV_EUlSU_E_NS1_11comp_targetILNS1_3genE10ELNS1_11target_archE1201ELNS1_3gpuE5ELNS1_3repE0EEENS1_30default_config_static_selectorELNS0_4arch9wavefront6targetE1EEEvT1_,"axG",@progbits,_ZN7rocprim17ROCPRIM_400000_NS6detail17trampoline_kernelINS0_14default_configENS1_20scan_config_selectorIN3c107complexIfEEEEZZNS1_9scan_implILNS1_25lookback_scan_determinismE0ELb0ELb0ES3_PKS7_PS7_S7_ZZZN2at6native31launch_logcumsumexp_cuda_kernelERKNSE_10TensorBaseESI_lENKUlvE_clEvENKUlvE2_clEvEUlS7_S7_E_S7_EEDaPvRmT3_T4_T5_mT6_P12ihipStream_tbENKUlT_T0_E_clISt17integral_constantIbLb0EESZ_EEDaSU_SV_EUlSU_E_NS1_11comp_targetILNS1_3genE10ELNS1_11target_archE1201ELNS1_3gpuE5ELNS1_3repE0EEENS1_30default_config_static_selectorELNS0_4arch9wavefront6targetE1EEEvT1_,comdat
.Lfunc_end269:
	.size	_ZN7rocprim17ROCPRIM_400000_NS6detail17trampoline_kernelINS0_14default_configENS1_20scan_config_selectorIN3c107complexIfEEEEZZNS1_9scan_implILNS1_25lookback_scan_determinismE0ELb0ELb0ES3_PKS7_PS7_S7_ZZZN2at6native31launch_logcumsumexp_cuda_kernelERKNSE_10TensorBaseESI_lENKUlvE_clEvENKUlvE2_clEvEUlS7_S7_E_S7_EEDaPvRmT3_T4_T5_mT6_P12ihipStream_tbENKUlT_T0_E_clISt17integral_constantIbLb0EESZ_EEDaSU_SV_EUlSU_E_NS1_11comp_targetILNS1_3genE10ELNS1_11target_archE1201ELNS1_3gpuE5ELNS1_3repE0EEENS1_30default_config_static_selectorELNS0_4arch9wavefront6targetE1EEEvT1_, .Lfunc_end269-_ZN7rocprim17ROCPRIM_400000_NS6detail17trampoline_kernelINS0_14default_configENS1_20scan_config_selectorIN3c107complexIfEEEEZZNS1_9scan_implILNS1_25lookback_scan_determinismE0ELb0ELb0ES3_PKS7_PS7_S7_ZZZN2at6native31launch_logcumsumexp_cuda_kernelERKNSE_10TensorBaseESI_lENKUlvE_clEvENKUlvE2_clEvEUlS7_S7_E_S7_EEDaPvRmT3_T4_T5_mT6_P12ihipStream_tbENKUlT_T0_E_clISt17integral_constantIbLb0EESZ_EEDaSU_SV_EUlSU_E_NS1_11comp_targetILNS1_3genE10ELNS1_11target_archE1201ELNS1_3gpuE5ELNS1_3repE0EEENS1_30default_config_static_selectorELNS0_4arch9wavefront6targetE1EEEvT1_
                                        ; -- End function
	.section	.AMDGPU.csdata,"",@progbits
; Kernel info:
; codeLenInByte = 0
; NumSgprs: 4
; NumVgprs: 0
; NumAgprs: 0
; TotalNumVgprs: 0
; ScratchSize: 0
; MemoryBound: 0
; FloatMode: 240
; IeeeMode: 1
; LDSByteSize: 0 bytes/workgroup (compile time only)
; SGPRBlocks: 0
; VGPRBlocks: 0
; NumSGPRsForWavesPerEU: 4
; NumVGPRsForWavesPerEU: 1
; AccumOffset: 4
; Occupancy: 8
; WaveLimiterHint : 0
; COMPUTE_PGM_RSRC2:SCRATCH_EN: 0
; COMPUTE_PGM_RSRC2:USER_SGPR: 6
; COMPUTE_PGM_RSRC2:TRAP_HANDLER: 0
; COMPUTE_PGM_RSRC2:TGID_X_EN: 1
; COMPUTE_PGM_RSRC2:TGID_Y_EN: 0
; COMPUTE_PGM_RSRC2:TGID_Z_EN: 0
; COMPUTE_PGM_RSRC2:TIDIG_COMP_CNT: 0
; COMPUTE_PGM_RSRC3_GFX90A:ACCUM_OFFSET: 0
; COMPUTE_PGM_RSRC3_GFX90A:TG_SPLIT: 0
	.section	.text._ZN7rocprim17ROCPRIM_400000_NS6detail17trampoline_kernelINS0_14default_configENS1_20scan_config_selectorIN3c107complexIfEEEEZZNS1_9scan_implILNS1_25lookback_scan_determinismE0ELb0ELb0ES3_PKS7_PS7_S7_ZZZN2at6native31launch_logcumsumexp_cuda_kernelERKNSE_10TensorBaseESI_lENKUlvE_clEvENKUlvE2_clEvEUlS7_S7_E_S7_EEDaPvRmT3_T4_T5_mT6_P12ihipStream_tbENKUlT_T0_E_clISt17integral_constantIbLb0EESZ_EEDaSU_SV_EUlSU_E_NS1_11comp_targetILNS1_3genE10ELNS1_11target_archE1200ELNS1_3gpuE4ELNS1_3repE0EEENS1_30default_config_static_selectorELNS0_4arch9wavefront6targetE1EEEvT1_,"axG",@progbits,_ZN7rocprim17ROCPRIM_400000_NS6detail17trampoline_kernelINS0_14default_configENS1_20scan_config_selectorIN3c107complexIfEEEEZZNS1_9scan_implILNS1_25lookback_scan_determinismE0ELb0ELb0ES3_PKS7_PS7_S7_ZZZN2at6native31launch_logcumsumexp_cuda_kernelERKNSE_10TensorBaseESI_lENKUlvE_clEvENKUlvE2_clEvEUlS7_S7_E_S7_EEDaPvRmT3_T4_T5_mT6_P12ihipStream_tbENKUlT_T0_E_clISt17integral_constantIbLb0EESZ_EEDaSU_SV_EUlSU_E_NS1_11comp_targetILNS1_3genE10ELNS1_11target_archE1200ELNS1_3gpuE4ELNS1_3repE0EEENS1_30default_config_static_selectorELNS0_4arch9wavefront6targetE1EEEvT1_,comdat
	.globl	_ZN7rocprim17ROCPRIM_400000_NS6detail17trampoline_kernelINS0_14default_configENS1_20scan_config_selectorIN3c107complexIfEEEEZZNS1_9scan_implILNS1_25lookback_scan_determinismE0ELb0ELb0ES3_PKS7_PS7_S7_ZZZN2at6native31launch_logcumsumexp_cuda_kernelERKNSE_10TensorBaseESI_lENKUlvE_clEvENKUlvE2_clEvEUlS7_S7_E_S7_EEDaPvRmT3_T4_T5_mT6_P12ihipStream_tbENKUlT_T0_E_clISt17integral_constantIbLb0EESZ_EEDaSU_SV_EUlSU_E_NS1_11comp_targetILNS1_3genE10ELNS1_11target_archE1200ELNS1_3gpuE4ELNS1_3repE0EEENS1_30default_config_static_selectorELNS0_4arch9wavefront6targetE1EEEvT1_ ; -- Begin function _ZN7rocprim17ROCPRIM_400000_NS6detail17trampoline_kernelINS0_14default_configENS1_20scan_config_selectorIN3c107complexIfEEEEZZNS1_9scan_implILNS1_25lookback_scan_determinismE0ELb0ELb0ES3_PKS7_PS7_S7_ZZZN2at6native31launch_logcumsumexp_cuda_kernelERKNSE_10TensorBaseESI_lENKUlvE_clEvENKUlvE2_clEvEUlS7_S7_E_S7_EEDaPvRmT3_T4_T5_mT6_P12ihipStream_tbENKUlT_T0_E_clISt17integral_constantIbLb0EESZ_EEDaSU_SV_EUlSU_E_NS1_11comp_targetILNS1_3genE10ELNS1_11target_archE1200ELNS1_3gpuE4ELNS1_3repE0EEENS1_30default_config_static_selectorELNS0_4arch9wavefront6targetE1EEEvT1_
	.p2align	8
	.type	_ZN7rocprim17ROCPRIM_400000_NS6detail17trampoline_kernelINS0_14default_configENS1_20scan_config_selectorIN3c107complexIfEEEEZZNS1_9scan_implILNS1_25lookback_scan_determinismE0ELb0ELb0ES3_PKS7_PS7_S7_ZZZN2at6native31launch_logcumsumexp_cuda_kernelERKNSE_10TensorBaseESI_lENKUlvE_clEvENKUlvE2_clEvEUlS7_S7_E_S7_EEDaPvRmT3_T4_T5_mT6_P12ihipStream_tbENKUlT_T0_E_clISt17integral_constantIbLb0EESZ_EEDaSU_SV_EUlSU_E_NS1_11comp_targetILNS1_3genE10ELNS1_11target_archE1200ELNS1_3gpuE4ELNS1_3repE0EEENS1_30default_config_static_selectorELNS0_4arch9wavefront6targetE1EEEvT1_,@function
_ZN7rocprim17ROCPRIM_400000_NS6detail17trampoline_kernelINS0_14default_configENS1_20scan_config_selectorIN3c107complexIfEEEEZZNS1_9scan_implILNS1_25lookback_scan_determinismE0ELb0ELb0ES3_PKS7_PS7_S7_ZZZN2at6native31launch_logcumsumexp_cuda_kernelERKNSE_10TensorBaseESI_lENKUlvE_clEvENKUlvE2_clEvEUlS7_S7_E_S7_EEDaPvRmT3_T4_T5_mT6_P12ihipStream_tbENKUlT_T0_E_clISt17integral_constantIbLb0EESZ_EEDaSU_SV_EUlSU_E_NS1_11comp_targetILNS1_3genE10ELNS1_11target_archE1200ELNS1_3gpuE4ELNS1_3repE0EEENS1_30default_config_static_selectorELNS0_4arch9wavefront6targetE1EEEvT1_: ; @_ZN7rocprim17ROCPRIM_400000_NS6detail17trampoline_kernelINS0_14default_configENS1_20scan_config_selectorIN3c107complexIfEEEEZZNS1_9scan_implILNS1_25lookback_scan_determinismE0ELb0ELb0ES3_PKS7_PS7_S7_ZZZN2at6native31launch_logcumsumexp_cuda_kernelERKNSE_10TensorBaseESI_lENKUlvE_clEvENKUlvE2_clEvEUlS7_S7_E_S7_EEDaPvRmT3_T4_T5_mT6_P12ihipStream_tbENKUlT_T0_E_clISt17integral_constantIbLb0EESZ_EEDaSU_SV_EUlSU_E_NS1_11comp_targetILNS1_3genE10ELNS1_11target_archE1200ELNS1_3gpuE4ELNS1_3repE0EEENS1_30default_config_static_selectorELNS0_4arch9wavefront6targetE1EEEvT1_
; %bb.0:
	.section	.rodata,"a",@progbits
	.p2align	6, 0x0
	.amdhsa_kernel _ZN7rocprim17ROCPRIM_400000_NS6detail17trampoline_kernelINS0_14default_configENS1_20scan_config_selectorIN3c107complexIfEEEEZZNS1_9scan_implILNS1_25lookback_scan_determinismE0ELb0ELb0ES3_PKS7_PS7_S7_ZZZN2at6native31launch_logcumsumexp_cuda_kernelERKNSE_10TensorBaseESI_lENKUlvE_clEvENKUlvE2_clEvEUlS7_S7_E_S7_EEDaPvRmT3_T4_T5_mT6_P12ihipStream_tbENKUlT_T0_E_clISt17integral_constantIbLb0EESZ_EEDaSU_SV_EUlSU_E_NS1_11comp_targetILNS1_3genE10ELNS1_11target_archE1200ELNS1_3gpuE4ELNS1_3repE0EEENS1_30default_config_static_selectorELNS0_4arch9wavefront6targetE1EEEvT1_
		.amdhsa_group_segment_fixed_size 0
		.amdhsa_private_segment_fixed_size 0
		.amdhsa_kernarg_size 104
		.amdhsa_user_sgpr_count 6
		.amdhsa_user_sgpr_private_segment_buffer 1
		.amdhsa_user_sgpr_dispatch_ptr 0
		.amdhsa_user_sgpr_queue_ptr 0
		.amdhsa_user_sgpr_kernarg_segment_ptr 1
		.amdhsa_user_sgpr_dispatch_id 0
		.amdhsa_user_sgpr_flat_scratch_init 0
		.amdhsa_user_sgpr_kernarg_preload_length 0
		.amdhsa_user_sgpr_kernarg_preload_offset 0
		.amdhsa_user_sgpr_private_segment_size 0
		.amdhsa_uses_dynamic_stack 0
		.amdhsa_system_sgpr_private_segment_wavefront_offset 0
		.amdhsa_system_sgpr_workgroup_id_x 1
		.amdhsa_system_sgpr_workgroup_id_y 0
		.amdhsa_system_sgpr_workgroup_id_z 0
		.amdhsa_system_sgpr_workgroup_info 0
		.amdhsa_system_vgpr_workitem_id 0
		.amdhsa_next_free_vgpr 1
		.amdhsa_next_free_sgpr 0
		.amdhsa_accum_offset 4
		.amdhsa_reserve_vcc 0
		.amdhsa_reserve_flat_scratch 0
		.amdhsa_float_round_mode_32 0
		.amdhsa_float_round_mode_16_64 0
		.amdhsa_float_denorm_mode_32 3
		.amdhsa_float_denorm_mode_16_64 3
		.amdhsa_dx10_clamp 1
		.amdhsa_ieee_mode 1
		.amdhsa_fp16_overflow 0
		.amdhsa_tg_split 0
		.amdhsa_exception_fp_ieee_invalid_op 0
		.amdhsa_exception_fp_denorm_src 0
		.amdhsa_exception_fp_ieee_div_zero 0
		.amdhsa_exception_fp_ieee_overflow 0
		.amdhsa_exception_fp_ieee_underflow 0
		.amdhsa_exception_fp_ieee_inexact 0
		.amdhsa_exception_int_div_zero 0
	.end_amdhsa_kernel
	.section	.text._ZN7rocprim17ROCPRIM_400000_NS6detail17trampoline_kernelINS0_14default_configENS1_20scan_config_selectorIN3c107complexIfEEEEZZNS1_9scan_implILNS1_25lookback_scan_determinismE0ELb0ELb0ES3_PKS7_PS7_S7_ZZZN2at6native31launch_logcumsumexp_cuda_kernelERKNSE_10TensorBaseESI_lENKUlvE_clEvENKUlvE2_clEvEUlS7_S7_E_S7_EEDaPvRmT3_T4_T5_mT6_P12ihipStream_tbENKUlT_T0_E_clISt17integral_constantIbLb0EESZ_EEDaSU_SV_EUlSU_E_NS1_11comp_targetILNS1_3genE10ELNS1_11target_archE1200ELNS1_3gpuE4ELNS1_3repE0EEENS1_30default_config_static_selectorELNS0_4arch9wavefront6targetE1EEEvT1_,"axG",@progbits,_ZN7rocprim17ROCPRIM_400000_NS6detail17trampoline_kernelINS0_14default_configENS1_20scan_config_selectorIN3c107complexIfEEEEZZNS1_9scan_implILNS1_25lookback_scan_determinismE0ELb0ELb0ES3_PKS7_PS7_S7_ZZZN2at6native31launch_logcumsumexp_cuda_kernelERKNSE_10TensorBaseESI_lENKUlvE_clEvENKUlvE2_clEvEUlS7_S7_E_S7_EEDaPvRmT3_T4_T5_mT6_P12ihipStream_tbENKUlT_T0_E_clISt17integral_constantIbLb0EESZ_EEDaSU_SV_EUlSU_E_NS1_11comp_targetILNS1_3genE10ELNS1_11target_archE1200ELNS1_3gpuE4ELNS1_3repE0EEENS1_30default_config_static_selectorELNS0_4arch9wavefront6targetE1EEEvT1_,comdat
.Lfunc_end270:
	.size	_ZN7rocprim17ROCPRIM_400000_NS6detail17trampoline_kernelINS0_14default_configENS1_20scan_config_selectorIN3c107complexIfEEEEZZNS1_9scan_implILNS1_25lookback_scan_determinismE0ELb0ELb0ES3_PKS7_PS7_S7_ZZZN2at6native31launch_logcumsumexp_cuda_kernelERKNSE_10TensorBaseESI_lENKUlvE_clEvENKUlvE2_clEvEUlS7_S7_E_S7_EEDaPvRmT3_T4_T5_mT6_P12ihipStream_tbENKUlT_T0_E_clISt17integral_constantIbLb0EESZ_EEDaSU_SV_EUlSU_E_NS1_11comp_targetILNS1_3genE10ELNS1_11target_archE1200ELNS1_3gpuE4ELNS1_3repE0EEENS1_30default_config_static_selectorELNS0_4arch9wavefront6targetE1EEEvT1_, .Lfunc_end270-_ZN7rocprim17ROCPRIM_400000_NS6detail17trampoline_kernelINS0_14default_configENS1_20scan_config_selectorIN3c107complexIfEEEEZZNS1_9scan_implILNS1_25lookback_scan_determinismE0ELb0ELb0ES3_PKS7_PS7_S7_ZZZN2at6native31launch_logcumsumexp_cuda_kernelERKNSE_10TensorBaseESI_lENKUlvE_clEvENKUlvE2_clEvEUlS7_S7_E_S7_EEDaPvRmT3_T4_T5_mT6_P12ihipStream_tbENKUlT_T0_E_clISt17integral_constantIbLb0EESZ_EEDaSU_SV_EUlSU_E_NS1_11comp_targetILNS1_3genE10ELNS1_11target_archE1200ELNS1_3gpuE4ELNS1_3repE0EEENS1_30default_config_static_selectorELNS0_4arch9wavefront6targetE1EEEvT1_
                                        ; -- End function
	.section	.AMDGPU.csdata,"",@progbits
; Kernel info:
; codeLenInByte = 0
; NumSgprs: 4
; NumVgprs: 0
; NumAgprs: 0
; TotalNumVgprs: 0
; ScratchSize: 0
; MemoryBound: 0
; FloatMode: 240
; IeeeMode: 1
; LDSByteSize: 0 bytes/workgroup (compile time only)
; SGPRBlocks: 0
; VGPRBlocks: 0
; NumSGPRsForWavesPerEU: 4
; NumVGPRsForWavesPerEU: 1
; AccumOffset: 4
; Occupancy: 8
; WaveLimiterHint : 0
; COMPUTE_PGM_RSRC2:SCRATCH_EN: 0
; COMPUTE_PGM_RSRC2:USER_SGPR: 6
; COMPUTE_PGM_RSRC2:TRAP_HANDLER: 0
; COMPUTE_PGM_RSRC2:TGID_X_EN: 1
; COMPUTE_PGM_RSRC2:TGID_Y_EN: 0
; COMPUTE_PGM_RSRC2:TGID_Z_EN: 0
; COMPUTE_PGM_RSRC2:TIDIG_COMP_CNT: 0
; COMPUTE_PGM_RSRC3_GFX90A:ACCUM_OFFSET: 0
; COMPUTE_PGM_RSRC3_GFX90A:TG_SPLIT: 0
	.section	.text._ZN7rocprim17ROCPRIM_400000_NS6detail17trampoline_kernelINS0_14default_configENS1_20scan_config_selectorIN3c107complexIfEEEEZZNS1_9scan_implILNS1_25lookback_scan_determinismE0ELb0ELb0ES3_PKS7_PS7_S7_ZZZN2at6native31launch_logcumsumexp_cuda_kernelERKNSE_10TensorBaseESI_lENKUlvE_clEvENKUlvE2_clEvEUlS7_S7_E_S7_EEDaPvRmT3_T4_T5_mT6_P12ihipStream_tbENKUlT_T0_E_clISt17integral_constantIbLb0EESZ_EEDaSU_SV_EUlSU_E_NS1_11comp_targetILNS1_3genE9ELNS1_11target_archE1100ELNS1_3gpuE3ELNS1_3repE0EEENS1_30default_config_static_selectorELNS0_4arch9wavefront6targetE1EEEvT1_,"axG",@progbits,_ZN7rocprim17ROCPRIM_400000_NS6detail17trampoline_kernelINS0_14default_configENS1_20scan_config_selectorIN3c107complexIfEEEEZZNS1_9scan_implILNS1_25lookback_scan_determinismE0ELb0ELb0ES3_PKS7_PS7_S7_ZZZN2at6native31launch_logcumsumexp_cuda_kernelERKNSE_10TensorBaseESI_lENKUlvE_clEvENKUlvE2_clEvEUlS7_S7_E_S7_EEDaPvRmT3_T4_T5_mT6_P12ihipStream_tbENKUlT_T0_E_clISt17integral_constantIbLb0EESZ_EEDaSU_SV_EUlSU_E_NS1_11comp_targetILNS1_3genE9ELNS1_11target_archE1100ELNS1_3gpuE3ELNS1_3repE0EEENS1_30default_config_static_selectorELNS0_4arch9wavefront6targetE1EEEvT1_,comdat
	.globl	_ZN7rocprim17ROCPRIM_400000_NS6detail17trampoline_kernelINS0_14default_configENS1_20scan_config_selectorIN3c107complexIfEEEEZZNS1_9scan_implILNS1_25lookback_scan_determinismE0ELb0ELb0ES3_PKS7_PS7_S7_ZZZN2at6native31launch_logcumsumexp_cuda_kernelERKNSE_10TensorBaseESI_lENKUlvE_clEvENKUlvE2_clEvEUlS7_S7_E_S7_EEDaPvRmT3_T4_T5_mT6_P12ihipStream_tbENKUlT_T0_E_clISt17integral_constantIbLb0EESZ_EEDaSU_SV_EUlSU_E_NS1_11comp_targetILNS1_3genE9ELNS1_11target_archE1100ELNS1_3gpuE3ELNS1_3repE0EEENS1_30default_config_static_selectorELNS0_4arch9wavefront6targetE1EEEvT1_ ; -- Begin function _ZN7rocprim17ROCPRIM_400000_NS6detail17trampoline_kernelINS0_14default_configENS1_20scan_config_selectorIN3c107complexIfEEEEZZNS1_9scan_implILNS1_25lookback_scan_determinismE0ELb0ELb0ES3_PKS7_PS7_S7_ZZZN2at6native31launch_logcumsumexp_cuda_kernelERKNSE_10TensorBaseESI_lENKUlvE_clEvENKUlvE2_clEvEUlS7_S7_E_S7_EEDaPvRmT3_T4_T5_mT6_P12ihipStream_tbENKUlT_T0_E_clISt17integral_constantIbLb0EESZ_EEDaSU_SV_EUlSU_E_NS1_11comp_targetILNS1_3genE9ELNS1_11target_archE1100ELNS1_3gpuE3ELNS1_3repE0EEENS1_30default_config_static_selectorELNS0_4arch9wavefront6targetE1EEEvT1_
	.p2align	8
	.type	_ZN7rocprim17ROCPRIM_400000_NS6detail17trampoline_kernelINS0_14default_configENS1_20scan_config_selectorIN3c107complexIfEEEEZZNS1_9scan_implILNS1_25lookback_scan_determinismE0ELb0ELb0ES3_PKS7_PS7_S7_ZZZN2at6native31launch_logcumsumexp_cuda_kernelERKNSE_10TensorBaseESI_lENKUlvE_clEvENKUlvE2_clEvEUlS7_S7_E_S7_EEDaPvRmT3_T4_T5_mT6_P12ihipStream_tbENKUlT_T0_E_clISt17integral_constantIbLb0EESZ_EEDaSU_SV_EUlSU_E_NS1_11comp_targetILNS1_3genE9ELNS1_11target_archE1100ELNS1_3gpuE3ELNS1_3repE0EEENS1_30default_config_static_selectorELNS0_4arch9wavefront6targetE1EEEvT1_,@function
_ZN7rocprim17ROCPRIM_400000_NS6detail17trampoline_kernelINS0_14default_configENS1_20scan_config_selectorIN3c107complexIfEEEEZZNS1_9scan_implILNS1_25lookback_scan_determinismE0ELb0ELb0ES3_PKS7_PS7_S7_ZZZN2at6native31launch_logcumsumexp_cuda_kernelERKNSE_10TensorBaseESI_lENKUlvE_clEvENKUlvE2_clEvEUlS7_S7_E_S7_EEDaPvRmT3_T4_T5_mT6_P12ihipStream_tbENKUlT_T0_E_clISt17integral_constantIbLb0EESZ_EEDaSU_SV_EUlSU_E_NS1_11comp_targetILNS1_3genE9ELNS1_11target_archE1100ELNS1_3gpuE3ELNS1_3repE0EEENS1_30default_config_static_selectorELNS0_4arch9wavefront6targetE1EEEvT1_: ; @_ZN7rocprim17ROCPRIM_400000_NS6detail17trampoline_kernelINS0_14default_configENS1_20scan_config_selectorIN3c107complexIfEEEEZZNS1_9scan_implILNS1_25lookback_scan_determinismE0ELb0ELb0ES3_PKS7_PS7_S7_ZZZN2at6native31launch_logcumsumexp_cuda_kernelERKNSE_10TensorBaseESI_lENKUlvE_clEvENKUlvE2_clEvEUlS7_S7_E_S7_EEDaPvRmT3_T4_T5_mT6_P12ihipStream_tbENKUlT_T0_E_clISt17integral_constantIbLb0EESZ_EEDaSU_SV_EUlSU_E_NS1_11comp_targetILNS1_3genE9ELNS1_11target_archE1100ELNS1_3gpuE3ELNS1_3repE0EEENS1_30default_config_static_selectorELNS0_4arch9wavefront6targetE1EEEvT1_
; %bb.0:
	.section	.rodata,"a",@progbits
	.p2align	6, 0x0
	.amdhsa_kernel _ZN7rocprim17ROCPRIM_400000_NS6detail17trampoline_kernelINS0_14default_configENS1_20scan_config_selectorIN3c107complexIfEEEEZZNS1_9scan_implILNS1_25lookback_scan_determinismE0ELb0ELb0ES3_PKS7_PS7_S7_ZZZN2at6native31launch_logcumsumexp_cuda_kernelERKNSE_10TensorBaseESI_lENKUlvE_clEvENKUlvE2_clEvEUlS7_S7_E_S7_EEDaPvRmT3_T4_T5_mT6_P12ihipStream_tbENKUlT_T0_E_clISt17integral_constantIbLb0EESZ_EEDaSU_SV_EUlSU_E_NS1_11comp_targetILNS1_3genE9ELNS1_11target_archE1100ELNS1_3gpuE3ELNS1_3repE0EEENS1_30default_config_static_selectorELNS0_4arch9wavefront6targetE1EEEvT1_
		.amdhsa_group_segment_fixed_size 0
		.amdhsa_private_segment_fixed_size 0
		.amdhsa_kernarg_size 104
		.amdhsa_user_sgpr_count 6
		.amdhsa_user_sgpr_private_segment_buffer 1
		.amdhsa_user_sgpr_dispatch_ptr 0
		.amdhsa_user_sgpr_queue_ptr 0
		.amdhsa_user_sgpr_kernarg_segment_ptr 1
		.amdhsa_user_sgpr_dispatch_id 0
		.amdhsa_user_sgpr_flat_scratch_init 0
		.amdhsa_user_sgpr_kernarg_preload_length 0
		.amdhsa_user_sgpr_kernarg_preload_offset 0
		.amdhsa_user_sgpr_private_segment_size 0
		.amdhsa_uses_dynamic_stack 0
		.amdhsa_system_sgpr_private_segment_wavefront_offset 0
		.amdhsa_system_sgpr_workgroup_id_x 1
		.amdhsa_system_sgpr_workgroup_id_y 0
		.amdhsa_system_sgpr_workgroup_id_z 0
		.amdhsa_system_sgpr_workgroup_info 0
		.amdhsa_system_vgpr_workitem_id 0
		.amdhsa_next_free_vgpr 1
		.amdhsa_next_free_sgpr 0
		.amdhsa_accum_offset 4
		.amdhsa_reserve_vcc 0
		.amdhsa_reserve_flat_scratch 0
		.amdhsa_float_round_mode_32 0
		.amdhsa_float_round_mode_16_64 0
		.amdhsa_float_denorm_mode_32 3
		.amdhsa_float_denorm_mode_16_64 3
		.amdhsa_dx10_clamp 1
		.amdhsa_ieee_mode 1
		.amdhsa_fp16_overflow 0
		.amdhsa_tg_split 0
		.amdhsa_exception_fp_ieee_invalid_op 0
		.amdhsa_exception_fp_denorm_src 0
		.amdhsa_exception_fp_ieee_div_zero 0
		.amdhsa_exception_fp_ieee_overflow 0
		.amdhsa_exception_fp_ieee_underflow 0
		.amdhsa_exception_fp_ieee_inexact 0
		.amdhsa_exception_int_div_zero 0
	.end_amdhsa_kernel
	.section	.text._ZN7rocprim17ROCPRIM_400000_NS6detail17trampoline_kernelINS0_14default_configENS1_20scan_config_selectorIN3c107complexIfEEEEZZNS1_9scan_implILNS1_25lookback_scan_determinismE0ELb0ELb0ES3_PKS7_PS7_S7_ZZZN2at6native31launch_logcumsumexp_cuda_kernelERKNSE_10TensorBaseESI_lENKUlvE_clEvENKUlvE2_clEvEUlS7_S7_E_S7_EEDaPvRmT3_T4_T5_mT6_P12ihipStream_tbENKUlT_T0_E_clISt17integral_constantIbLb0EESZ_EEDaSU_SV_EUlSU_E_NS1_11comp_targetILNS1_3genE9ELNS1_11target_archE1100ELNS1_3gpuE3ELNS1_3repE0EEENS1_30default_config_static_selectorELNS0_4arch9wavefront6targetE1EEEvT1_,"axG",@progbits,_ZN7rocprim17ROCPRIM_400000_NS6detail17trampoline_kernelINS0_14default_configENS1_20scan_config_selectorIN3c107complexIfEEEEZZNS1_9scan_implILNS1_25lookback_scan_determinismE0ELb0ELb0ES3_PKS7_PS7_S7_ZZZN2at6native31launch_logcumsumexp_cuda_kernelERKNSE_10TensorBaseESI_lENKUlvE_clEvENKUlvE2_clEvEUlS7_S7_E_S7_EEDaPvRmT3_T4_T5_mT6_P12ihipStream_tbENKUlT_T0_E_clISt17integral_constantIbLb0EESZ_EEDaSU_SV_EUlSU_E_NS1_11comp_targetILNS1_3genE9ELNS1_11target_archE1100ELNS1_3gpuE3ELNS1_3repE0EEENS1_30default_config_static_selectorELNS0_4arch9wavefront6targetE1EEEvT1_,comdat
.Lfunc_end271:
	.size	_ZN7rocprim17ROCPRIM_400000_NS6detail17trampoline_kernelINS0_14default_configENS1_20scan_config_selectorIN3c107complexIfEEEEZZNS1_9scan_implILNS1_25lookback_scan_determinismE0ELb0ELb0ES3_PKS7_PS7_S7_ZZZN2at6native31launch_logcumsumexp_cuda_kernelERKNSE_10TensorBaseESI_lENKUlvE_clEvENKUlvE2_clEvEUlS7_S7_E_S7_EEDaPvRmT3_T4_T5_mT6_P12ihipStream_tbENKUlT_T0_E_clISt17integral_constantIbLb0EESZ_EEDaSU_SV_EUlSU_E_NS1_11comp_targetILNS1_3genE9ELNS1_11target_archE1100ELNS1_3gpuE3ELNS1_3repE0EEENS1_30default_config_static_selectorELNS0_4arch9wavefront6targetE1EEEvT1_, .Lfunc_end271-_ZN7rocprim17ROCPRIM_400000_NS6detail17trampoline_kernelINS0_14default_configENS1_20scan_config_selectorIN3c107complexIfEEEEZZNS1_9scan_implILNS1_25lookback_scan_determinismE0ELb0ELb0ES3_PKS7_PS7_S7_ZZZN2at6native31launch_logcumsumexp_cuda_kernelERKNSE_10TensorBaseESI_lENKUlvE_clEvENKUlvE2_clEvEUlS7_S7_E_S7_EEDaPvRmT3_T4_T5_mT6_P12ihipStream_tbENKUlT_T0_E_clISt17integral_constantIbLb0EESZ_EEDaSU_SV_EUlSU_E_NS1_11comp_targetILNS1_3genE9ELNS1_11target_archE1100ELNS1_3gpuE3ELNS1_3repE0EEENS1_30default_config_static_selectorELNS0_4arch9wavefront6targetE1EEEvT1_
                                        ; -- End function
	.section	.AMDGPU.csdata,"",@progbits
; Kernel info:
; codeLenInByte = 0
; NumSgprs: 4
; NumVgprs: 0
; NumAgprs: 0
; TotalNumVgprs: 0
; ScratchSize: 0
; MemoryBound: 0
; FloatMode: 240
; IeeeMode: 1
; LDSByteSize: 0 bytes/workgroup (compile time only)
; SGPRBlocks: 0
; VGPRBlocks: 0
; NumSGPRsForWavesPerEU: 4
; NumVGPRsForWavesPerEU: 1
; AccumOffset: 4
; Occupancy: 8
; WaveLimiterHint : 0
; COMPUTE_PGM_RSRC2:SCRATCH_EN: 0
; COMPUTE_PGM_RSRC2:USER_SGPR: 6
; COMPUTE_PGM_RSRC2:TRAP_HANDLER: 0
; COMPUTE_PGM_RSRC2:TGID_X_EN: 1
; COMPUTE_PGM_RSRC2:TGID_Y_EN: 0
; COMPUTE_PGM_RSRC2:TGID_Z_EN: 0
; COMPUTE_PGM_RSRC2:TIDIG_COMP_CNT: 0
; COMPUTE_PGM_RSRC3_GFX90A:ACCUM_OFFSET: 0
; COMPUTE_PGM_RSRC3_GFX90A:TG_SPLIT: 0
	.section	.text._ZN7rocprim17ROCPRIM_400000_NS6detail17trampoline_kernelINS0_14default_configENS1_20scan_config_selectorIN3c107complexIfEEEEZZNS1_9scan_implILNS1_25lookback_scan_determinismE0ELb0ELb0ES3_PKS7_PS7_S7_ZZZN2at6native31launch_logcumsumexp_cuda_kernelERKNSE_10TensorBaseESI_lENKUlvE_clEvENKUlvE2_clEvEUlS7_S7_E_S7_EEDaPvRmT3_T4_T5_mT6_P12ihipStream_tbENKUlT_T0_E_clISt17integral_constantIbLb0EESZ_EEDaSU_SV_EUlSU_E_NS1_11comp_targetILNS1_3genE8ELNS1_11target_archE1030ELNS1_3gpuE2ELNS1_3repE0EEENS1_30default_config_static_selectorELNS0_4arch9wavefront6targetE1EEEvT1_,"axG",@progbits,_ZN7rocprim17ROCPRIM_400000_NS6detail17trampoline_kernelINS0_14default_configENS1_20scan_config_selectorIN3c107complexIfEEEEZZNS1_9scan_implILNS1_25lookback_scan_determinismE0ELb0ELb0ES3_PKS7_PS7_S7_ZZZN2at6native31launch_logcumsumexp_cuda_kernelERKNSE_10TensorBaseESI_lENKUlvE_clEvENKUlvE2_clEvEUlS7_S7_E_S7_EEDaPvRmT3_T4_T5_mT6_P12ihipStream_tbENKUlT_T0_E_clISt17integral_constantIbLb0EESZ_EEDaSU_SV_EUlSU_E_NS1_11comp_targetILNS1_3genE8ELNS1_11target_archE1030ELNS1_3gpuE2ELNS1_3repE0EEENS1_30default_config_static_selectorELNS0_4arch9wavefront6targetE1EEEvT1_,comdat
	.globl	_ZN7rocprim17ROCPRIM_400000_NS6detail17trampoline_kernelINS0_14default_configENS1_20scan_config_selectorIN3c107complexIfEEEEZZNS1_9scan_implILNS1_25lookback_scan_determinismE0ELb0ELb0ES3_PKS7_PS7_S7_ZZZN2at6native31launch_logcumsumexp_cuda_kernelERKNSE_10TensorBaseESI_lENKUlvE_clEvENKUlvE2_clEvEUlS7_S7_E_S7_EEDaPvRmT3_T4_T5_mT6_P12ihipStream_tbENKUlT_T0_E_clISt17integral_constantIbLb0EESZ_EEDaSU_SV_EUlSU_E_NS1_11comp_targetILNS1_3genE8ELNS1_11target_archE1030ELNS1_3gpuE2ELNS1_3repE0EEENS1_30default_config_static_selectorELNS0_4arch9wavefront6targetE1EEEvT1_ ; -- Begin function _ZN7rocprim17ROCPRIM_400000_NS6detail17trampoline_kernelINS0_14default_configENS1_20scan_config_selectorIN3c107complexIfEEEEZZNS1_9scan_implILNS1_25lookback_scan_determinismE0ELb0ELb0ES3_PKS7_PS7_S7_ZZZN2at6native31launch_logcumsumexp_cuda_kernelERKNSE_10TensorBaseESI_lENKUlvE_clEvENKUlvE2_clEvEUlS7_S7_E_S7_EEDaPvRmT3_T4_T5_mT6_P12ihipStream_tbENKUlT_T0_E_clISt17integral_constantIbLb0EESZ_EEDaSU_SV_EUlSU_E_NS1_11comp_targetILNS1_3genE8ELNS1_11target_archE1030ELNS1_3gpuE2ELNS1_3repE0EEENS1_30default_config_static_selectorELNS0_4arch9wavefront6targetE1EEEvT1_
	.p2align	8
	.type	_ZN7rocprim17ROCPRIM_400000_NS6detail17trampoline_kernelINS0_14default_configENS1_20scan_config_selectorIN3c107complexIfEEEEZZNS1_9scan_implILNS1_25lookback_scan_determinismE0ELb0ELb0ES3_PKS7_PS7_S7_ZZZN2at6native31launch_logcumsumexp_cuda_kernelERKNSE_10TensorBaseESI_lENKUlvE_clEvENKUlvE2_clEvEUlS7_S7_E_S7_EEDaPvRmT3_T4_T5_mT6_P12ihipStream_tbENKUlT_T0_E_clISt17integral_constantIbLb0EESZ_EEDaSU_SV_EUlSU_E_NS1_11comp_targetILNS1_3genE8ELNS1_11target_archE1030ELNS1_3gpuE2ELNS1_3repE0EEENS1_30default_config_static_selectorELNS0_4arch9wavefront6targetE1EEEvT1_,@function
_ZN7rocprim17ROCPRIM_400000_NS6detail17trampoline_kernelINS0_14default_configENS1_20scan_config_selectorIN3c107complexIfEEEEZZNS1_9scan_implILNS1_25lookback_scan_determinismE0ELb0ELb0ES3_PKS7_PS7_S7_ZZZN2at6native31launch_logcumsumexp_cuda_kernelERKNSE_10TensorBaseESI_lENKUlvE_clEvENKUlvE2_clEvEUlS7_S7_E_S7_EEDaPvRmT3_T4_T5_mT6_P12ihipStream_tbENKUlT_T0_E_clISt17integral_constantIbLb0EESZ_EEDaSU_SV_EUlSU_E_NS1_11comp_targetILNS1_3genE8ELNS1_11target_archE1030ELNS1_3gpuE2ELNS1_3repE0EEENS1_30default_config_static_selectorELNS0_4arch9wavefront6targetE1EEEvT1_: ; @_ZN7rocprim17ROCPRIM_400000_NS6detail17trampoline_kernelINS0_14default_configENS1_20scan_config_selectorIN3c107complexIfEEEEZZNS1_9scan_implILNS1_25lookback_scan_determinismE0ELb0ELb0ES3_PKS7_PS7_S7_ZZZN2at6native31launch_logcumsumexp_cuda_kernelERKNSE_10TensorBaseESI_lENKUlvE_clEvENKUlvE2_clEvEUlS7_S7_E_S7_EEDaPvRmT3_T4_T5_mT6_P12ihipStream_tbENKUlT_T0_E_clISt17integral_constantIbLb0EESZ_EEDaSU_SV_EUlSU_E_NS1_11comp_targetILNS1_3genE8ELNS1_11target_archE1030ELNS1_3gpuE2ELNS1_3repE0EEENS1_30default_config_static_selectorELNS0_4arch9wavefront6targetE1EEEvT1_
; %bb.0:
	.section	.rodata,"a",@progbits
	.p2align	6, 0x0
	.amdhsa_kernel _ZN7rocprim17ROCPRIM_400000_NS6detail17trampoline_kernelINS0_14default_configENS1_20scan_config_selectorIN3c107complexIfEEEEZZNS1_9scan_implILNS1_25lookback_scan_determinismE0ELb0ELb0ES3_PKS7_PS7_S7_ZZZN2at6native31launch_logcumsumexp_cuda_kernelERKNSE_10TensorBaseESI_lENKUlvE_clEvENKUlvE2_clEvEUlS7_S7_E_S7_EEDaPvRmT3_T4_T5_mT6_P12ihipStream_tbENKUlT_T0_E_clISt17integral_constantIbLb0EESZ_EEDaSU_SV_EUlSU_E_NS1_11comp_targetILNS1_3genE8ELNS1_11target_archE1030ELNS1_3gpuE2ELNS1_3repE0EEENS1_30default_config_static_selectorELNS0_4arch9wavefront6targetE1EEEvT1_
		.amdhsa_group_segment_fixed_size 0
		.amdhsa_private_segment_fixed_size 0
		.amdhsa_kernarg_size 104
		.amdhsa_user_sgpr_count 6
		.amdhsa_user_sgpr_private_segment_buffer 1
		.amdhsa_user_sgpr_dispatch_ptr 0
		.amdhsa_user_sgpr_queue_ptr 0
		.amdhsa_user_sgpr_kernarg_segment_ptr 1
		.amdhsa_user_sgpr_dispatch_id 0
		.amdhsa_user_sgpr_flat_scratch_init 0
		.amdhsa_user_sgpr_kernarg_preload_length 0
		.amdhsa_user_sgpr_kernarg_preload_offset 0
		.amdhsa_user_sgpr_private_segment_size 0
		.amdhsa_uses_dynamic_stack 0
		.amdhsa_system_sgpr_private_segment_wavefront_offset 0
		.amdhsa_system_sgpr_workgroup_id_x 1
		.amdhsa_system_sgpr_workgroup_id_y 0
		.amdhsa_system_sgpr_workgroup_id_z 0
		.amdhsa_system_sgpr_workgroup_info 0
		.amdhsa_system_vgpr_workitem_id 0
		.amdhsa_next_free_vgpr 1
		.amdhsa_next_free_sgpr 0
		.amdhsa_accum_offset 4
		.amdhsa_reserve_vcc 0
		.amdhsa_reserve_flat_scratch 0
		.amdhsa_float_round_mode_32 0
		.amdhsa_float_round_mode_16_64 0
		.amdhsa_float_denorm_mode_32 3
		.amdhsa_float_denorm_mode_16_64 3
		.amdhsa_dx10_clamp 1
		.amdhsa_ieee_mode 1
		.amdhsa_fp16_overflow 0
		.amdhsa_tg_split 0
		.amdhsa_exception_fp_ieee_invalid_op 0
		.amdhsa_exception_fp_denorm_src 0
		.amdhsa_exception_fp_ieee_div_zero 0
		.amdhsa_exception_fp_ieee_overflow 0
		.amdhsa_exception_fp_ieee_underflow 0
		.amdhsa_exception_fp_ieee_inexact 0
		.amdhsa_exception_int_div_zero 0
	.end_amdhsa_kernel
	.section	.text._ZN7rocprim17ROCPRIM_400000_NS6detail17trampoline_kernelINS0_14default_configENS1_20scan_config_selectorIN3c107complexIfEEEEZZNS1_9scan_implILNS1_25lookback_scan_determinismE0ELb0ELb0ES3_PKS7_PS7_S7_ZZZN2at6native31launch_logcumsumexp_cuda_kernelERKNSE_10TensorBaseESI_lENKUlvE_clEvENKUlvE2_clEvEUlS7_S7_E_S7_EEDaPvRmT3_T4_T5_mT6_P12ihipStream_tbENKUlT_T0_E_clISt17integral_constantIbLb0EESZ_EEDaSU_SV_EUlSU_E_NS1_11comp_targetILNS1_3genE8ELNS1_11target_archE1030ELNS1_3gpuE2ELNS1_3repE0EEENS1_30default_config_static_selectorELNS0_4arch9wavefront6targetE1EEEvT1_,"axG",@progbits,_ZN7rocprim17ROCPRIM_400000_NS6detail17trampoline_kernelINS0_14default_configENS1_20scan_config_selectorIN3c107complexIfEEEEZZNS1_9scan_implILNS1_25lookback_scan_determinismE0ELb0ELb0ES3_PKS7_PS7_S7_ZZZN2at6native31launch_logcumsumexp_cuda_kernelERKNSE_10TensorBaseESI_lENKUlvE_clEvENKUlvE2_clEvEUlS7_S7_E_S7_EEDaPvRmT3_T4_T5_mT6_P12ihipStream_tbENKUlT_T0_E_clISt17integral_constantIbLb0EESZ_EEDaSU_SV_EUlSU_E_NS1_11comp_targetILNS1_3genE8ELNS1_11target_archE1030ELNS1_3gpuE2ELNS1_3repE0EEENS1_30default_config_static_selectorELNS0_4arch9wavefront6targetE1EEEvT1_,comdat
.Lfunc_end272:
	.size	_ZN7rocprim17ROCPRIM_400000_NS6detail17trampoline_kernelINS0_14default_configENS1_20scan_config_selectorIN3c107complexIfEEEEZZNS1_9scan_implILNS1_25lookback_scan_determinismE0ELb0ELb0ES3_PKS7_PS7_S7_ZZZN2at6native31launch_logcumsumexp_cuda_kernelERKNSE_10TensorBaseESI_lENKUlvE_clEvENKUlvE2_clEvEUlS7_S7_E_S7_EEDaPvRmT3_T4_T5_mT6_P12ihipStream_tbENKUlT_T0_E_clISt17integral_constantIbLb0EESZ_EEDaSU_SV_EUlSU_E_NS1_11comp_targetILNS1_3genE8ELNS1_11target_archE1030ELNS1_3gpuE2ELNS1_3repE0EEENS1_30default_config_static_selectorELNS0_4arch9wavefront6targetE1EEEvT1_, .Lfunc_end272-_ZN7rocprim17ROCPRIM_400000_NS6detail17trampoline_kernelINS0_14default_configENS1_20scan_config_selectorIN3c107complexIfEEEEZZNS1_9scan_implILNS1_25lookback_scan_determinismE0ELb0ELb0ES3_PKS7_PS7_S7_ZZZN2at6native31launch_logcumsumexp_cuda_kernelERKNSE_10TensorBaseESI_lENKUlvE_clEvENKUlvE2_clEvEUlS7_S7_E_S7_EEDaPvRmT3_T4_T5_mT6_P12ihipStream_tbENKUlT_T0_E_clISt17integral_constantIbLb0EESZ_EEDaSU_SV_EUlSU_E_NS1_11comp_targetILNS1_3genE8ELNS1_11target_archE1030ELNS1_3gpuE2ELNS1_3repE0EEENS1_30default_config_static_selectorELNS0_4arch9wavefront6targetE1EEEvT1_
                                        ; -- End function
	.section	.AMDGPU.csdata,"",@progbits
; Kernel info:
; codeLenInByte = 0
; NumSgprs: 4
; NumVgprs: 0
; NumAgprs: 0
; TotalNumVgprs: 0
; ScratchSize: 0
; MemoryBound: 0
; FloatMode: 240
; IeeeMode: 1
; LDSByteSize: 0 bytes/workgroup (compile time only)
; SGPRBlocks: 0
; VGPRBlocks: 0
; NumSGPRsForWavesPerEU: 4
; NumVGPRsForWavesPerEU: 1
; AccumOffset: 4
; Occupancy: 8
; WaveLimiterHint : 0
; COMPUTE_PGM_RSRC2:SCRATCH_EN: 0
; COMPUTE_PGM_RSRC2:USER_SGPR: 6
; COMPUTE_PGM_RSRC2:TRAP_HANDLER: 0
; COMPUTE_PGM_RSRC2:TGID_X_EN: 1
; COMPUTE_PGM_RSRC2:TGID_Y_EN: 0
; COMPUTE_PGM_RSRC2:TGID_Z_EN: 0
; COMPUTE_PGM_RSRC2:TIDIG_COMP_CNT: 0
; COMPUTE_PGM_RSRC3_GFX90A:ACCUM_OFFSET: 0
; COMPUTE_PGM_RSRC3_GFX90A:TG_SPLIT: 0
	.section	.text._ZN7rocprim17ROCPRIM_400000_NS6detail17trampoline_kernelINS0_14default_configENS1_25transform_config_selectorIN3c107complexIfEELb1EEEZNS1_14transform_implILb1ES3_S8_PS7_SA_NS0_8identityIS7_EEEE10hipError_tT2_T3_mT4_P12ihipStream_tbEUlT_E_NS1_11comp_targetILNS1_3genE0ELNS1_11target_archE4294967295ELNS1_3gpuE0ELNS1_3repE0EEENS1_30default_config_static_selectorELNS0_4arch9wavefront6targetE1EEEvT1_,"axG",@progbits,_ZN7rocprim17ROCPRIM_400000_NS6detail17trampoline_kernelINS0_14default_configENS1_25transform_config_selectorIN3c107complexIfEELb1EEEZNS1_14transform_implILb1ES3_S8_PS7_SA_NS0_8identityIS7_EEEE10hipError_tT2_T3_mT4_P12ihipStream_tbEUlT_E_NS1_11comp_targetILNS1_3genE0ELNS1_11target_archE4294967295ELNS1_3gpuE0ELNS1_3repE0EEENS1_30default_config_static_selectorELNS0_4arch9wavefront6targetE1EEEvT1_,comdat
	.protected	_ZN7rocprim17ROCPRIM_400000_NS6detail17trampoline_kernelINS0_14default_configENS1_25transform_config_selectorIN3c107complexIfEELb1EEEZNS1_14transform_implILb1ES3_S8_PS7_SA_NS0_8identityIS7_EEEE10hipError_tT2_T3_mT4_P12ihipStream_tbEUlT_E_NS1_11comp_targetILNS1_3genE0ELNS1_11target_archE4294967295ELNS1_3gpuE0ELNS1_3repE0EEENS1_30default_config_static_selectorELNS0_4arch9wavefront6targetE1EEEvT1_ ; -- Begin function _ZN7rocprim17ROCPRIM_400000_NS6detail17trampoline_kernelINS0_14default_configENS1_25transform_config_selectorIN3c107complexIfEELb1EEEZNS1_14transform_implILb1ES3_S8_PS7_SA_NS0_8identityIS7_EEEE10hipError_tT2_T3_mT4_P12ihipStream_tbEUlT_E_NS1_11comp_targetILNS1_3genE0ELNS1_11target_archE4294967295ELNS1_3gpuE0ELNS1_3repE0EEENS1_30default_config_static_selectorELNS0_4arch9wavefront6targetE1EEEvT1_
	.globl	_ZN7rocprim17ROCPRIM_400000_NS6detail17trampoline_kernelINS0_14default_configENS1_25transform_config_selectorIN3c107complexIfEELb1EEEZNS1_14transform_implILb1ES3_S8_PS7_SA_NS0_8identityIS7_EEEE10hipError_tT2_T3_mT4_P12ihipStream_tbEUlT_E_NS1_11comp_targetILNS1_3genE0ELNS1_11target_archE4294967295ELNS1_3gpuE0ELNS1_3repE0EEENS1_30default_config_static_selectorELNS0_4arch9wavefront6targetE1EEEvT1_
	.p2align	8
	.type	_ZN7rocprim17ROCPRIM_400000_NS6detail17trampoline_kernelINS0_14default_configENS1_25transform_config_selectorIN3c107complexIfEELb1EEEZNS1_14transform_implILb1ES3_S8_PS7_SA_NS0_8identityIS7_EEEE10hipError_tT2_T3_mT4_P12ihipStream_tbEUlT_E_NS1_11comp_targetILNS1_3genE0ELNS1_11target_archE4294967295ELNS1_3gpuE0ELNS1_3repE0EEENS1_30default_config_static_selectorELNS0_4arch9wavefront6targetE1EEEvT1_,@function
_ZN7rocprim17ROCPRIM_400000_NS6detail17trampoline_kernelINS0_14default_configENS1_25transform_config_selectorIN3c107complexIfEELb1EEEZNS1_14transform_implILb1ES3_S8_PS7_SA_NS0_8identityIS7_EEEE10hipError_tT2_T3_mT4_P12ihipStream_tbEUlT_E_NS1_11comp_targetILNS1_3genE0ELNS1_11target_archE4294967295ELNS1_3gpuE0ELNS1_3repE0EEENS1_30default_config_static_selectorELNS0_4arch9wavefront6targetE1EEEvT1_: ; @_ZN7rocprim17ROCPRIM_400000_NS6detail17trampoline_kernelINS0_14default_configENS1_25transform_config_selectorIN3c107complexIfEELb1EEEZNS1_14transform_implILb1ES3_S8_PS7_SA_NS0_8identityIS7_EEEE10hipError_tT2_T3_mT4_P12ihipStream_tbEUlT_E_NS1_11comp_targetILNS1_3genE0ELNS1_11target_archE4294967295ELNS1_3gpuE0ELNS1_3repE0EEENS1_30default_config_static_selectorELNS0_4arch9wavefront6targetE1EEEvT1_
; %bb.0:
	.section	.rodata,"a",@progbits
	.p2align	6, 0x0
	.amdhsa_kernel _ZN7rocprim17ROCPRIM_400000_NS6detail17trampoline_kernelINS0_14default_configENS1_25transform_config_selectorIN3c107complexIfEELb1EEEZNS1_14transform_implILb1ES3_S8_PS7_SA_NS0_8identityIS7_EEEE10hipError_tT2_T3_mT4_P12ihipStream_tbEUlT_E_NS1_11comp_targetILNS1_3genE0ELNS1_11target_archE4294967295ELNS1_3gpuE0ELNS1_3repE0EEENS1_30default_config_static_selectorELNS0_4arch9wavefront6targetE1EEEvT1_
		.amdhsa_group_segment_fixed_size 0
		.amdhsa_private_segment_fixed_size 0
		.amdhsa_kernarg_size 40
		.amdhsa_user_sgpr_count 6
		.amdhsa_user_sgpr_private_segment_buffer 1
		.amdhsa_user_sgpr_dispatch_ptr 0
		.amdhsa_user_sgpr_queue_ptr 0
		.amdhsa_user_sgpr_kernarg_segment_ptr 1
		.amdhsa_user_sgpr_dispatch_id 0
		.amdhsa_user_sgpr_flat_scratch_init 0
		.amdhsa_user_sgpr_kernarg_preload_length 0
		.amdhsa_user_sgpr_kernarg_preload_offset 0
		.amdhsa_user_sgpr_private_segment_size 0
		.amdhsa_uses_dynamic_stack 0
		.amdhsa_system_sgpr_private_segment_wavefront_offset 0
		.amdhsa_system_sgpr_workgroup_id_x 1
		.amdhsa_system_sgpr_workgroup_id_y 0
		.amdhsa_system_sgpr_workgroup_id_z 0
		.amdhsa_system_sgpr_workgroup_info 0
		.amdhsa_system_vgpr_workitem_id 0
		.amdhsa_next_free_vgpr 1
		.amdhsa_next_free_sgpr 0
		.amdhsa_accum_offset 4
		.amdhsa_reserve_vcc 0
		.amdhsa_reserve_flat_scratch 0
		.amdhsa_float_round_mode_32 0
		.amdhsa_float_round_mode_16_64 0
		.amdhsa_float_denorm_mode_32 3
		.amdhsa_float_denorm_mode_16_64 3
		.amdhsa_dx10_clamp 1
		.amdhsa_ieee_mode 1
		.amdhsa_fp16_overflow 0
		.amdhsa_tg_split 0
		.amdhsa_exception_fp_ieee_invalid_op 0
		.amdhsa_exception_fp_denorm_src 0
		.amdhsa_exception_fp_ieee_div_zero 0
		.amdhsa_exception_fp_ieee_overflow 0
		.amdhsa_exception_fp_ieee_underflow 0
		.amdhsa_exception_fp_ieee_inexact 0
		.amdhsa_exception_int_div_zero 0
	.end_amdhsa_kernel
	.section	.text._ZN7rocprim17ROCPRIM_400000_NS6detail17trampoline_kernelINS0_14default_configENS1_25transform_config_selectorIN3c107complexIfEELb1EEEZNS1_14transform_implILb1ES3_S8_PS7_SA_NS0_8identityIS7_EEEE10hipError_tT2_T3_mT4_P12ihipStream_tbEUlT_E_NS1_11comp_targetILNS1_3genE0ELNS1_11target_archE4294967295ELNS1_3gpuE0ELNS1_3repE0EEENS1_30default_config_static_selectorELNS0_4arch9wavefront6targetE1EEEvT1_,"axG",@progbits,_ZN7rocprim17ROCPRIM_400000_NS6detail17trampoline_kernelINS0_14default_configENS1_25transform_config_selectorIN3c107complexIfEELb1EEEZNS1_14transform_implILb1ES3_S8_PS7_SA_NS0_8identityIS7_EEEE10hipError_tT2_T3_mT4_P12ihipStream_tbEUlT_E_NS1_11comp_targetILNS1_3genE0ELNS1_11target_archE4294967295ELNS1_3gpuE0ELNS1_3repE0EEENS1_30default_config_static_selectorELNS0_4arch9wavefront6targetE1EEEvT1_,comdat
.Lfunc_end273:
	.size	_ZN7rocprim17ROCPRIM_400000_NS6detail17trampoline_kernelINS0_14default_configENS1_25transform_config_selectorIN3c107complexIfEELb1EEEZNS1_14transform_implILb1ES3_S8_PS7_SA_NS0_8identityIS7_EEEE10hipError_tT2_T3_mT4_P12ihipStream_tbEUlT_E_NS1_11comp_targetILNS1_3genE0ELNS1_11target_archE4294967295ELNS1_3gpuE0ELNS1_3repE0EEENS1_30default_config_static_selectorELNS0_4arch9wavefront6targetE1EEEvT1_, .Lfunc_end273-_ZN7rocprim17ROCPRIM_400000_NS6detail17trampoline_kernelINS0_14default_configENS1_25transform_config_selectorIN3c107complexIfEELb1EEEZNS1_14transform_implILb1ES3_S8_PS7_SA_NS0_8identityIS7_EEEE10hipError_tT2_T3_mT4_P12ihipStream_tbEUlT_E_NS1_11comp_targetILNS1_3genE0ELNS1_11target_archE4294967295ELNS1_3gpuE0ELNS1_3repE0EEENS1_30default_config_static_selectorELNS0_4arch9wavefront6targetE1EEEvT1_
                                        ; -- End function
	.section	.AMDGPU.csdata,"",@progbits
; Kernel info:
; codeLenInByte = 0
; NumSgprs: 4
; NumVgprs: 0
; NumAgprs: 0
; TotalNumVgprs: 0
; ScratchSize: 0
; MemoryBound: 0
; FloatMode: 240
; IeeeMode: 1
; LDSByteSize: 0 bytes/workgroup (compile time only)
; SGPRBlocks: 0
; VGPRBlocks: 0
; NumSGPRsForWavesPerEU: 4
; NumVGPRsForWavesPerEU: 1
; AccumOffset: 4
; Occupancy: 8
; WaveLimiterHint : 0
; COMPUTE_PGM_RSRC2:SCRATCH_EN: 0
; COMPUTE_PGM_RSRC2:USER_SGPR: 6
; COMPUTE_PGM_RSRC2:TRAP_HANDLER: 0
; COMPUTE_PGM_RSRC2:TGID_X_EN: 1
; COMPUTE_PGM_RSRC2:TGID_Y_EN: 0
; COMPUTE_PGM_RSRC2:TGID_Z_EN: 0
; COMPUTE_PGM_RSRC2:TIDIG_COMP_CNT: 0
; COMPUTE_PGM_RSRC3_GFX90A:ACCUM_OFFSET: 0
; COMPUTE_PGM_RSRC3_GFX90A:TG_SPLIT: 0
	.section	.text._ZN7rocprim17ROCPRIM_400000_NS6detail17trampoline_kernelINS0_14default_configENS1_25transform_config_selectorIN3c107complexIfEELb1EEEZNS1_14transform_implILb1ES3_S8_PS7_SA_NS0_8identityIS7_EEEE10hipError_tT2_T3_mT4_P12ihipStream_tbEUlT_E_NS1_11comp_targetILNS1_3genE10ELNS1_11target_archE1201ELNS1_3gpuE5ELNS1_3repE0EEENS1_30default_config_static_selectorELNS0_4arch9wavefront6targetE1EEEvT1_,"axG",@progbits,_ZN7rocprim17ROCPRIM_400000_NS6detail17trampoline_kernelINS0_14default_configENS1_25transform_config_selectorIN3c107complexIfEELb1EEEZNS1_14transform_implILb1ES3_S8_PS7_SA_NS0_8identityIS7_EEEE10hipError_tT2_T3_mT4_P12ihipStream_tbEUlT_E_NS1_11comp_targetILNS1_3genE10ELNS1_11target_archE1201ELNS1_3gpuE5ELNS1_3repE0EEENS1_30default_config_static_selectorELNS0_4arch9wavefront6targetE1EEEvT1_,comdat
	.protected	_ZN7rocprim17ROCPRIM_400000_NS6detail17trampoline_kernelINS0_14default_configENS1_25transform_config_selectorIN3c107complexIfEELb1EEEZNS1_14transform_implILb1ES3_S8_PS7_SA_NS0_8identityIS7_EEEE10hipError_tT2_T3_mT4_P12ihipStream_tbEUlT_E_NS1_11comp_targetILNS1_3genE10ELNS1_11target_archE1201ELNS1_3gpuE5ELNS1_3repE0EEENS1_30default_config_static_selectorELNS0_4arch9wavefront6targetE1EEEvT1_ ; -- Begin function _ZN7rocprim17ROCPRIM_400000_NS6detail17trampoline_kernelINS0_14default_configENS1_25transform_config_selectorIN3c107complexIfEELb1EEEZNS1_14transform_implILb1ES3_S8_PS7_SA_NS0_8identityIS7_EEEE10hipError_tT2_T3_mT4_P12ihipStream_tbEUlT_E_NS1_11comp_targetILNS1_3genE10ELNS1_11target_archE1201ELNS1_3gpuE5ELNS1_3repE0EEENS1_30default_config_static_selectorELNS0_4arch9wavefront6targetE1EEEvT1_
	.globl	_ZN7rocprim17ROCPRIM_400000_NS6detail17trampoline_kernelINS0_14default_configENS1_25transform_config_selectorIN3c107complexIfEELb1EEEZNS1_14transform_implILb1ES3_S8_PS7_SA_NS0_8identityIS7_EEEE10hipError_tT2_T3_mT4_P12ihipStream_tbEUlT_E_NS1_11comp_targetILNS1_3genE10ELNS1_11target_archE1201ELNS1_3gpuE5ELNS1_3repE0EEENS1_30default_config_static_selectorELNS0_4arch9wavefront6targetE1EEEvT1_
	.p2align	8
	.type	_ZN7rocprim17ROCPRIM_400000_NS6detail17trampoline_kernelINS0_14default_configENS1_25transform_config_selectorIN3c107complexIfEELb1EEEZNS1_14transform_implILb1ES3_S8_PS7_SA_NS0_8identityIS7_EEEE10hipError_tT2_T3_mT4_P12ihipStream_tbEUlT_E_NS1_11comp_targetILNS1_3genE10ELNS1_11target_archE1201ELNS1_3gpuE5ELNS1_3repE0EEENS1_30default_config_static_selectorELNS0_4arch9wavefront6targetE1EEEvT1_,@function
_ZN7rocprim17ROCPRIM_400000_NS6detail17trampoline_kernelINS0_14default_configENS1_25transform_config_selectorIN3c107complexIfEELb1EEEZNS1_14transform_implILb1ES3_S8_PS7_SA_NS0_8identityIS7_EEEE10hipError_tT2_T3_mT4_P12ihipStream_tbEUlT_E_NS1_11comp_targetILNS1_3genE10ELNS1_11target_archE1201ELNS1_3gpuE5ELNS1_3repE0EEENS1_30default_config_static_selectorELNS0_4arch9wavefront6targetE1EEEvT1_: ; @_ZN7rocprim17ROCPRIM_400000_NS6detail17trampoline_kernelINS0_14default_configENS1_25transform_config_selectorIN3c107complexIfEELb1EEEZNS1_14transform_implILb1ES3_S8_PS7_SA_NS0_8identityIS7_EEEE10hipError_tT2_T3_mT4_P12ihipStream_tbEUlT_E_NS1_11comp_targetILNS1_3genE10ELNS1_11target_archE1201ELNS1_3gpuE5ELNS1_3repE0EEENS1_30default_config_static_selectorELNS0_4arch9wavefront6targetE1EEEvT1_
; %bb.0:
	.section	.rodata,"a",@progbits
	.p2align	6, 0x0
	.amdhsa_kernel _ZN7rocprim17ROCPRIM_400000_NS6detail17trampoline_kernelINS0_14default_configENS1_25transform_config_selectorIN3c107complexIfEELb1EEEZNS1_14transform_implILb1ES3_S8_PS7_SA_NS0_8identityIS7_EEEE10hipError_tT2_T3_mT4_P12ihipStream_tbEUlT_E_NS1_11comp_targetILNS1_3genE10ELNS1_11target_archE1201ELNS1_3gpuE5ELNS1_3repE0EEENS1_30default_config_static_selectorELNS0_4arch9wavefront6targetE1EEEvT1_
		.amdhsa_group_segment_fixed_size 0
		.amdhsa_private_segment_fixed_size 0
		.amdhsa_kernarg_size 40
		.amdhsa_user_sgpr_count 6
		.amdhsa_user_sgpr_private_segment_buffer 1
		.amdhsa_user_sgpr_dispatch_ptr 0
		.amdhsa_user_sgpr_queue_ptr 0
		.amdhsa_user_sgpr_kernarg_segment_ptr 1
		.amdhsa_user_sgpr_dispatch_id 0
		.amdhsa_user_sgpr_flat_scratch_init 0
		.amdhsa_user_sgpr_kernarg_preload_length 0
		.amdhsa_user_sgpr_kernarg_preload_offset 0
		.amdhsa_user_sgpr_private_segment_size 0
		.amdhsa_uses_dynamic_stack 0
		.amdhsa_system_sgpr_private_segment_wavefront_offset 0
		.amdhsa_system_sgpr_workgroup_id_x 1
		.amdhsa_system_sgpr_workgroup_id_y 0
		.amdhsa_system_sgpr_workgroup_id_z 0
		.amdhsa_system_sgpr_workgroup_info 0
		.amdhsa_system_vgpr_workitem_id 0
		.amdhsa_next_free_vgpr 1
		.amdhsa_next_free_sgpr 0
		.amdhsa_accum_offset 4
		.amdhsa_reserve_vcc 0
		.amdhsa_reserve_flat_scratch 0
		.amdhsa_float_round_mode_32 0
		.amdhsa_float_round_mode_16_64 0
		.amdhsa_float_denorm_mode_32 3
		.amdhsa_float_denorm_mode_16_64 3
		.amdhsa_dx10_clamp 1
		.amdhsa_ieee_mode 1
		.amdhsa_fp16_overflow 0
		.amdhsa_tg_split 0
		.amdhsa_exception_fp_ieee_invalid_op 0
		.amdhsa_exception_fp_denorm_src 0
		.amdhsa_exception_fp_ieee_div_zero 0
		.amdhsa_exception_fp_ieee_overflow 0
		.amdhsa_exception_fp_ieee_underflow 0
		.amdhsa_exception_fp_ieee_inexact 0
		.amdhsa_exception_int_div_zero 0
	.end_amdhsa_kernel
	.section	.text._ZN7rocprim17ROCPRIM_400000_NS6detail17trampoline_kernelINS0_14default_configENS1_25transform_config_selectorIN3c107complexIfEELb1EEEZNS1_14transform_implILb1ES3_S8_PS7_SA_NS0_8identityIS7_EEEE10hipError_tT2_T3_mT4_P12ihipStream_tbEUlT_E_NS1_11comp_targetILNS1_3genE10ELNS1_11target_archE1201ELNS1_3gpuE5ELNS1_3repE0EEENS1_30default_config_static_selectorELNS0_4arch9wavefront6targetE1EEEvT1_,"axG",@progbits,_ZN7rocprim17ROCPRIM_400000_NS6detail17trampoline_kernelINS0_14default_configENS1_25transform_config_selectorIN3c107complexIfEELb1EEEZNS1_14transform_implILb1ES3_S8_PS7_SA_NS0_8identityIS7_EEEE10hipError_tT2_T3_mT4_P12ihipStream_tbEUlT_E_NS1_11comp_targetILNS1_3genE10ELNS1_11target_archE1201ELNS1_3gpuE5ELNS1_3repE0EEENS1_30default_config_static_selectorELNS0_4arch9wavefront6targetE1EEEvT1_,comdat
.Lfunc_end274:
	.size	_ZN7rocprim17ROCPRIM_400000_NS6detail17trampoline_kernelINS0_14default_configENS1_25transform_config_selectorIN3c107complexIfEELb1EEEZNS1_14transform_implILb1ES3_S8_PS7_SA_NS0_8identityIS7_EEEE10hipError_tT2_T3_mT4_P12ihipStream_tbEUlT_E_NS1_11comp_targetILNS1_3genE10ELNS1_11target_archE1201ELNS1_3gpuE5ELNS1_3repE0EEENS1_30default_config_static_selectorELNS0_4arch9wavefront6targetE1EEEvT1_, .Lfunc_end274-_ZN7rocprim17ROCPRIM_400000_NS6detail17trampoline_kernelINS0_14default_configENS1_25transform_config_selectorIN3c107complexIfEELb1EEEZNS1_14transform_implILb1ES3_S8_PS7_SA_NS0_8identityIS7_EEEE10hipError_tT2_T3_mT4_P12ihipStream_tbEUlT_E_NS1_11comp_targetILNS1_3genE10ELNS1_11target_archE1201ELNS1_3gpuE5ELNS1_3repE0EEENS1_30default_config_static_selectorELNS0_4arch9wavefront6targetE1EEEvT1_
                                        ; -- End function
	.section	.AMDGPU.csdata,"",@progbits
; Kernel info:
; codeLenInByte = 0
; NumSgprs: 4
; NumVgprs: 0
; NumAgprs: 0
; TotalNumVgprs: 0
; ScratchSize: 0
; MemoryBound: 0
; FloatMode: 240
; IeeeMode: 1
; LDSByteSize: 0 bytes/workgroup (compile time only)
; SGPRBlocks: 0
; VGPRBlocks: 0
; NumSGPRsForWavesPerEU: 4
; NumVGPRsForWavesPerEU: 1
; AccumOffset: 4
; Occupancy: 8
; WaveLimiterHint : 0
; COMPUTE_PGM_RSRC2:SCRATCH_EN: 0
; COMPUTE_PGM_RSRC2:USER_SGPR: 6
; COMPUTE_PGM_RSRC2:TRAP_HANDLER: 0
; COMPUTE_PGM_RSRC2:TGID_X_EN: 1
; COMPUTE_PGM_RSRC2:TGID_Y_EN: 0
; COMPUTE_PGM_RSRC2:TGID_Z_EN: 0
; COMPUTE_PGM_RSRC2:TIDIG_COMP_CNT: 0
; COMPUTE_PGM_RSRC3_GFX90A:ACCUM_OFFSET: 0
; COMPUTE_PGM_RSRC3_GFX90A:TG_SPLIT: 0
	.section	.text._ZN7rocprim17ROCPRIM_400000_NS6detail17trampoline_kernelINS0_14default_configENS1_25transform_config_selectorIN3c107complexIfEELb1EEEZNS1_14transform_implILb1ES3_S8_PS7_SA_NS0_8identityIS7_EEEE10hipError_tT2_T3_mT4_P12ihipStream_tbEUlT_E_NS1_11comp_targetILNS1_3genE5ELNS1_11target_archE942ELNS1_3gpuE9ELNS1_3repE0EEENS1_30default_config_static_selectorELNS0_4arch9wavefront6targetE1EEEvT1_,"axG",@progbits,_ZN7rocprim17ROCPRIM_400000_NS6detail17trampoline_kernelINS0_14default_configENS1_25transform_config_selectorIN3c107complexIfEELb1EEEZNS1_14transform_implILb1ES3_S8_PS7_SA_NS0_8identityIS7_EEEE10hipError_tT2_T3_mT4_P12ihipStream_tbEUlT_E_NS1_11comp_targetILNS1_3genE5ELNS1_11target_archE942ELNS1_3gpuE9ELNS1_3repE0EEENS1_30default_config_static_selectorELNS0_4arch9wavefront6targetE1EEEvT1_,comdat
	.protected	_ZN7rocprim17ROCPRIM_400000_NS6detail17trampoline_kernelINS0_14default_configENS1_25transform_config_selectorIN3c107complexIfEELb1EEEZNS1_14transform_implILb1ES3_S8_PS7_SA_NS0_8identityIS7_EEEE10hipError_tT2_T3_mT4_P12ihipStream_tbEUlT_E_NS1_11comp_targetILNS1_3genE5ELNS1_11target_archE942ELNS1_3gpuE9ELNS1_3repE0EEENS1_30default_config_static_selectorELNS0_4arch9wavefront6targetE1EEEvT1_ ; -- Begin function _ZN7rocprim17ROCPRIM_400000_NS6detail17trampoline_kernelINS0_14default_configENS1_25transform_config_selectorIN3c107complexIfEELb1EEEZNS1_14transform_implILb1ES3_S8_PS7_SA_NS0_8identityIS7_EEEE10hipError_tT2_T3_mT4_P12ihipStream_tbEUlT_E_NS1_11comp_targetILNS1_3genE5ELNS1_11target_archE942ELNS1_3gpuE9ELNS1_3repE0EEENS1_30default_config_static_selectorELNS0_4arch9wavefront6targetE1EEEvT1_
	.globl	_ZN7rocprim17ROCPRIM_400000_NS6detail17trampoline_kernelINS0_14default_configENS1_25transform_config_selectorIN3c107complexIfEELb1EEEZNS1_14transform_implILb1ES3_S8_PS7_SA_NS0_8identityIS7_EEEE10hipError_tT2_T3_mT4_P12ihipStream_tbEUlT_E_NS1_11comp_targetILNS1_3genE5ELNS1_11target_archE942ELNS1_3gpuE9ELNS1_3repE0EEENS1_30default_config_static_selectorELNS0_4arch9wavefront6targetE1EEEvT1_
	.p2align	8
	.type	_ZN7rocprim17ROCPRIM_400000_NS6detail17trampoline_kernelINS0_14default_configENS1_25transform_config_selectorIN3c107complexIfEELb1EEEZNS1_14transform_implILb1ES3_S8_PS7_SA_NS0_8identityIS7_EEEE10hipError_tT2_T3_mT4_P12ihipStream_tbEUlT_E_NS1_11comp_targetILNS1_3genE5ELNS1_11target_archE942ELNS1_3gpuE9ELNS1_3repE0EEENS1_30default_config_static_selectorELNS0_4arch9wavefront6targetE1EEEvT1_,@function
_ZN7rocprim17ROCPRIM_400000_NS6detail17trampoline_kernelINS0_14default_configENS1_25transform_config_selectorIN3c107complexIfEELb1EEEZNS1_14transform_implILb1ES3_S8_PS7_SA_NS0_8identityIS7_EEEE10hipError_tT2_T3_mT4_P12ihipStream_tbEUlT_E_NS1_11comp_targetILNS1_3genE5ELNS1_11target_archE942ELNS1_3gpuE9ELNS1_3repE0EEENS1_30default_config_static_selectorELNS0_4arch9wavefront6targetE1EEEvT1_: ; @_ZN7rocprim17ROCPRIM_400000_NS6detail17trampoline_kernelINS0_14default_configENS1_25transform_config_selectorIN3c107complexIfEELb1EEEZNS1_14transform_implILb1ES3_S8_PS7_SA_NS0_8identityIS7_EEEE10hipError_tT2_T3_mT4_P12ihipStream_tbEUlT_E_NS1_11comp_targetILNS1_3genE5ELNS1_11target_archE942ELNS1_3gpuE9ELNS1_3repE0EEENS1_30default_config_static_selectorELNS0_4arch9wavefront6targetE1EEEvT1_
; %bb.0:
	.section	.rodata,"a",@progbits
	.p2align	6, 0x0
	.amdhsa_kernel _ZN7rocprim17ROCPRIM_400000_NS6detail17trampoline_kernelINS0_14default_configENS1_25transform_config_selectorIN3c107complexIfEELb1EEEZNS1_14transform_implILb1ES3_S8_PS7_SA_NS0_8identityIS7_EEEE10hipError_tT2_T3_mT4_P12ihipStream_tbEUlT_E_NS1_11comp_targetILNS1_3genE5ELNS1_11target_archE942ELNS1_3gpuE9ELNS1_3repE0EEENS1_30default_config_static_selectorELNS0_4arch9wavefront6targetE1EEEvT1_
		.amdhsa_group_segment_fixed_size 0
		.amdhsa_private_segment_fixed_size 0
		.amdhsa_kernarg_size 40
		.amdhsa_user_sgpr_count 6
		.amdhsa_user_sgpr_private_segment_buffer 1
		.amdhsa_user_sgpr_dispatch_ptr 0
		.amdhsa_user_sgpr_queue_ptr 0
		.amdhsa_user_sgpr_kernarg_segment_ptr 1
		.amdhsa_user_sgpr_dispatch_id 0
		.amdhsa_user_sgpr_flat_scratch_init 0
		.amdhsa_user_sgpr_kernarg_preload_length 0
		.amdhsa_user_sgpr_kernarg_preload_offset 0
		.amdhsa_user_sgpr_private_segment_size 0
		.amdhsa_uses_dynamic_stack 0
		.amdhsa_system_sgpr_private_segment_wavefront_offset 0
		.amdhsa_system_sgpr_workgroup_id_x 1
		.amdhsa_system_sgpr_workgroup_id_y 0
		.amdhsa_system_sgpr_workgroup_id_z 0
		.amdhsa_system_sgpr_workgroup_info 0
		.amdhsa_system_vgpr_workitem_id 0
		.amdhsa_next_free_vgpr 1
		.amdhsa_next_free_sgpr 0
		.amdhsa_accum_offset 4
		.amdhsa_reserve_vcc 0
		.amdhsa_reserve_flat_scratch 0
		.amdhsa_float_round_mode_32 0
		.amdhsa_float_round_mode_16_64 0
		.amdhsa_float_denorm_mode_32 3
		.amdhsa_float_denorm_mode_16_64 3
		.amdhsa_dx10_clamp 1
		.amdhsa_ieee_mode 1
		.amdhsa_fp16_overflow 0
		.amdhsa_tg_split 0
		.amdhsa_exception_fp_ieee_invalid_op 0
		.amdhsa_exception_fp_denorm_src 0
		.amdhsa_exception_fp_ieee_div_zero 0
		.amdhsa_exception_fp_ieee_overflow 0
		.amdhsa_exception_fp_ieee_underflow 0
		.amdhsa_exception_fp_ieee_inexact 0
		.amdhsa_exception_int_div_zero 0
	.end_amdhsa_kernel
	.section	.text._ZN7rocprim17ROCPRIM_400000_NS6detail17trampoline_kernelINS0_14default_configENS1_25transform_config_selectorIN3c107complexIfEELb1EEEZNS1_14transform_implILb1ES3_S8_PS7_SA_NS0_8identityIS7_EEEE10hipError_tT2_T3_mT4_P12ihipStream_tbEUlT_E_NS1_11comp_targetILNS1_3genE5ELNS1_11target_archE942ELNS1_3gpuE9ELNS1_3repE0EEENS1_30default_config_static_selectorELNS0_4arch9wavefront6targetE1EEEvT1_,"axG",@progbits,_ZN7rocprim17ROCPRIM_400000_NS6detail17trampoline_kernelINS0_14default_configENS1_25transform_config_selectorIN3c107complexIfEELb1EEEZNS1_14transform_implILb1ES3_S8_PS7_SA_NS0_8identityIS7_EEEE10hipError_tT2_T3_mT4_P12ihipStream_tbEUlT_E_NS1_11comp_targetILNS1_3genE5ELNS1_11target_archE942ELNS1_3gpuE9ELNS1_3repE0EEENS1_30default_config_static_selectorELNS0_4arch9wavefront6targetE1EEEvT1_,comdat
.Lfunc_end275:
	.size	_ZN7rocprim17ROCPRIM_400000_NS6detail17trampoline_kernelINS0_14default_configENS1_25transform_config_selectorIN3c107complexIfEELb1EEEZNS1_14transform_implILb1ES3_S8_PS7_SA_NS0_8identityIS7_EEEE10hipError_tT2_T3_mT4_P12ihipStream_tbEUlT_E_NS1_11comp_targetILNS1_3genE5ELNS1_11target_archE942ELNS1_3gpuE9ELNS1_3repE0EEENS1_30default_config_static_selectorELNS0_4arch9wavefront6targetE1EEEvT1_, .Lfunc_end275-_ZN7rocprim17ROCPRIM_400000_NS6detail17trampoline_kernelINS0_14default_configENS1_25transform_config_selectorIN3c107complexIfEELb1EEEZNS1_14transform_implILb1ES3_S8_PS7_SA_NS0_8identityIS7_EEEE10hipError_tT2_T3_mT4_P12ihipStream_tbEUlT_E_NS1_11comp_targetILNS1_3genE5ELNS1_11target_archE942ELNS1_3gpuE9ELNS1_3repE0EEENS1_30default_config_static_selectorELNS0_4arch9wavefront6targetE1EEEvT1_
                                        ; -- End function
	.section	.AMDGPU.csdata,"",@progbits
; Kernel info:
; codeLenInByte = 0
; NumSgprs: 4
; NumVgprs: 0
; NumAgprs: 0
; TotalNumVgprs: 0
; ScratchSize: 0
; MemoryBound: 0
; FloatMode: 240
; IeeeMode: 1
; LDSByteSize: 0 bytes/workgroup (compile time only)
; SGPRBlocks: 0
; VGPRBlocks: 0
; NumSGPRsForWavesPerEU: 4
; NumVGPRsForWavesPerEU: 1
; AccumOffset: 4
; Occupancy: 8
; WaveLimiterHint : 0
; COMPUTE_PGM_RSRC2:SCRATCH_EN: 0
; COMPUTE_PGM_RSRC2:USER_SGPR: 6
; COMPUTE_PGM_RSRC2:TRAP_HANDLER: 0
; COMPUTE_PGM_RSRC2:TGID_X_EN: 1
; COMPUTE_PGM_RSRC2:TGID_Y_EN: 0
; COMPUTE_PGM_RSRC2:TGID_Z_EN: 0
; COMPUTE_PGM_RSRC2:TIDIG_COMP_CNT: 0
; COMPUTE_PGM_RSRC3_GFX90A:ACCUM_OFFSET: 0
; COMPUTE_PGM_RSRC3_GFX90A:TG_SPLIT: 0
	.section	.text._ZN7rocprim17ROCPRIM_400000_NS6detail17trampoline_kernelINS0_14default_configENS1_25transform_config_selectorIN3c107complexIfEELb1EEEZNS1_14transform_implILb1ES3_S8_PS7_SA_NS0_8identityIS7_EEEE10hipError_tT2_T3_mT4_P12ihipStream_tbEUlT_E_NS1_11comp_targetILNS1_3genE4ELNS1_11target_archE910ELNS1_3gpuE8ELNS1_3repE0EEENS1_30default_config_static_selectorELNS0_4arch9wavefront6targetE1EEEvT1_,"axG",@progbits,_ZN7rocprim17ROCPRIM_400000_NS6detail17trampoline_kernelINS0_14default_configENS1_25transform_config_selectorIN3c107complexIfEELb1EEEZNS1_14transform_implILb1ES3_S8_PS7_SA_NS0_8identityIS7_EEEE10hipError_tT2_T3_mT4_P12ihipStream_tbEUlT_E_NS1_11comp_targetILNS1_3genE4ELNS1_11target_archE910ELNS1_3gpuE8ELNS1_3repE0EEENS1_30default_config_static_selectorELNS0_4arch9wavefront6targetE1EEEvT1_,comdat
	.protected	_ZN7rocprim17ROCPRIM_400000_NS6detail17trampoline_kernelINS0_14default_configENS1_25transform_config_selectorIN3c107complexIfEELb1EEEZNS1_14transform_implILb1ES3_S8_PS7_SA_NS0_8identityIS7_EEEE10hipError_tT2_T3_mT4_P12ihipStream_tbEUlT_E_NS1_11comp_targetILNS1_3genE4ELNS1_11target_archE910ELNS1_3gpuE8ELNS1_3repE0EEENS1_30default_config_static_selectorELNS0_4arch9wavefront6targetE1EEEvT1_ ; -- Begin function _ZN7rocprim17ROCPRIM_400000_NS6detail17trampoline_kernelINS0_14default_configENS1_25transform_config_selectorIN3c107complexIfEELb1EEEZNS1_14transform_implILb1ES3_S8_PS7_SA_NS0_8identityIS7_EEEE10hipError_tT2_T3_mT4_P12ihipStream_tbEUlT_E_NS1_11comp_targetILNS1_3genE4ELNS1_11target_archE910ELNS1_3gpuE8ELNS1_3repE0EEENS1_30default_config_static_selectorELNS0_4arch9wavefront6targetE1EEEvT1_
	.globl	_ZN7rocprim17ROCPRIM_400000_NS6detail17trampoline_kernelINS0_14default_configENS1_25transform_config_selectorIN3c107complexIfEELb1EEEZNS1_14transform_implILb1ES3_S8_PS7_SA_NS0_8identityIS7_EEEE10hipError_tT2_T3_mT4_P12ihipStream_tbEUlT_E_NS1_11comp_targetILNS1_3genE4ELNS1_11target_archE910ELNS1_3gpuE8ELNS1_3repE0EEENS1_30default_config_static_selectorELNS0_4arch9wavefront6targetE1EEEvT1_
	.p2align	8
	.type	_ZN7rocprim17ROCPRIM_400000_NS6detail17trampoline_kernelINS0_14default_configENS1_25transform_config_selectorIN3c107complexIfEELb1EEEZNS1_14transform_implILb1ES3_S8_PS7_SA_NS0_8identityIS7_EEEE10hipError_tT2_T3_mT4_P12ihipStream_tbEUlT_E_NS1_11comp_targetILNS1_3genE4ELNS1_11target_archE910ELNS1_3gpuE8ELNS1_3repE0EEENS1_30default_config_static_selectorELNS0_4arch9wavefront6targetE1EEEvT1_,@function
_ZN7rocprim17ROCPRIM_400000_NS6detail17trampoline_kernelINS0_14default_configENS1_25transform_config_selectorIN3c107complexIfEELb1EEEZNS1_14transform_implILb1ES3_S8_PS7_SA_NS0_8identityIS7_EEEE10hipError_tT2_T3_mT4_P12ihipStream_tbEUlT_E_NS1_11comp_targetILNS1_3genE4ELNS1_11target_archE910ELNS1_3gpuE8ELNS1_3repE0EEENS1_30default_config_static_selectorELNS0_4arch9wavefront6targetE1EEEvT1_: ; @_ZN7rocprim17ROCPRIM_400000_NS6detail17trampoline_kernelINS0_14default_configENS1_25transform_config_selectorIN3c107complexIfEELb1EEEZNS1_14transform_implILb1ES3_S8_PS7_SA_NS0_8identityIS7_EEEE10hipError_tT2_T3_mT4_P12ihipStream_tbEUlT_E_NS1_11comp_targetILNS1_3genE4ELNS1_11target_archE910ELNS1_3gpuE8ELNS1_3repE0EEENS1_30default_config_static_selectorELNS0_4arch9wavefront6targetE1EEEvT1_
; %bb.0:
	s_load_dwordx8 s[8:15], s[4:5], 0x0
	s_load_dword s2, s[4:5], 0x28
	s_waitcnt lgkmcnt(0)
	s_lshl_b64 s[0:1], s[10:11], 3
	s_add_u32 s4, s8, s0
	s_addc_u32 s5, s9, s1
	s_add_u32 s8, s14, s0
	s_addc_u32 s9, s15, s1
	s_lshl_b32 s0, s6, 11
	s_mov_b32 s1, 0
	s_add_i32 s7, s2, -1
	s_lshl_b64 s[2:3], s[0:1], 3
	s_add_u32 s4, s4, s2
	s_addc_u32 s5, s5, s3
	s_cmp_lg_u32 s6, s7
	s_mov_b64 s[6:7], -1
	s_cbranch_scc0 .LBB276_2
; %bb.1:
	v_lshlrev_b32_e32 v1, 4, v0
	global_load_dwordx4 v[2:5], v1, s[4:5]
	s_add_u32 s6, s8, s2
	s_addc_u32 s7, s9, s3
	s_waitcnt vmcnt(0)
	global_store_dwordx4 v1, v[2:5], s[6:7]
	s_mov_b64 s[6:7], 0
.LBB276_2:
	s_andn2_b64 vcc, exec, s[6:7]
	s_cbranch_vccnz .LBB276_11
; %bb.3:
	s_sub_i32 s6, s12, s0
	v_cmp_gt_u32_e32 vcc, s6, v0
	v_mov_b32_e32 v2, 0
	v_lshlrev_b32_e32 v1, 3, v0
	v_mov_b32_e32 v4, 0
	v_mov_b32_e32 v5, 0
	s_and_saveexec_b64 s[0:1], vcc
	s_cbranch_execz .LBB276_5
; %bb.4:
	global_load_dwordx2 v[4:5], v1, s[4:5]
.LBB276_5:
	s_or_b64 exec, exec, s[0:1]
	v_or_b32_e32 v0, 0x400, v0
	v_cmp_gt_u32_e64 s[0:1], s6, v0
	v_mov_b32_e32 v3, 0
	s_and_saveexec_b64 s[6:7], s[0:1]
	s_cbranch_execz .LBB276_7
; %bb.6:
	v_lshlrev_b32_e32 v0, 3, v0
	global_load_dwordx2 v[2:3], v0, s[4:5]
.LBB276_7:
	s_or_b64 exec, exec, s[6:7]
	s_add_u32 s2, s8, s2
	s_addc_u32 s3, s9, s3
	v_mov_b32_e32 v6, s3
	v_add_co_u32_e64 v0, s[2:3], s2, v1
	v_addc_co_u32_e64 v1, s[2:3], 0, v6, s[2:3]
	s_and_saveexec_b64 s[2:3], vcc
	s_cbranch_execz .LBB276_9
; %bb.8:
	s_waitcnt vmcnt(0)
	global_store_dwordx2 v[0:1], v[4:5], off
.LBB276_9:
	s_or_b64 exec, exec, s[2:3]
	s_and_saveexec_b64 s[2:3], s[0:1]
	s_cbranch_execz .LBB276_11
; %bb.10:
	v_add_co_u32_e32 v0, vcc, 0x2000, v0
	v_addc_co_u32_e32 v1, vcc, 0, v1, vcc
	s_waitcnt vmcnt(0)
	global_store_dwordx2 v[0:1], v[2:3], off
.LBB276_11:
	s_endpgm
	.section	.rodata,"a",@progbits
	.p2align	6, 0x0
	.amdhsa_kernel _ZN7rocprim17ROCPRIM_400000_NS6detail17trampoline_kernelINS0_14default_configENS1_25transform_config_selectorIN3c107complexIfEELb1EEEZNS1_14transform_implILb1ES3_S8_PS7_SA_NS0_8identityIS7_EEEE10hipError_tT2_T3_mT4_P12ihipStream_tbEUlT_E_NS1_11comp_targetILNS1_3genE4ELNS1_11target_archE910ELNS1_3gpuE8ELNS1_3repE0EEENS1_30default_config_static_selectorELNS0_4arch9wavefront6targetE1EEEvT1_
		.amdhsa_group_segment_fixed_size 0
		.amdhsa_private_segment_fixed_size 0
		.amdhsa_kernarg_size 296
		.amdhsa_user_sgpr_count 6
		.amdhsa_user_sgpr_private_segment_buffer 1
		.amdhsa_user_sgpr_dispatch_ptr 0
		.amdhsa_user_sgpr_queue_ptr 0
		.amdhsa_user_sgpr_kernarg_segment_ptr 1
		.amdhsa_user_sgpr_dispatch_id 0
		.amdhsa_user_sgpr_flat_scratch_init 0
		.amdhsa_user_sgpr_kernarg_preload_length 0
		.amdhsa_user_sgpr_kernarg_preload_offset 0
		.amdhsa_user_sgpr_private_segment_size 0
		.amdhsa_uses_dynamic_stack 0
		.amdhsa_system_sgpr_private_segment_wavefront_offset 0
		.amdhsa_system_sgpr_workgroup_id_x 1
		.amdhsa_system_sgpr_workgroup_id_y 0
		.amdhsa_system_sgpr_workgroup_id_z 0
		.amdhsa_system_sgpr_workgroup_info 0
		.amdhsa_system_vgpr_workitem_id 0
		.amdhsa_next_free_vgpr 7
		.amdhsa_next_free_sgpr 16
		.amdhsa_accum_offset 8
		.amdhsa_reserve_vcc 1
		.amdhsa_reserve_flat_scratch 0
		.amdhsa_float_round_mode_32 0
		.amdhsa_float_round_mode_16_64 0
		.amdhsa_float_denorm_mode_32 3
		.amdhsa_float_denorm_mode_16_64 3
		.amdhsa_dx10_clamp 1
		.amdhsa_ieee_mode 1
		.amdhsa_fp16_overflow 0
		.amdhsa_tg_split 0
		.amdhsa_exception_fp_ieee_invalid_op 0
		.amdhsa_exception_fp_denorm_src 0
		.amdhsa_exception_fp_ieee_div_zero 0
		.amdhsa_exception_fp_ieee_overflow 0
		.amdhsa_exception_fp_ieee_underflow 0
		.amdhsa_exception_fp_ieee_inexact 0
		.amdhsa_exception_int_div_zero 0
	.end_amdhsa_kernel
	.section	.text._ZN7rocprim17ROCPRIM_400000_NS6detail17trampoline_kernelINS0_14default_configENS1_25transform_config_selectorIN3c107complexIfEELb1EEEZNS1_14transform_implILb1ES3_S8_PS7_SA_NS0_8identityIS7_EEEE10hipError_tT2_T3_mT4_P12ihipStream_tbEUlT_E_NS1_11comp_targetILNS1_3genE4ELNS1_11target_archE910ELNS1_3gpuE8ELNS1_3repE0EEENS1_30default_config_static_selectorELNS0_4arch9wavefront6targetE1EEEvT1_,"axG",@progbits,_ZN7rocprim17ROCPRIM_400000_NS6detail17trampoline_kernelINS0_14default_configENS1_25transform_config_selectorIN3c107complexIfEELb1EEEZNS1_14transform_implILb1ES3_S8_PS7_SA_NS0_8identityIS7_EEEE10hipError_tT2_T3_mT4_P12ihipStream_tbEUlT_E_NS1_11comp_targetILNS1_3genE4ELNS1_11target_archE910ELNS1_3gpuE8ELNS1_3repE0EEENS1_30default_config_static_selectorELNS0_4arch9wavefront6targetE1EEEvT1_,comdat
.Lfunc_end276:
	.size	_ZN7rocprim17ROCPRIM_400000_NS6detail17trampoline_kernelINS0_14default_configENS1_25transform_config_selectorIN3c107complexIfEELb1EEEZNS1_14transform_implILb1ES3_S8_PS7_SA_NS0_8identityIS7_EEEE10hipError_tT2_T3_mT4_P12ihipStream_tbEUlT_E_NS1_11comp_targetILNS1_3genE4ELNS1_11target_archE910ELNS1_3gpuE8ELNS1_3repE0EEENS1_30default_config_static_selectorELNS0_4arch9wavefront6targetE1EEEvT1_, .Lfunc_end276-_ZN7rocprim17ROCPRIM_400000_NS6detail17trampoline_kernelINS0_14default_configENS1_25transform_config_selectorIN3c107complexIfEELb1EEEZNS1_14transform_implILb1ES3_S8_PS7_SA_NS0_8identityIS7_EEEE10hipError_tT2_T3_mT4_P12ihipStream_tbEUlT_E_NS1_11comp_targetILNS1_3genE4ELNS1_11target_archE910ELNS1_3gpuE8ELNS1_3repE0EEENS1_30default_config_static_selectorELNS0_4arch9wavefront6targetE1EEEvT1_
                                        ; -- End function
	.section	.AMDGPU.csdata,"",@progbits
; Kernel info:
; codeLenInByte = 296
; NumSgprs: 20
; NumVgprs: 7
; NumAgprs: 0
; TotalNumVgprs: 7
; ScratchSize: 0
; MemoryBound: 0
; FloatMode: 240
; IeeeMode: 1
; LDSByteSize: 0 bytes/workgroup (compile time only)
; SGPRBlocks: 2
; VGPRBlocks: 0
; NumSGPRsForWavesPerEU: 20
; NumVGPRsForWavesPerEU: 7
; AccumOffset: 8
; Occupancy: 8
; WaveLimiterHint : 0
; COMPUTE_PGM_RSRC2:SCRATCH_EN: 0
; COMPUTE_PGM_RSRC2:USER_SGPR: 6
; COMPUTE_PGM_RSRC2:TRAP_HANDLER: 0
; COMPUTE_PGM_RSRC2:TGID_X_EN: 1
; COMPUTE_PGM_RSRC2:TGID_Y_EN: 0
; COMPUTE_PGM_RSRC2:TGID_Z_EN: 0
; COMPUTE_PGM_RSRC2:TIDIG_COMP_CNT: 0
; COMPUTE_PGM_RSRC3_GFX90A:ACCUM_OFFSET: 1
; COMPUTE_PGM_RSRC3_GFX90A:TG_SPLIT: 0
	.section	.text._ZN7rocprim17ROCPRIM_400000_NS6detail17trampoline_kernelINS0_14default_configENS1_25transform_config_selectorIN3c107complexIfEELb1EEEZNS1_14transform_implILb1ES3_S8_PS7_SA_NS0_8identityIS7_EEEE10hipError_tT2_T3_mT4_P12ihipStream_tbEUlT_E_NS1_11comp_targetILNS1_3genE3ELNS1_11target_archE908ELNS1_3gpuE7ELNS1_3repE0EEENS1_30default_config_static_selectorELNS0_4arch9wavefront6targetE1EEEvT1_,"axG",@progbits,_ZN7rocprim17ROCPRIM_400000_NS6detail17trampoline_kernelINS0_14default_configENS1_25transform_config_selectorIN3c107complexIfEELb1EEEZNS1_14transform_implILb1ES3_S8_PS7_SA_NS0_8identityIS7_EEEE10hipError_tT2_T3_mT4_P12ihipStream_tbEUlT_E_NS1_11comp_targetILNS1_3genE3ELNS1_11target_archE908ELNS1_3gpuE7ELNS1_3repE0EEENS1_30default_config_static_selectorELNS0_4arch9wavefront6targetE1EEEvT1_,comdat
	.protected	_ZN7rocprim17ROCPRIM_400000_NS6detail17trampoline_kernelINS0_14default_configENS1_25transform_config_selectorIN3c107complexIfEELb1EEEZNS1_14transform_implILb1ES3_S8_PS7_SA_NS0_8identityIS7_EEEE10hipError_tT2_T3_mT4_P12ihipStream_tbEUlT_E_NS1_11comp_targetILNS1_3genE3ELNS1_11target_archE908ELNS1_3gpuE7ELNS1_3repE0EEENS1_30default_config_static_selectorELNS0_4arch9wavefront6targetE1EEEvT1_ ; -- Begin function _ZN7rocprim17ROCPRIM_400000_NS6detail17trampoline_kernelINS0_14default_configENS1_25transform_config_selectorIN3c107complexIfEELb1EEEZNS1_14transform_implILb1ES3_S8_PS7_SA_NS0_8identityIS7_EEEE10hipError_tT2_T3_mT4_P12ihipStream_tbEUlT_E_NS1_11comp_targetILNS1_3genE3ELNS1_11target_archE908ELNS1_3gpuE7ELNS1_3repE0EEENS1_30default_config_static_selectorELNS0_4arch9wavefront6targetE1EEEvT1_
	.globl	_ZN7rocprim17ROCPRIM_400000_NS6detail17trampoline_kernelINS0_14default_configENS1_25transform_config_selectorIN3c107complexIfEELb1EEEZNS1_14transform_implILb1ES3_S8_PS7_SA_NS0_8identityIS7_EEEE10hipError_tT2_T3_mT4_P12ihipStream_tbEUlT_E_NS1_11comp_targetILNS1_3genE3ELNS1_11target_archE908ELNS1_3gpuE7ELNS1_3repE0EEENS1_30default_config_static_selectorELNS0_4arch9wavefront6targetE1EEEvT1_
	.p2align	8
	.type	_ZN7rocprim17ROCPRIM_400000_NS6detail17trampoline_kernelINS0_14default_configENS1_25transform_config_selectorIN3c107complexIfEELb1EEEZNS1_14transform_implILb1ES3_S8_PS7_SA_NS0_8identityIS7_EEEE10hipError_tT2_T3_mT4_P12ihipStream_tbEUlT_E_NS1_11comp_targetILNS1_3genE3ELNS1_11target_archE908ELNS1_3gpuE7ELNS1_3repE0EEENS1_30default_config_static_selectorELNS0_4arch9wavefront6targetE1EEEvT1_,@function
_ZN7rocprim17ROCPRIM_400000_NS6detail17trampoline_kernelINS0_14default_configENS1_25transform_config_selectorIN3c107complexIfEELb1EEEZNS1_14transform_implILb1ES3_S8_PS7_SA_NS0_8identityIS7_EEEE10hipError_tT2_T3_mT4_P12ihipStream_tbEUlT_E_NS1_11comp_targetILNS1_3genE3ELNS1_11target_archE908ELNS1_3gpuE7ELNS1_3repE0EEENS1_30default_config_static_selectorELNS0_4arch9wavefront6targetE1EEEvT1_: ; @_ZN7rocprim17ROCPRIM_400000_NS6detail17trampoline_kernelINS0_14default_configENS1_25transform_config_selectorIN3c107complexIfEELb1EEEZNS1_14transform_implILb1ES3_S8_PS7_SA_NS0_8identityIS7_EEEE10hipError_tT2_T3_mT4_P12ihipStream_tbEUlT_E_NS1_11comp_targetILNS1_3genE3ELNS1_11target_archE908ELNS1_3gpuE7ELNS1_3repE0EEENS1_30default_config_static_selectorELNS0_4arch9wavefront6targetE1EEEvT1_
; %bb.0:
	.section	.rodata,"a",@progbits
	.p2align	6, 0x0
	.amdhsa_kernel _ZN7rocprim17ROCPRIM_400000_NS6detail17trampoline_kernelINS0_14default_configENS1_25transform_config_selectorIN3c107complexIfEELb1EEEZNS1_14transform_implILb1ES3_S8_PS7_SA_NS0_8identityIS7_EEEE10hipError_tT2_T3_mT4_P12ihipStream_tbEUlT_E_NS1_11comp_targetILNS1_3genE3ELNS1_11target_archE908ELNS1_3gpuE7ELNS1_3repE0EEENS1_30default_config_static_selectorELNS0_4arch9wavefront6targetE1EEEvT1_
		.amdhsa_group_segment_fixed_size 0
		.amdhsa_private_segment_fixed_size 0
		.amdhsa_kernarg_size 40
		.amdhsa_user_sgpr_count 6
		.amdhsa_user_sgpr_private_segment_buffer 1
		.amdhsa_user_sgpr_dispatch_ptr 0
		.amdhsa_user_sgpr_queue_ptr 0
		.amdhsa_user_sgpr_kernarg_segment_ptr 1
		.amdhsa_user_sgpr_dispatch_id 0
		.amdhsa_user_sgpr_flat_scratch_init 0
		.amdhsa_user_sgpr_kernarg_preload_length 0
		.amdhsa_user_sgpr_kernarg_preload_offset 0
		.amdhsa_user_sgpr_private_segment_size 0
		.amdhsa_uses_dynamic_stack 0
		.amdhsa_system_sgpr_private_segment_wavefront_offset 0
		.amdhsa_system_sgpr_workgroup_id_x 1
		.amdhsa_system_sgpr_workgroup_id_y 0
		.amdhsa_system_sgpr_workgroup_id_z 0
		.amdhsa_system_sgpr_workgroup_info 0
		.amdhsa_system_vgpr_workitem_id 0
		.amdhsa_next_free_vgpr 1
		.amdhsa_next_free_sgpr 0
		.amdhsa_accum_offset 4
		.amdhsa_reserve_vcc 0
		.amdhsa_reserve_flat_scratch 0
		.amdhsa_float_round_mode_32 0
		.amdhsa_float_round_mode_16_64 0
		.amdhsa_float_denorm_mode_32 3
		.amdhsa_float_denorm_mode_16_64 3
		.amdhsa_dx10_clamp 1
		.amdhsa_ieee_mode 1
		.amdhsa_fp16_overflow 0
		.amdhsa_tg_split 0
		.amdhsa_exception_fp_ieee_invalid_op 0
		.amdhsa_exception_fp_denorm_src 0
		.amdhsa_exception_fp_ieee_div_zero 0
		.amdhsa_exception_fp_ieee_overflow 0
		.amdhsa_exception_fp_ieee_underflow 0
		.amdhsa_exception_fp_ieee_inexact 0
		.amdhsa_exception_int_div_zero 0
	.end_amdhsa_kernel
	.section	.text._ZN7rocprim17ROCPRIM_400000_NS6detail17trampoline_kernelINS0_14default_configENS1_25transform_config_selectorIN3c107complexIfEELb1EEEZNS1_14transform_implILb1ES3_S8_PS7_SA_NS0_8identityIS7_EEEE10hipError_tT2_T3_mT4_P12ihipStream_tbEUlT_E_NS1_11comp_targetILNS1_3genE3ELNS1_11target_archE908ELNS1_3gpuE7ELNS1_3repE0EEENS1_30default_config_static_selectorELNS0_4arch9wavefront6targetE1EEEvT1_,"axG",@progbits,_ZN7rocprim17ROCPRIM_400000_NS6detail17trampoline_kernelINS0_14default_configENS1_25transform_config_selectorIN3c107complexIfEELb1EEEZNS1_14transform_implILb1ES3_S8_PS7_SA_NS0_8identityIS7_EEEE10hipError_tT2_T3_mT4_P12ihipStream_tbEUlT_E_NS1_11comp_targetILNS1_3genE3ELNS1_11target_archE908ELNS1_3gpuE7ELNS1_3repE0EEENS1_30default_config_static_selectorELNS0_4arch9wavefront6targetE1EEEvT1_,comdat
.Lfunc_end277:
	.size	_ZN7rocprim17ROCPRIM_400000_NS6detail17trampoline_kernelINS0_14default_configENS1_25transform_config_selectorIN3c107complexIfEELb1EEEZNS1_14transform_implILb1ES3_S8_PS7_SA_NS0_8identityIS7_EEEE10hipError_tT2_T3_mT4_P12ihipStream_tbEUlT_E_NS1_11comp_targetILNS1_3genE3ELNS1_11target_archE908ELNS1_3gpuE7ELNS1_3repE0EEENS1_30default_config_static_selectorELNS0_4arch9wavefront6targetE1EEEvT1_, .Lfunc_end277-_ZN7rocprim17ROCPRIM_400000_NS6detail17trampoline_kernelINS0_14default_configENS1_25transform_config_selectorIN3c107complexIfEELb1EEEZNS1_14transform_implILb1ES3_S8_PS7_SA_NS0_8identityIS7_EEEE10hipError_tT2_T3_mT4_P12ihipStream_tbEUlT_E_NS1_11comp_targetILNS1_3genE3ELNS1_11target_archE908ELNS1_3gpuE7ELNS1_3repE0EEENS1_30default_config_static_selectorELNS0_4arch9wavefront6targetE1EEEvT1_
                                        ; -- End function
	.section	.AMDGPU.csdata,"",@progbits
; Kernel info:
; codeLenInByte = 0
; NumSgprs: 4
; NumVgprs: 0
; NumAgprs: 0
; TotalNumVgprs: 0
; ScratchSize: 0
; MemoryBound: 0
; FloatMode: 240
; IeeeMode: 1
; LDSByteSize: 0 bytes/workgroup (compile time only)
; SGPRBlocks: 0
; VGPRBlocks: 0
; NumSGPRsForWavesPerEU: 4
; NumVGPRsForWavesPerEU: 1
; AccumOffset: 4
; Occupancy: 8
; WaveLimiterHint : 0
; COMPUTE_PGM_RSRC2:SCRATCH_EN: 0
; COMPUTE_PGM_RSRC2:USER_SGPR: 6
; COMPUTE_PGM_RSRC2:TRAP_HANDLER: 0
; COMPUTE_PGM_RSRC2:TGID_X_EN: 1
; COMPUTE_PGM_RSRC2:TGID_Y_EN: 0
; COMPUTE_PGM_RSRC2:TGID_Z_EN: 0
; COMPUTE_PGM_RSRC2:TIDIG_COMP_CNT: 0
; COMPUTE_PGM_RSRC3_GFX90A:ACCUM_OFFSET: 0
; COMPUTE_PGM_RSRC3_GFX90A:TG_SPLIT: 0
	.section	.text._ZN7rocprim17ROCPRIM_400000_NS6detail17trampoline_kernelINS0_14default_configENS1_25transform_config_selectorIN3c107complexIfEELb1EEEZNS1_14transform_implILb1ES3_S8_PS7_SA_NS0_8identityIS7_EEEE10hipError_tT2_T3_mT4_P12ihipStream_tbEUlT_E_NS1_11comp_targetILNS1_3genE2ELNS1_11target_archE906ELNS1_3gpuE6ELNS1_3repE0EEENS1_30default_config_static_selectorELNS0_4arch9wavefront6targetE1EEEvT1_,"axG",@progbits,_ZN7rocprim17ROCPRIM_400000_NS6detail17trampoline_kernelINS0_14default_configENS1_25transform_config_selectorIN3c107complexIfEELb1EEEZNS1_14transform_implILb1ES3_S8_PS7_SA_NS0_8identityIS7_EEEE10hipError_tT2_T3_mT4_P12ihipStream_tbEUlT_E_NS1_11comp_targetILNS1_3genE2ELNS1_11target_archE906ELNS1_3gpuE6ELNS1_3repE0EEENS1_30default_config_static_selectorELNS0_4arch9wavefront6targetE1EEEvT1_,comdat
	.protected	_ZN7rocprim17ROCPRIM_400000_NS6detail17trampoline_kernelINS0_14default_configENS1_25transform_config_selectorIN3c107complexIfEELb1EEEZNS1_14transform_implILb1ES3_S8_PS7_SA_NS0_8identityIS7_EEEE10hipError_tT2_T3_mT4_P12ihipStream_tbEUlT_E_NS1_11comp_targetILNS1_3genE2ELNS1_11target_archE906ELNS1_3gpuE6ELNS1_3repE0EEENS1_30default_config_static_selectorELNS0_4arch9wavefront6targetE1EEEvT1_ ; -- Begin function _ZN7rocprim17ROCPRIM_400000_NS6detail17trampoline_kernelINS0_14default_configENS1_25transform_config_selectorIN3c107complexIfEELb1EEEZNS1_14transform_implILb1ES3_S8_PS7_SA_NS0_8identityIS7_EEEE10hipError_tT2_T3_mT4_P12ihipStream_tbEUlT_E_NS1_11comp_targetILNS1_3genE2ELNS1_11target_archE906ELNS1_3gpuE6ELNS1_3repE0EEENS1_30default_config_static_selectorELNS0_4arch9wavefront6targetE1EEEvT1_
	.globl	_ZN7rocprim17ROCPRIM_400000_NS6detail17trampoline_kernelINS0_14default_configENS1_25transform_config_selectorIN3c107complexIfEELb1EEEZNS1_14transform_implILb1ES3_S8_PS7_SA_NS0_8identityIS7_EEEE10hipError_tT2_T3_mT4_P12ihipStream_tbEUlT_E_NS1_11comp_targetILNS1_3genE2ELNS1_11target_archE906ELNS1_3gpuE6ELNS1_3repE0EEENS1_30default_config_static_selectorELNS0_4arch9wavefront6targetE1EEEvT1_
	.p2align	8
	.type	_ZN7rocprim17ROCPRIM_400000_NS6detail17trampoline_kernelINS0_14default_configENS1_25transform_config_selectorIN3c107complexIfEELb1EEEZNS1_14transform_implILb1ES3_S8_PS7_SA_NS0_8identityIS7_EEEE10hipError_tT2_T3_mT4_P12ihipStream_tbEUlT_E_NS1_11comp_targetILNS1_3genE2ELNS1_11target_archE906ELNS1_3gpuE6ELNS1_3repE0EEENS1_30default_config_static_selectorELNS0_4arch9wavefront6targetE1EEEvT1_,@function
_ZN7rocprim17ROCPRIM_400000_NS6detail17trampoline_kernelINS0_14default_configENS1_25transform_config_selectorIN3c107complexIfEELb1EEEZNS1_14transform_implILb1ES3_S8_PS7_SA_NS0_8identityIS7_EEEE10hipError_tT2_T3_mT4_P12ihipStream_tbEUlT_E_NS1_11comp_targetILNS1_3genE2ELNS1_11target_archE906ELNS1_3gpuE6ELNS1_3repE0EEENS1_30default_config_static_selectorELNS0_4arch9wavefront6targetE1EEEvT1_: ; @_ZN7rocprim17ROCPRIM_400000_NS6detail17trampoline_kernelINS0_14default_configENS1_25transform_config_selectorIN3c107complexIfEELb1EEEZNS1_14transform_implILb1ES3_S8_PS7_SA_NS0_8identityIS7_EEEE10hipError_tT2_T3_mT4_P12ihipStream_tbEUlT_E_NS1_11comp_targetILNS1_3genE2ELNS1_11target_archE906ELNS1_3gpuE6ELNS1_3repE0EEENS1_30default_config_static_selectorELNS0_4arch9wavefront6targetE1EEEvT1_
; %bb.0:
	.section	.rodata,"a",@progbits
	.p2align	6, 0x0
	.amdhsa_kernel _ZN7rocprim17ROCPRIM_400000_NS6detail17trampoline_kernelINS0_14default_configENS1_25transform_config_selectorIN3c107complexIfEELb1EEEZNS1_14transform_implILb1ES3_S8_PS7_SA_NS0_8identityIS7_EEEE10hipError_tT2_T3_mT4_P12ihipStream_tbEUlT_E_NS1_11comp_targetILNS1_3genE2ELNS1_11target_archE906ELNS1_3gpuE6ELNS1_3repE0EEENS1_30default_config_static_selectorELNS0_4arch9wavefront6targetE1EEEvT1_
		.amdhsa_group_segment_fixed_size 0
		.amdhsa_private_segment_fixed_size 0
		.amdhsa_kernarg_size 40
		.amdhsa_user_sgpr_count 6
		.amdhsa_user_sgpr_private_segment_buffer 1
		.amdhsa_user_sgpr_dispatch_ptr 0
		.amdhsa_user_sgpr_queue_ptr 0
		.amdhsa_user_sgpr_kernarg_segment_ptr 1
		.amdhsa_user_sgpr_dispatch_id 0
		.amdhsa_user_sgpr_flat_scratch_init 0
		.amdhsa_user_sgpr_kernarg_preload_length 0
		.amdhsa_user_sgpr_kernarg_preload_offset 0
		.amdhsa_user_sgpr_private_segment_size 0
		.amdhsa_uses_dynamic_stack 0
		.amdhsa_system_sgpr_private_segment_wavefront_offset 0
		.amdhsa_system_sgpr_workgroup_id_x 1
		.amdhsa_system_sgpr_workgroup_id_y 0
		.amdhsa_system_sgpr_workgroup_id_z 0
		.amdhsa_system_sgpr_workgroup_info 0
		.amdhsa_system_vgpr_workitem_id 0
		.amdhsa_next_free_vgpr 1
		.amdhsa_next_free_sgpr 0
		.amdhsa_accum_offset 4
		.amdhsa_reserve_vcc 0
		.amdhsa_reserve_flat_scratch 0
		.amdhsa_float_round_mode_32 0
		.amdhsa_float_round_mode_16_64 0
		.amdhsa_float_denorm_mode_32 3
		.amdhsa_float_denorm_mode_16_64 3
		.amdhsa_dx10_clamp 1
		.amdhsa_ieee_mode 1
		.amdhsa_fp16_overflow 0
		.amdhsa_tg_split 0
		.amdhsa_exception_fp_ieee_invalid_op 0
		.amdhsa_exception_fp_denorm_src 0
		.amdhsa_exception_fp_ieee_div_zero 0
		.amdhsa_exception_fp_ieee_overflow 0
		.amdhsa_exception_fp_ieee_underflow 0
		.amdhsa_exception_fp_ieee_inexact 0
		.amdhsa_exception_int_div_zero 0
	.end_amdhsa_kernel
	.section	.text._ZN7rocprim17ROCPRIM_400000_NS6detail17trampoline_kernelINS0_14default_configENS1_25transform_config_selectorIN3c107complexIfEELb1EEEZNS1_14transform_implILb1ES3_S8_PS7_SA_NS0_8identityIS7_EEEE10hipError_tT2_T3_mT4_P12ihipStream_tbEUlT_E_NS1_11comp_targetILNS1_3genE2ELNS1_11target_archE906ELNS1_3gpuE6ELNS1_3repE0EEENS1_30default_config_static_selectorELNS0_4arch9wavefront6targetE1EEEvT1_,"axG",@progbits,_ZN7rocprim17ROCPRIM_400000_NS6detail17trampoline_kernelINS0_14default_configENS1_25transform_config_selectorIN3c107complexIfEELb1EEEZNS1_14transform_implILb1ES3_S8_PS7_SA_NS0_8identityIS7_EEEE10hipError_tT2_T3_mT4_P12ihipStream_tbEUlT_E_NS1_11comp_targetILNS1_3genE2ELNS1_11target_archE906ELNS1_3gpuE6ELNS1_3repE0EEENS1_30default_config_static_selectorELNS0_4arch9wavefront6targetE1EEEvT1_,comdat
.Lfunc_end278:
	.size	_ZN7rocprim17ROCPRIM_400000_NS6detail17trampoline_kernelINS0_14default_configENS1_25transform_config_selectorIN3c107complexIfEELb1EEEZNS1_14transform_implILb1ES3_S8_PS7_SA_NS0_8identityIS7_EEEE10hipError_tT2_T3_mT4_P12ihipStream_tbEUlT_E_NS1_11comp_targetILNS1_3genE2ELNS1_11target_archE906ELNS1_3gpuE6ELNS1_3repE0EEENS1_30default_config_static_selectorELNS0_4arch9wavefront6targetE1EEEvT1_, .Lfunc_end278-_ZN7rocprim17ROCPRIM_400000_NS6detail17trampoline_kernelINS0_14default_configENS1_25transform_config_selectorIN3c107complexIfEELb1EEEZNS1_14transform_implILb1ES3_S8_PS7_SA_NS0_8identityIS7_EEEE10hipError_tT2_T3_mT4_P12ihipStream_tbEUlT_E_NS1_11comp_targetILNS1_3genE2ELNS1_11target_archE906ELNS1_3gpuE6ELNS1_3repE0EEENS1_30default_config_static_selectorELNS0_4arch9wavefront6targetE1EEEvT1_
                                        ; -- End function
	.section	.AMDGPU.csdata,"",@progbits
; Kernel info:
; codeLenInByte = 0
; NumSgprs: 4
; NumVgprs: 0
; NumAgprs: 0
; TotalNumVgprs: 0
; ScratchSize: 0
; MemoryBound: 0
; FloatMode: 240
; IeeeMode: 1
; LDSByteSize: 0 bytes/workgroup (compile time only)
; SGPRBlocks: 0
; VGPRBlocks: 0
; NumSGPRsForWavesPerEU: 4
; NumVGPRsForWavesPerEU: 1
; AccumOffset: 4
; Occupancy: 8
; WaveLimiterHint : 0
; COMPUTE_PGM_RSRC2:SCRATCH_EN: 0
; COMPUTE_PGM_RSRC2:USER_SGPR: 6
; COMPUTE_PGM_RSRC2:TRAP_HANDLER: 0
; COMPUTE_PGM_RSRC2:TGID_X_EN: 1
; COMPUTE_PGM_RSRC2:TGID_Y_EN: 0
; COMPUTE_PGM_RSRC2:TGID_Z_EN: 0
; COMPUTE_PGM_RSRC2:TIDIG_COMP_CNT: 0
; COMPUTE_PGM_RSRC3_GFX90A:ACCUM_OFFSET: 0
; COMPUTE_PGM_RSRC3_GFX90A:TG_SPLIT: 0
	.section	.text._ZN7rocprim17ROCPRIM_400000_NS6detail17trampoline_kernelINS0_14default_configENS1_25transform_config_selectorIN3c107complexIfEELb1EEEZNS1_14transform_implILb1ES3_S8_PS7_SA_NS0_8identityIS7_EEEE10hipError_tT2_T3_mT4_P12ihipStream_tbEUlT_E_NS1_11comp_targetILNS1_3genE9ELNS1_11target_archE1100ELNS1_3gpuE3ELNS1_3repE0EEENS1_30default_config_static_selectorELNS0_4arch9wavefront6targetE1EEEvT1_,"axG",@progbits,_ZN7rocprim17ROCPRIM_400000_NS6detail17trampoline_kernelINS0_14default_configENS1_25transform_config_selectorIN3c107complexIfEELb1EEEZNS1_14transform_implILb1ES3_S8_PS7_SA_NS0_8identityIS7_EEEE10hipError_tT2_T3_mT4_P12ihipStream_tbEUlT_E_NS1_11comp_targetILNS1_3genE9ELNS1_11target_archE1100ELNS1_3gpuE3ELNS1_3repE0EEENS1_30default_config_static_selectorELNS0_4arch9wavefront6targetE1EEEvT1_,comdat
	.protected	_ZN7rocprim17ROCPRIM_400000_NS6detail17trampoline_kernelINS0_14default_configENS1_25transform_config_selectorIN3c107complexIfEELb1EEEZNS1_14transform_implILb1ES3_S8_PS7_SA_NS0_8identityIS7_EEEE10hipError_tT2_T3_mT4_P12ihipStream_tbEUlT_E_NS1_11comp_targetILNS1_3genE9ELNS1_11target_archE1100ELNS1_3gpuE3ELNS1_3repE0EEENS1_30default_config_static_selectorELNS0_4arch9wavefront6targetE1EEEvT1_ ; -- Begin function _ZN7rocprim17ROCPRIM_400000_NS6detail17trampoline_kernelINS0_14default_configENS1_25transform_config_selectorIN3c107complexIfEELb1EEEZNS1_14transform_implILb1ES3_S8_PS7_SA_NS0_8identityIS7_EEEE10hipError_tT2_T3_mT4_P12ihipStream_tbEUlT_E_NS1_11comp_targetILNS1_3genE9ELNS1_11target_archE1100ELNS1_3gpuE3ELNS1_3repE0EEENS1_30default_config_static_selectorELNS0_4arch9wavefront6targetE1EEEvT1_
	.globl	_ZN7rocprim17ROCPRIM_400000_NS6detail17trampoline_kernelINS0_14default_configENS1_25transform_config_selectorIN3c107complexIfEELb1EEEZNS1_14transform_implILb1ES3_S8_PS7_SA_NS0_8identityIS7_EEEE10hipError_tT2_T3_mT4_P12ihipStream_tbEUlT_E_NS1_11comp_targetILNS1_3genE9ELNS1_11target_archE1100ELNS1_3gpuE3ELNS1_3repE0EEENS1_30default_config_static_selectorELNS0_4arch9wavefront6targetE1EEEvT1_
	.p2align	8
	.type	_ZN7rocprim17ROCPRIM_400000_NS6detail17trampoline_kernelINS0_14default_configENS1_25transform_config_selectorIN3c107complexIfEELb1EEEZNS1_14transform_implILb1ES3_S8_PS7_SA_NS0_8identityIS7_EEEE10hipError_tT2_T3_mT4_P12ihipStream_tbEUlT_E_NS1_11comp_targetILNS1_3genE9ELNS1_11target_archE1100ELNS1_3gpuE3ELNS1_3repE0EEENS1_30default_config_static_selectorELNS0_4arch9wavefront6targetE1EEEvT1_,@function
_ZN7rocprim17ROCPRIM_400000_NS6detail17trampoline_kernelINS0_14default_configENS1_25transform_config_selectorIN3c107complexIfEELb1EEEZNS1_14transform_implILb1ES3_S8_PS7_SA_NS0_8identityIS7_EEEE10hipError_tT2_T3_mT4_P12ihipStream_tbEUlT_E_NS1_11comp_targetILNS1_3genE9ELNS1_11target_archE1100ELNS1_3gpuE3ELNS1_3repE0EEENS1_30default_config_static_selectorELNS0_4arch9wavefront6targetE1EEEvT1_: ; @_ZN7rocprim17ROCPRIM_400000_NS6detail17trampoline_kernelINS0_14default_configENS1_25transform_config_selectorIN3c107complexIfEELb1EEEZNS1_14transform_implILb1ES3_S8_PS7_SA_NS0_8identityIS7_EEEE10hipError_tT2_T3_mT4_P12ihipStream_tbEUlT_E_NS1_11comp_targetILNS1_3genE9ELNS1_11target_archE1100ELNS1_3gpuE3ELNS1_3repE0EEENS1_30default_config_static_selectorELNS0_4arch9wavefront6targetE1EEEvT1_
; %bb.0:
	.section	.rodata,"a",@progbits
	.p2align	6, 0x0
	.amdhsa_kernel _ZN7rocprim17ROCPRIM_400000_NS6detail17trampoline_kernelINS0_14default_configENS1_25transform_config_selectorIN3c107complexIfEELb1EEEZNS1_14transform_implILb1ES3_S8_PS7_SA_NS0_8identityIS7_EEEE10hipError_tT2_T3_mT4_P12ihipStream_tbEUlT_E_NS1_11comp_targetILNS1_3genE9ELNS1_11target_archE1100ELNS1_3gpuE3ELNS1_3repE0EEENS1_30default_config_static_selectorELNS0_4arch9wavefront6targetE1EEEvT1_
		.amdhsa_group_segment_fixed_size 0
		.amdhsa_private_segment_fixed_size 0
		.amdhsa_kernarg_size 40
		.amdhsa_user_sgpr_count 6
		.amdhsa_user_sgpr_private_segment_buffer 1
		.amdhsa_user_sgpr_dispatch_ptr 0
		.amdhsa_user_sgpr_queue_ptr 0
		.amdhsa_user_sgpr_kernarg_segment_ptr 1
		.amdhsa_user_sgpr_dispatch_id 0
		.amdhsa_user_sgpr_flat_scratch_init 0
		.amdhsa_user_sgpr_kernarg_preload_length 0
		.amdhsa_user_sgpr_kernarg_preload_offset 0
		.amdhsa_user_sgpr_private_segment_size 0
		.amdhsa_uses_dynamic_stack 0
		.amdhsa_system_sgpr_private_segment_wavefront_offset 0
		.amdhsa_system_sgpr_workgroup_id_x 1
		.amdhsa_system_sgpr_workgroup_id_y 0
		.amdhsa_system_sgpr_workgroup_id_z 0
		.amdhsa_system_sgpr_workgroup_info 0
		.amdhsa_system_vgpr_workitem_id 0
		.amdhsa_next_free_vgpr 1
		.amdhsa_next_free_sgpr 0
		.amdhsa_accum_offset 4
		.amdhsa_reserve_vcc 0
		.amdhsa_reserve_flat_scratch 0
		.amdhsa_float_round_mode_32 0
		.amdhsa_float_round_mode_16_64 0
		.amdhsa_float_denorm_mode_32 3
		.amdhsa_float_denorm_mode_16_64 3
		.amdhsa_dx10_clamp 1
		.amdhsa_ieee_mode 1
		.amdhsa_fp16_overflow 0
		.amdhsa_tg_split 0
		.amdhsa_exception_fp_ieee_invalid_op 0
		.amdhsa_exception_fp_denorm_src 0
		.amdhsa_exception_fp_ieee_div_zero 0
		.amdhsa_exception_fp_ieee_overflow 0
		.amdhsa_exception_fp_ieee_underflow 0
		.amdhsa_exception_fp_ieee_inexact 0
		.amdhsa_exception_int_div_zero 0
	.end_amdhsa_kernel
	.section	.text._ZN7rocprim17ROCPRIM_400000_NS6detail17trampoline_kernelINS0_14default_configENS1_25transform_config_selectorIN3c107complexIfEELb1EEEZNS1_14transform_implILb1ES3_S8_PS7_SA_NS0_8identityIS7_EEEE10hipError_tT2_T3_mT4_P12ihipStream_tbEUlT_E_NS1_11comp_targetILNS1_3genE9ELNS1_11target_archE1100ELNS1_3gpuE3ELNS1_3repE0EEENS1_30default_config_static_selectorELNS0_4arch9wavefront6targetE1EEEvT1_,"axG",@progbits,_ZN7rocprim17ROCPRIM_400000_NS6detail17trampoline_kernelINS0_14default_configENS1_25transform_config_selectorIN3c107complexIfEELb1EEEZNS1_14transform_implILb1ES3_S8_PS7_SA_NS0_8identityIS7_EEEE10hipError_tT2_T3_mT4_P12ihipStream_tbEUlT_E_NS1_11comp_targetILNS1_3genE9ELNS1_11target_archE1100ELNS1_3gpuE3ELNS1_3repE0EEENS1_30default_config_static_selectorELNS0_4arch9wavefront6targetE1EEEvT1_,comdat
.Lfunc_end279:
	.size	_ZN7rocprim17ROCPRIM_400000_NS6detail17trampoline_kernelINS0_14default_configENS1_25transform_config_selectorIN3c107complexIfEELb1EEEZNS1_14transform_implILb1ES3_S8_PS7_SA_NS0_8identityIS7_EEEE10hipError_tT2_T3_mT4_P12ihipStream_tbEUlT_E_NS1_11comp_targetILNS1_3genE9ELNS1_11target_archE1100ELNS1_3gpuE3ELNS1_3repE0EEENS1_30default_config_static_selectorELNS0_4arch9wavefront6targetE1EEEvT1_, .Lfunc_end279-_ZN7rocprim17ROCPRIM_400000_NS6detail17trampoline_kernelINS0_14default_configENS1_25transform_config_selectorIN3c107complexIfEELb1EEEZNS1_14transform_implILb1ES3_S8_PS7_SA_NS0_8identityIS7_EEEE10hipError_tT2_T3_mT4_P12ihipStream_tbEUlT_E_NS1_11comp_targetILNS1_3genE9ELNS1_11target_archE1100ELNS1_3gpuE3ELNS1_3repE0EEENS1_30default_config_static_selectorELNS0_4arch9wavefront6targetE1EEEvT1_
                                        ; -- End function
	.section	.AMDGPU.csdata,"",@progbits
; Kernel info:
; codeLenInByte = 0
; NumSgprs: 4
; NumVgprs: 0
; NumAgprs: 0
; TotalNumVgprs: 0
; ScratchSize: 0
; MemoryBound: 0
; FloatMode: 240
; IeeeMode: 1
; LDSByteSize: 0 bytes/workgroup (compile time only)
; SGPRBlocks: 0
; VGPRBlocks: 0
; NumSGPRsForWavesPerEU: 4
; NumVGPRsForWavesPerEU: 1
; AccumOffset: 4
; Occupancy: 8
; WaveLimiterHint : 0
; COMPUTE_PGM_RSRC2:SCRATCH_EN: 0
; COMPUTE_PGM_RSRC2:USER_SGPR: 6
; COMPUTE_PGM_RSRC2:TRAP_HANDLER: 0
; COMPUTE_PGM_RSRC2:TGID_X_EN: 1
; COMPUTE_PGM_RSRC2:TGID_Y_EN: 0
; COMPUTE_PGM_RSRC2:TGID_Z_EN: 0
; COMPUTE_PGM_RSRC2:TIDIG_COMP_CNT: 0
; COMPUTE_PGM_RSRC3_GFX90A:ACCUM_OFFSET: 0
; COMPUTE_PGM_RSRC3_GFX90A:TG_SPLIT: 0
	.section	.text._ZN7rocprim17ROCPRIM_400000_NS6detail17trampoline_kernelINS0_14default_configENS1_25transform_config_selectorIN3c107complexIfEELb1EEEZNS1_14transform_implILb1ES3_S8_PS7_SA_NS0_8identityIS7_EEEE10hipError_tT2_T3_mT4_P12ihipStream_tbEUlT_E_NS1_11comp_targetILNS1_3genE8ELNS1_11target_archE1030ELNS1_3gpuE2ELNS1_3repE0EEENS1_30default_config_static_selectorELNS0_4arch9wavefront6targetE1EEEvT1_,"axG",@progbits,_ZN7rocprim17ROCPRIM_400000_NS6detail17trampoline_kernelINS0_14default_configENS1_25transform_config_selectorIN3c107complexIfEELb1EEEZNS1_14transform_implILb1ES3_S8_PS7_SA_NS0_8identityIS7_EEEE10hipError_tT2_T3_mT4_P12ihipStream_tbEUlT_E_NS1_11comp_targetILNS1_3genE8ELNS1_11target_archE1030ELNS1_3gpuE2ELNS1_3repE0EEENS1_30default_config_static_selectorELNS0_4arch9wavefront6targetE1EEEvT1_,comdat
	.protected	_ZN7rocprim17ROCPRIM_400000_NS6detail17trampoline_kernelINS0_14default_configENS1_25transform_config_selectorIN3c107complexIfEELb1EEEZNS1_14transform_implILb1ES3_S8_PS7_SA_NS0_8identityIS7_EEEE10hipError_tT2_T3_mT4_P12ihipStream_tbEUlT_E_NS1_11comp_targetILNS1_3genE8ELNS1_11target_archE1030ELNS1_3gpuE2ELNS1_3repE0EEENS1_30default_config_static_selectorELNS0_4arch9wavefront6targetE1EEEvT1_ ; -- Begin function _ZN7rocprim17ROCPRIM_400000_NS6detail17trampoline_kernelINS0_14default_configENS1_25transform_config_selectorIN3c107complexIfEELb1EEEZNS1_14transform_implILb1ES3_S8_PS7_SA_NS0_8identityIS7_EEEE10hipError_tT2_T3_mT4_P12ihipStream_tbEUlT_E_NS1_11comp_targetILNS1_3genE8ELNS1_11target_archE1030ELNS1_3gpuE2ELNS1_3repE0EEENS1_30default_config_static_selectorELNS0_4arch9wavefront6targetE1EEEvT1_
	.globl	_ZN7rocprim17ROCPRIM_400000_NS6detail17trampoline_kernelINS0_14default_configENS1_25transform_config_selectorIN3c107complexIfEELb1EEEZNS1_14transform_implILb1ES3_S8_PS7_SA_NS0_8identityIS7_EEEE10hipError_tT2_T3_mT4_P12ihipStream_tbEUlT_E_NS1_11comp_targetILNS1_3genE8ELNS1_11target_archE1030ELNS1_3gpuE2ELNS1_3repE0EEENS1_30default_config_static_selectorELNS0_4arch9wavefront6targetE1EEEvT1_
	.p2align	8
	.type	_ZN7rocprim17ROCPRIM_400000_NS6detail17trampoline_kernelINS0_14default_configENS1_25transform_config_selectorIN3c107complexIfEELb1EEEZNS1_14transform_implILb1ES3_S8_PS7_SA_NS0_8identityIS7_EEEE10hipError_tT2_T3_mT4_P12ihipStream_tbEUlT_E_NS1_11comp_targetILNS1_3genE8ELNS1_11target_archE1030ELNS1_3gpuE2ELNS1_3repE0EEENS1_30default_config_static_selectorELNS0_4arch9wavefront6targetE1EEEvT1_,@function
_ZN7rocprim17ROCPRIM_400000_NS6detail17trampoline_kernelINS0_14default_configENS1_25transform_config_selectorIN3c107complexIfEELb1EEEZNS1_14transform_implILb1ES3_S8_PS7_SA_NS0_8identityIS7_EEEE10hipError_tT2_T3_mT4_P12ihipStream_tbEUlT_E_NS1_11comp_targetILNS1_3genE8ELNS1_11target_archE1030ELNS1_3gpuE2ELNS1_3repE0EEENS1_30default_config_static_selectorELNS0_4arch9wavefront6targetE1EEEvT1_: ; @_ZN7rocprim17ROCPRIM_400000_NS6detail17trampoline_kernelINS0_14default_configENS1_25transform_config_selectorIN3c107complexIfEELb1EEEZNS1_14transform_implILb1ES3_S8_PS7_SA_NS0_8identityIS7_EEEE10hipError_tT2_T3_mT4_P12ihipStream_tbEUlT_E_NS1_11comp_targetILNS1_3genE8ELNS1_11target_archE1030ELNS1_3gpuE2ELNS1_3repE0EEENS1_30default_config_static_selectorELNS0_4arch9wavefront6targetE1EEEvT1_
; %bb.0:
	.section	.rodata,"a",@progbits
	.p2align	6, 0x0
	.amdhsa_kernel _ZN7rocprim17ROCPRIM_400000_NS6detail17trampoline_kernelINS0_14default_configENS1_25transform_config_selectorIN3c107complexIfEELb1EEEZNS1_14transform_implILb1ES3_S8_PS7_SA_NS0_8identityIS7_EEEE10hipError_tT2_T3_mT4_P12ihipStream_tbEUlT_E_NS1_11comp_targetILNS1_3genE8ELNS1_11target_archE1030ELNS1_3gpuE2ELNS1_3repE0EEENS1_30default_config_static_selectorELNS0_4arch9wavefront6targetE1EEEvT1_
		.amdhsa_group_segment_fixed_size 0
		.amdhsa_private_segment_fixed_size 0
		.amdhsa_kernarg_size 40
		.amdhsa_user_sgpr_count 6
		.amdhsa_user_sgpr_private_segment_buffer 1
		.amdhsa_user_sgpr_dispatch_ptr 0
		.amdhsa_user_sgpr_queue_ptr 0
		.amdhsa_user_sgpr_kernarg_segment_ptr 1
		.amdhsa_user_sgpr_dispatch_id 0
		.amdhsa_user_sgpr_flat_scratch_init 0
		.amdhsa_user_sgpr_kernarg_preload_length 0
		.amdhsa_user_sgpr_kernarg_preload_offset 0
		.amdhsa_user_sgpr_private_segment_size 0
		.amdhsa_uses_dynamic_stack 0
		.amdhsa_system_sgpr_private_segment_wavefront_offset 0
		.amdhsa_system_sgpr_workgroup_id_x 1
		.amdhsa_system_sgpr_workgroup_id_y 0
		.amdhsa_system_sgpr_workgroup_id_z 0
		.amdhsa_system_sgpr_workgroup_info 0
		.amdhsa_system_vgpr_workitem_id 0
		.amdhsa_next_free_vgpr 1
		.amdhsa_next_free_sgpr 0
		.amdhsa_accum_offset 4
		.amdhsa_reserve_vcc 0
		.amdhsa_reserve_flat_scratch 0
		.amdhsa_float_round_mode_32 0
		.amdhsa_float_round_mode_16_64 0
		.amdhsa_float_denorm_mode_32 3
		.amdhsa_float_denorm_mode_16_64 3
		.amdhsa_dx10_clamp 1
		.amdhsa_ieee_mode 1
		.amdhsa_fp16_overflow 0
		.amdhsa_tg_split 0
		.amdhsa_exception_fp_ieee_invalid_op 0
		.amdhsa_exception_fp_denorm_src 0
		.amdhsa_exception_fp_ieee_div_zero 0
		.amdhsa_exception_fp_ieee_overflow 0
		.amdhsa_exception_fp_ieee_underflow 0
		.amdhsa_exception_fp_ieee_inexact 0
		.amdhsa_exception_int_div_zero 0
	.end_amdhsa_kernel
	.section	.text._ZN7rocprim17ROCPRIM_400000_NS6detail17trampoline_kernelINS0_14default_configENS1_25transform_config_selectorIN3c107complexIfEELb1EEEZNS1_14transform_implILb1ES3_S8_PS7_SA_NS0_8identityIS7_EEEE10hipError_tT2_T3_mT4_P12ihipStream_tbEUlT_E_NS1_11comp_targetILNS1_3genE8ELNS1_11target_archE1030ELNS1_3gpuE2ELNS1_3repE0EEENS1_30default_config_static_selectorELNS0_4arch9wavefront6targetE1EEEvT1_,"axG",@progbits,_ZN7rocprim17ROCPRIM_400000_NS6detail17trampoline_kernelINS0_14default_configENS1_25transform_config_selectorIN3c107complexIfEELb1EEEZNS1_14transform_implILb1ES3_S8_PS7_SA_NS0_8identityIS7_EEEE10hipError_tT2_T3_mT4_P12ihipStream_tbEUlT_E_NS1_11comp_targetILNS1_3genE8ELNS1_11target_archE1030ELNS1_3gpuE2ELNS1_3repE0EEENS1_30default_config_static_selectorELNS0_4arch9wavefront6targetE1EEEvT1_,comdat
.Lfunc_end280:
	.size	_ZN7rocprim17ROCPRIM_400000_NS6detail17trampoline_kernelINS0_14default_configENS1_25transform_config_selectorIN3c107complexIfEELb1EEEZNS1_14transform_implILb1ES3_S8_PS7_SA_NS0_8identityIS7_EEEE10hipError_tT2_T3_mT4_P12ihipStream_tbEUlT_E_NS1_11comp_targetILNS1_3genE8ELNS1_11target_archE1030ELNS1_3gpuE2ELNS1_3repE0EEENS1_30default_config_static_selectorELNS0_4arch9wavefront6targetE1EEEvT1_, .Lfunc_end280-_ZN7rocprim17ROCPRIM_400000_NS6detail17trampoline_kernelINS0_14default_configENS1_25transform_config_selectorIN3c107complexIfEELb1EEEZNS1_14transform_implILb1ES3_S8_PS7_SA_NS0_8identityIS7_EEEE10hipError_tT2_T3_mT4_P12ihipStream_tbEUlT_E_NS1_11comp_targetILNS1_3genE8ELNS1_11target_archE1030ELNS1_3gpuE2ELNS1_3repE0EEENS1_30default_config_static_selectorELNS0_4arch9wavefront6targetE1EEEvT1_
                                        ; -- End function
	.section	.AMDGPU.csdata,"",@progbits
; Kernel info:
; codeLenInByte = 0
; NumSgprs: 4
; NumVgprs: 0
; NumAgprs: 0
; TotalNumVgprs: 0
; ScratchSize: 0
; MemoryBound: 0
; FloatMode: 240
; IeeeMode: 1
; LDSByteSize: 0 bytes/workgroup (compile time only)
; SGPRBlocks: 0
; VGPRBlocks: 0
; NumSGPRsForWavesPerEU: 4
; NumVGPRsForWavesPerEU: 1
; AccumOffset: 4
; Occupancy: 8
; WaveLimiterHint : 0
; COMPUTE_PGM_RSRC2:SCRATCH_EN: 0
; COMPUTE_PGM_RSRC2:USER_SGPR: 6
; COMPUTE_PGM_RSRC2:TRAP_HANDLER: 0
; COMPUTE_PGM_RSRC2:TGID_X_EN: 1
; COMPUTE_PGM_RSRC2:TGID_Y_EN: 0
; COMPUTE_PGM_RSRC2:TGID_Z_EN: 0
; COMPUTE_PGM_RSRC2:TIDIG_COMP_CNT: 0
; COMPUTE_PGM_RSRC3_GFX90A:ACCUM_OFFSET: 0
; COMPUTE_PGM_RSRC3_GFX90A:TG_SPLIT: 0
	.section	.text._ZN7rocprim17ROCPRIM_400000_NS6detail17trampoline_kernelINS0_14default_configENS1_20scan_config_selectorIN3c107complexIfEEEEZZNS1_9scan_implILNS1_25lookback_scan_determinismE0ELb0ELb0ES3_PKS7_PS7_S7_ZZZN2at6native31launch_logcumsumexp_cuda_kernelERKNSE_10TensorBaseESI_lENKUlvE_clEvENKUlvE2_clEvEUlS7_S7_E_S7_EEDaPvRmT3_T4_T5_mT6_P12ihipStream_tbENKUlT_T0_E_clISt17integral_constantIbLb0EESZ_EEDaSU_SV_EUlSU_E0_NS1_11comp_targetILNS1_3genE0ELNS1_11target_archE4294967295ELNS1_3gpuE0ELNS1_3repE0EEENS1_30default_config_static_selectorELNS0_4arch9wavefront6targetE1EEEvT1_,"axG",@progbits,_ZN7rocprim17ROCPRIM_400000_NS6detail17trampoline_kernelINS0_14default_configENS1_20scan_config_selectorIN3c107complexIfEEEEZZNS1_9scan_implILNS1_25lookback_scan_determinismE0ELb0ELb0ES3_PKS7_PS7_S7_ZZZN2at6native31launch_logcumsumexp_cuda_kernelERKNSE_10TensorBaseESI_lENKUlvE_clEvENKUlvE2_clEvEUlS7_S7_E_S7_EEDaPvRmT3_T4_T5_mT6_P12ihipStream_tbENKUlT_T0_E_clISt17integral_constantIbLb0EESZ_EEDaSU_SV_EUlSU_E0_NS1_11comp_targetILNS1_3genE0ELNS1_11target_archE4294967295ELNS1_3gpuE0ELNS1_3repE0EEENS1_30default_config_static_selectorELNS0_4arch9wavefront6targetE1EEEvT1_,comdat
	.globl	_ZN7rocprim17ROCPRIM_400000_NS6detail17trampoline_kernelINS0_14default_configENS1_20scan_config_selectorIN3c107complexIfEEEEZZNS1_9scan_implILNS1_25lookback_scan_determinismE0ELb0ELb0ES3_PKS7_PS7_S7_ZZZN2at6native31launch_logcumsumexp_cuda_kernelERKNSE_10TensorBaseESI_lENKUlvE_clEvENKUlvE2_clEvEUlS7_S7_E_S7_EEDaPvRmT3_T4_T5_mT6_P12ihipStream_tbENKUlT_T0_E_clISt17integral_constantIbLb0EESZ_EEDaSU_SV_EUlSU_E0_NS1_11comp_targetILNS1_3genE0ELNS1_11target_archE4294967295ELNS1_3gpuE0ELNS1_3repE0EEENS1_30default_config_static_selectorELNS0_4arch9wavefront6targetE1EEEvT1_ ; -- Begin function _ZN7rocprim17ROCPRIM_400000_NS6detail17trampoline_kernelINS0_14default_configENS1_20scan_config_selectorIN3c107complexIfEEEEZZNS1_9scan_implILNS1_25lookback_scan_determinismE0ELb0ELb0ES3_PKS7_PS7_S7_ZZZN2at6native31launch_logcumsumexp_cuda_kernelERKNSE_10TensorBaseESI_lENKUlvE_clEvENKUlvE2_clEvEUlS7_S7_E_S7_EEDaPvRmT3_T4_T5_mT6_P12ihipStream_tbENKUlT_T0_E_clISt17integral_constantIbLb0EESZ_EEDaSU_SV_EUlSU_E0_NS1_11comp_targetILNS1_3genE0ELNS1_11target_archE4294967295ELNS1_3gpuE0ELNS1_3repE0EEENS1_30default_config_static_selectorELNS0_4arch9wavefront6targetE1EEEvT1_
	.p2align	8
	.type	_ZN7rocprim17ROCPRIM_400000_NS6detail17trampoline_kernelINS0_14default_configENS1_20scan_config_selectorIN3c107complexIfEEEEZZNS1_9scan_implILNS1_25lookback_scan_determinismE0ELb0ELb0ES3_PKS7_PS7_S7_ZZZN2at6native31launch_logcumsumexp_cuda_kernelERKNSE_10TensorBaseESI_lENKUlvE_clEvENKUlvE2_clEvEUlS7_S7_E_S7_EEDaPvRmT3_T4_T5_mT6_P12ihipStream_tbENKUlT_T0_E_clISt17integral_constantIbLb0EESZ_EEDaSU_SV_EUlSU_E0_NS1_11comp_targetILNS1_3genE0ELNS1_11target_archE4294967295ELNS1_3gpuE0ELNS1_3repE0EEENS1_30default_config_static_selectorELNS0_4arch9wavefront6targetE1EEEvT1_,@function
_ZN7rocprim17ROCPRIM_400000_NS6detail17trampoline_kernelINS0_14default_configENS1_20scan_config_selectorIN3c107complexIfEEEEZZNS1_9scan_implILNS1_25lookback_scan_determinismE0ELb0ELb0ES3_PKS7_PS7_S7_ZZZN2at6native31launch_logcumsumexp_cuda_kernelERKNSE_10TensorBaseESI_lENKUlvE_clEvENKUlvE2_clEvEUlS7_S7_E_S7_EEDaPvRmT3_T4_T5_mT6_P12ihipStream_tbENKUlT_T0_E_clISt17integral_constantIbLb0EESZ_EEDaSU_SV_EUlSU_E0_NS1_11comp_targetILNS1_3genE0ELNS1_11target_archE4294967295ELNS1_3gpuE0ELNS1_3repE0EEENS1_30default_config_static_selectorELNS0_4arch9wavefront6targetE1EEEvT1_: ; @_ZN7rocprim17ROCPRIM_400000_NS6detail17trampoline_kernelINS0_14default_configENS1_20scan_config_selectorIN3c107complexIfEEEEZZNS1_9scan_implILNS1_25lookback_scan_determinismE0ELb0ELb0ES3_PKS7_PS7_S7_ZZZN2at6native31launch_logcumsumexp_cuda_kernelERKNSE_10TensorBaseESI_lENKUlvE_clEvENKUlvE2_clEvEUlS7_S7_E_S7_EEDaPvRmT3_T4_T5_mT6_P12ihipStream_tbENKUlT_T0_E_clISt17integral_constantIbLb0EESZ_EEDaSU_SV_EUlSU_E0_NS1_11comp_targetILNS1_3genE0ELNS1_11target_archE4294967295ELNS1_3gpuE0ELNS1_3repE0EEENS1_30default_config_static_selectorELNS0_4arch9wavefront6targetE1EEEvT1_
; %bb.0:
	.section	.rodata,"a",@progbits
	.p2align	6, 0x0
	.amdhsa_kernel _ZN7rocprim17ROCPRIM_400000_NS6detail17trampoline_kernelINS0_14default_configENS1_20scan_config_selectorIN3c107complexIfEEEEZZNS1_9scan_implILNS1_25lookback_scan_determinismE0ELb0ELb0ES3_PKS7_PS7_S7_ZZZN2at6native31launch_logcumsumexp_cuda_kernelERKNSE_10TensorBaseESI_lENKUlvE_clEvENKUlvE2_clEvEUlS7_S7_E_S7_EEDaPvRmT3_T4_T5_mT6_P12ihipStream_tbENKUlT_T0_E_clISt17integral_constantIbLb0EESZ_EEDaSU_SV_EUlSU_E0_NS1_11comp_targetILNS1_3genE0ELNS1_11target_archE4294967295ELNS1_3gpuE0ELNS1_3repE0EEENS1_30default_config_static_selectorELNS0_4arch9wavefront6targetE1EEEvT1_
		.amdhsa_group_segment_fixed_size 0
		.amdhsa_private_segment_fixed_size 0
		.amdhsa_kernarg_size 40
		.amdhsa_user_sgpr_count 6
		.amdhsa_user_sgpr_private_segment_buffer 1
		.amdhsa_user_sgpr_dispatch_ptr 0
		.amdhsa_user_sgpr_queue_ptr 0
		.amdhsa_user_sgpr_kernarg_segment_ptr 1
		.amdhsa_user_sgpr_dispatch_id 0
		.amdhsa_user_sgpr_flat_scratch_init 0
		.amdhsa_user_sgpr_kernarg_preload_length 0
		.amdhsa_user_sgpr_kernarg_preload_offset 0
		.amdhsa_user_sgpr_private_segment_size 0
		.amdhsa_uses_dynamic_stack 0
		.amdhsa_system_sgpr_private_segment_wavefront_offset 0
		.amdhsa_system_sgpr_workgroup_id_x 1
		.amdhsa_system_sgpr_workgroup_id_y 0
		.amdhsa_system_sgpr_workgroup_id_z 0
		.amdhsa_system_sgpr_workgroup_info 0
		.amdhsa_system_vgpr_workitem_id 0
		.amdhsa_next_free_vgpr 1
		.amdhsa_next_free_sgpr 0
		.amdhsa_accum_offset 4
		.amdhsa_reserve_vcc 0
		.amdhsa_reserve_flat_scratch 0
		.amdhsa_float_round_mode_32 0
		.amdhsa_float_round_mode_16_64 0
		.amdhsa_float_denorm_mode_32 3
		.amdhsa_float_denorm_mode_16_64 3
		.amdhsa_dx10_clamp 1
		.amdhsa_ieee_mode 1
		.amdhsa_fp16_overflow 0
		.amdhsa_tg_split 0
		.amdhsa_exception_fp_ieee_invalid_op 0
		.amdhsa_exception_fp_denorm_src 0
		.amdhsa_exception_fp_ieee_div_zero 0
		.amdhsa_exception_fp_ieee_overflow 0
		.amdhsa_exception_fp_ieee_underflow 0
		.amdhsa_exception_fp_ieee_inexact 0
		.amdhsa_exception_int_div_zero 0
	.end_amdhsa_kernel
	.section	.text._ZN7rocprim17ROCPRIM_400000_NS6detail17trampoline_kernelINS0_14default_configENS1_20scan_config_selectorIN3c107complexIfEEEEZZNS1_9scan_implILNS1_25lookback_scan_determinismE0ELb0ELb0ES3_PKS7_PS7_S7_ZZZN2at6native31launch_logcumsumexp_cuda_kernelERKNSE_10TensorBaseESI_lENKUlvE_clEvENKUlvE2_clEvEUlS7_S7_E_S7_EEDaPvRmT3_T4_T5_mT6_P12ihipStream_tbENKUlT_T0_E_clISt17integral_constantIbLb0EESZ_EEDaSU_SV_EUlSU_E0_NS1_11comp_targetILNS1_3genE0ELNS1_11target_archE4294967295ELNS1_3gpuE0ELNS1_3repE0EEENS1_30default_config_static_selectorELNS0_4arch9wavefront6targetE1EEEvT1_,"axG",@progbits,_ZN7rocprim17ROCPRIM_400000_NS6detail17trampoline_kernelINS0_14default_configENS1_20scan_config_selectorIN3c107complexIfEEEEZZNS1_9scan_implILNS1_25lookback_scan_determinismE0ELb0ELb0ES3_PKS7_PS7_S7_ZZZN2at6native31launch_logcumsumexp_cuda_kernelERKNSE_10TensorBaseESI_lENKUlvE_clEvENKUlvE2_clEvEUlS7_S7_E_S7_EEDaPvRmT3_T4_T5_mT6_P12ihipStream_tbENKUlT_T0_E_clISt17integral_constantIbLb0EESZ_EEDaSU_SV_EUlSU_E0_NS1_11comp_targetILNS1_3genE0ELNS1_11target_archE4294967295ELNS1_3gpuE0ELNS1_3repE0EEENS1_30default_config_static_selectorELNS0_4arch9wavefront6targetE1EEEvT1_,comdat
.Lfunc_end281:
	.size	_ZN7rocprim17ROCPRIM_400000_NS6detail17trampoline_kernelINS0_14default_configENS1_20scan_config_selectorIN3c107complexIfEEEEZZNS1_9scan_implILNS1_25lookback_scan_determinismE0ELb0ELb0ES3_PKS7_PS7_S7_ZZZN2at6native31launch_logcumsumexp_cuda_kernelERKNSE_10TensorBaseESI_lENKUlvE_clEvENKUlvE2_clEvEUlS7_S7_E_S7_EEDaPvRmT3_T4_T5_mT6_P12ihipStream_tbENKUlT_T0_E_clISt17integral_constantIbLb0EESZ_EEDaSU_SV_EUlSU_E0_NS1_11comp_targetILNS1_3genE0ELNS1_11target_archE4294967295ELNS1_3gpuE0ELNS1_3repE0EEENS1_30default_config_static_selectorELNS0_4arch9wavefront6targetE1EEEvT1_, .Lfunc_end281-_ZN7rocprim17ROCPRIM_400000_NS6detail17trampoline_kernelINS0_14default_configENS1_20scan_config_selectorIN3c107complexIfEEEEZZNS1_9scan_implILNS1_25lookback_scan_determinismE0ELb0ELb0ES3_PKS7_PS7_S7_ZZZN2at6native31launch_logcumsumexp_cuda_kernelERKNSE_10TensorBaseESI_lENKUlvE_clEvENKUlvE2_clEvEUlS7_S7_E_S7_EEDaPvRmT3_T4_T5_mT6_P12ihipStream_tbENKUlT_T0_E_clISt17integral_constantIbLb0EESZ_EEDaSU_SV_EUlSU_E0_NS1_11comp_targetILNS1_3genE0ELNS1_11target_archE4294967295ELNS1_3gpuE0ELNS1_3repE0EEENS1_30default_config_static_selectorELNS0_4arch9wavefront6targetE1EEEvT1_
                                        ; -- End function
	.section	.AMDGPU.csdata,"",@progbits
; Kernel info:
; codeLenInByte = 0
; NumSgprs: 4
; NumVgprs: 0
; NumAgprs: 0
; TotalNumVgprs: 0
; ScratchSize: 0
; MemoryBound: 0
; FloatMode: 240
; IeeeMode: 1
; LDSByteSize: 0 bytes/workgroup (compile time only)
; SGPRBlocks: 0
; VGPRBlocks: 0
; NumSGPRsForWavesPerEU: 4
; NumVGPRsForWavesPerEU: 1
; AccumOffset: 4
; Occupancy: 8
; WaveLimiterHint : 0
; COMPUTE_PGM_RSRC2:SCRATCH_EN: 0
; COMPUTE_PGM_RSRC2:USER_SGPR: 6
; COMPUTE_PGM_RSRC2:TRAP_HANDLER: 0
; COMPUTE_PGM_RSRC2:TGID_X_EN: 1
; COMPUTE_PGM_RSRC2:TGID_Y_EN: 0
; COMPUTE_PGM_RSRC2:TGID_Z_EN: 0
; COMPUTE_PGM_RSRC2:TIDIG_COMP_CNT: 0
; COMPUTE_PGM_RSRC3_GFX90A:ACCUM_OFFSET: 0
; COMPUTE_PGM_RSRC3_GFX90A:TG_SPLIT: 0
	.section	.text._ZN7rocprim17ROCPRIM_400000_NS6detail17trampoline_kernelINS0_14default_configENS1_20scan_config_selectorIN3c107complexIfEEEEZZNS1_9scan_implILNS1_25lookback_scan_determinismE0ELb0ELb0ES3_PKS7_PS7_S7_ZZZN2at6native31launch_logcumsumexp_cuda_kernelERKNSE_10TensorBaseESI_lENKUlvE_clEvENKUlvE2_clEvEUlS7_S7_E_S7_EEDaPvRmT3_T4_T5_mT6_P12ihipStream_tbENKUlT_T0_E_clISt17integral_constantIbLb0EESZ_EEDaSU_SV_EUlSU_E0_NS1_11comp_targetILNS1_3genE5ELNS1_11target_archE942ELNS1_3gpuE9ELNS1_3repE0EEENS1_30default_config_static_selectorELNS0_4arch9wavefront6targetE1EEEvT1_,"axG",@progbits,_ZN7rocprim17ROCPRIM_400000_NS6detail17trampoline_kernelINS0_14default_configENS1_20scan_config_selectorIN3c107complexIfEEEEZZNS1_9scan_implILNS1_25lookback_scan_determinismE0ELb0ELb0ES3_PKS7_PS7_S7_ZZZN2at6native31launch_logcumsumexp_cuda_kernelERKNSE_10TensorBaseESI_lENKUlvE_clEvENKUlvE2_clEvEUlS7_S7_E_S7_EEDaPvRmT3_T4_T5_mT6_P12ihipStream_tbENKUlT_T0_E_clISt17integral_constantIbLb0EESZ_EEDaSU_SV_EUlSU_E0_NS1_11comp_targetILNS1_3genE5ELNS1_11target_archE942ELNS1_3gpuE9ELNS1_3repE0EEENS1_30default_config_static_selectorELNS0_4arch9wavefront6targetE1EEEvT1_,comdat
	.globl	_ZN7rocprim17ROCPRIM_400000_NS6detail17trampoline_kernelINS0_14default_configENS1_20scan_config_selectorIN3c107complexIfEEEEZZNS1_9scan_implILNS1_25lookback_scan_determinismE0ELb0ELb0ES3_PKS7_PS7_S7_ZZZN2at6native31launch_logcumsumexp_cuda_kernelERKNSE_10TensorBaseESI_lENKUlvE_clEvENKUlvE2_clEvEUlS7_S7_E_S7_EEDaPvRmT3_T4_T5_mT6_P12ihipStream_tbENKUlT_T0_E_clISt17integral_constantIbLb0EESZ_EEDaSU_SV_EUlSU_E0_NS1_11comp_targetILNS1_3genE5ELNS1_11target_archE942ELNS1_3gpuE9ELNS1_3repE0EEENS1_30default_config_static_selectorELNS0_4arch9wavefront6targetE1EEEvT1_ ; -- Begin function _ZN7rocprim17ROCPRIM_400000_NS6detail17trampoline_kernelINS0_14default_configENS1_20scan_config_selectorIN3c107complexIfEEEEZZNS1_9scan_implILNS1_25lookback_scan_determinismE0ELb0ELb0ES3_PKS7_PS7_S7_ZZZN2at6native31launch_logcumsumexp_cuda_kernelERKNSE_10TensorBaseESI_lENKUlvE_clEvENKUlvE2_clEvEUlS7_S7_E_S7_EEDaPvRmT3_T4_T5_mT6_P12ihipStream_tbENKUlT_T0_E_clISt17integral_constantIbLb0EESZ_EEDaSU_SV_EUlSU_E0_NS1_11comp_targetILNS1_3genE5ELNS1_11target_archE942ELNS1_3gpuE9ELNS1_3repE0EEENS1_30default_config_static_selectorELNS0_4arch9wavefront6targetE1EEEvT1_
	.p2align	8
	.type	_ZN7rocprim17ROCPRIM_400000_NS6detail17trampoline_kernelINS0_14default_configENS1_20scan_config_selectorIN3c107complexIfEEEEZZNS1_9scan_implILNS1_25lookback_scan_determinismE0ELb0ELb0ES3_PKS7_PS7_S7_ZZZN2at6native31launch_logcumsumexp_cuda_kernelERKNSE_10TensorBaseESI_lENKUlvE_clEvENKUlvE2_clEvEUlS7_S7_E_S7_EEDaPvRmT3_T4_T5_mT6_P12ihipStream_tbENKUlT_T0_E_clISt17integral_constantIbLb0EESZ_EEDaSU_SV_EUlSU_E0_NS1_11comp_targetILNS1_3genE5ELNS1_11target_archE942ELNS1_3gpuE9ELNS1_3repE0EEENS1_30default_config_static_selectorELNS0_4arch9wavefront6targetE1EEEvT1_,@function
_ZN7rocprim17ROCPRIM_400000_NS6detail17trampoline_kernelINS0_14default_configENS1_20scan_config_selectorIN3c107complexIfEEEEZZNS1_9scan_implILNS1_25lookback_scan_determinismE0ELb0ELb0ES3_PKS7_PS7_S7_ZZZN2at6native31launch_logcumsumexp_cuda_kernelERKNSE_10TensorBaseESI_lENKUlvE_clEvENKUlvE2_clEvEUlS7_S7_E_S7_EEDaPvRmT3_T4_T5_mT6_P12ihipStream_tbENKUlT_T0_E_clISt17integral_constantIbLb0EESZ_EEDaSU_SV_EUlSU_E0_NS1_11comp_targetILNS1_3genE5ELNS1_11target_archE942ELNS1_3gpuE9ELNS1_3repE0EEENS1_30default_config_static_selectorELNS0_4arch9wavefront6targetE1EEEvT1_: ; @_ZN7rocprim17ROCPRIM_400000_NS6detail17trampoline_kernelINS0_14default_configENS1_20scan_config_selectorIN3c107complexIfEEEEZZNS1_9scan_implILNS1_25lookback_scan_determinismE0ELb0ELb0ES3_PKS7_PS7_S7_ZZZN2at6native31launch_logcumsumexp_cuda_kernelERKNSE_10TensorBaseESI_lENKUlvE_clEvENKUlvE2_clEvEUlS7_S7_E_S7_EEDaPvRmT3_T4_T5_mT6_P12ihipStream_tbENKUlT_T0_E_clISt17integral_constantIbLb0EESZ_EEDaSU_SV_EUlSU_E0_NS1_11comp_targetILNS1_3genE5ELNS1_11target_archE942ELNS1_3gpuE9ELNS1_3repE0EEENS1_30default_config_static_selectorELNS0_4arch9wavefront6targetE1EEEvT1_
; %bb.0:
	.section	.rodata,"a",@progbits
	.p2align	6, 0x0
	.amdhsa_kernel _ZN7rocprim17ROCPRIM_400000_NS6detail17trampoline_kernelINS0_14default_configENS1_20scan_config_selectorIN3c107complexIfEEEEZZNS1_9scan_implILNS1_25lookback_scan_determinismE0ELb0ELb0ES3_PKS7_PS7_S7_ZZZN2at6native31launch_logcumsumexp_cuda_kernelERKNSE_10TensorBaseESI_lENKUlvE_clEvENKUlvE2_clEvEUlS7_S7_E_S7_EEDaPvRmT3_T4_T5_mT6_P12ihipStream_tbENKUlT_T0_E_clISt17integral_constantIbLb0EESZ_EEDaSU_SV_EUlSU_E0_NS1_11comp_targetILNS1_3genE5ELNS1_11target_archE942ELNS1_3gpuE9ELNS1_3repE0EEENS1_30default_config_static_selectorELNS0_4arch9wavefront6targetE1EEEvT1_
		.amdhsa_group_segment_fixed_size 0
		.amdhsa_private_segment_fixed_size 0
		.amdhsa_kernarg_size 40
		.amdhsa_user_sgpr_count 6
		.amdhsa_user_sgpr_private_segment_buffer 1
		.amdhsa_user_sgpr_dispatch_ptr 0
		.amdhsa_user_sgpr_queue_ptr 0
		.amdhsa_user_sgpr_kernarg_segment_ptr 1
		.amdhsa_user_sgpr_dispatch_id 0
		.amdhsa_user_sgpr_flat_scratch_init 0
		.amdhsa_user_sgpr_kernarg_preload_length 0
		.amdhsa_user_sgpr_kernarg_preload_offset 0
		.amdhsa_user_sgpr_private_segment_size 0
		.amdhsa_uses_dynamic_stack 0
		.amdhsa_system_sgpr_private_segment_wavefront_offset 0
		.amdhsa_system_sgpr_workgroup_id_x 1
		.amdhsa_system_sgpr_workgroup_id_y 0
		.amdhsa_system_sgpr_workgroup_id_z 0
		.amdhsa_system_sgpr_workgroup_info 0
		.amdhsa_system_vgpr_workitem_id 0
		.amdhsa_next_free_vgpr 1
		.amdhsa_next_free_sgpr 0
		.amdhsa_accum_offset 4
		.amdhsa_reserve_vcc 0
		.amdhsa_reserve_flat_scratch 0
		.amdhsa_float_round_mode_32 0
		.amdhsa_float_round_mode_16_64 0
		.amdhsa_float_denorm_mode_32 3
		.amdhsa_float_denorm_mode_16_64 3
		.amdhsa_dx10_clamp 1
		.amdhsa_ieee_mode 1
		.amdhsa_fp16_overflow 0
		.amdhsa_tg_split 0
		.amdhsa_exception_fp_ieee_invalid_op 0
		.amdhsa_exception_fp_denorm_src 0
		.amdhsa_exception_fp_ieee_div_zero 0
		.amdhsa_exception_fp_ieee_overflow 0
		.amdhsa_exception_fp_ieee_underflow 0
		.amdhsa_exception_fp_ieee_inexact 0
		.amdhsa_exception_int_div_zero 0
	.end_amdhsa_kernel
	.section	.text._ZN7rocprim17ROCPRIM_400000_NS6detail17trampoline_kernelINS0_14default_configENS1_20scan_config_selectorIN3c107complexIfEEEEZZNS1_9scan_implILNS1_25lookback_scan_determinismE0ELb0ELb0ES3_PKS7_PS7_S7_ZZZN2at6native31launch_logcumsumexp_cuda_kernelERKNSE_10TensorBaseESI_lENKUlvE_clEvENKUlvE2_clEvEUlS7_S7_E_S7_EEDaPvRmT3_T4_T5_mT6_P12ihipStream_tbENKUlT_T0_E_clISt17integral_constantIbLb0EESZ_EEDaSU_SV_EUlSU_E0_NS1_11comp_targetILNS1_3genE5ELNS1_11target_archE942ELNS1_3gpuE9ELNS1_3repE0EEENS1_30default_config_static_selectorELNS0_4arch9wavefront6targetE1EEEvT1_,"axG",@progbits,_ZN7rocprim17ROCPRIM_400000_NS6detail17trampoline_kernelINS0_14default_configENS1_20scan_config_selectorIN3c107complexIfEEEEZZNS1_9scan_implILNS1_25lookback_scan_determinismE0ELb0ELb0ES3_PKS7_PS7_S7_ZZZN2at6native31launch_logcumsumexp_cuda_kernelERKNSE_10TensorBaseESI_lENKUlvE_clEvENKUlvE2_clEvEUlS7_S7_E_S7_EEDaPvRmT3_T4_T5_mT6_P12ihipStream_tbENKUlT_T0_E_clISt17integral_constantIbLb0EESZ_EEDaSU_SV_EUlSU_E0_NS1_11comp_targetILNS1_3genE5ELNS1_11target_archE942ELNS1_3gpuE9ELNS1_3repE0EEENS1_30default_config_static_selectorELNS0_4arch9wavefront6targetE1EEEvT1_,comdat
.Lfunc_end282:
	.size	_ZN7rocprim17ROCPRIM_400000_NS6detail17trampoline_kernelINS0_14default_configENS1_20scan_config_selectorIN3c107complexIfEEEEZZNS1_9scan_implILNS1_25lookback_scan_determinismE0ELb0ELb0ES3_PKS7_PS7_S7_ZZZN2at6native31launch_logcumsumexp_cuda_kernelERKNSE_10TensorBaseESI_lENKUlvE_clEvENKUlvE2_clEvEUlS7_S7_E_S7_EEDaPvRmT3_T4_T5_mT6_P12ihipStream_tbENKUlT_T0_E_clISt17integral_constantIbLb0EESZ_EEDaSU_SV_EUlSU_E0_NS1_11comp_targetILNS1_3genE5ELNS1_11target_archE942ELNS1_3gpuE9ELNS1_3repE0EEENS1_30default_config_static_selectorELNS0_4arch9wavefront6targetE1EEEvT1_, .Lfunc_end282-_ZN7rocprim17ROCPRIM_400000_NS6detail17trampoline_kernelINS0_14default_configENS1_20scan_config_selectorIN3c107complexIfEEEEZZNS1_9scan_implILNS1_25lookback_scan_determinismE0ELb0ELb0ES3_PKS7_PS7_S7_ZZZN2at6native31launch_logcumsumexp_cuda_kernelERKNSE_10TensorBaseESI_lENKUlvE_clEvENKUlvE2_clEvEUlS7_S7_E_S7_EEDaPvRmT3_T4_T5_mT6_P12ihipStream_tbENKUlT_T0_E_clISt17integral_constantIbLb0EESZ_EEDaSU_SV_EUlSU_E0_NS1_11comp_targetILNS1_3genE5ELNS1_11target_archE942ELNS1_3gpuE9ELNS1_3repE0EEENS1_30default_config_static_selectorELNS0_4arch9wavefront6targetE1EEEvT1_
                                        ; -- End function
	.section	.AMDGPU.csdata,"",@progbits
; Kernel info:
; codeLenInByte = 0
; NumSgprs: 4
; NumVgprs: 0
; NumAgprs: 0
; TotalNumVgprs: 0
; ScratchSize: 0
; MemoryBound: 0
; FloatMode: 240
; IeeeMode: 1
; LDSByteSize: 0 bytes/workgroup (compile time only)
; SGPRBlocks: 0
; VGPRBlocks: 0
; NumSGPRsForWavesPerEU: 4
; NumVGPRsForWavesPerEU: 1
; AccumOffset: 4
; Occupancy: 8
; WaveLimiterHint : 0
; COMPUTE_PGM_RSRC2:SCRATCH_EN: 0
; COMPUTE_PGM_RSRC2:USER_SGPR: 6
; COMPUTE_PGM_RSRC2:TRAP_HANDLER: 0
; COMPUTE_PGM_RSRC2:TGID_X_EN: 1
; COMPUTE_PGM_RSRC2:TGID_Y_EN: 0
; COMPUTE_PGM_RSRC2:TGID_Z_EN: 0
; COMPUTE_PGM_RSRC2:TIDIG_COMP_CNT: 0
; COMPUTE_PGM_RSRC3_GFX90A:ACCUM_OFFSET: 0
; COMPUTE_PGM_RSRC3_GFX90A:TG_SPLIT: 0
	.section	.text._ZN7rocprim17ROCPRIM_400000_NS6detail17trampoline_kernelINS0_14default_configENS1_20scan_config_selectorIN3c107complexIfEEEEZZNS1_9scan_implILNS1_25lookback_scan_determinismE0ELb0ELb0ES3_PKS7_PS7_S7_ZZZN2at6native31launch_logcumsumexp_cuda_kernelERKNSE_10TensorBaseESI_lENKUlvE_clEvENKUlvE2_clEvEUlS7_S7_E_S7_EEDaPvRmT3_T4_T5_mT6_P12ihipStream_tbENKUlT_T0_E_clISt17integral_constantIbLb0EESZ_EEDaSU_SV_EUlSU_E0_NS1_11comp_targetILNS1_3genE4ELNS1_11target_archE910ELNS1_3gpuE8ELNS1_3repE0EEENS1_30default_config_static_selectorELNS0_4arch9wavefront6targetE1EEEvT1_,"axG",@progbits,_ZN7rocprim17ROCPRIM_400000_NS6detail17trampoline_kernelINS0_14default_configENS1_20scan_config_selectorIN3c107complexIfEEEEZZNS1_9scan_implILNS1_25lookback_scan_determinismE0ELb0ELb0ES3_PKS7_PS7_S7_ZZZN2at6native31launch_logcumsumexp_cuda_kernelERKNSE_10TensorBaseESI_lENKUlvE_clEvENKUlvE2_clEvEUlS7_S7_E_S7_EEDaPvRmT3_T4_T5_mT6_P12ihipStream_tbENKUlT_T0_E_clISt17integral_constantIbLb0EESZ_EEDaSU_SV_EUlSU_E0_NS1_11comp_targetILNS1_3genE4ELNS1_11target_archE910ELNS1_3gpuE8ELNS1_3repE0EEENS1_30default_config_static_selectorELNS0_4arch9wavefront6targetE1EEEvT1_,comdat
	.globl	_ZN7rocprim17ROCPRIM_400000_NS6detail17trampoline_kernelINS0_14default_configENS1_20scan_config_selectorIN3c107complexIfEEEEZZNS1_9scan_implILNS1_25lookback_scan_determinismE0ELb0ELb0ES3_PKS7_PS7_S7_ZZZN2at6native31launch_logcumsumexp_cuda_kernelERKNSE_10TensorBaseESI_lENKUlvE_clEvENKUlvE2_clEvEUlS7_S7_E_S7_EEDaPvRmT3_T4_T5_mT6_P12ihipStream_tbENKUlT_T0_E_clISt17integral_constantIbLb0EESZ_EEDaSU_SV_EUlSU_E0_NS1_11comp_targetILNS1_3genE4ELNS1_11target_archE910ELNS1_3gpuE8ELNS1_3repE0EEENS1_30default_config_static_selectorELNS0_4arch9wavefront6targetE1EEEvT1_ ; -- Begin function _ZN7rocprim17ROCPRIM_400000_NS6detail17trampoline_kernelINS0_14default_configENS1_20scan_config_selectorIN3c107complexIfEEEEZZNS1_9scan_implILNS1_25lookback_scan_determinismE0ELb0ELb0ES3_PKS7_PS7_S7_ZZZN2at6native31launch_logcumsumexp_cuda_kernelERKNSE_10TensorBaseESI_lENKUlvE_clEvENKUlvE2_clEvEUlS7_S7_E_S7_EEDaPvRmT3_T4_T5_mT6_P12ihipStream_tbENKUlT_T0_E_clISt17integral_constantIbLb0EESZ_EEDaSU_SV_EUlSU_E0_NS1_11comp_targetILNS1_3genE4ELNS1_11target_archE910ELNS1_3gpuE8ELNS1_3repE0EEENS1_30default_config_static_selectorELNS0_4arch9wavefront6targetE1EEEvT1_
	.p2align	8
	.type	_ZN7rocprim17ROCPRIM_400000_NS6detail17trampoline_kernelINS0_14default_configENS1_20scan_config_selectorIN3c107complexIfEEEEZZNS1_9scan_implILNS1_25lookback_scan_determinismE0ELb0ELb0ES3_PKS7_PS7_S7_ZZZN2at6native31launch_logcumsumexp_cuda_kernelERKNSE_10TensorBaseESI_lENKUlvE_clEvENKUlvE2_clEvEUlS7_S7_E_S7_EEDaPvRmT3_T4_T5_mT6_P12ihipStream_tbENKUlT_T0_E_clISt17integral_constantIbLb0EESZ_EEDaSU_SV_EUlSU_E0_NS1_11comp_targetILNS1_3genE4ELNS1_11target_archE910ELNS1_3gpuE8ELNS1_3repE0EEENS1_30default_config_static_selectorELNS0_4arch9wavefront6targetE1EEEvT1_,@function
_ZN7rocprim17ROCPRIM_400000_NS6detail17trampoline_kernelINS0_14default_configENS1_20scan_config_selectorIN3c107complexIfEEEEZZNS1_9scan_implILNS1_25lookback_scan_determinismE0ELb0ELb0ES3_PKS7_PS7_S7_ZZZN2at6native31launch_logcumsumexp_cuda_kernelERKNSE_10TensorBaseESI_lENKUlvE_clEvENKUlvE2_clEvEUlS7_S7_E_S7_EEDaPvRmT3_T4_T5_mT6_P12ihipStream_tbENKUlT_T0_E_clISt17integral_constantIbLb0EESZ_EEDaSU_SV_EUlSU_E0_NS1_11comp_targetILNS1_3genE4ELNS1_11target_archE910ELNS1_3gpuE8ELNS1_3repE0EEENS1_30default_config_static_selectorELNS0_4arch9wavefront6targetE1EEEvT1_: ; @_ZN7rocprim17ROCPRIM_400000_NS6detail17trampoline_kernelINS0_14default_configENS1_20scan_config_selectorIN3c107complexIfEEEEZZNS1_9scan_implILNS1_25lookback_scan_determinismE0ELb0ELb0ES3_PKS7_PS7_S7_ZZZN2at6native31launch_logcumsumexp_cuda_kernelERKNSE_10TensorBaseESI_lENKUlvE_clEvENKUlvE2_clEvEUlS7_S7_E_S7_EEDaPvRmT3_T4_T5_mT6_P12ihipStream_tbENKUlT_T0_E_clISt17integral_constantIbLb0EESZ_EEDaSU_SV_EUlSU_E0_NS1_11comp_targetILNS1_3genE4ELNS1_11target_archE910ELNS1_3gpuE8ELNS1_3repE0EEENS1_30default_config_static_selectorELNS0_4arch9wavefront6targetE1EEEvT1_
; %bb.0:
	s_add_u32 flat_scratch_lo, s6, s9
	s_addc_u32 flat_scratch_hi, s7, 0
	s_add_u32 s0, s0, s9
	s_load_dwordx4 s[8:11], s[4:5], 0x0
	v_mov_b32_e32 v27, v0
	s_addc_u32 s1, s1, 0
	v_lshlrev_b32_e32 v58, 3, v27
	s_mov_b32 s32, 0
	s_waitcnt lgkmcnt(0)
	s_load_dwordx2 s[6:7], s[8:9], 0x0
	v_cmp_gt_u32_e64 s[20:21], s10, v27
	s_waitcnt lgkmcnt(0)
	v_pk_mov_b32 v[0:1], s[6:7], s[6:7] op_sel:[0,1]
	s_and_saveexec_b64 s[12:13], s[20:21]
	s_cbranch_execz .LBB283_2
; %bb.1:
	global_load_dwordx2 v[0:1], v58, s[8:9]
.LBB283_2:
	s_or_b64 exec, exec, s[12:13]
	v_or_b32_e32 v2, 0x80, v27
	v_cmp_gt_u32_e64 s[22:23], s10, v2
	v_pk_mov_b32 v[2:3], s[6:7], s[6:7] op_sel:[0,1]
	s_and_saveexec_b64 s[12:13], s[22:23]
	s_cbranch_execz .LBB283_4
; %bb.3:
	global_load_dwordx2 v[2:3], v58, s[8:9] offset:1024
.LBB283_4:
	s_or_b64 exec, exec, s[12:13]
	v_or_b32_e32 v4, 0x100, v27
	v_cmp_gt_u32_e64 s[24:25], s10, v4
	v_pk_mov_b32 v[4:5], s[6:7], s[6:7] op_sel:[0,1]
	s_and_saveexec_b64 s[12:13], s[24:25]
	s_cbranch_execz .LBB283_6
; %bb.5:
	global_load_dwordx2 v[4:5], v58, s[8:9] offset:2048
.LBB283_6:
	;; [unrolled: 9-line block ×3, first 2 shown]
	s_or_b64 exec, exec, s[12:13]
	v_or_b32_e32 v10, 0x200, v27
	v_cmp_gt_u32_e64 s[28:29], s10, v10
	v_pk_mov_b32 v[8:9], s[6:7], s[6:7] op_sel:[0,1]
	s_and_saveexec_b64 s[12:13], s[28:29]
	s_cbranch_execz .LBB283_10
; %bb.9:
	v_lshlrev_b32_e32 v8, 3, v10
	global_load_dwordx2 v[8:9], v8, s[8:9]
.LBB283_10:
	s_or_b64 exec, exec, s[12:13]
	v_or_b32_e32 v12, 0x280, v27
	v_cmp_gt_u32_e64 s[34:35], s10, v12
	v_pk_mov_b32 v[10:11], s[6:7], s[6:7] op_sel:[0,1]
	s_and_saveexec_b64 s[12:13], s[34:35]
	s_cbranch_execz .LBB283_12
; %bb.11:
	v_lshlrev_b32_e32 v10, 3, v12
	global_load_dwordx2 v[10:11], v10, s[8:9]
.LBB283_12:
	;; [unrolled: 10-line block ×3, first 2 shown]
	s_or_b64 exec, exec, s[6:7]
	s_load_dwordx2 s[38:39], s[4:5], 0x20
	v_mad_u32_u24 v59, v27, 48, v58
	s_waitcnt vmcnt(0)
	ds_write2st64_b64 v58, v[0:1], v[2:3] offset1:2
	ds_write2st64_b64 v58, v[4:5], v[6:7] offset0:4 offset1:6
	ds_write2st64_b64 v58, v[8:9], v[10:11] offset0:8 offset1:10
	ds_write_b64 v58, v[12:13] offset:6144
	s_waitcnt lgkmcnt(0)
	s_barrier
	ds_read2_b64 v[28:31], v59 offset1:1
	ds_read2_b64 v[36:39], v59 offset0:2 offset1:3
	ds_read2_b64 v[32:35], v59 offset0:4 offset1:5
	ds_read_b64 v[52:53], v59 offset:48
	s_waitcnt lgkmcnt(0)
	v_mov_b32_e32 v0, v28
	v_mov_b32_e32 v1, v29
	;; [unrolled: 1-line block ×4, first 2 shown]
	s_barrier
	s_getpc_b64 s[42:43]
	s_add_u32 s42, s42, _ZZZZN2at6native31launch_logcumsumexp_cuda_kernelERKNS_10TensorBaseES3_lENKUlvE_clEvENKUlvE2_clEvENKUlN3c107complexIfEES8_E_clES8_S8_@rel32@lo+4
	s_addc_u32 s43, s43, _ZZZZN2at6native31launch_logcumsumexp_cuda_kernelERKNS_10TensorBaseES3_lENKUlvE_clEvENKUlvE2_clEvENKUlN3c107complexIfEES8_E_clES8_S8_@rel32@hi+12
	s_swappc_b64 s[30:31], s[42:43]
	v_mov_b32_e32 v2, v36
	v_mov_b32_e32 v3, v37
	v_mov_b32_e32 v56, v0
	v_mov_b32_e32 v57, v1
	s_swappc_b64 s[30:31], s[42:43]
	v_mov_b32_e32 v2, v38
	v_mov_b32_e32 v3, v39
	v_mov_b32_e32 v44, v0
	v_mov_b32_e32 v45, v1
	;; [unrolled: 5-line block ×5, first 2 shown]
	s_swappc_b64 s[30:31], s[42:43]
	v_mov_b32_e32 v54, v0
	v_lshrrev_b32_e32 v0, 2, v27
	v_and_b32_e32 v0, 24, v0
	v_mov_b32_e32 v55, v1
	v_add_u32_e32 v0, v58, v0
	v_cmp_gt_u32_e32 vcc, 64, v27
	ds_write_b64 v0, v[54:55]
	s_waitcnt lgkmcnt(0)
	s_barrier
	s_and_saveexec_b64 s[40:41], vcc
	s_cbranch_execz .LBB283_28
; %bb.15:
	v_lshlrev_b32_e32 v0, 1, v27
	v_lshrrev_b32_e32 v1, 4, v27
	v_add_lshl_u32 v60, v1, v0, 3
	ds_read2_b64 v[40:43], v60 offset1:1
	s_waitcnt lgkmcnt(0)
	v_mov_b32_e32 v0, v40
	v_mov_b32_e32 v1, v41
	;; [unrolled: 1-line block ×4, first 2 shown]
	s_swappc_b64 s[30:31], s[42:43]
	v_mov_b32_e32 v2, v0
	v_mbcnt_lo_u32_b32 v0, -1, 0
	v_mbcnt_hi_u32_b32 v42, -1, v0
	v_mov_b32_e32 v3, v1
	v_and_b32_e32 v43, 15, v42
	v_mov_b32_dpp v0, v2 row_shr:1 row_mask:0xf bank_mask:0xf
	v_mov_b32_dpp v1, v3 row_shr:1 row_mask:0xf bank_mask:0xf
	v_cmp_ne_u32_e32 vcc, 0, v43
	s_and_saveexec_b64 s[42:43], vcc
	s_cbranch_execz .LBB283_17
; %bb.16:
	s_getpc_b64 s[4:5]
	s_add_u32 s4, s4, _ZZZZN2at6native31launch_logcumsumexp_cuda_kernelERKNS_10TensorBaseES3_lENKUlvE_clEvENKUlvE2_clEvENKUlN3c107complexIfEES8_E_clES8_S8_@rel32@lo+4
	s_addc_u32 s5, s5, _ZZZZN2at6native31launch_logcumsumexp_cuda_kernelERKNS_10TensorBaseES3_lENKUlvE_clEvENKUlvE2_clEvENKUlN3c107complexIfEES8_E_clES8_S8_@rel32@hi+12
	s_swappc_b64 s[30:31], s[4:5]
	v_mov_b32_e32 v2, v0
	v_mov_b32_e32 v3, v1
.LBB283_17:
	s_or_b64 exec, exec, s[42:43]
	v_mov_b32_dpp v0, v2 row_shr:2 row_mask:0xf bank_mask:0xf
	v_mov_b32_dpp v1, v3 row_shr:2 row_mask:0xf bank_mask:0xf
	v_cmp_lt_u32_e32 vcc, 1, v43
	s_and_saveexec_b64 s[42:43], vcc
	s_cbranch_execz .LBB283_19
; %bb.18:
	s_getpc_b64 s[4:5]
	s_add_u32 s4, s4, _ZZZZN2at6native31launch_logcumsumexp_cuda_kernelERKNS_10TensorBaseES3_lENKUlvE_clEvENKUlvE2_clEvENKUlN3c107complexIfEES8_E_clES8_S8_@rel32@lo+4
	s_addc_u32 s5, s5, _ZZZZN2at6native31launch_logcumsumexp_cuda_kernelERKNS_10TensorBaseES3_lENKUlvE_clEvENKUlvE2_clEvENKUlN3c107complexIfEES8_E_clES8_S8_@rel32@hi+12
	s_swappc_b64 s[30:31], s[4:5]
	v_mov_b32_e32 v2, v0
	v_mov_b32_e32 v3, v1
.LBB283_19:
	s_or_b64 exec, exec, s[42:43]
	v_mov_b32_dpp v0, v2 row_shr:4 row_mask:0xf bank_mask:0xf
	v_mov_b32_dpp v1, v3 row_shr:4 row_mask:0xf bank_mask:0xf
	v_cmp_lt_u32_e32 vcc, 3, v43
	s_and_saveexec_b64 s[42:43], vcc
	s_cbranch_execz .LBB283_21
; %bb.20:
	s_getpc_b64 s[4:5]
	s_add_u32 s4, s4, _ZZZZN2at6native31launch_logcumsumexp_cuda_kernelERKNS_10TensorBaseES3_lENKUlvE_clEvENKUlvE2_clEvENKUlN3c107complexIfEES8_E_clES8_S8_@rel32@lo+4
	s_addc_u32 s5, s5, _ZZZZN2at6native31launch_logcumsumexp_cuda_kernelERKNS_10TensorBaseES3_lENKUlvE_clEvENKUlvE2_clEvENKUlN3c107complexIfEES8_E_clES8_S8_@rel32@hi+12
	s_swappc_b64 s[30:31], s[4:5]
	v_mov_b32_e32 v2, v0
	v_mov_b32_e32 v3, v1
.LBB283_21:
	s_or_b64 exec, exec, s[42:43]
	v_mov_b32_dpp v0, v2 row_shr:8 row_mask:0xf bank_mask:0xf
	v_mov_b32_dpp v1, v3 row_shr:8 row_mask:0xf bank_mask:0xf
	v_cmp_lt_u32_e32 vcc, 7, v43
	s_and_saveexec_b64 s[42:43], vcc
	s_cbranch_execz .LBB283_23
; %bb.22:
	s_getpc_b64 s[4:5]
	s_add_u32 s4, s4, _ZZZZN2at6native31launch_logcumsumexp_cuda_kernelERKNS_10TensorBaseES3_lENKUlvE_clEvENKUlvE2_clEvENKUlN3c107complexIfEES8_E_clES8_S8_@rel32@lo+4
	s_addc_u32 s5, s5, _ZZZZN2at6native31launch_logcumsumexp_cuda_kernelERKNS_10TensorBaseES3_lENKUlvE_clEvENKUlvE2_clEvENKUlN3c107complexIfEES8_E_clES8_S8_@rel32@hi+12
	s_swappc_b64 s[30:31], s[4:5]
	v_mov_b32_e32 v2, v0
	v_mov_b32_e32 v3, v1
.LBB283_23:
	s_or_b64 exec, exec, s[42:43]
	v_and_b32_e32 v4, 16, v42
	v_mov_b32_dpp v0, v2 row_bcast:15 row_mask:0xf bank_mask:0xf
	v_mov_b32_dpp v1, v3 row_bcast:15 row_mask:0xf bank_mask:0xf
	v_cmp_ne_u32_e32 vcc, 0, v4
	s_and_saveexec_b64 s[42:43], vcc
	s_cbranch_execz .LBB283_25
; %bb.24:
	s_getpc_b64 s[4:5]
	s_add_u32 s4, s4, _ZZZZN2at6native31launch_logcumsumexp_cuda_kernelERKNS_10TensorBaseES3_lENKUlvE_clEvENKUlvE2_clEvENKUlN3c107complexIfEES8_E_clES8_S8_@rel32@lo+4
	s_addc_u32 s5, s5, _ZZZZN2at6native31launch_logcumsumexp_cuda_kernelERKNS_10TensorBaseES3_lENKUlvE_clEvENKUlvE2_clEvENKUlN3c107complexIfEES8_E_clES8_S8_@rel32@hi+12
	s_swappc_b64 s[30:31], s[4:5]
	v_mov_b32_e32 v2, v0
	v_mov_b32_e32 v3, v1
.LBB283_25:
	s_or_b64 exec, exec, s[42:43]
	v_mov_b32_dpp v0, v2 row_bcast:31 row_mask:0xf bank_mask:0xf
	v_mov_b32_dpp v1, v3 row_bcast:31 row_mask:0xf bank_mask:0xf
	v_cmp_lt_u32_e32 vcc, 31, v42
	s_and_saveexec_b64 s[42:43], vcc
	s_cbranch_execz .LBB283_27
; %bb.26:
	s_getpc_b64 s[4:5]
	s_add_u32 s4, s4, _ZZZZN2at6native31launch_logcumsumexp_cuda_kernelERKNS_10TensorBaseES3_lENKUlvE_clEvENKUlvE2_clEvENKUlN3c107complexIfEES8_E_clES8_S8_@rel32@lo+4
	s_addc_u32 s5, s5, _ZZZZN2at6native31launch_logcumsumexp_cuda_kernelERKNS_10TensorBaseES3_lENKUlvE_clEvENKUlvE2_clEvENKUlN3c107complexIfEES8_E_clES8_S8_@rel32@hi+12
	s_swappc_b64 s[30:31], s[4:5]
	v_mov_b32_e32 v2, v0
	v_mov_b32_e32 v3, v1
.LBB283_27:
	s_or_b64 exec, exec, s[42:43]
	v_add_u32_e32 v0, -1, v42
	v_and_b32_e32 v1, 64, v42
	v_cmp_lt_i32_e32 vcc, v0, v1
	v_cndmask_b32_e32 v0, v0, v42, vcc
	v_lshlrev_b32_e32 v1, 2, v0
	ds_bpermute_b32 v0, v1, v2
	ds_bpermute_b32 v1, v1, v3
	v_mov_b32_e32 v2, v40
	v_mov_b32_e32 v3, v41
	s_getpc_b64 s[42:43]
	s_add_u32 s42, s42, _ZZZZN2at6native31launch_logcumsumexp_cuda_kernelERKNS_10TensorBaseES3_lENKUlvE_clEvENKUlvE2_clEvENKUlN3c107complexIfEES8_E_clES8_S8_@rel32@lo+4
	s_addc_u32 s43, s43, _ZZZZN2at6native31launch_logcumsumexp_cuda_kernelERKNS_10TensorBaseES3_lENKUlvE_clEvENKUlvE2_clEvENKUlN3c107complexIfEES8_E_clES8_S8_@rel32@hi+12
	s_swappc_b64 s[30:31], s[42:43]
	v_cmp_eq_u32_e32 vcc, 0, v27
	v_cndmask_b32_e32 v0, v0, v54, vcc
	v_cndmask_b32_e32 v1, v1, v55, vcc
	; wave barrier
	ds_write_b64 v60, v[0:1]
	; wave barrier
	ds_read_b64 v[2:3], v60 offset:8
	s_swappc_b64 s[30:31], s[42:43]
	ds_write_b64 v60, v[0:1] offset:8
.LBB283_28:
	s_or_b64 exec, exec, s[40:41]
	v_cmp_ne_u32_e32 vcc, 0, v27
	v_mov_b32_e32 v1, v55
	v_mov_b32_e32 v0, v54
	s_waitcnt lgkmcnt(0)
	s_barrier
	s_and_saveexec_b64 s[4:5], vcc
	s_cbranch_execnz .LBB283_40
; %bb.29:
	s_or_b64 exec, exec, s[4:5]
	s_and_saveexec_b64 s[4:5], vcc
	s_xor_b64 s[40:41], exec, s[4:5]
	s_cbranch_execnz .LBB283_41
.LBB283_30:
	s_andn2_saveexec_b64 s[4:5], s[40:41]
.LBB283_31:
	v_mov_b32_e32 v30, v56
	v_mov_b32_e32 v31, v57
.LBB283_32:
	s_or_b64 exec, exec, s[4:5]
	s_movk_i32 s4, 0xffd0
	s_waitcnt lgkmcnt(0)
	v_mad_i32_i24 v0, v27, s4, v59
	s_barrier
	ds_write2_b64 v59, v[28:29], v[30:31] offset1:1
	ds_write2_b64 v59, v[44:45], v[46:47] offset0:2 offset1:3
	ds_write2_b64 v59, v[48:49], v[50:51] offset0:4 offset1:5
	ds_write_b64 v59, v[54:55] offset:48
	s_waitcnt lgkmcnt(0)
	s_barrier
	ds_read2st64_b64 v[8:11], v0 offset0:2 offset1:4
	ds_read2st64_b64 v[4:7], v0 offset0:6 offset1:8
	;; [unrolled: 1-line block ×3, first 2 shown]
	v_mov_b32_e32 v13, s39
	v_add_co_u32_e32 v12, vcc, s38, v58
	v_addc_co_u32_e32 v13, vcc, 0, v13, vcc
	s_and_saveexec_b64 s[4:5], s[20:21]
	s_cbranch_execnz .LBB283_42
; %bb.33:
	s_or_b64 exec, exec, s[4:5]
	s_and_saveexec_b64 s[4:5], s[22:23]
	s_cbranch_execnz .LBB283_43
.LBB283_34:
	s_or_b64 exec, exec, s[4:5]
	s_and_saveexec_b64 s[4:5], s[24:25]
	s_cbranch_execnz .LBB283_44
.LBB283_35:
	s_or_b64 exec, exec, s[4:5]
	s_and_saveexec_b64 s[4:5], s[26:27]
	s_cbranch_execnz .LBB283_45
.LBB283_36:
	s_or_b64 exec, exec, s[4:5]
	s_and_saveexec_b64 s[4:5], s[28:29]
	s_cbranch_execnz .LBB283_46
.LBB283_37:
	s_or_b64 exec, exec, s[4:5]
	s_and_saveexec_b64 s[4:5], s[34:35]
	s_cbranch_execnz .LBB283_47
.LBB283_38:
	s_or_b64 exec, exec, s[4:5]
	s_and_saveexec_b64 s[4:5], s[36:37]
	s_cbranch_execnz .LBB283_48
.LBB283_39:
	s_endpgm
.LBB283_40:
	v_add_u32_e32 v0, -1, v27
	v_lshrrev_b32_e32 v1, 5, v0
	v_add_lshl_u32 v0, v1, v0, 3
	ds_read_b64 v[0:1], v0
	s_or_b64 exec, exec, s[4:5]
	s_and_saveexec_b64 s[4:5], vcc
	s_xor_b64 s[40:41], exec, s[4:5]
	s_cbranch_execz .LBB283_30
.LBB283_41:
	v_mov_b32_e32 v2, v28
	v_mov_b32_e32 v3, v29
	s_getpc_b64 s[42:43]
	s_add_u32 s42, s42, _ZZZZN2at6native31launch_logcumsumexp_cuda_kernelERKNS_10TensorBaseES3_lENKUlvE_clEvENKUlvE2_clEvENKUlN3c107complexIfEES8_E_clES8_S8_@rel32@lo+4
	s_addc_u32 s43, s43, _ZZZZN2at6native31launch_logcumsumexp_cuda_kernelERKNS_10TensorBaseES3_lENKUlvE_clEvENKUlvE2_clEvENKUlN3c107complexIfEES8_E_clES8_S8_@rel32@hi+12
	s_swappc_b64 s[30:31], s[42:43]
	v_mov_b32_e32 v2, v30
	v_mov_b32_e32 v3, v31
	v_mov_b32_e32 v28, v0
	v_mov_b32_e32 v29, v1
	;;#ASMSTART
	;;#ASMEND
	s_swappc_b64 s[30:31], s[42:43]
	v_mov_b32_e32 v2, v36
	v_mov_b32_e32 v3, v37
	v_mov_b32_e32 v30, v0
	v_mov_b32_e32 v31, v1
	s_swappc_b64 s[30:31], s[42:43]
	v_mov_b32_e32 v2, v38
	v_mov_b32_e32 v3, v39
	v_mov_b32_e32 v44, v0
	v_mov_b32_e32 v45, v1
	s_swappc_b64 s[30:31], s[42:43]
	v_mov_b32_e32 v2, v32
	v_mov_b32_e32 v3, v33
	v_mov_b32_e32 v46, v0
	v_mov_b32_e32 v47, v1
	s_swappc_b64 s[30:31], s[42:43]
	v_mov_b32_e32 v2, v34
	v_mov_b32_e32 v3, v35
	v_mov_b32_e32 v48, v0
	v_mov_b32_e32 v49, v1
	s_swappc_b64 s[30:31], s[42:43]
	v_mov_b32_e32 v2, v52
	v_mov_b32_e32 v3, v53
	v_mov_b32_e32 v50, v0
	v_mov_b32_e32 v51, v1
	s_swappc_b64 s[30:31], s[42:43]
	v_mov_b32_e32 v54, v0
	v_mov_b32_e32 v55, v1
                                        ; implicit-def: $vgpr56
                                        ; implicit-def: $vgpr57
	s_andn2_saveexec_b64 s[4:5], s[40:41]
	s_cbranch_execnz .LBB283_31
	s_branch .LBB283_32
.LBB283_42:
	ds_read_b64 v[14:15], v58
	s_waitcnt lgkmcnt(0)
	global_store_dwordx2 v[12:13], v[14:15], off
	s_or_b64 exec, exec, s[4:5]
	s_and_saveexec_b64 s[4:5], s[22:23]
	s_cbranch_execz .LBB283_34
.LBB283_43:
	s_waitcnt lgkmcnt(2)
	global_store_dwordx2 v[12:13], v[8:9], off offset:1024
	s_or_b64 exec, exec, s[4:5]
	s_and_saveexec_b64 s[4:5], s[24:25]
	s_cbranch_execz .LBB283_35
.LBB283_44:
	s_waitcnt lgkmcnt(2)
	global_store_dwordx2 v[12:13], v[10:11], off offset:2048
	s_or_b64 exec, exec, s[4:5]
	s_and_saveexec_b64 s[4:5], s[26:27]
	s_cbranch_execz .LBB283_36
.LBB283_45:
	s_waitcnt lgkmcnt(1)
	global_store_dwordx2 v[12:13], v[4:5], off offset:3072
	s_or_b64 exec, exec, s[4:5]
	s_and_saveexec_b64 s[4:5], s[28:29]
	s_cbranch_execz .LBB283_37
.LBB283_46:
	s_waitcnt lgkmcnt(1)
	v_add_co_u32_e32 v4, vcc, 0x1000, v12
	v_addc_co_u32_e32 v5, vcc, 0, v13, vcc
	global_store_dwordx2 v[4:5], v[6:7], off
	s_or_b64 exec, exec, s[4:5]
	s_and_saveexec_b64 s[4:5], s[34:35]
	s_cbranch_execz .LBB283_38
.LBB283_47:
	s_waitcnt lgkmcnt(1)
	v_add_co_u32_e32 v4, vcc, 0x1000, v12
	v_addc_co_u32_e32 v5, vcc, 0, v13, vcc
	s_waitcnt lgkmcnt(0)
	global_store_dwordx2 v[4:5], v[0:1], off offset:1024
	s_or_b64 exec, exec, s[4:5]
	s_and_saveexec_b64 s[4:5], s[36:37]
	s_cbranch_execz .LBB283_39
.LBB283_48:
	s_waitcnt lgkmcnt(0)
	v_add_co_u32_e32 v0, vcc, 0x1000, v12
	v_addc_co_u32_e32 v1, vcc, 0, v13, vcc
	global_store_dwordx2 v[0:1], v[2:3], off offset:2048
	s_endpgm
	.section	.rodata,"a",@progbits
	.p2align	6, 0x0
	.amdhsa_kernel _ZN7rocprim17ROCPRIM_400000_NS6detail17trampoline_kernelINS0_14default_configENS1_20scan_config_selectorIN3c107complexIfEEEEZZNS1_9scan_implILNS1_25lookback_scan_determinismE0ELb0ELb0ES3_PKS7_PS7_S7_ZZZN2at6native31launch_logcumsumexp_cuda_kernelERKNSE_10TensorBaseESI_lENKUlvE_clEvENKUlvE2_clEvEUlS7_S7_E_S7_EEDaPvRmT3_T4_T5_mT6_P12ihipStream_tbENKUlT_T0_E_clISt17integral_constantIbLb0EESZ_EEDaSU_SV_EUlSU_E0_NS1_11comp_targetILNS1_3genE4ELNS1_11target_archE910ELNS1_3gpuE8ELNS1_3repE0EEENS1_30default_config_static_selectorELNS0_4arch9wavefront6targetE1EEEvT1_
		.amdhsa_group_segment_fixed_size 7168
		.amdhsa_private_segment_fixed_size 0
		.amdhsa_kernarg_size 40
		.amdhsa_user_sgpr_count 8
		.amdhsa_user_sgpr_private_segment_buffer 1
		.amdhsa_user_sgpr_dispatch_ptr 0
		.amdhsa_user_sgpr_queue_ptr 0
		.amdhsa_user_sgpr_kernarg_segment_ptr 1
		.amdhsa_user_sgpr_dispatch_id 0
		.amdhsa_user_sgpr_flat_scratch_init 1
		.amdhsa_user_sgpr_kernarg_preload_length 0
		.amdhsa_user_sgpr_kernarg_preload_offset 0
		.amdhsa_user_sgpr_private_segment_size 0
		.amdhsa_uses_dynamic_stack 0
		.amdhsa_system_sgpr_private_segment_wavefront_offset 0
		.amdhsa_system_sgpr_workgroup_id_x 1
		.amdhsa_system_sgpr_workgroup_id_y 0
		.amdhsa_system_sgpr_workgroup_id_z 0
		.amdhsa_system_sgpr_workgroup_info 0
		.amdhsa_system_vgpr_workitem_id 0
		.amdhsa_next_free_vgpr 61
		.amdhsa_next_free_sgpr 44
		.amdhsa_accum_offset 64
		.amdhsa_reserve_vcc 1
		.amdhsa_reserve_flat_scratch 1
		.amdhsa_float_round_mode_32 0
		.amdhsa_float_round_mode_16_64 0
		.amdhsa_float_denorm_mode_32 3
		.amdhsa_float_denorm_mode_16_64 3
		.amdhsa_dx10_clamp 1
		.amdhsa_ieee_mode 1
		.amdhsa_fp16_overflow 0
		.amdhsa_tg_split 0
		.amdhsa_exception_fp_ieee_invalid_op 0
		.amdhsa_exception_fp_denorm_src 0
		.amdhsa_exception_fp_ieee_div_zero 0
		.amdhsa_exception_fp_ieee_overflow 0
		.amdhsa_exception_fp_ieee_underflow 0
		.amdhsa_exception_fp_ieee_inexact 0
		.amdhsa_exception_int_div_zero 0
	.end_amdhsa_kernel
	.section	.text._ZN7rocprim17ROCPRIM_400000_NS6detail17trampoline_kernelINS0_14default_configENS1_20scan_config_selectorIN3c107complexIfEEEEZZNS1_9scan_implILNS1_25lookback_scan_determinismE0ELb0ELb0ES3_PKS7_PS7_S7_ZZZN2at6native31launch_logcumsumexp_cuda_kernelERKNSE_10TensorBaseESI_lENKUlvE_clEvENKUlvE2_clEvEUlS7_S7_E_S7_EEDaPvRmT3_T4_T5_mT6_P12ihipStream_tbENKUlT_T0_E_clISt17integral_constantIbLb0EESZ_EEDaSU_SV_EUlSU_E0_NS1_11comp_targetILNS1_3genE4ELNS1_11target_archE910ELNS1_3gpuE8ELNS1_3repE0EEENS1_30default_config_static_selectorELNS0_4arch9wavefront6targetE1EEEvT1_,"axG",@progbits,_ZN7rocprim17ROCPRIM_400000_NS6detail17trampoline_kernelINS0_14default_configENS1_20scan_config_selectorIN3c107complexIfEEEEZZNS1_9scan_implILNS1_25lookback_scan_determinismE0ELb0ELb0ES3_PKS7_PS7_S7_ZZZN2at6native31launch_logcumsumexp_cuda_kernelERKNSE_10TensorBaseESI_lENKUlvE_clEvENKUlvE2_clEvEUlS7_S7_E_S7_EEDaPvRmT3_T4_T5_mT6_P12ihipStream_tbENKUlT_T0_E_clISt17integral_constantIbLb0EESZ_EEDaSU_SV_EUlSU_E0_NS1_11comp_targetILNS1_3genE4ELNS1_11target_archE910ELNS1_3gpuE8ELNS1_3repE0EEENS1_30default_config_static_selectorELNS0_4arch9wavefront6targetE1EEEvT1_,comdat
.Lfunc_end283:
	.size	_ZN7rocprim17ROCPRIM_400000_NS6detail17trampoline_kernelINS0_14default_configENS1_20scan_config_selectorIN3c107complexIfEEEEZZNS1_9scan_implILNS1_25lookback_scan_determinismE0ELb0ELb0ES3_PKS7_PS7_S7_ZZZN2at6native31launch_logcumsumexp_cuda_kernelERKNSE_10TensorBaseESI_lENKUlvE_clEvENKUlvE2_clEvEUlS7_S7_E_S7_EEDaPvRmT3_T4_T5_mT6_P12ihipStream_tbENKUlT_T0_E_clISt17integral_constantIbLb0EESZ_EEDaSU_SV_EUlSU_E0_NS1_11comp_targetILNS1_3genE4ELNS1_11target_archE910ELNS1_3gpuE8ELNS1_3repE0EEENS1_30default_config_static_selectorELNS0_4arch9wavefront6targetE1EEEvT1_, .Lfunc_end283-_ZN7rocprim17ROCPRIM_400000_NS6detail17trampoline_kernelINS0_14default_configENS1_20scan_config_selectorIN3c107complexIfEEEEZZNS1_9scan_implILNS1_25lookback_scan_determinismE0ELb0ELb0ES3_PKS7_PS7_S7_ZZZN2at6native31launch_logcumsumexp_cuda_kernelERKNSE_10TensorBaseESI_lENKUlvE_clEvENKUlvE2_clEvEUlS7_S7_E_S7_EEDaPvRmT3_T4_T5_mT6_P12ihipStream_tbENKUlT_T0_E_clISt17integral_constantIbLb0EESZ_EEDaSU_SV_EUlSU_E0_NS1_11comp_targetILNS1_3genE4ELNS1_11target_archE910ELNS1_3gpuE8ELNS1_3repE0EEENS1_30default_config_static_selectorELNS0_4arch9wavefront6targetE1EEEvT1_
                                        ; -- End function
	.section	.AMDGPU.csdata,"",@progbits
; Kernel info:
; codeLenInByte = 1888
; NumSgprs: 50
; NumVgprs: 61
; NumAgprs: 0
; TotalNumVgprs: 61
; ScratchSize: 0
; MemoryBound: 0
; FloatMode: 240
; IeeeMode: 1
; LDSByteSize: 7168 bytes/workgroup (compile time only)
; SGPRBlocks: 6
; VGPRBlocks: 7
; NumSGPRsForWavesPerEU: 50
; NumVGPRsForWavesPerEU: 61
; AccumOffset: 64
; Occupancy: 5
; WaveLimiterHint : 0
; COMPUTE_PGM_RSRC2:SCRATCH_EN: 0
; COMPUTE_PGM_RSRC2:USER_SGPR: 8
; COMPUTE_PGM_RSRC2:TRAP_HANDLER: 0
; COMPUTE_PGM_RSRC2:TGID_X_EN: 1
; COMPUTE_PGM_RSRC2:TGID_Y_EN: 0
; COMPUTE_PGM_RSRC2:TGID_Z_EN: 0
; COMPUTE_PGM_RSRC2:TIDIG_COMP_CNT: 0
; COMPUTE_PGM_RSRC3_GFX90A:ACCUM_OFFSET: 15
; COMPUTE_PGM_RSRC3_GFX90A:TG_SPLIT: 0
	.section	.text._ZN7rocprim17ROCPRIM_400000_NS6detail17trampoline_kernelINS0_14default_configENS1_20scan_config_selectorIN3c107complexIfEEEEZZNS1_9scan_implILNS1_25lookback_scan_determinismE0ELb0ELb0ES3_PKS7_PS7_S7_ZZZN2at6native31launch_logcumsumexp_cuda_kernelERKNSE_10TensorBaseESI_lENKUlvE_clEvENKUlvE2_clEvEUlS7_S7_E_S7_EEDaPvRmT3_T4_T5_mT6_P12ihipStream_tbENKUlT_T0_E_clISt17integral_constantIbLb0EESZ_EEDaSU_SV_EUlSU_E0_NS1_11comp_targetILNS1_3genE3ELNS1_11target_archE908ELNS1_3gpuE7ELNS1_3repE0EEENS1_30default_config_static_selectorELNS0_4arch9wavefront6targetE1EEEvT1_,"axG",@progbits,_ZN7rocprim17ROCPRIM_400000_NS6detail17trampoline_kernelINS0_14default_configENS1_20scan_config_selectorIN3c107complexIfEEEEZZNS1_9scan_implILNS1_25lookback_scan_determinismE0ELb0ELb0ES3_PKS7_PS7_S7_ZZZN2at6native31launch_logcumsumexp_cuda_kernelERKNSE_10TensorBaseESI_lENKUlvE_clEvENKUlvE2_clEvEUlS7_S7_E_S7_EEDaPvRmT3_T4_T5_mT6_P12ihipStream_tbENKUlT_T0_E_clISt17integral_constantIbLb0EESZ_EEDaSU_SV_EUlSU_E0_NS1_11comp_targetILNS1_3genE3ELNS1_11target_archE908ELNS1_3gpuE7ELNS1_3repE0EEENS1_30default_config_static_selectorELNS0_4arch9wavefront6targetE1EEEvT1_,comdat
	.globl	_ZN7rocprim17ROCPRIM_400000_NS6detail17trampoline_kernelINS0_14default_configENS1_20scan_config_selectorIN3c107complexIfEEEEZZNS1_9scan_implILNS1_25lookback_scan_determinismE0ELb0ELb0ES3_PKS7_PS7_S7_ZZZN2at6native31launch_logcumsumexp_cuda_kernelERKNSE_10TensorBaseESI_lENKUlvE_clEvENKUlvE2_clEvEUlS7_S7_E_S7_EEDaPvRmT3_T4_T5_mT6_P12ihipStream_tbENKUlT_T0_E_clISt17integral_constantIbLb0EESZ_EEDaSU_SV_EUlSU_E0_NS1_11comp_targetILNS1_3genE3ELNS1_11target_archE908ELNS1_3gpuE7ELNS1_3repE0EEENS1_30default_config_static_selectorELNS0_4arch9wavefront6targetE1EEEvT1_ ; -- Begin function _ZN7rocprim17ROCPRIM_400000_NS6detail17trampoline_kernelINS0_14default_configENS1_20scan_config_selectorIN3c107complexIfEEEEZZNS1_9scan_implILNS1_25lookback_scan_determinismE0ELb0ELb0ES3_PKS7_PS7_S7_ZZZN2at6native31launch_logcumsumexp_cuda_kernelERKNSE_10TensorBaseESI_lENKUlvE_clEvENKUlvE2_clEvEUlS7_S7_E_S7_EEDaPvRmT3_T4_T5_mT6_P12ihipStream_tbENKUlT_T0_E_clISt17integral_constantIbLb0EESZ_EEDaSU_SV_EUlSU_E0_NS1_11comp_targetILNS1_3genE3ELNS1_11target_archE908ELNS1_3gpuE7ELNS1_3repE0EEENS1_30default_config_static_selectorELNS0_4arch9wavefront6targetE1EEEvT1_
	.p2align	8
	.type	_ZN7rocprim17ROCPRIM_400000_NS6detail17trampoline_kernelINS0_14default_configENS1_20scan_config_selectorIN3c107complexIfEEEEZZNS1_9scan_implILNS1_25lookback_scan_determinismE0ELb0ELb0ES3_PKS7_PS7_S7_ZZZN2at6native31launch_logcumsumexp_cuda_kernelERKNSE_10TensorBaseESI_lENKUlvE_clEvENKUlvE2_clEvEUlS7_S7_E_S7_EEDaPvRmT3_T4_T5_mT6_P12ihipStream_tbENKUlT_T0_E_clISt17integral_constantIbLb0EESZ_EEDaSU_SV_EUlSU_E0_NS1_11comp_targetILNS1_3genE3ELNS1_11target_archE908ELNS1_3gpuE7ELNS1_3repE0EEENS1_30default_config_static_selectorELNS0_4arch9wavefront6targetE1EEEvT1_,@function
_ZN7rocprim17ROCPRIM_400000_NS6detail17trampoline_kernelINS0_14default_configENS1_20scan_config_selectorIN3c107complexIfEEEEZZNS1_9scan_implILNS1_25lookback_scan_determinismE0ELb0ELb0ES3_PKS7_PS7_S7_ZZZN2at6native31launch_logcumsumexp_cuda_kernelERKNSE_10TensorBaseESI_lENKUlvE_clEvENKUlvE2_clEvEUlS7_S7_E_S7_EEDaPvRmT3_T4_T5_mT6_P12ihipStream_tbENKUlT_T0_E_clISt17integral_constantIbLb0EESZ_EEDaSU_SV_EUlSU_E0_NS1_11comp_targetILNS1_3genE3ELNS1_11target_archE908ELNS1_3gpuE7ELNS1_3repE0EEENS1_30default_config_static_selectorELNS0_4arch9wavefront6targetE1EEEvT1_: ; @_ZN7rocprim17ROCPRIM_400000_NS6detail17trampoline_kernelINS0_14default_configENS1_20scan_config_selectorIN3c107complexIfEEEEZZNS1_9scan_implILNS1_25lookback_scan_determinismE0ELb0ELb0ES3_PKS7_PS7_S7_ZZZN2at6native31launch_logcumsumexp_cuda_kernelERKNSE_10TensorBaseESI_lENKUlvE_clEvENKUlvE2_clEvEUlS7_S7_E_S7_EEDaPvRmT3_T4_T5_mT6_P12ihipStream_tbENKUlT_T0_E_clISt17integral_constantIbLb0EESZ_EEDaSU_SV_EUlSU_E0_NS1_11comp_targetILNS1_3genE3ELNS1_11target_archE908ELNS1_3gpuE7ELNS1_3repE0EEENS1_30default_config_static_selectorELNS0_4arch9wavefront6targetE1EEEvT1_
; %bb.0:
	.section	.rodata,"a",@progbits
	.p2align	6, 0x0
	.amdhsa_kernel _ZN7rocprim17ROCPRIM_400000_NS6detail17trampoline_kernelINS0_14default_configENS1_20scan_config_selectorIN3c107complexIfEEEEZZNS1_9scan_implILNS1_25lookback_scan_determinismE0ELb0ELb0ES3_PKS7_PS7_S7_ZZZN2at6native31launch_logcumsumexp_cuda_kernelERKNSE_10TensorBaseESI_lENKUlvE_clEvENKUlvE2_clEvEUlS7_S7_E_S7_EEDaPvRmT3_T4_T5_mT6_P12ihipStream_tbENKUlT_T0_E_clISt17integral_constantIbLb0EESZ_EEDaSU_SV_EUlSU_E0_NS1_11comp_targetILNS1_3genE3ELNS1_11target_archE908ELNS1_3gpuE7ELNS1_3repE0EEENS1_30default_config_static_selectorELNS0_4arch9wavefront6targetE1EEEvT1_
		.amdhsa_group_segment_fixed_size 0
		.amdhsa_private_segment_fixed_size 0
		.amdhsa_kernarg_size 40
		.amdhsa_user_sgpr_count 6
		.amdhsa_user_sgpr_private_segment_buffer 1
		.amdhsa_user_sgpr_dispatch_ptr 0
		.amdhsa_user_sgpr_queue_ptr 0
		.amdhsa_user_sgpr_kernarg_segment_ptr 1
		.amdhsa_user_sgpr_dispatch_id 0
		.amdhsa_user_sgpr_flat_scratch_init 0
		.amdhsa_user_sgpr_kernarg_preload_length 0
		.amdhsa_user_sgpr_kernarg_preload_offset 0
		.amdhsa_user_sgpr_private_segment_size 0
		.amdhsa_uses_dynamic_stack 0
		.amdhsa_system_sgpr_private_segment_wavefront_offset 0
		.amdhsa_system_sgpr_workgroup_id_x 1
		.amdhsa_system_sgpr_workgroup_id_y 0
		.amdhsa_system_sgpr_workgroup_id_z 0
		.amdhsa_system_sgpr_workgroup_info 0
		.amdhsa_system_vgpr_workitem_id 0
		.amdhsa_next_free_vgpr 1
		.amdhsa_next_free_sgpr 0
		.amdhsa_accum_offset 4
		.amdhsa_reserve_vcc 0
		.amdhsa_reserve_flat_scratch 0
		.amdhsa_float_round_mode_32 0
		.amdhsa_float_round_mode_16_64 0
		.amdhsa_float_denorm_mode_32 3
		.amdhsa_float_denorm_mode_16_64 3
		.amdhsa_dx10_clamp 1
		.amdhsa_ieee_mode 1
		.amdhsa_fp16_overflow 0
		.amdhsa_tg_split 0
		.amdhsa_exception_fp_ieee_invalid_op 0
		.amdhsa_exception_fp_denorm_src 0
		.amdhsa_exception_fp_ieee_div_zero 0
		.amdhsa_exception_fp_ieee_overflow 0
		.amdhsa_exception_fp_ieee_underflow 0
		.amdhsa_exception_fp_ieee_inexact 0
		.amdhsa_exception_int_div_zero 0
	.end_amdhsa_kernel
	.section	.text._ZN7rocprim17ROCPRIM_400000_NS6detail17trampoline_kernelINS0_14default_configENS1_20scan_config_selectorIN3c107complexIfEEEEZZNS1_9scan_implILNS1_25lookback_scan_determinismE0ELb0ELb0ES3_PKS7_PS7_S7_ZZZN2at6native31launch_logcumsumexp_cuda_kernelERKNSE_10TensorBaseESI_lENKUlvE_clEvENKUlvE2_clEvEUlS7_S7_E_S7_EEDaPvRmT3_T4_T5_mT6_P12ihipStream_tbENKUlT_T0_E_clISt17integral_constantIbLb0EESZ_EEDaSU_SV_EUlSU_E0_NS1_11comp_targetILNS1_3genE3ELNS1_11target_archE908ELNS1_3gpuE7ELNS1_3repE0EEENS1_30default_config_static_selectorELNS0_4arch9wavefront6targetE1EEEvT1_,"axG",@progbits,_ZN7rocprim17ROCPRIM_400000_NS6detail17trampoline_kernelINS0_14default_configENS1_20scan_config_selectorIN3c107complexIfEEEEZZNS1_9scan_implILNS1_25lookback_scan_determinismE0ELb0ELb0ES3_PKS7_PS7_S7_ZZZN2at6native31launch_logcumsumexp_cuda_kernelERKNSE_10TensorBaseESI_lENKUlvE_clEvENKUlvE2_clEvEUlS7_S7_E_S7_EEDaPvRmT3_T4_T5_mT6_P12ihipStream_tbENKUlT_T0_E_clISt17integral_constantIbLb0EESZ_EEDaSU_SV_EUlSU_E0_NS1_11comp_targetILNS1_3genE3ELNS1_11target_archE908ELNS1_3gpuE7ELNS1_3repE0EEENS1_30default_config_static_selectorELNS0_4arch9wavefront6targetE1EEEvT1_,comdat
.Lfunc_end284:
	.size	_ZN7rocprim17ROCPRIM_400000_NS6detail17trampoline_kernelINS0_14default_configENS1_20scan_config_selectorIN3c107complexIfEEEEZZNS1_9scan_implILNS1_25lookback_scan_determinismE0ELb0ELb0ES3_PKS7_PS7_S7_ZZZN2at6native31launch_logcumsumexp_cuda_kernelERKNSE_10TensorBaseESI_lENKUlvE_clEvENKUlvE2_clEvEUlS7_S7_E_S7_EEDaPvRmT3_T4_T5_mT6_P12ihipStream_tbENKUlT_T0_E_clISt17integral_constantIbLb0EESZ_EEDaSU_SV_EUlSU_E0_NS1_11comp_targetILNS1_3genE3ELNS1_11target_archE908ELNS1_3gpuE7ELNS1_3repE0EEENS1_30default_config_static_selectorELNS0_4arch9wavefront6targetE1EEEvT1_, .Lfunc_end284-_ZN7rocprim17ROCPRIM_400000_NS6detail17trampoline_kernelINS0_14default_configENS1_20scan_config_selectorIN3c107complexIfEEEEZZNS1_9scan_implILNS1_25lookback_scan_determinismE0ELb0ELb0ES3_PKS7_PS7_S7_ZZZN2at6native31launch_logcumsumexp_cuda_kernelERKNSE_10TensorBaseESI_lENKUlvE_clEvENKUlvE2_clEvEUlS7_S7_E_S7_EEDaPvRmT3_T4_T5_mT6_P12ihipStream_tbENKUlT_T0_E_clISt17integral_constantIbLb0EESZ_EEDaSU_SV_EUlSU_E0_NS1_11comp_targetILNS1_3genE3ELNS1_11target_archE908ELNS1_3gpuE7ELNS1_3repE0EEENS1_30default_config_static_selectorELNS0_4arch9wavefront6targetE1EEEvT1_
                                        ; -- End function
	.section	.AMDGPU.csdata,"",@progbits
; Kernel info:
; codeLenInByte = 0
; NumSgprs: 4
; NumVgprs: 0
; NumAgprs: 0
; TotalNumVgprs: 0
; ScratchSize: 0
; MemoryBound: 0
; FloatMode: 240
; IeeeMode: 1
; LDSByteSize: 0 bytes/workgroup (compile time only)
; SGPRBlocks: 0
; VGPRBlocks: 0
; NumSGPRsForWavesPerEU: 4
; NumVGPRsForWavesPerEU: 1
; AccumOffset: 4
; Occupancy: 8
; WaveLimiterHint : 0
; COMPUTE_PGM_RSRC2:SCRATCH_EN: 0
; COMPUTE_PGM_RSRC2:USER_SGPR: 6
; COMPUTE_PGM_RSRC2:TRAP_HANDLER: 0
; COMPUTE_PGM_RSRC2:TGID_X_EN: 1
; COMPUTE_PGM_RSRC2:TGID_Y_EN: 0
; COMPUTE_PGM_RSRC2:TGID_Z_EN: 0
; COMPUTE_PGM_RSRC2:TIDIG_COMP_CNT: 0
; COMPUTE_PGM_RSRC3_GFX90A:ACCUM_OFFSET: 0
; COMPUTE_PGM_RSRC3_GFX90A:TG_SPLIT: 0
	.section	.text._ZN7rocprim17ROCPRIM_400000_NS6detail17trampoline_kernelINS0_14default_configENS1_20scan_config_selectorIN3c107complexIfEEEEZZNS1_9scan_implILNS1_25lookback_scan_determinismE0ELb0ELb0ES3_PKS7_PS7_S7_ZZZN2at6native31launch_logcumsumexp_cuda_kernelERKNSE_10TensorBaseESI_lENKUlvE_clEvENKUlvE2_clEvEUlS7_S7_E_S7_EEDaPvRmT3_T4_T5_mT6_P12ihipStream_tbENKUlT_T0_E_clISt17integral_constantIbLb0EESZ_EEDaSU_SV_EUlSU_E0_NS1_11comp_targetILNS1_3genE2ELNS1_11target_archE906ELNS1_3gpuE6ELNS1_3repE0EEENS1_30default_config_static_selectorELNS0_4arch9wavefront6targetE1EEEvT1_,"axG",@progbits,_ZN7rocprim17ROCPRIM_400000_NS6detail17trampoline_kernelINS0_14default_configENS1_20scan_config_selectorIN3c107complexIfEEEEZZNS1_9scan_implILNS1_25lookback_scan_determinismE0ELb0ELb0ES3_PKS7_PS7_S7_ZZZN2at6native31launch_logcumsumexp_cuda_kernelERKNSE_10TensorBaseESI_lENKUlvE_clEvENKUlvE2_clEvEUlS7_S7_E_S7_EEDaPvRmT3_T4_T5_mT6_P12ihipStream_tbENKUlT_T0_E_clISt17integral_constantIbLb0EESZ_EEDaSU_SV_EUlSU_E0_NS1_11comp_targetILNS1_3genE2ELNS1_11target_archE906ELNS1_3gpuE6ELNS1_3repE0EEENS1_30default_config_static_selectorELNS0_4arch9wavefront6targetE1EEEvT1_,comdat
	.globl	_ZN7rocprim17ROCPRIM_400000_NS6detail17trampoline_kernelINS0_14default_configENS1_20scan_config_selectorIN3c107complexIfEEEEZZNS1_9scan_implILNS1_25lookback_scan_determinismE0ELb0ELb0ES3_PKS7_PS7_S7_ZZZN2at6native31launch_logcumsumexp_cuda_kernelERKNSE_10TensorBaseESI_lENKUlvE_clEvENKUlvE2_clEvEUlS7_S7_E_S7_EEDaPvRmT3_T4_T5_mT6_P12ihipStream_tbENKUlT_T0_E_clISt17integral_constantIbLb0EESZ_EEDaSU_SV_EUlSU_E0_NS1_11comp_targetILNS1_3genE2ELNS1_11target_archE906ELNS1_3gpuE6ELNS1_3repE0EEENS1_30default_config_static_selectorELNS0_4arch9wavefront6targetE1EEEvT1_ ; -- Begin function _ZN7rocprim17ROCPRIM_400000_NS6detail17trampoline_kernelINS0_14default_configENS1_20scan_config_selectorIN3c107complexIfEEEEZZNS1_9scan_implILNS1_25lookback_scan_determinismE0ELb0ELb0ES3_PKS7_PS7_S7_ZZZN2at6native31launch_logcumsumexp_cuda_kernelERKNSE_10TensorBaseESI_lENKUlvE_clEvENKUlvE2_clEvEUlS7_S7_E_S7_EEDaPvRmT3_T4_T5_mT6_P12ihipStream_tbENKUlT_T0_E_clISt17integral_constantIbLb0EESZ_EEDaSU_SV_EUlSU_E0_NS1_11comp_targetILNS1_3genE2ELNS1_11target_archE906ELNS1_3gpuE6ELNS1_3repE0EEENS1_30default_config_static_selectorELNS0_4arch9wavefront6targetE1EEEvT1_
	.p2align	8
	.type	_ZN7rocprim17ROCPRIM_400000_NS6detail17trampoline_kernelINS0_14default_configENS1_20scan_config_selectorIN3c107complexIfEEEEZZNS1_9scan_implILNS1_25lookback_scan_determinismE0ELb0ELb0ES3_PKS7_PS7_S7_ZZZN2at6native31launch_logcumsumexp_cuda_kernelERKNSE_10TensorBaseESI_lENKUlvE_clEvENKUlvE2_clEvEUlS7_S7_E_S7_EEDaPvRmT3_T4_T5_mT6_P12ihipStream_tbENKUlT_T0_E_clISt17integral_constantIbLb0EESZ_EEDaSU_SV_EUlSU_E0_NS1_11comp_targetILNS1_3genE2ELNS1_11target_archE906ELNS1_3gpuE6ELNS1_3repE0EEENS1_30default_config_static_selectorELNS0_4arch9wavefront6targetE1EEEvT1_,@function
_ZN7rocprim17ROCPRIM_400000_NS6detail17trampoline_kernelINS0_14default_configENS1_20scan_config_selectorIN3c107complexIfEEEEZZNS1_9scan_implILNS1_25lookback_scan_determinismE0ELb0ELb0ES3_PKS7_PS7_S7_ZZZN2at6native31launch_logcumsumexp_cuda_kernelERKNSE_10TensorBaseESI_lENKUlvE_clEvENKUlvE2_clEvEUlS7_S7_E_S7_EEDaPvRmT3_T4_T5_mT6_P12ihipStream_tbENKUlT_T0_E_clISt17integral_constantIbLb0EESZ_EEDaSU_SV_EUlSU_E0_NS1_11comp_targetILNS1_3genE2ELNS1_11target_archE906ELNS1_3gpuE6ELNS1_3repE0EEENS1_30default_config_static_selectorELNS0_4arch9wavefront6targetE1EEEvT1_: ; @_ZN7rocprim17ROCPRIM_400000_NS6detail17trampoline_kernelINS0_14default_configENS1_20scan_config_selectorIN3c107complexIfEEEEZZNS1_9scan_implILNS1_25lookback_scan_determinismE0ELb0ELb0ES3_PKS7_PS7_S7_ZZZN2at6native31launch_logcumsumexp_cuda_kernelERKNSE_10TensorBaseESI_lENKUlvE_clEvENKUlvE2_clEvEUlS7_S7_E_S7_EEDaPvRmT3_T4_T5_mT6_P12ihipStream_tbENKUlT_T0_E_clISt17integral_constantIbLb0EESZ_EEDaSU_SV_EUlSU_E0_NS1_11comp_targetILNS1_3genE2ELNS1_11target_archE906ELNS1_3gpuE6ELNS1_3repE0EEENS1_30default_config_static_selectorELNS0_4arch9wavefront6targetE1EEEvT1_
; %bb.0:
	.section	.rodata,"a",@progbits
	.p2align	6, 0x0
	.amdhsa_kernel _ZN7rocprim17ROCPRIM_400000_NS6detail17trampoline_kernelINS0_14default_configENS1_20scan_config_selectorIN3c107complexIfEEEEZZNS1_9scan_implILNS1_25lookback_scan_determinismE0ELb0ELb0ES3_PKS7_PS7_S7_ZZZN2at6native31launch_logcumsumexp_cuda_kernelERKNSE_10TensorBaseESI_lENKUlvE_clEvENKUlvE2_clEvEUlS7_S7_E_S7_EEDaPvRmT3_T4_T5_mT6_P12ihipStream_tbENKUlT_T0_E_clISt17integral_constantIbLb0EESZ_EEDaSU_SV_EUlSU_E0_NS1_11comp_targetILNS1_3genE2ELNS1_11target_archE906ELNS1_3gpuE6ELNS1_3repE0EEENS1_30default_config_static_selectorELNS0_4arch9wavefront6targetE1EEEvT1_
		.amdhsa_group_segment_fixed_size 0
		.amdhsa_private_segment_fixed_size 0
		.amdhsa_kernarg_size 40
		.amdhsa_user_sgpr_count 6
		.amdhsa_user_sgpr_private_segment_buffer 1
		.amdhsa_user_sgpr_dispatch_ptr 0
		.amdhsa_user_sgpr_queue_ptr 0
		.amdhsa_user_sgpr_kernarg_segment_ptr 1
		.amdhsa_user_sgpr_dispatch_id 0
		.amdhsa_user_sgpr_flat_scratch_init 0
		.amdhsa_user_sgpr_kernarg_preload_length 0
		.amdhsa_user_sgpr_kernarg_preload_offset 0
		.amdhsa_user_sgpr_private_segment_size 0
		.amdhsa_uses_dynamic_stack 0
		.amdhsa_system_sgpr_private_segment_wavefront_offset 0
		.amdhsa_system_sgpr_workgroup_id_x 1
		.amdhsa_system_sgpr_workgroup_id_y 0
		.amdhsa_system_sgpr_workgroup_id_z 0
		.amdhsa_system_sgpr_workgroup_info 0
		.amdhsa_system_vgpr_workitem_id 0
		.amdhsa_next_free_vgpr 1
		.amdhsa_next_free_sgpr 0
		.amdhsa_accum_offset 4
		.amdhsa_reserve_vcc 0
		.amdhsa_reserve_flat_scratch 0
		.amdhsa_float_round_mode_32 0
		.amdhsa_float_round_mode_16_64 0
		.amdhsa_float_denorm_mode_32 3
		.amdhsa_float_denorm_mode_16_64 3
		.amdhsa_dx10_clamp 1
		.amdhsa_ieee_mode 1
		.amdhsa_fp16_overflow 0
		.amdhsa_tg_split 0
		.amdhsa_exception_fp_ieee_invalid_op 0
		.amdhsa_exception_fp_denorm_src 0
		.amdhsa_exception_fp_ieee_div_zero 0
		.amdhsa_exception_fp_ieee_overflow 0
		.amdhsa_exception_fp_ieee_underflow 0
		.amdhsa_exception_fp_ieee_inexact 0
		.amdhsa_exception_int_div_zero 0
	.end_amdhsa_kernel
	.section	.text._ZN7rocprim17ROCPRIM_400000_NS6detail17trampoline_kernelINS0_14default_configENS1_20scan_config_selectorIN3c107complexIfEEEEZZNS1_9scan_implILNS1_25lookback_scan_determinismE0ELb0ELb0ES3_PKS7_PS7_S7_ZZZN2at6native31launch_logcumsumexp_cuda_kernelERKNSE_10TensorBaseESI_lENKUlvE_clEvENKUlvE2_clEvEUlS7_S7_E_S7_EEDaPvRmT3_T4_T5_mT6_P12ihipStream_tbENKUlT_T0_E_clISt17integral_constantIbLb0EESZ_EEDaSU_SV_EUlSU_E0_NS1_11comp_targetILNS1_3genE2ELNS1_11target_archE906ELNS1_3gpuE6ELNS1_3repE0EEENS1_30default_config_static_selectorELNS0_4arch9wavefront6targetE1EEEvT1_,"axG",@progbits,_ZN7rocprim17ROCPRIM_400000_NS6detail17trampoline_kernelINS0_14default_configENS1_20scan_config_selectorIN3c107complexIfEEEEZZNS1_9scan_implILNS1_25lookback_scan_determinismE0ELb0ELb0ES3_PKS7_PS7_S7_ZZZN2at6native31launch_logcumsumexp_cuda_kernelERKNSE_10TensorBaseESI_lENKUlvE_clEvENKUlvE2_clEvEUlS7_S7_E_S7_EEDaPvRmT3_T4_T5_mT6_P12ihipStream_tbENKUlT_T0_E_clISt17integral_constantIbLb0EESZ_EEDaSU_SV_EUlSU_E0_NS1_11comp_targetILNS1_3genE2ELNS1_11target_archE906ELNS1_3gpuE6ELNS1_3repE0EEENS1_30default_config_static_selectorELNS0_4arch9wavefront6targetE1EEEvT1_,comdat
.Lfunc_end285:
	.size	_ZN7rocprim17ROCPRIM_400000_NS6detail17trampoline_kernelINS0_14default_configENS1_20scan_config_selectorIN3c107complexIfEEEEZZNS1_9scan_implILNS1_25lookback_scan_determinismE0ELb0ELb0ES3_PKS7_PS7_S7_ZZZN2at6native31launch_logcumsumexp_cuda_kernelERKNSE_10TensorBaseESI_lENKUlvE_clEvENKUlvE2_clEvEUlS7_S7_E_S7_EEDaPvRmT3_T4_T5_mT6_P12ihipStream_tbENKUlT_T0_E_clISt17integral_constantIbLb0EESZ_EEDaSU_SV_EUlSU_E0_NS1_11comp_targetILNS1_3genE2ELNS1_11target_archE906ELNS1_3gpuE6ELNS1_3repE0EEENS1_30default_config_static_selectorELNS0_4arch9wavefront6targetE1EEEvT1_, .Lfunc_end285-_ZN7rocprim17ROCPRIM_400000_NS6detail17trampoline_kernelINS0_14default_configENS1_20scan_config_selectorIN3c107complexIfEEEEZZNS1_9scan_implILNS1_25lookback_scan_determinismE0ELb0ELb0ES3_PKS7_PS7_S7_ZZZN2at6native31launch_logcumsumexp_cuda_kernelERKNSE_10TensorBaseESI_lENKUlvE_clEvENKUlvE2_clEvEUlS7_S7_E_S7_EEDaPvRmT3_T4_T5_mT6_P12ihipStream_tbENKUlT_T0_E_clISt17integral_constantIbLb0EESZ_EEDaSU_SV_EUlSU_E0_NS1_11comp_targetILNS1_3genE2ELNS1_11target_archE906ELNS1_3gpuE6ELNS1_3repE0EEENS1_30default_config_static_selectorELNS0_4arch9wavefront6targetE1EEEvT1_
                                        ; -- End function
	.section	.AMDGPU.csdata,"",@progbits
; Kernel info:
; codeLenInByte = 0
; NumSgprs: 4
; NumVgprs: 0
; NumAgprs: 0
; TotalNumVgprs: 0
; ScratchSize: 0
; MemoryBound: 0
; FloatMode: 240
; IeeeMode: 1
; LDSByteSize: 0 bytes/workgroup (compile time only)
; SGPRBlocks: 0
; VGPRBlocks: 0
; NumSGPRsForWavesPerEU: 4
; NumVGPRsForWavesPerEU: 1
; AccumOffset: 4
; Occupancy: 8
; WaveLimiterHint : 0
; COMPUTE_PGM_RSRC2:SCRATCH_EN: 0
; COMPUTE_PGM_RSRC2:USER_SGPR: 6
; COMPUTE_PGM_RSRC2:TRAP_HANDLER: 0
; COMPUTE_PGM_RSRC2:TGID_X_EN: 1
; COMPUTE_PGM_RSRC2:TGID_Y_EN: 0
; COMPUTE_PGM_RSRC2:TGID_Z_EN: 0
; COMPUTE_PGM_RSRC2:TIDIG_COMP_CNT: 0
; COMPUTE_PGM_RSRC3_GFX90A:ACCUM_OFFSET: 0
; COMPUTE_PGM_RSRC3_GFX90A:TG_SPLIT: 0
	.section	.text._ZN7rocprim17ROCPRIM_400000_NS6detail17trampoline_kernelINS0_14default_configENS1_20scan_config_selectorIN3c107complexIfEEEEZZNS1_9scan_implILNS1_25lookback_scan_determinismE0ELb0ELb0ES3_PKS7_PS7_S7_ZZZN2at6native31launch_logcumsumexp_cuda_kernelERKNSE_10TensorBaseESI_lENKUlvE_clEvENKUlvE2_clEvEUlS7_S7_E_S7_EEDaPvRmT3_T4_T5_mT6_P12ihipStream_tbENKUlT_T0_E_clISt17integral_constantIbLb0EESZ_EEDaSU_SV_EUlSU_E0_NS1_11comp_targetILNS1_3genE10ELNS1_11target_archE1201ELNS1_3gpuE5ELNS1_3repE0EEENS1_30default_config_static_selectorELNS0_4arch9wavefront6targetE1EEEvT1_,"axG",@progbits,_ZN7rocprim17ROCPRIM_400000_NS6detail17trampoline_kernelINS0_14default_configENS1_20scan_config_selectorIN3c107complexIfEEEEZZNS1_9scan_implILNS1_25lookback_scan_determinismE0ELb0ELb0ES3_PKS7_PS7_S7_ZZZN2at6native31launch_logcumsumexp_cuda_kernelERKNSE_10TensorBaseESI_lENKUlvE_clEvENKUlvE2_clEvEUlS7_S7_E_S7_EEDaPvRmT3_T4_T5_mT6_P12ihipStream_tbENKUlT_T0_E_clISt17integral_constantIbLb0EESZ_EEDaSU_SV_EUlSU_E0_NS1_11comp_targetILNS1_3genE10ELNS1_11target_archE1201ELNS1_3gpuE5ELNS1_3repE0EEENS1_30default_config_static_selectorELNS0_4arch9wavefront6targetE1EEEvT1_,comdat
	.globl	_ZN7rocprim17ROCPRIM_400000_NS6detail17trampoline_kernelINS0_14default_configENS1_20scan_config_selectorIN3c107complexIfEEEEZZNS1_9scan_implILNS1_25lookback_scan_determinismE0ELb0ELb0ES3_PKS7_PS7_S7_ZZZN2at6native31launch_logcumsumexp_cuda_kernelERKNSE_10TensorBaseESI_lENKUlvE_clEvENKUlvE2_clEvEUlS7_S7_E_S7_EEDaPvRmT3_T4_T5_mT6_P12ihipStream_tbENKUlT_T0_E_clISt17integral_constantIbLb0EESZ_EEDaSU_SV_EUlSU_E0_NS1_11comp_targetILNS1_3genE10ELNS1_11target_archE1201ELNS1_3gpuE5ELNS1_3repE0EEENS1_30default_config_static_selectorELNS0_4arch9wavefront6targetE1EEEvT1_ ; -- Begin function _ZN7rocprim17ROCPRIM_400000_NS6detail17trampoline_kernelINS0_14default_configENS1_20scan_config_selectorIN3c107complexIfEEEEZZNS1_9scan_implILNS1_25lookback_scan_determinismE0ELb0ELb0ES3_PKS7_PS7_S7_ZZZN2at6native31launch_logcumsumexp_cuda_kernelERKNSE_10TensorBaseESI_lENKUlvE_clEvENKUlvE2_clEvEUlS7_S7_E_S7_EEDaPvRmT3_T4_T5_mT6_P12ihipStream_tbENKUlT_T0_E_clISt17integral_constantIbLb0EESZ_EEDaSU_SV_EUlSU_E0_NS1_11comp_targetILNS1_3genE10ELNS1_11target_archE1201ELNS1_3gpuE5ELNS1_3repE0EEENS1_30default_config_static_selectorELNS0_4arch9wavefront6targetE1EEEvT1_
	.p2align	8
	.type	_ZN7rocprim17ROCPRIM_400000_NS6detail17trampoline_kernelINS0_14default_configENS1_20scan_config_selectorIN3c107complexIfEEEEZZNS1_9scan_implILNS1_25lookback_scan_determinismE0ELb0ELb0ES3_PKS7_PS7_S7_ZZZN2at6native31launch_logcumsumexp_cuda_kernelERKNSE_10TensorBaseESI_lENKUlvE_clEvENKUlvE2_clEvEUlS7_S7_E_S7_EEDaPvRmT3_T4_T5_mT6_P12ihipStream_tbENKUlT_T0_E_clISt17integral_constantIbLb0EESZ_EEDaSU_SV_EUlSU_E0_NS1_11comp_targetILNS1_3genE10ELNS1_11target_archE1201ELNS1_3gpuE5ELNS1_3repE0EEENS1_30default_config_static_selectorELNS0_4arch9wavefront6targetE1EEEvT1_,@function
_ZN7rocprim17ROCPRIM_400000_NS6detail17trampoline_kernelINS0_14default_configENS1_20scan_config_selectorIN3c107complexIfEEEEZZNS1_9scan_implILNS1_25lookback_scan_determinismE0ELb0ELb0ES3_PKS7_PS7_S7_ZZZN2at6native31launch_logcumsumexp_cuda_kernelERKNSE_10TensorBaseESI_lENKUlvE_clEvENKUlvE2_clEvEUlS7_S7_E_S7_EEDaPvRmT3_T4_T5_mT6_P12ihipStream_tbENKUlT_T0_E_clISt17integral_constantIbLb0EESZ_EEDaSU_SV_EUlSU_E0_NS1_11comp_targetILNS1_3genE10ELNS1_11target_archE1201ELNS1_3gpuE5ELNS1_3repE0EEENS1_30default_config_static_selectorELNS0_4arch9wavefront6targetE1EEEvT1_: ; @_ZN7rocprim17ROCPRIM_400000_NS6detail17trampoline_kernelINS0_14default_configENS1_20scan_config_selectorIN3c107complexIfEEEEZZNS1_9scan_implILNS1_25lookback_scan_determinismE0ELb0ELb0ES3_PKS7_PS7_S7_ZZZN2at6native31launch_logcumsumexp_cuda_kernelERKNSE_10TensorBaseESI_lENKUlvE_clEvENKUlvE2_clEvEUlS7_S7_E_S7_EEDaPvRmT3_T4_T5_mT6_P12ihipStream_tbENKUlT_T0_E_clISt17integral_constantIbLb0EESZ_EEDaSU_SV_EUlSU_E0_NS1_11comp_targetILNS1_3genE10ELNS1_11target_archE1201ELNS1_3gpuE5ELNS1_3repE0EEENS1_30default_config_static_selectorELNS0_4arch9wavefront6targetE1EEEvT1_
; %bb.0:
	.section	.rodata,"a",@progbits
	.p2align	6, 0x0
	.amdhsa_kernel _ZN7rocprim17ROCPRIM_400000_NS6detail17trampoline_kernelINS0_14default_configENS1_20scan_config_selectorIN3c107complexIfEEEEZZNS1_9scan_implILNS1_25lookback_scan_determinismE0ELb0ELb0ES3_PKS7_PS7_S7_ZZZN2at6native31launch_logcumsumexp_cuda_kernelERKNSE_10TensorBaseESI_lENKUlvE_clEvENKUlvE2_clEvEUlS7_S7_E_S7_EEDaPvRmT3_T4_T5_mT6_P12ihipStream_tbENKUlT_T0_E_clISt17integral_constantIbLb0EESZ_EEDaSU_SV_EUlSU_E0_NS1_11comp_targetILNS1_3genE10ELNS1_11target_archE1201ELNS1_3gpuE5ELNS1_3repE0EEENS1_30default_config_static_selectorELNS0_4arch9wavefront6targetE1EEEvT1_
		.amdhsa_group_segment_fixed_size 0
		.amdhsa_private_segment_fixed_size 0
		.amdhsa_kernarg_size 40
		.amdhsa_user_sgpr_count 6
		.amdhsa_user_sgpr_private_segment_buffer 1
		.amdhsa_user_sgpr_dispatch_ptr 0
		.amdhsa_user_sgpr_queue_ptr 0
		.amdhsa_user_sgpr_kernarg_segment_ptr 1
		.amdhsa_user_sgpr_dispatch_id 0
		.amdhsa_user_sgpr_flat_scratch_init 0
		.amdhsa_user_sgpr_kernarg_preload_length 0
		.amdhsa_user_sgpr_kernarg_preload_offset 0
		.amdhsa_user_sgpr_private_segment_size 0
		.amdhsa_uses_dynamic_stack 0
		.amdhsa_system_sgpr_private_segment_wavefront_offset 0
		.amdhsa_system_sgpr_workgroup_id_x 1
		.amdhsa_system_sgpr_workgroup_id_y 0
		.amdhsa_system_sgpr_workgroup_id_z 0
		.amdhsa_system_sgpr_workgroup_info 0
		.amdhsa_system_vgpr_workitem_id 0
		.amdhsa_next_free_vgpr 1
		.amdhsa_next_free_sgpr 0
		.amdhsa_accum_offset 4
		.amdhsa_reserve_vcc 0
		.amdhsa_reserve_flat_scratch 0
		.amdhsa_float_round_mode_32 0
		.amdhsa_float_round_mode_16_64 0
		.amdhsa_float_denorm_mode_32 3
		.amdhsa_float_denorm_mode_16_64 3
		.amdhsa_dx10_clamp 1
		.amdhsa_ieee_mode 1
		.amdhsa_fp16_overflow 0
		.amdhsa_tg_split 0
		.amdhsa_exception_fp_ieee_invalid_op 0
		.amdhsa_exception_fp_denorm_src 0
		.amdhsa_exception_fp_ieee_div_zero 0
		.amdhsa_exception_fp_ieee_overflow 0
		.amdhsa_exception_fp_ieee_underflow 0
		.amdhsa_exception_fp_ieee_inexact 0
		.amdhsa_exception_int_div_zero 0
	.end_amdhsa_kernel
	.section	.text._ZN7rocprim17ROCPRIM_400000_NS6detail17trampoline_kernelINS0_14default_configENS1_20scan_config_selectorIN3c107complexIfEEEEZZNS1_9scan_implILNS1_25lookback_scan_determinismE0ELb0ELb0ES3_PKS7_PS7_S7_ZZZN2at6native31launch_logcumsumexp_cuda_kernelERKNSE_10TensorBaseESI_lENKUlvE_clEvENKUlvE2_clEvEUlS7_S7_E_S7_EEDaPvRmT3_T4_T5_mT6_P12ihipStream_tbENKUlT_T0_E_clISt17integral_constantIbLb0EESZ_EEDaSU_SV_EUlSU_E0_NS1_11comp_targetILNS1_3genE10ELNS1_11target_archE1201ELNS1_3gpuE5ELNS1_3repE0EEENS1_30default_config_static_selectorELNS0_4arch9wavefront6targetE1EEEvT1_,"axG",@progbits,_ZN7rocprim17ROCPRIM_400000_NS6detail17trampoline_kernelINS0_14default_configENS1_20scan_config_selectorIN3c107complexIfEEEEZZNS1_9scan_implILNS1_25lookback_scan_determinismE0ELb0ELb0ES3_PKS7_PS7_S7_ZZZN2at6native31launch_logcumsumexp_cuda_kernelERKNSE_10TensorBaseESI_lENKUlvE_clEvENKUlvE2_clEvEUlS7_S7_E_S7_EEDaPvRmT3_T4_T5_mT6_P12ihipStream_tbENKUlT_T0_E_clISt17integral_constantIbLb0EESZ_EEDaSU_SV_EUlSU_E0_NS1_11comp_targetILNS1_3genE10ELNS1_11target_archE1201ELNS1_3gpuE5ELNS1_3repE0EEENS1_30default_config_static_selectorELNS0_4arch9wavefront6targetE1EEEvT1_,comdat
.Lfunc_end286:
	.size	_ZN7rocprim17ROCPRIM_400000_NS6detail17trampoline_kernelINS0_14default_configENS1_20scan_config_selectorIN3c107complexIfEEEEZZNS1_9scan_implILNS1_25lookback_scan_determinismE0ELb0ELb0ES3_PKS7_PS7_S7_ZZZN2at6native31launch_logcumsumexp_cuda_kernelERKNSE_10TensorBaseESI_lENKUlvE_clEvENKUlvE2_clEvEUlS7_S7_E_S7_EEDaPvRmT3_T4_T5_mT6_P12ihipStream_tbENKUlT_T0_E_clISt17integral_constantIbLb0EESZ_EEDaSU_SV_EUlSU_E0_NS1_11comp_targetILNS1_3genE10ELNS1_11target_archE1201ELNS1_3gpuE5ELNS1_3repE0EEENS1_30default_config_static_selectorELNS0_4arch9wavefront6targetE1EEEvT1_, .Lfunc_end286-_ZN7rocprim17ROCPRIM_400000_NS6detail17trampoline_kernelINS0_14default_configENS1_20scan_config_selectorIN3c107complexIfEEEEZZNS1_9scan_implILNS1_25lookback_scan_determinismE0ELb0ELb0ES3_PKS7_PS7_S7_ZZZN2at6native31launch_logcumsumexp_cuda_kernelERKNSE_10TensorBaseESI_lENKUlvE_clEvENKUlvE2_clEvEUlS7_S7_E_S7_EEDaPvRmT3_T4_T5_mT6_P12ihipStream_tbENKUlT_T0_E_clISt17integral_constantIbLb0EESZ_EEDaSU_SV_EUlSU_E0_NS1_11comp_targetILNS1_3genE10ELNS1_11target_archE1201ELNS1_3gpuE5ELNS1_3repE0EEENS1_30default_config_static_selectorELNS0_4arch9wavefront6targetE1EEEvT1_
                                        ; -- End function
	.section	.AMDGPU.csdata,"",@progbits
; Kernel info:
; codeLenInByte = 0
; NumSgprs: 4
; NumVgprs: 0
; NumAgprs: 0
; TotalNumVgprs: 0
; ScratchSize: 0
; MemoryBound: 0
; FloatMode: 240
; IeeeMode: 1
; LDSByteSize: 0 bytes/workgroup (compile time only)
; SGPRBlocks: 0
; VGPRBlocks: 0
; NumSGPRsForWavesPerEU: 4
; NumVGPRsForWavesPerEU: 1
; AccumOffset: 4
; Occupancy: 8
; WaveLimiterHint : 0
; COMPUTE_PGM_RSRC2:SCRATCH_EN: 0
; COMPUTE_PGM_RSRC2:USER_SGPR: 6
; COMPUTE_PGM_RSRC2:TRAP_HANDLER: 0
; COMPUTE_PGM_RSRC2:TGID_X_EN: 1
; COMPUTE_PGM_RSRC2:TGID_Y_EN: 0
; COMPUTE_PGM_RSRC2:TGID_Z_EN: 0
; COMPUTE_PGM_RSRC2:TIDIG_COMP_CNT: 0
; COMPUTE_PGM_RSRC3_GFX90A:ACCUM_OFFSET: 0
; COMPUTE_PGM_RSRC3_GFX90A:TG_SPLIT: 0
	.section	.text._ZN7rocprim17ROCPRIM_400000_NS6detail17trampoline_kernelINS0_14default_configENS1_20scan_config_selectorIN3c107complexIfEEEEZZNS1_9scan_implILNS1_25lookback_scan_determinismE0ELb0ELb0ES3_PKS7_PS7_S7_ZZZN2at6native31launch_logcumsumexp_cuda_kernelERKNSE_10TensorBaseESI_lENKUlvE_clEvENKUlvE2_clEvEUlS7_S7_E_S7_EEDaPvRmT3_T4_T5_mT6_P12ihipStream_tbENKUlT_T0_E_clISt17integral_constantIbLb0EESZ_EEDaSU_SV_EUlSU_E0_NS1_11comp_targetILNS1_3genE10ELNS1_11target_archE1200ELNS1_3gpuE4ELNS1_3repE0EEENS1_30default_config_static_selectorELNS0_4arch9wavefront6targetE1EEEvT1_,"axG",@progbits,_ZN7rocprim17ROCPRIM_400000_NS6detail17trampoline_kernelINS0_14default_configENS1_20scan_config_selectorIN3c107complexIfEEEEZZNS1_9scan_implILNS1_25lookback_scan_determinismE0ELb0ELb0ES3_PKS7_PS7_S7_ZZZN2at6native31launch_logcumsumexp_cuda_kernelERKNSE_10TensorBaseESI_lENKUlvE_clEvENKUlvE2_clEvEUlS7_S7_E_S7_EEDaPvRmT3_T4_T5_mT6_P12ihipStream_tbENKUlT_T0_E_clISt17integral_constantIbLb0EESZ_EEDaSU_SV_EUlSU_E0_NS1_11comp_targetILNS1_3genE10ELNS1_11target_archE1200ELNS1_3gpuE4ELNS1_3repE0EEENS1_30default_config_static_selectorELNS0_4arch9wavefront6targetE1EEEvT1_,comdat
	.globl	_ZN7rocprim17ROCPRIM_400000_NS6detail17trampoline_kernelINS0_14default_configENS1_20scan_config_selectorIN3c107complexIfEEEEZZNS1_9scan_implILNS1_25lookback_scan_determinismE0ELb0ELb0ES3_PKS7_PS7_S7_ZZZN2at6native31launch_logcumsumexp_cuda_kernelERKNSE_10TensorBaseESI_lENKUlvE_clEvENKUlvE2_clEvEUlS7_S7_E_S7_EEDaPvRmT3_T4_T5_mT6_P12ihipStream_tbENKUlT_T0_E_clISt17integral_constantIbLb0EESZ_EEDaSU_SV_EUlSU_E0_NS1_11comp_targetILNS1_3genE10ELNS1_11target_archE1200ELNS1_3gpuE4ELNS1_3repE0EEENS1_30default_config_static_selectorELNS0_4arch9wavefront6targetE1EEEvT1_ ; -- Begin function _ZN7rocprim17ROCPRIM_400000_NS6detail17trampoline_kernelINS0_14default_configENS1_20scan_config_selectorIN3c107complexIfEEEEZZNS1_9scan_implILNS1_25lookback_scan_determinismE0ELb0ELb0ES3_PKS7_PS7_S7_ZZZN2at6native31launch_logcumsumexp_cuda_kernelERKNSE_10TensorBaseESI_lENKUlvE_clEvENKUlvE2_clEvEUlS7_S7_E_S7_EEDaPvRmT3_T4_T5_mT6_P12ihipStream_tbENKUlT_T0_E_clISt17integral_constantIbLb0EESZ_EEDaSU_SV_EUlSU_E0_NS1_11comp_targetILNS1_3genE10ELNS1_11target_archE1200ELNS1_3gpuE4ELNS1_3repE0EEENS1_30default_config_static_selectorELNS0_4arch9wavefront6targetE1EEEvT1_
	.p2align	8
	.type	_ZN7rocprim17ROCPRIM_400000_NS6detail17trampoline_kernelINS0_14default_configENS1_20scan_config_selectorIN3c107complexIfEEEEZZNS1_9scan_implILNS1_25lookback_scan_determinismE0ELb0ELb0ES3_PKS7_PS7_S7_ZZZN2at6native31launch_logcumsumexp_cuda_kernelERKNSE_10TensorBaseESI_lENKUlvE_clEvENKUlvE2_clEvEUlS7_S7_E_S7_EEDaPvRmT3_T4_T5_mT6_P12ihipStream_tbENKUlT_T0_E_clISt17integral_constantIbLb0EESZ_EEDaSU_SV_EUlSU_E0_NS1_11comp_targetILNS1_3genE10ELNS1_11target_archE1200ELNS1_3gpuE4ELNS1_3repE0EEENS1_30default_config_static_selectorELNS0_4arch9wavefront6targetE1EEEvT1_,@function
_ZN7rocprim17ROCPRIM_400000_NS6detail17trampoline_kernelINS0_14default_configENS1_20scan_config_selectorIN3c107complexIfEEEEZZNS1_9scan_implILNS1_25lookback_scan_determinismE0ELb0ELb0ES3_PKS7_PS7_S7_ZZZN2at6native31launch_logcumsumexp_cuda_kernelERKNSE_10TensorBaseESI_lENKUlvE_clEvENKUlvE2_clEvEUlS7_S7_E_S7_EEDaPvRmT3_T4_T5_mT6_P12ihipStream_tbENKUlT_T0_E_clISt17integral_constantIbLb0EESZ_EEDaSU_SV_EUlSU_E0_NS1_11comp_targetILNS1_3genE10ELNS1_11target_archE1200ELNS1_3gpuE4ELNS1_3repE0EEENS1_30default_config_static_selectorELNS0_4arch9wavefront6targetE1EEEvT1_: ; @_ZN7rocprim17ROCPRIM_400000_NS6detail17trampoline_kernelINS0_14default_configENS1_20scan_config_selectorIN3c107complexIfEEEEZZNS1_9scan_implILNS1_25lookback_scan_determinismE0ELb0ELb0ES3_PKS7_PS7_S7_ZZZN2at6native31launch_logcumsumexp_cuda_kernelERKNSE_10TensorBaseESI_lENKUlvE_clEvENKUlvE2_clEvEUlS7_S7_E_S7_EEDaPvRmT3_T4_T5_mT6_P12ihipStream_tbENKUlT_T0_E_clISt17integral_constantIbLb0EESZ_EEDaSU_SV_EUlSU_E0_NS1_11comp_targetILNS1_3genE10ELNS1_11target_archE1200ELNS1_3gpuE4ELNS1_3repE0EEENS1_30default_config_static_selectorELNS0_4arch9wavefront6targetE1EEEvT1_
; %bb.0:
	.section	.rodata,"a",@progbits
	.p2align	6, 0x0
	.amdhsa_kernel _ZN7rocprim17ROCPRIM_400000_NS6detail17trampoline_kernelINS0_14default_configENS1_20scan_config_selectorIN3c107complexIfEEEEZZNS1_9scan_implILNS1_25lookback_scan_determinismE0ELb0ELb0ES3_PKS7_PS7_S7_ZZZN2at6native31launch_logcumsumexp_cuda_kernelERKNSE_10TensorBaseESI_lENKUlvE_clEvENKUlvE2_clEvEUlS7_S7_E_S7_EEDaPvRmT3_T4_T5_mT6_P12ihipStream_tbENKUlT_T0_E_clISt17integral_constantIbLb0EESZ_EEDaSU_SV_EUlSU_E0_NS1_11comp_targetILNS1_3genE10ELNS1_11target_archE1200ELNS1_3gpuE4ELNS1_3repE0EEENS1_30default_config_static_selectorELNS0_4arch9wavefront6targetE1EEEvT1_
		.amdhsa_group_segment_fixed_size 0
		.amdhsa_private_segment_fixed_size 0
		.amdhsa_kernarg_size 40
		.amdhsa_user_sgpr_count 6
		.amdhsa_user_sgpr_private_segment_buffer 1
		.amdhsa_user_sgpr_dispatch_ptr 0
		.amdhsa_user_sgpr_queue_ptr 0
		.amdhsa_user_sgpr_kernarg_segment_ptr 1
		.amdhsa_user_sgpr_dispatch_id 0
		.amdhsa_user_sgpr_flat_scratch_init 0
		.amdhsa_user_sgpr_kernarg_preload_length 0
		.amdhsa_user_sgpr_kernarg_preload_offset 0
		.amdhsa_user_sgpr_private_segment_size 0
		.amdhsa_uses_dynamic_stack 0
		.amdhsa_system_sgpr_private_segment_wavefront_offset 0
		.amdhsa_system_sgpr_workgroup_id_x 1
		.amdhsa_system_sgpr_workgroup_id_y 0
		.amdhsa_system_sgpr_workgroup_id_z 0
		.amdhsa_system_sgpr_workgroup_info 0
		.amdhsa_system_vgpr_workitem_id 0
		.amdhsa_next_free_vgpr 1
		.amdhsa_next_free_sgpr 0
		.amdhsa_accum_offset 4
		.amdhsa_reserve_vcc 0
		.amdhsa_reserve_flat_scratch 0
		.amdhsa_float_round_mode_32 0
		.amdhsa_float_round_mode_16_64 0
		.amdhsa_float_denorm_mode_32 3
		.amdhsa_float_denorm_mode_16_64 3
		.amdhsa_dx10_clamp 1
		.amdhsa_ieee_mode 1
		.amdhsa_fp16_overflow 0
		.amdhsa_tg_split 0
		.amdhsa_exception_fp_ieee_invalid_op 0
		.amdhsa_exception_fp_denorm_src 0
		.amdhsa_exception_fp_ieee_div_zero 0
		.amdhsa_exception_fp_ieee_overflow 0
		.amdhsa_exception_fp_ieee_underflow 0
		.amdhsa_exception_fp_ieee_inexact 0
		.amdhsa_exception_int_div_zero 0
	.end_amdhsa_kernel
	.section	.text._ZN7rocprim17ROCPRIM_400000_NS6detail17trampoline_kernelINS0_14default_configENS1_20scan_config_selectorIN3c107complexIfEEEEZZNS1_9scan_implILNS1_25lookback_scan_determinismE0ELb0ELb0ES3_PKS7_PS7_S7_ZZZN2at6native31launch_logcumsumexp_cuda_kernelERKNSE_10TensorBaseESI_lENKUlvE_clEvENKUlvE2_clEvEUlS7_S7_E_S7_EEDaPvRmT3_T4_T5_mT6_P12ihipStream_tbENKUlT_T0_E_clISt17integral_constantIbLb0EESZ_EEDaSU_SV_EUlSU_E0_NS1_11comp_targetILNS1_3genE10ELNS1_11target_archE1200ELNS1_3gpuE4ELNS1_3repE0EEENS1_30default_config_static_selectorELNS0_4arch9wavefront6targetE1EEEvT1_,"axG",@progbits,_ZN7rocprim17ROCPRIM_400000_NS6detail17trampoline_kernelINS0_14default_configENS1_20scan_config_selectorIN3c107complexIfEEEEZZNS1_9scan_implILNS1_25lookback_scan_determinismE0ELb0ELb0ES3_PKS7_PS7_S7_ZZZN2at6native31launch_logcumsumexp_cuda_kernelERKNSE_10TensorBaseESI_lENKUlvE_clEvENKUlvE2_clEvEUlS7_S7_E_S7_EEDaPvRmT3_T4_T5_mT6_P12ihipStream_tbENKUlT_T0_E_clISt17integral_constantIbLb0EESZ_EEDaSU_SV_EUlSU_E0_NS1_11comp_targetILNS1_3genE10ELNS1_11target_archE1200ELNS1_3gpuE4ELNS1_3repE0EEENS1_30default_config_static_selectorELNS0_4arch9wavefront6targetE1EEEvT1_,comdat
.Lfunc_end287:
	.size	_ZN7rocprim17ROCPRIM_400000_NS6detail17trampoline_kernelINS0_14default_configENS1_20scan_config_selectorIN3c107complexIfEEEEZZNS1_9scan_implILNS1_25lookback_scan_determinismE0ELb0ELb0ES3_PKS7_PS7_S7_ZZZN2at6native31launch_logcumsumexp_cuda_kernelERKNSE_10TensorBaseESI_lENKUlvE_clEvENKUlvE2_clEvEUlS7_S7_E_S7_EEDaPvRmT3_T4_T5_mT6_P12ihipStream_tbENKUlT_T0_E_clISt17integral_constantIbLb0EESZ_EEDaSU_SV_EUlSU_E0_NS1_11comp_targetILNS1_3genE10ELNS1_11target_archE1200ELNS1_3gpuE4ELNS1_3repE0EEENS1_30default_config_static_selectorELNS0_4arch9wavefront6targetE1EEEvT1_, .Lfunc_end287-_ZN7rocprim17ROCPRIM_400000_NS6detail17trampoline_kernelINS0_14default_configENS1_20scan_config_selectorIN3c107complexIfEEEEZZNS1_9scan_implILNS1_25lookback_scan_determinismE0ELb0ELb0ES3_PKS7_PS7_S7_ZZZN2at6native31launch_logcumsumexp_cuda_kernelERKNSE_10TensorBaseESI_lENKUlvE_clEvENKUlvE2_clEvEUlS7_S7_E_S7_EEDaPvRmT3_T4_T5_mT6_P12ihipStream_tbENKUlT_T0_E_clISt17integral_constantIbLb0EESZ_EEDaSU_SV_EUlSU_E0_NS1_11comp_targetILNS1_3genE10ELNS1_11target_archE1200ELNS1_3gpuE4ELNS1_3repE0EEENS1_30default_config_static_selectorELNS0_4arch9wavefront6targetE1EEEvT1_
                                        ; -- End function
	.section	.AMDGPU.csdata,"",@progbits
; Kernel info:
; codeLenInByte = 0
; NumSgprs: 4
; NumVgprs: 0
; NumAgprs: 0
; TotalNumVgprs: 0
; ScratchSize: 0
; MemoryBound: 0
; FloatMode: 240
; IeeeMode: 1
; LDSByteSize: 0 bytes/workgroup (compile time only)
; SGPRBlocks: 0
; VGPRBlocks: 0
; NumSGPRsForWavesPerEU: 4
; NumVGPRsForWavesPerEU: 1
; AccumOffset: 4
; Occupancy: 8
; WaveLimiterHint : 0
; COMPUTE_PGM_RSRC2:SCRATCH_EN: 0
; COMPUTE_PGM_RSRC2:USER_SGPR: 6
; COMPUTE_PGM_RSRC2:TRAP_HANDLER: 0
; COMPUTE_PGM_RSRC2:TGID_X_EN: 1
; COMPUTE_PGM_RSRC2:TGID_Y_EN: 0
; COMPUTE_PGM_RSRC2:TGID_Z_EN: 0
; COMPUTE_PGM_RSRC2:TIDIG_COMP_CNT: 0
; COMPUTE_PGM_RSRC3_GFX90A:ACCUM_OFFSET: 0
; COMPUTE_PGM_RSRC3_GFX90A:TG_SPLIT: 0
	.section	.text._ZN7rocprim17ROCPRIM_400000_NS6detail17trampoline_kernelINS0_14default_configENS1_20scan_config_selectorIN3c107complexIfEEEEZZNS1_9scan_implILNS1_25lookback_scan_determinismE0ELb0ELb0ES3_PKS7_PS7_S7_ZZZN2at6native31launch_logcumsumexp_cuda_kernelERKNSE_10TensorBaseESI_lENKUlvE_clEvENKUlvE2_clEvEUlS7_S7_E_S7_EEDaPvRmT3_T4_T5_mT6_P12ihipStream_tbENKUlT_T0_E_clISt17integral_constantIbLb0EESZ_EEDaSU_SV_EUlSU_E0_NS1_11comp_targetILNS1_3genE9ELNS1_11target_archE1100ELNS1_3gpuE3ELNS1_3repE0EEENS1_30default_config_static_selectorELNS0_4arch9wavefront6targetE1EEEvT1_,"axG",@progbits,_ZN7rocprim17ROCPRIM_400000_NS6detail17trampoline_kernelINS0_14default_configENS1_20scan_config_selectorIN3c107complexIfEEEEZZNS1_9scan_implILNS1_25lookback_scan_determinismE0ELb0ELb0ES3_PKS7_PS7_S7_ZZZN2at6native31launch_logcumsumexp_cuda_kernelERKNSE_10TensorBaseESI_lENKUlvE_clEvENKUlvE2_clEvEUlS7_S7_E_S7_EEDaPvRmT3_T4_T5_mT6_P12ihipStream_tbENKUlT_T0_E_clISt17integral_constantIbLb0EESZ_EEDaSU_SV_EUlSU_E0_NS1_11comp_targetILNS1_3genE9ELNS1_11target_archE1100ELNS1_3gpuE3ELNS1_3repE0EEENS1_30default_config_static_selectorELNS0_4arch9wavefront6targetE1EEEvT1_,comdat
	.globl	_ZN7rocprim17ROCPRIM_400000_NS6detail17trampoline_kernelINS0_14default_configENS1_20scan_config_selectorIN3c107complexIfEEEEZZNS1_9scan_implILNS1_25lookback_scan_determinismE0ELb0ELb0ES3_PKS7_PS7_S7_ZZZN2at6native31launch_logcumsumexp_cuda_kernelERKNSE_10TensorBaseESI_lENKUlvE_clEvENKUlvE2_clEvEUlS7_S7_E_S7_EEDaPvRmT3_T4_T5_mT6_P12ihipStream_tbENKUlT_T0_E_clISt17integral_constantIbLb0EESZ_EEDaSU_SV_EUlSU_E0_NS1_11comp_targetILNS1_3genE9ELNS1_11target_archE1100ELNS1_3gpuE3ELNS1_3repE0EEENS1_30default_config_static_selectorELNS0_4arch9wavefront6targetE1EEEvT1_ ; -- Begin function _ZN7rocprim17ROCPRIM_400000_NS6detail17trampoline_kernelINS0_14default_configENS1_20scan_config_selectorIN3c107complexIfEEEEZZNS1_9scan_implILNS1_25lookback_scan_determinismE0ELb0ELb0ES3_PKS7_PS7_S7_ZZZN2at6native31launch_logcumsumexp_cuda_kernelERKNSE_10TensorBaseESI_lENKUlvE_clEvENKUlvE2_clEvEUlS7_S7_E_S7_EEDaPvRmT3_T4_T5_mT6_P12ihipStream_tbENKUlT_T0_E_clISt17integral_constantIbLb0EESZ_EEDaSU_SV_EUlSU_E0_NS1_11comp_targetILNS1_3genE9ELNS1_11target_archE1100ELNS1_3gpuE3ELNS1_3repE0EEENS1_30default_config_static_selectorELNS0_4arch9wavefront6targetE1EEEvT1_
	.p2align	8
	.type	_ZN7rocprim17ROCPRIM_400000_NS6detail17trampoline_kernelINS0_14default_configENS1_20scan_config_selectorIN3c107complexIfEEEEZZNS1_9scan_implILNS1_25lookback_scan_determinismE0ELb0ELb0ES3_PKS7_PS7_S7_ZZZN2at6native31launch_logcumsumexp_cuda_kernelERKNSE_10TensorBaseESI_lENKUlvE_clEvENKUlvE2_clEvEUlS7_S7_E_S7_EEDaPvRmT3_T4_T5_mT6_P12ihipStream_tbENKUlT_T0_E_clISt17integral_constantIbLb0EESZ_EEDaSU_SV_EUlSU_E0_NS1_11comp_targetILNS1_3genE9ELNS1_11target_archE1100ELNS1_3gpuE3ELNS1_3repE0EEENS1_30default_config_static_selectorELNS0_4arch9wavefront6targetE1EEEvT1_,@function
_ZN7rocprim17ROCPRIM_400000_NS6detail17trampoline_kernelINS0_14default_configENS1_20scan_config_selectorIN3c107complexIfEEEEZZNS1_9scan_implILNS1_25lookback_scan_determinismE0ELb0ELb0ES3_PKS7_PS7_S7_ZZZN2at6native31launch_logcumsumexp_cuda_kernelERKNSE_10TensorBaseESI_lENKUlvE_clEvENKUlvE2_clEvEUlS7_S7_E_S7_EEDaPvRmT3_T4_T5_mT6_P12ihipStream_tbENKUlT_T0_E_clISt17integral_constantIbLb0EESZ_EEDaSU_SV_EUlSU_E0_NS1_11comp_targetILNS1_3genE9ELNS1_11target_archE1100ELNS1_3gpuE3ELNS1_3repE0EEENS1_30default_config_static_selectorELNS0_4arch9wavefront6targetE1EEEvT1_: ; @_ZN7rocprim17ROCPRIM_400000_NS6detail17trampoline_kernelINS0_14default_configENS1_20scan_config_selectorIN3c107complexIfEEEEZZNS1_9scan_implILNS1_25lookback_scan_determinismE0ELb0ELb0ES3_PKS7_PS7_S7_ZZZN2at6native31launch_logcumsumexp_cuda_kernelERKNSE_10TensorBaseESI_lENKUlvE_clEvENKUlvE2_clEvEUlS7_S7_E_S7_EEDaPvRmT3_T4_T5_mT6_P12ihipStream_tbENKUlT_T0_E_clISt17integral_constantIbLb0EESZ_EEDaSU_SV_EUlSU_E0_NS1_11comp_targetILNS1_3genE9ELNS1_11target_archE1100ELNS1_3gpuE3ELNS1_3repE0EEENS1_30default_config_static_selectorELNS0_4arch9wavefront6targetE1EEEvT1_
; %bb.0:
	.section	.rodata,"a",@progbits
	.p2align	6, 0x0
	.amdhsa_kernel _ZN7rocprim17ROCPRIM_400000_NS6detail17trampoline_kernelINS0_14default_configENS1_20scan_config_selectorIN3c107complexIfEEEEZZNS1_9scan_implILNS1_25lookback_scan_determinismE0ELb0ELb0ES3_PKS7_PS7_S7_ZZZN2at6native31launch_logcumsumexp_cuda_kernelERKNSE_10TensorBaseESI_lENKUlvE_clEvENKUlvE2_clEvEUlS7_S7_E_S7_EEDaPvRmT3_T4_T5_mT6_P12ihipStream_tbENKUlT_T0_E_clISt17integral_constantIbLb0EESZ_EEDaSU_SV_EUlSU_E0_NS1_11comp_targetILNS1_3genE9ELNS1_11target_archE1100ELNS1_3gpuE3ELNS1_3repE0EEENS1_30default_config_static_selectorELNS0_4arch9wavefront6targetE1EEEvT1_
		.amdhsa_group_segment_fixed_size 0
		.amdhsa_private_segment_fixed_size 0
		.amdhsa_kernarg_size 40
		.amdhsa_user_sgpr_count 6
		.amdhsa_user_sgpr_private_segment_buffer 1
		.amdhsa_user_sgpr_dispatch_ptr 0
		.amdhsa_user_sgpr_queue_ptr 0
		.amdhsa_user_sgpr_kernarg_segment_ptr 1
		.amdhsa_user_sgpr_dispatch_id 0
		.amdhsa_user_sgpr_flat_scratch_init 0
		.amdhsa_user_sgpr_kernarg_preload_length 0
		.amdhsa_user_sgpr_kernarg_preload_offset 0
		.amdhsa_user_sgpr_private_segment_size 0
		.amdhsa_uses_dynamic_stack 0
		.amdhsa_system_sgpr_private_segment_wavefront_offset 0
		.amdhsa_system_sgpr_workgroup_id_x 1
		.amdhsa_system_sgpr_workgroup_id_y 0
		.amdhsa_system_sgpr_workgroup_id_z 0
		.amdhsa_system_sgpr_workgroup_info 0
		.amdhsa_system_vgpr_workitem_id 0
		.amdhsa_next_free_vgpr 1
		.amdhsa_next_free_sgpr 0
		.amdhsa_accum_offset 4
		.amdhsa_reserve_vcc 0
		.amdhsa_reserve_flat_scratch 0
		.amdhsa_float_round_mode_32 0
		.amdhsa_float_round_mode_16_64 0
		.amdhsa_float_denorm_mode_32 3
		.amdhsa_float_denorm_mode_16_64 3
		.amdhsa_dx10_clamp 1
		.amdhsa_ieee_mode 1
		.amdhsa_fp16_overflow 0
		.amdhsa_tg_split 0
		.amdhsa_exception_fp_ieee_invalid_op 0
		.amdhsa_exception_fp_denorm_src 0
		.amdhsa_exception_fp_ieee_div_zero 0
		.amdhsa_exception_fp_ieee_overflow 0
		.amdhsa_exception_fp_ieee_underflow 0
		.amdhsa_exception_fp_ieee_inexact 0
		.amdhsa_exception_int_div_zero 0
	.end_amdhsa_kernel
	.section	.text._ZN7rocprim17ROCPRIM_400000_NS6detail17trampoline_kernelINS0_14default_configENS1_20scan_config_selectorIN3c107complexIfEEEEZZNS1_9scan_implILNS1_25lookback_scan_determinismE0ELb0ELb0ES3_PKS7_PS7_S7_ZZZN2at6native31launch_logcumsumexp_cuda_kernelERKNSE_10TensorBaseESI_lENKUlvE_clEvENKUlvE2_clEvEUlS7_S7_E_S7_EEDaPvRmT3_T4_T5_mT6_P12ihipStream_tbENKUlT_T0_E_clISt17integral_constantIbLb0EESZ_EEDaSU_SV_EUlSU_E0_NS1_11comp_targetILNS1_3genE9ELNS1_11target_archE1100ELNS1_3gpuE3ELNS1_3repE0EEENS1_30default_config_static_selectorELNS0_4arch9wavefront6targetE1EEEvT1_,"axG",@progbits,_ZN7rocprim17ROCPRIM_400000_NS6detail17trampoline_kernelINS0_14default_configENS1_20scan_config_selectorIN3c107complexIfEEEEZZNS1_9scan_implILNS1_25lookback_scan_determinismE0ELb0ELb0ES3_PKS7_PS7_S7_ZZZN2at6native31launch_logcumsumexp_cuda_kernelERKNSE_10TensorBaseESI_lENKUlvE_clEvENKUlvE2_clEvEUlS7_S7_E_S7_EEDaPvRmT3_T4_T5_mT6_P12ihipStream_tbENKUlT_T0_E_clISt17integral_constantIbLb0EESZ_EEDaSU_SV_EUlSU_E0_NS1_11comp_targetILNS1_3genE9ELNS1_11target_archE1100ELNS1_3gpuE3ELNS1_3repE0EEENS1_30default_config_static_selectorELNS0_4arch9wavefront6targetE1EEEvT1_,comdat
.Lfunc_end288:
	.size	_ZN7rocprim17ROCPRIM_400000_NS6detail17trampoline_kernelINS0_14default_configENS1_20scan_config_selectorIN3c107complexIfEEEEZZNS1_9scan_implILNS1_25lookback_scan_determinismE0ELb0ELb0ES3_PKS7_PS7_S7_ZZZN2at6native31launch_logcumsumexp_cuda_kernelERKNSE_10TensorBaseESI_lENKUlvE_clEvENKUlvE2_clEvEUlS7_S7_E_S7_EEDaPvRmT3_T4_T5_mT6_P12ihipStream_tbENKUlT_T0_E_clISt17integral_constantIbLb0EESZ_EEDaSU_SV_EUlSU_E0_NS1_11comp_targetILNS1_3genE9ELNS1_11target_archE1100ELNS1_3gpuE3ELNS1_3repE0EEENS1_30default_config_static_selectorELNS0_4arch9wavefront6targetE1EEEvT1_, .Lfunc_end288-_ZN7rocprim17ROCPRIM_400000_NS6detail17trampoline_kernelINS0_14default_configENS1_20scan_config_selectorIN3c107complexIfEEEEZZNS1_9scan_implILNS1_25lookback_scan_determinismE0ELb0ELb0ES3_PKS7_PS7_S7_ZZZN2at6native31launch_logcumsumexp_cuda_kernelERKNSE_10TensorBaseESI_lENKUlvE_clEvENKUlvE2_clEvEUlS7_S7_E_S7_EEDaPvRmT3_T4_T5_mT6_P12ihipStream_tbENKUlT_T0_E_clISt17integral_constantIbLb0EESZ_EEDaSU_SV_EUlSU_E0_NS1_11comp_targetILNS1_3genE9ELNS1_11target_archE1100ELNS1_3gpuE3ELNS1_3repE0EEENS1_30default_config_static_selectorELNS0_4arch9wavefront6targetE1EEEvT1_
                                        ; -- End function
	.section	.AMDGPU.csdata,"",@progbits
; Kernel info:
; codeLenInByte = 0
; NumSgprs: 4
; NumVgprs: 0
; NumAgprs: 0
; TotalNumVgprs: 0
; ScratchSize: 0
; MemoryBound: 0
; FloatMode: 240
; IeeeMode: 1
; LDSByteSize: 0 bytes/workgroup (compile time only)
; SGPRBlocks: 0
; VGPRBlocks: 0
; NumSGPRsForWavesPerEU: 4
; NumVGPRsForWavesPerEU: 1
; AccumOffset: 4
; Occupancy: 8
; WaveLimiterHint : 0
; COMPUTE_PGM_RSRC2:SCRATCH_EN: 0
; COMPUTE_PGM_RSRC2:USER_SGPR: 6
; COMPUTE_PGM_RSRC2:TRAP_HANDLER: 0
; COMPUTE_PGM_RSRC2:TGID_X_EN: 1
; COMPUTE_PGM_RSRC2:TGID_Y_EN: 0
; COMPUTE_PGM_RSRC2:TGID_Z_EN: 0
; COMPUTE_PGM_RSRC2:TIDIG_COMP_CNT: 0
; COMPUTE_PGM_RSRC3_GFX90A:ACCUM_OFFSET: 0
; COMPUTE_PGM_RSRC3_GFX90A:TG_SPLIT: 0
	.section	.text._ZN7rocprim17ROCPRIM_400000_NS6detail17trampoline_kernelINS0_14default_configENS1_20scan_config_selectorIN3c107complexIfEEEEZZNS1_9scan_implILNS1_25lookback_scan_determinismE0ELb0ELb0ES3_PKS7_PS7_S7_ZZZN2at6native31launch_logcumsumexp_cuda_kernelERKNSE_10TensorBaseESI_lENKUlvE_clEvENKUlvE2_clEvEUlS7_S7_E_S7_EEDaPvRmT3_T4_T5_mT6_P12ihipStream_tbENKUlT_T0_E_clISt17integral_constantIbLb0EESZ_EEDaSU_SV_EUlSU_E0_NS1_11comp_targetILNS1_3genE8ELNS1_11target_archE1030ELNS1_3gpuE2ELNS1_3repE0EEENS1_30default_config_static_selectorELNS0_4arch9wavefront6targetE1EEEvT1_,"axG",@progbits,_ZN7rocprim17ROCPRIM_400000_NS6detail17trampoline_kernelINS0_14default_configENS1_20scan_config_selectorIN3c107complexIfEEEEZZNS1_9scan_implILNS1_25lookback_scan_determinismE0ELb0ELb0ES3_PKS7_PS7_S7_ZZZN2at6native31launch_logcumsumexp_cuda_kernelERKNSE_10TensorBaseESI_lENKUlvE_clEvENKUlvE2_clEvEUlS7_S7_E_S7_EEDaPvRmT3_T4_T5_mT6_P12ihipStream_tbENKUlT_T0_E_clISt17integral_constantIbLb0EESZ_EEDaSU_SV_EUlSU_E0_NS1_11comp_targetILNS1_3genE8ELNS1_11target_archE1030ELNS1_3gpuE2ELNS1_3repE0EEENS1_30default_config_static_selectorELNS0_4arch9wavefront6targetE1EEEvT1_,comdat
	.globl	_ZN7rocprim17ROCPRIM_400000_NS6detail17trampoline_kernelINS0_14default_configENS1_20scan_config_selectorIN3c107complexIfEEEEZZNS1_9scan_implILNS1_25lookback_scan_determinismE0ELb0ELb0ES3_PKS7_PS7_S7_ZZZN2at6native31launch_logcumsumexp_cuda_kernelERKNSE_10TensorBaseESI_lENKUlvE_clEvENKUlvE2_clEvEUlS7_S7_E_S7_EEDaPvRmT3_T4_T5_mT6_P12ihipStream_tbENKUlT_T0_E_clISt17integral_constantIbLb0EESZ_EEDaSU_SV_EUlSU_E0_NS1_11comp_targetILNS1_3genE8ELNS1_11target_archE1030ELNS1_3gpuE2ELNS1_3repE0EEENS1_30default_config_static_selectorELNS0_4arch9wavefront6targetE1EEEvT1_ ; -- Begin function _ZN7rocprim17ROCPRIM_400000_NS6detail17trampoline_kernelINS0_14default_configENS1_20scan_config_selectorIN3c107complexIfEEEEZZNS1_9scan_implILNS1_25lookback_scan_determinismE0ELb0ELb0ES3_PKS7_PS7_S7_ZZZN2at6native31launch_logcumsumexp_cuda_kernelERKNSE_10TensorBaseESI_lENKUlvE_clEvENKUlvE2_clEvEUlS7_S7_E_S7_EEDaPvRmT3_T4_T5_mT6_P12ihipStream_tbENKUlT_T0_E_clISt17integral_constantIbLb0EESZ_EEDaSU_SV_EUlSU_E0_NS1_11comp_targetILNS1_3genE8ELNS1_11target_archE1030ELNS1_3gpuE2ELNS1_3repE0EEENS1_30default_config_static_selectorELNS0_4arch9wavefront6targetE1EEEvT1_
	.p2align	8
	.type	_ZN7rocprim17ROCPRIM_400000_NS6detail17trampoline_kernelINS0_14default_configENS1_20scan_config_selectorIN3c107complexIfEEEEZZNS1_9scan_implILNS1_25lookback_scan_determinismE0ELb0ELb0ES3_PKS7_PS7_S7_ZZZN2at6native31launch_logcumsumexp_cuda_kernelERKNSE_10TensorBaseESI_lENKUlvE_clEvENKUlvE2_clEvEUlS7_S7_E_S7_EEDaPvRmT3_T4_T5_mT6_P12ihipStream_tbENKUlT_T0_E_clISt17integral_constantIbLb0EESZ_EEDaSU_SV_EUlSU_E0_NS1_11comp_targetILNS1_3genE8ELNS1_11target_archE1030ELNS1_3gpuE2ELNS1_3repE0EEENS1_30default_config_static_selectorELNS0_4arch9wavefront6targetE1EEEvT1_,@function
_ZN7rocprim17ROCPRIM_400000_NS6detail17trampoline_kernelINS0_14default_configENS1_20scan_config_selectorIN3c107complexIfEEEEZZNS1_9scan_implILNS1_25lookback_scan_determinismE0ELb0ELb0ES3_PKS7_PS7_S7_ZZZN2at6native31launch_logcumsumexp_cuda_kernelERKNSE_10TensorBaseESI_lENKUlvE_clEvENKUlvE2_clEvEUlS7_S7_E_S7_EEDaPvRmT3_T4_T5_mT6_P12ihipStream_tbENKUlT_T0_E_clISt17integral_constantIbLb0EESZ_EEDaSU_SV_EUlSU_E0_NS1_11comp_targetILNS1_3genE8ELNS1_11target_archE1030ELNS1_3gpuE2ELNS1_3repE0EEENS1_30default_config_static_selectorELNS0_4arch9wavefront6targetE1EEEvT1_: ; @_ZN7rocprim17ROCPRIM_400000_NS6detail17trampoline_kernelINS0_14default_configENS1_20scan_config_selectorIN3c107complexIfEEEEZZNS1_9scan_implILNS1_25lookback_scan_determinismE0ELb0ELb0ES3_PKS7_PS7_S7_ZZZN2at6native31launch_logcumsumexp_cuda_kernelERKNSE_10TensorBaseESI_lENKUlvE_clEvENKUlvE2_clEvEUlS7_S7_E_S7_EEDaPvRmT3_T4_T5_mT6_P12ihipStream_tbENKUlT_T0_E_clISt17integral_constantIbLb0EESZ_EEDaSU_SV_EUlSU_E0_NS1_11comp_targetILNS1_3genE8ELNS1_11target_archE1030ELNS1_3gpuE2ELNS1_3repE0EEENS1_30default_config_static_selectorELNS0_4arch9wavefront6targetE1EEEvT1_
; %bb.0:
	.section	.rodata,"a",@progbits
	.p2align	6, 0x0
	.amdhsa_kernel _ZN7rocprim17ROCPRIM_400000_NS6detail17trampoline_kernelINS0_14default_configENS1_20scan_config_selectorIN3c107complexIfEEEEZZNS1_9scan_implILNS1_25lookback_scan_determinismE0ELb0ELb0ES3_PKS7_PS7_S7_ZZZN2at6native31launch_logcumsumexp_cuda_kernelERKNSE_10TensorBaseESI_lENKUlvE_clEvENKUlvE2_clEvEUlS7_S7_E_S7_EEDaPvRmT3_T4_T5_mT6_P12ihipStream_tbENKUlT_T0_E_clISt17integral_constantIbLb0EESZ_EEDaSU_SV_EUlSU_E0_NS1_11comp_targetILNS1_3genE8ELNS1_11target_archE1030ELNS1_3gpuE2ELNS1_3repE0EEENS1_30default_config_static_selectorELNS0_4arch9wavefront6targetE1EEEvT1_
		.amdhsa_group_segment_fixed_size 0
		.amdhsa_private_segment_fixed_size 0
		.amdhsa_kernarg_size 40
		.amdhsa_user_sgpr_count 6
		.amdhsa_user_sgpr_private_segment_buffer 1
		.amdhsa_user_sgpr_dispatch_ptr 0
		.amdhsa_user_sgpr_queue_ptr 0
		.amdhsa_user_sgpr_kernarg_segment_ptr 1
		.amdhsa_user_sgpr_dispatch_id 0
		.amdhsa_user_sgpr_flat_scratch_init 0
		.amdhsa_user_sgpr_kernarg_preload_length 0
		.amdhsa_user_sgpr_kernarg_preload_offset 0
		.amdhsa_user_sgpr_private_segment_size 0
		.amdhsa_uses_dynamic_stack 0
		.amdhsa_system_sgpr_private_segment_wavefront_offset 0
		.amdhsa_system_sgpr_workgroup_id_x 1
		.amdhsa_system_sgpr_workgroup_id_y 0
		.amdhsa_system_sgpr_workgroup_id_z 0
		.amdhsa_system_sgpr_workgroup_info 0
		.amdhsa_system_vgpr_workitem_id 0
		.amdhsa_next_free_vgpr 1
		.amdhsa_next_free_sgpr 0
		.amdhsa_accum_offset 4
		.amdhsa_reserve_vcc 0
		.amdhsa_reserve_flat_scratch 0
		.amdhsa_float_round_mode_32 0
		.amdhsa_float_round_mode_16_64 0
		.amdhsa_float_denorm_mode_32 3
		.amdhsa_float_denorm_mode_16_64 3
		.amdhsa_dx10_clamp 1
		.amdhsa_ieee_mode 1
		.amdhsa_fp16_overflow 0
		.amdhsa_tg_split 0
		.amdhsa_exception_fp_ieee_invalid_op 0
		.amdhsa_exception_fp_denorm_src 0
		.amdhsa_exception_fp_ieee_div_zero 0
		.amdhsa_exception_fp_ieee_overflow 0
		.amdhsa_exception_fp_ieee_underflow 0
		.amdhsa_exception_fp_ieee_inexact 0
		.amdhsa_exception_int_div_zero 0
	.end_amdhsa_kernel
	.section	.text._ZN7rocprim17ROCPRIM_400000_NS6detail17trampoline_kernelINS0_14default_configENS1_20scan_config_selectorIN3c107complexIfEEEEZZNS1_9scan_implILNS1_25lookback_scan_determinismE0ELb0ELb0ES3_PKS7_PS7_S7_ZZZN2at6native31launch_logcumsumexp_cuda_kernelERKNSE_10TensorBaseESI_lENKUlvE_clEvENKUlvE2_clEvEUlS7_S7_E_S7_EEDaPvRmT3_T4_T5_mT6_P12ihipStream_tbENKUlT_T0_E_clISt17integral_constantIbLb0EESZ_EEDaSU_SV_EUlSU_E0_NS1_11comp_targetILNS1_3genE8ELNS1_11target_archE1030ELNS1_3gpuE2ELNS1_3repE0EEENS1_30default_config_static_selectorELNS0_4arch9wavefront6targetE1EEEvT1_,"axG",@progbits,_ZN7rocprim17ROCPRIM_400000_NS6detail17trampoline_kernelINS0_14default_configENS1_20scan_config_selectorIN3c107complexIfEEEEZZNS1_9scan_implILNS1_25lookback_scan_determinismE0ELb0ELb0ES3_PKS7_PS7_S7_ZZZN2at6native31launch_logcumsumexp_cuda_kernelERKNSE_10TensorBaseESI_lENKUlvE_clEvENKUlvE2_clEvEUlS7_S7_E_S7_EEDaPvRmT3_T4_T5_mT6_P12ihipStream_tbENKUlT_T0_E_clISt17integral_constantIbLb0EESZ_EEDaSU_SV_EUlSU_E0_NS1_11comp_targetILNS1_3genE8ELNS1_11target_archE1030ELNS1_3gpuE2ELNS1_3repE0EEENS1_30default_config_static_selectorELNS0_4arch9wavefront6targetE1EEEvT1_,comdat
.Lfunc_end289:
	.size	_ZN7rocprim17ROCPRIM_400000_NS6detail17trampoline_kernelINS0_14default_configENS1_20scan_config_selectorIN3c107complexIfEEEEZZNS1_9scan_implILNS1_25lookback_scan_determinismE0ELb0ELb0ES3_PKS7_PS7_S7_ZZZN2at6native31launch_logcumsumexp_cuda_kernelERKNSE_10TensorBaseESI_lENKUlvE_clEvENKUlvE2_clEvEUlS7_S7_E_S7_EEDaPvRmT3_T4_T5_mT6_P12ihipStream_tbENKUlT_T0_E_clISt17integral_constantIbLb0EESZ_EEDaSU_SV_EUlSU_E0_NS1_11comp_targetILNS1_3genE8ELNS1_11target_archE1030ELNS1_3gpuE2ELNS1_3repE0EEENS1_30default_config_static_selectorELNS0_4arch9wavefront6targetE1EEEvT1_, .Lfunc_end289-_ZN7rocprim17ROCPRIM_400000_NS6detail17trampoline_kernelINS0_14default_configENS1_20scan_config_selectorIN3c107complexIfEEEEZZNS1_9scan_implILNS1_25lookback_scan_determinismE0ELb0ELb0ES3_PKS7_PS7_S7_ZZZN2at6native31launch_logcumsumexp_cuda_kernelERKNSE_10TensorBaseESI_lENKUlvE_clEvENKUlvE2_clEvEUlS7_S7_E_S7_EEDaPvRmT3_T4_T5_mT6_P12ihipStream_tbENKUlT_T0_E_clISt17integral_constantIbLb0EESZ_EEDaSU_SV_EUlSU_E0_NS1_11comp_targetILNS1_3genE8ELNS1_11target_archE1030ELNS1_3gpuE2ELNS1_3repE0EEENS1_30default_config_static_selectorELNS0_4arch9wavefront6targetE1EEEvT1_
                                        ; -- End function
	.section	.AMDGPU.csdata,"",@progbits
; Kernel info:
; codeLenInByte = 0
; NumSgprs: 4
; NumVgprs: 0
; NumAgprs: 0
; TotalNumVgprs: 0
; ScratchSize: 0
; MemoryBound: 0
; FloatMode: 240
; IeeeMode: 1
; LDSByteSize: 0 bytes/workgroup (compile time only)
; SGPRBlocks: 0
; VGPRBlocks: 0
; NumSGPRsForWavesPerEU: 4
; NumVGPRsForWavesPerEU: 1
; AccumOffset: 4
; Occupancy: 8
; WaveLimiterHint : 0
; COMPUTE_PGM_RSRC2:SCRATCH_EN: 0
; COMPUTE_PGM_RSRC2:USER_SGPR: 6
; COMPUTE_PGM_RSRC2:TRAP_HANDLER: 0
; COMPUTE_PGM_RSRC2:TGID_X_EN: 1
; COMPUTE_PGM_RSRC2:TGID_Y_EN: 0
; COMPUTE_PGM_RSRC2:TGID_Z_EN: 0
; COMPUTE_PGM_RSRC2:TIDIG_COMP_CNT: 0
; COMPUTE_PGM_RSRC3_GFX90A:ACCUM_OFFSET: 0
; COMPUTE_PGM_RSRC3_GFX90A:TG_SPLIT: 0
	.section	.text._ZN7rocprim17ROCPRIM_400000_NS6detail31init_lookback_scan_state_kernelINS1_19lookback_scan_stateIN3c107complexIfEELb1ELb1EEENS1_16block_id_wrapperIjLb1EEEEEvT_jT0_jPNSA_10value_typeE,"axG",@progbits,_ZN7rocprim17ROCPRIM_400000_NS6detail31init_lookback_scan_state_kernelINS1_19lookback_scan_stateIN3c107complexIfEELb1ELb1EEENS1_16block_id_wrapperIjLb1EEEEEvT_jT0_jPNSA_10value_typeE,comdat
	.protected	_ZN7rocprim17ROCPRIM_400000_NS6detail31init_lookback_scan_state_kernelINS1_19lookback_scan_stateIN3c107complexIfEELb1ELb1EEENS1_16block_id_wrapperIjLb1EEEEEvT_jT0_jPNSA_10value_typeE ; -- Begin function _ZN7rocprim17ROCPRIM_400000_NS6detail31init_lookback_scan_state_kernelINS1_19lookback_scan_stateIN3c107complexIfEELb1ELb1EEENS1_16block_id_wrapperIjLb1EEEEEvT_jT0_jPNSA_10value_typeE
	.globl	_ZN7rocprim17ROCPRIM_400000_NS6detail31init_lookback_scan_state_kernelINS1_19lookback_scan_stateIN3c107complexIfEELb1ELb1EEENS1_16block_id_wrapperIjLb1EEEEEvT_jT0_jPNSA_10value_typeE
	.p2align	8
	.type	_ZN7rocprim17ROCPRIM_400000_NS6detail31init_lookback_scan_state_kernelINS1_19lookback_scan_stateIN3c107complexIfEELb1ELb1EEENS1_16block_id_wrapperIjLb1EEEEEvT_jT0_jPNSA_10value_typeE,@function
_ZN7rocprim17ROCPRIM_400000_NS6detail31init_lookback_scan_state_kernelINS1_19lookback_scan_stateIN3c107complexIfEELb1ELb1EEENS1_16block_id_wrapperIjLb1EEEEEvT_jT0_jPNSA_10value_typeE: ; @_ZN7rocprim17ROCPRIM_400000_NS6detail31init_lookback_scan_state_kernelINS1_19lookback_scan_stateIN3c107complexIfEELb1ELb1EEENS1_16block_id_wrapperIjLb1EEEEEvT_jT0_jPNSA_10value_typeE
; %bb.0:
	s_load_dword s7, s[4:5], 0x34
	s_load_dwordx2 s[2:3], s[4:5], 0x20
	s_load_dwordx2 s[0:1], s[4:5], 0x0
	s_load_dword s14, s[4:5], 0x8
	s_waitcnt lgkmcnt(0)
	s_and_b32 s7, s7, 0xffff
	s_mul_i32 s6, s6, s7
	s_cmp_eq_u64 s[2:3], 0
	v_add_u32_e32 v0, s6, v0
	s_cbranch_scc1 .LBB290_10
; %bb.1:
	s_load_dword s8, s[4:5], 0x18
	s_mov_b32 s9, 0
	s_waitcnt lgkmcnt(0)
	s_cmp_lt_u32 s8, s14
	s_cselect_b32 s6, s8, 0
	v_cmp_eq_u32_e32 vcc, s6, v0
	s_and_saveexec_b64 s[6:7], vcc
	s_cbranch_execz .LBB290_9
; %bb.2:
	s_add_i32 s8, s8, 64
	s_lshl_b64 s[8:9], s[8:9], 4
	s_add_u32 s12, s0, s8
	s_addc_u32 s13, s1, s9
	v_pk_mov_b32 v[2:3], s[12:13], s[12:13] op_sel:[0,1]
	;;#ASMSTART
	global_load_dwordx4 v[2:5], v[2:3] off glc	
s_waitcnt vmcnt(0)
	;;#ASMEND
	v_mov_b32_e32 v7, 0
	v_and_b32_e32 v6, 0xff, v4
	v_mov_b32_e32 v8, v3
	s_mov_b64 s[10:11], 0
	v_cmp_eq_u64_e32 vcc, 0, v[6:7]
	s_and_saveexec_b64 s[8:9], vcc
	s_cbranch_execz .LBB290_8
; %bb.3:
	s_mov_b32 s15, 1
	v_pk_mov_b32 v[8:9], s[12:13], s[12:13] op_sel:[0,1]
.LBB290_4:                              ; =>This Loop Header: Depth=1
                                        ;     Child Loop BB290_5 Depth 2
	s_max_u32 s12, s15, 1
.LBB290_5:                              ;   Parent Loop BB290_4 Depth=1
                                        ; =>  This Inner Loop Header: Depth=2
	s_add_i32 s12, s12, -1
	s_cmp_eq_u32 s12, 0
	s_sleep 1
	s_cbranch_scc0 .LBB290_5
; %bb.6:                                ;   in Loop: Header=BB290_4 Depth=1
	s_cmp_lt_u32 s15, 32
	s_cselect_b64 s[12:13], -1, 0
	s_cmp_lg_u64 s[12:13], 0
	;;#ASMSTART
	global_load_dwordx4 v[2:5], v[8:9] off glc	
s_waitcnt vmcnt(0)
	;;#ASMEND
	v_and_b32_e32 v6, 0xff, v4
	s_addc_u32 s15, s15, 0
	v_cmp_ne_u64_e32 vcc, 0, v[6:7]
	s_or_b64 s[10:11], vcc, s[10:11]
	s_andn2_b64 exec, exec, s[10:11]
	s_cbranch_execnz .LBB290_4
; %bb.7:
	s_or_b64 exec, exec, s[10:11]
	v_mov_b32_e32 v8, v3
.LBB290_8:
	s_or_b64 exec, exec, s[8:9]
	v_mov_b32_e32 v3, v8
	v_mov_b32_e32 v1, 0
	global_store_dwordx2 v1, v[2:3], s[2:3]
.LBB290_9:
	s_or_b64 exec, exec, s[6:7]
.LBB290_10:
	v_cmp_eq_u32_e32 vcc, 0, v0
	s_and_saveexec_b64 s[2:3], vcc
	s_cbranch_execnz .LBB290_14
; %bb.11:
	s_or_b64 exec, exec, s[2:3]
	v_cmp_gt_u32_e32 vcc, s14, v0
	s_and_saveexec_b64 s[2:3], vcc
	s_cbranch_execnz .LBB290_15
.LBB290_12:
	s_or_b64 exec, exec, s[2:3]
	v_cmp_gt_u32_e32 vcc, 64, v0
	s_and_saveexec_b64 s[2:3], vcc
	s_cbranch_execnz .LBB290_16
.LBB290_13:
	s_endpgm
.LBB290_14:
	s_load_dwordx2 s[4:5], s[4:5], 0x10
	v_mov_b32_e32 v1, 0
	s_waitcnt lgkmcnt(0)
	global_store_dword v1, v1, s[4:5]
	s_or_b64 exec, exec, s[2:3]
	v_cmp_gt_u32_e32 vcc, s14, v0
	s_and_saveexec_b64 s[2:3], vcc
	s_cbranch_execz .LBB290_12
.LBB290_15:
	v_add_u32_e32 v2, 64, v0
	v_mov_b32_e32 v3, 0
	v_lshlrev_b64 v[4:5], 4, v[2:3]
	v_mov_b32_e32 v1, s1
	v_add_co_u32_e32 v6, vcc, s0, v4
	v_addc_co_u32_e32 v7, vcc, v1, v5, vcc
	v_mov_b32_e32 v2, v3
	v_mov_b32_e32 v4, v3
	;; [unrolled: 1-line block ×3, first 2 shown]
	global_store_dwordx4 v[6:7], v[2:5], off
	s_or_b64 exec, exec, s[2:3]
	v_cmp_gt_u32_e32 vcc, 64, v0
	s_and_saveexec_b64 s[2:3], vcc
	s_cbranch_execz .LBB290_13
.LBB290_16:
	v_mov_b32_e32 v1, 0
	v_lshlrev_b64 v[2:3], 4, v[0:1]
	v_mov_b32_e32 v0, s1
	v_add_co_u32_e32 v4, vcc, s0, v2
	v_addc_co_u32_e32 v5, vcc, v0, v3, vcc
	v_mov_b32_e32 v2, 0xff
	v_mov_b32_e32 v0, v1
	;; [unrolled: 1-line block ×3, first 2 shown]
	global_store_dwordx4 v[4:5], v[0:3], off
	s_endpgm
	.section	.rodata,"a",@progbits
	.p2align	6, 0x0
	.amdhsa_kernel _ZN7rocprim17ROCPRIM_400000_NS6detail31init_lookback_scan_state_kernelINS1_19lookback_scan_stateIN3c107complexIfEELb1ELb1EEENS1_16block_id_wrapperIjLb1EEEEEvT_jT0_jPNSA_10value_typeE
		.amdhsa_group_segment_fixed_size 0
		.amdhsa_private_segment_fixed_size 0
		.amdhsa_kernarg_size 296
		.amdhsa_user_sgpr_count 6
		.amdhsa_user_sgpr_private_segment_buffer 1
		.amdhsa_user_sgpr_dispatch_ptr 0
		.amdhsa_user_sgpr_queue_ptr 0
		.amdhsa_user_sgpr_kernarg_segment_ptr 1
		.amdhsa_user_sgpr_dispatch_id 0
		.amdhsa_user_sgpr_flat_scratch_init 0
		.amdhsa_user_sgpr_kernarg_preload_length 0
		.amdhsa_user_sgpr_kernarg_preload_offset 0
		.amdhsa_user_sgpr_private_segment_size 0
		.amdhsa_uses_dynamic_stack 0
		.amdhsa_system_sgpr_private_segment_wavefront_offset 0
		.amdhsa_system_sgpr_workgroup_id_x 1
		.amdhsa_system_sgpr_workgroup_id_y 0
		.amdhsa_system_sgpr_workgroup_id_z 0
		.amdhsa_system_sgpr_workgroup_info 0
		.amdhsa_system_vgpr_workitem_id 0
		.amdhsa_next_free_vgpr 10
		.amdhsa_next_free_sgpr 16
		.amdhsa_accum_offset 12
		.amdhsa_reserve_vcc 1
		.amdhsa_reserve_flat_scratch 0
		.amdhsa_float_round_mode_32 0
		.amdhsa_float_round_mode_16_64 0
		.amdhsa_float_denorm_mode_32 3
		.amdhsa_float_denorm_mode_16_64 3
		.amdhsa_dx10_clamp 1
		.amdhsa_ieee_mode 1
		.amdhsa_fp16_overflow 0
		.amdhsa_tg_split 0
		.amdhsa_exception_fp_ieee_invalid_op 0
		.amdhsa_exception_fp_denorm_src 0
		.amdhsa_exception_fp_ieee_div_zero 0
		.amdhsa_exception_fp_ieee_overflow 0
		.amdhsa_exception_fp_ieee_underflow 0
		.amdhsa_exception_fp_ieee_inexact 0
		.amdhsa_exception_int_div_zero 0
	.end_amdhsa_kernel
	.section	.text._ZN7rocprim17ROCPRIM_400000_NS6detail31init_lookback_scan_state_kernelINS1_19lookback_scan_stateIN3c107complexIfEELb1ELb1EEENS1_16block_id_wrapperIjLb1EEEEEvT_jT0_jPNSA_10value_typeE,"axG",@progbits,_ZN7rocprim17ROCPRIM_400000_NS6detail31init_lookback_scan_state_kernelINS1_19lookback_scan_stateIN3c107complexIfEELb1ELb1EEENS1_16block_id_wrapperIjLb1EEEEEvT_jT0_jPNSA_10value_typeE,comdat
.Lfunc_end290:
	.size	_ZN7rocprim17ROCPRIM_400000_NS6detail31init_lookback_scan_state_kernelINS1_19lookback_scan_stateIN3c107complexIfEELb1ELb1EEENS1_16block_id_wrapperIjLb1EEEEEvT_jT0_jPNSA_10value_typeE, .Lfunc_end290-_ZN7rocprim17ROCPRIM_400000_NS6detail31init_lookback_scan_state_kernelINS1_19lookback_scan_stateIN3c107complexIfEELb1ELb1EEENS1_16block_id_wrapperIjLb1EEEEEvT_jT0_jPNSA_10value_typeE
                                        ; -- End function
	.section	.AMDGPU.csdata,"",@progbits
; Kernel info:
; codeLenInByte = 492
; NumSgprs: 20
; NumVgprs: 10
; NumAgprs: 0
; TotalNumVgprs: 10
; ScratchSize: 0
; MemoryBound: 0
; FloatMode: 240
; IeeeMode: 1
; LDSByteSize: 0 bytes/workgroup (compile time only)
; SGPRBlocks: 2
; VGPRBlocks: 1
; NumSGPRsForWavesPerEU: 20
; NumVGPRsForWavesPerEU: 10
; AccumOffset: 12
; Occupancy: 8
; WaveLimiterHint : 0
; COMPUTE_PGM_RSRC2:SCRATCH_EN: 0
; COMPUTE_PGM_RSRC2:USER_SGPR: 6
; COMPUTE_PGM_RSRC2:TRAP_HANDLER: 0
; COMPUTE_PGM_RSRC2:TGID_X_EN: 1
; COMPUTE_PGM_RSRC2:TGID_Y_EN: 0
; COMPUTE_PGM_RSRC2:TGID_Z_EN: 0
; COMPUTE_PGM_RSRC2:TIDIG_COMP_CNT: 0
; COMPUTE_PGM_RSRC3_GFX90A:ACCUM_OFFSET: 2
; COMPUTE_PGM_RSRC3_GFX90A:TG_SPLIT: 0
	.section	.text._ZN7rocprim17ROCPRIM_400000_NS6detail17trampoline_kernelINS0_14default_configENS1_20scan_config_selectorIN3c107complexIfEEEEZZNS1_9scan_implILNS1_25lookback_scan_determinismE0ELb0ELb0ES3_PKS7_PS7_S7_ZZZN2at6native31launch_logcumsumexp_cuda_kernelERKNSE_10TensorBaseESI_lENKUlvE_clEvENKUlvE2_clEvEUlS7_S7_E_S7_EEDaPvRmT3_T4_T5_mT6_P12ihipStream_tbENKUlT_T0_E_clISt17integral_constantIbLb1EESZ_EEDaSU_SV_EUlSU_E_NS1_11comp_targetILNS1_3genE0ELNS1_11target_archE4294967295ELNS1_3gpuE0ELNS1_3repE0EEENS1_30default_config_static_selectorELNS0_4arch9wavefront6targetE1EEEvT1_,"axG",@progbits,_ZN7rocprim17ROCPRIM_400000_NS6detail17trampoline_kernelINS0_14default_configENS1_20scan_config_selectorIN3c107complexIfEEEEZZNS1_9scan_implILNS1_25lookback_scan_determinismE0ELb0ELb0ES3_PKS7_PS7_S7_ZZZN2at6native31launch_logcumsumexp_cuda_kernelERKNSE_10TensorBaseESI_lENKUlvE_clEvENKUlvE2_clEvEUlS7_S7_E_S7_EEDaPvRmT3_T4_T5_mT6_P12ihipStream_tbENKUlT_T0_E_clISt17integral_constantIbLb1EESZ_EEDaSU_SV_EUlSU_E_NS1_11comp_targetILNS1_3genE0ELNS1_11target_archE4294967295ELNS1_3gpuE0ELNS1_3repE0EEENS1_30default_config_static_selectorELNS0_4arch9wavefront6targetE1EEEvT1_,comdat
	.globl	_ZN7rocprim17ROCPRIM_400000_NS6detail17trampoline_kernelINS0_14default_configENS1_20scan_config_selectorIN3c107complexIfEEEEZZNS1_9scan_implILNS1_25lookback_scan_determinismE0ELb0ELb0ES3_PKS7_PS7_S7_ZZZN2at6native31launch_logcumsumexp_cuda_kernelERKNSE_10TensorBaseESI_lENKUlvE_clEvENKUlvE2_clEvEUlS7_S7_E_S7_EEDaPvRmT3_T4_T5_mT6_P12ihipStream_tbENKUlT_T0_E_clISt17integral_constantIbLb1EESZ_EEDaSU_SV_EUlSU_E_NS1_11comp_targetILNS1_3genE0ELNS1_11target_archE4294967295ELNS1_3gpuE0ELNS1_3repE0EEENS1_30default_config_static_selectorELNS0_4arch9wavefront6targetE1EEEvT1_ ; -- Begin function _ZN7rocprim17ROCPRIM_400000_NS6detail17trampoline_kernelINS0_14default_configENS1_20scan_config_selectorIN3c107complexIfEEEEZZNS1_9scan_implILNS1_25lookback_scan_determinismE0ELb0ELb0ES3_PKS7_PS7_S7_ZZZN2at6native31launch_logcumsumexp_cuda_kernelERKNSE_10TensorBaseESI_lENKUlvE_clEvENKUlvE2_clEvEUlS7_S7_E_S7_EEDaPvRmT3_T4_T5_mT6_P12ihipStream_tbENKUlT_T0_E_clISt17integral_constantIbLb1EESZ_EEDaSU_SV_EUlSU_E_NS1_11comp_targetILNS1_3genE0ELNS1_11target_archE4294967295ELNS1_3gpuE0ELNS1_3repE0EEENS1_30default_config_static_selectorELNS0_4arch9wavefront6targetE1EEEvT1_
	.p2align	8
	.type	_ZN7rocprim17ROCPRIM_400000_NS6detail17trampoline_kernelINS0_14default_configENS1_20scan_config_selectorIN3c107complexIfEEEEZZNS1_9scan_implILNS1_25lookback_scan_determinismE0ELb0ELb0ES3_PKS7_PS7_S7_ZZZN2at6native31launch_logcumsumexp_cuda_kernelERKNSE_10TensorBaseESI_lENKUlvE_clEvENKUlvE2_clEvEUlS7_S7_E_S7_EEDaPvRmT3_T4_T5_mT6_P12ihipStream_tbENKUlT_T0_E_clISt17integral_constantIbLb1EESZ_EEDaSU_SV_EUlSU_E_NS1_11comp_targetILNS1_3genE0ELNS1_11target_archE4294967295ELNS1_3gpuE0ELNS1_3repE0EEENS1_30default_config_static_selectorELNS0_4arch9wavefront6targetE1EEEvT1_,@function
_ZN7rocprim17ROCPRIM_400000_NS6detail17trampoline_kernelINS0_14default_configENS1_20scan_config_selectorIN3c107complexIfEEEEZZNS1_9scan_implILNS1_25lookback_scan_determinismE0ELb0ELb0ES3_PKS7_PS7_S7_ZZZN2at6native31launch_logcumsumexp_cuda_kernelERKNSE_10TensorBaseESI_lENKUlvE_clEvENKUlvE2_clEvEUlS7_S7_E_S7_EEDaPvRmT3_T4_T5_mT6_P12ihipStream_tbENKUlT_T0_E_clISt17integral_constantIbLb1EESZ_EEDaSU_SV_EUlSU_E_NS1_11comp_targetILNS1_3genE0ELNS1_11target_archE4294967295ELNS1_3gpuE0ELNS1_3repE0EEENS1_30default_config_static_selectorELNS0_4arch9wavefront6targetE1EEEvT1_: ; @_ZN7rocprim17ROCPRIM_400000_NS6detail17trampoline_kernelINS0_14default_configENS1_20scan_config_selectorIN3c107complexIfEEEEZZNS1_9scan_implILNS1_25lookback_scan_determinismE0ELb0ELb0ES3_PKS7_PS7_S7_ZZZN2at6native31launch_logcumsumexp_cuda_kernelERKNSE_10TensorBaseESI_lENKUlvE_clEvENKUlvE2_clEvEUlS7_S7_E_S7_EEDaPvRmT3_T4_T5_mT6_P12ihipStream_tbENKUlT_T0_E_clISt17integral_constantIbLb1EESZ_EEDaSU_SV_EUlSU_E_NS1_11comp_targetILNS1_3genE0ELNS1_11target_archE4294967295ELNS1_3gpuE0ELNS1_3repE0EEENS1_30default_config_static_selectorELNS0_4arch9wavefront6targetE1EEEvT1_
; %bb.0:
	.section	.rodata,"a",@progbits
	.p2align	6, 0x0
	.amdhsa_kernel _ZN7rocprim17ROCPRIM_400000_NS6detail17trampoline_kernelINS0_14default_configENS1_20scan_config_selectorIN3c107complexIfEEEEZZNS1_9scan_implILNS1_25lookback_scan_determinismE0ELb0ELb0ES3_PKS7_PS7_S7_ZZZN2at6native31launch_logcumsumexp_cuda_kernelERKNSE_10TensorBaseESI_lENKUlvE_clEvENKUlvE2_clEvEUlS7_S7_E_S7_EEDaPvRmT3_T4_T5_mT6_P12ihipStream_tbENKUlT_T0_E_clISt17integral_constantIbLb1EESZ_EEDaSU_SV_EUlSU_E_NS1_11comp_targetILNS1_3genE0ELNS1_11target_archE4294967295ELNS1_3gpuE0ELNS1_3repE0EEENS1_30default_config_static_selectorELNS0_4arch9wavefront6targetE1EEEvT1_
		.amdhsa_group_segment_fixed_size 0
		.amdhsa_private_segment_fixed_size 0
		.amdhsa_kernarg_size 104
		.amdhsa_user_sgpr_count 6
		.amdhsa_user_sgpr_private_segment_buffer 1
		.amdhsa_user_sgpr_dispatch_ptr 0
		.amdhsa_user_sgpr_queue_ptr 0
		.amdhsa_user_sgpr_kernarg_segment_ptr 1
		.amdhsa_user_sgpr_dispatch_id 0
		.amdhsa_user_sgpr_flat_scratch_init 0
		.amdhsa_user_sgpr_kernarg_preload_length 0
		.amdhsa_user_sgpr_kernarg_preload_offset 0
		.amdhsa_user_sgpr_private_segment_size 0
		.amdhsa_uses_dynamic_stack 0
		.amdhsa_system_sgpr_private_segment_wavefront_offset 0
		.amdhsa_system_sgpr_workgroup_id_x 1
		.amdhsa_system_sgpr_workgroup_id_y 0
		.amdhsa_system_sgpr_workgroup_id_z 0
		.amdhsa_system_sgpr_workgroup_info 0
		.amdhsa_system_vgpr_workitem_id 0
		.amdhsa_next_free_vgpr 1
		.amdhsa_next_free_sgpr 0
		.amdhsa_accum_offset 4
		.amdhsa_reserve_vcc 0
		.amdhsa_reserve_flat_scratch 0
		.amdhsa_float_round_mode_32 0
		.amdhsa_float_round_mode_16_64 0
		.amdhsa_float_denorm_mode_32 3
		.amdhsa_float_denorm_mode_16_64 3
		.amdhsa_dx10_clamp 1
		.amdhsa_ieee_mode 1
		.amdhsa_fp16_overflow 0
		.amdhsa_tg_split 0
		.amdhsa_exception_fp_ieee_invalid_op 0
		.amdhsa_exception_fp_denorm_src 0
		.amdhsa_exception_fp_ieee_div_zero 0
		.amdhsa_exception_fp_ieee_overflow 0
		.amdhsa_exception_fp_ieee_underflow 0
		.amdhsa_exception_fp_ieee_inexact 0
		.amdhsa_exception_int_div_zero 0
	.end_amdhsa_kernel
	.section	.text._ZN7rocprim17ROCPRIM_400000_NS6detail17trampoline_kernelINS0_14default_configENS1_20scan_config_selectorIN3c107complexIfEEEEZZNS1_9scan_implILNS1_25lookback_scan_determinismE0ELb0ELb0ES3_PKS7_PS7_S7_ZZZN2at6native31launch_logcumsumexp_cuda_kernelERKNSE_10TensorBaseESI_lENKUlvE_clEvENKUlvE2_clEvEUlS7_S7_E_S7_EEDaPvRmT3_T4_T5_mT6_P12ihipStream_tbENKUlT_T0_E_clISt17integral_constantIbLb1EESZ_EEDaSU_SV_EUlSU_E_NS1_11comp_targetILNS1_3genE0ELNS1_11target_archE4294967295ELNS1_3gpuE0ELNS1_3repE0EEENS1_30default_config_static_selectorELNS0_4arch9wavefront6targetE1EEEvT1_,"axG",@progbits,_ZN7rocprim17ROCPRIM_400000_NS6detail17trampoline_kernelINS0_14default_configENS1_20scan_config_selectorIN3c107complexIfEEEEZZNS1_9scan_implILNS1_25lookback_scan_determinismE0ELb0ELb0ES3_PKS7_PS7_S7_ZZZN2at6native31launch_logcumsumexp_cuda_kernelERKNSE_10TensorBaseESI_lENKUlvE_clEvENKUlvE2_clEvEUlS7_S7_E_S7_EEDaPvRmT3_T4_T5_mT6_P12ihipStream_tbENKUlT_T0_E_clISt17integral_constantIbLb1EESZ_EEDaSU_SV_EUlSU_E_NS1_11comp_targetILNS1_3genE0ELNS1_11target_archE4294967295ELNS1_3gpuE0ELNS1_3repE0EEENS1_30default_config_static_selectorELNS0_4arch9wavefront6targetE1EEEvT1_,comdat
.Lfunc_end291:
	.size	_ZN7rocprim17ROCPRIM_400000_NS6detail17trampoline_kernelINS0_14default_configENS1_20scan_config_selectorIN3c107complexIfEEEEZZNS1_9scan_implILNS1_25lookback_scan_determinismE0ELb0ELb0ES3_PKS7_PS7_S7_ZZZN2at6native31launch_logcumsumexp_cuda_kernelERKNSE_10TensorBaseESI_lENKUlvE_clEvENKUlvE2_clEvEUlS7_S7_E_S7_EEDaPvRmT3_T4_T5_mT6_P12ihipStream_tbENKUlT_T0_E_clISt17integral_constantIbLb1EESZ_EEDaSU_SV_EUlSU_E_NS1_11comp_targetILNS1_3genE0ELNS1_11target_archE4294967295ELNS1_3gpuE0ELNS1_3repE0EEENS1_30default_config_static_selectorELNS0_4arch9wavefront6targetE1EEEvT1_, .Lfunc_end291-_ZN7rocprim17ROCPRIM_400000_NS6detail17trampoline_kernelINS0_14default_configENS1_20scan_config_selectorIN3c107complexIfEEEEZZNS1_9scan_implILNS1_25lookback_scan_determinismE0ELb0ELb0ES3_PKS7_PS7_S7_ZZZN2at6native31launch_logcumsumexp_cuda_kernelERKNSE_10TensorBaseESI_lENKUlvE_clEvENKUlvE2_clEvEUlS7_S7_E_S7_EEDaPvRmT3_T4_T5_mT6_P12ihipStream_tbENKUlT_T0_E_clISt17integral_constantIbLb1EESZ_EEDaSU_SV_EUlSU_E_NS1_11comp_targetILNS1_3genE0ELNS1_11target_archE4294967295ELNS1_3gpuE0ELNS1_3repE0EEENS1_30default_config_static_selectorELNS0_4arch9wavefront6targetE1EEEvT1_
                                        ; -- End function
	.section	.AMDGPU.csdata,"",@progbits
; Kernel info:
; codeLenInByte = 0
; NumSgprs: 4
; NumVgprs: 0
; NumAgprs: 0
; TotalNumVgprs: 0
; ScratchSize: 0
; MemoryBound: 0
; FloatMode: 240
; IeeeMode: 1
; LDSByteSize: 0 bytes/workgroup (compile time only)
; SGPRBlocks: 0
; VGPRBlocks: 0
; NumSGPRsForWavesPerEU: 4
; NumVGPRsForWavesPerEU: 1
; AccumOffset: 4
; Occupancy: 8
; WaveLimiterHint : 0
; COMPUTE_PGM_RSRC2:SCRATCH_EN: 0
; COMPUTE_PGM_RSRC2:USER_SGPR: 6
; COMPUTE_PGM_RSRC2:TRAP_HANDLER: 0
; COMPUTE_PGM_RSRC2:TGID_X_EN: 1
; COMPUTE_PGM_RSRC2:TGID_Y_EN: 0
; COMPUTE_PGM_RSRC2:TGID_Z_EN: 0
; COMPUTE_PGM_RSRC2:TIDIG_COMP_CNT: 0
; COMPUTE_PGM_RSRC3_GFX90A:ACCUM_OFFSET: 0
; COMPUTE_PGM_RSRC3_GFX90A:TG_SPLIT: 0
	.section	.text._ZN7rocprim17ROCPRIM_400000_NS6detail17trampoline_kernelINS0_14default_configENS1_20scan_config_selectorIN3c107complexIfEEEEZZNS1_9scan_implILNS1_25lookback_scan_determinismE0ELb0ELb0ES3_PKS7_PS7_S7_ZZZN2at6native31launch_logcumsumexp_cuda_kernelERKNSE_10TensorBaseESI_lENKUlvE_clEvENKUlvE2_clEvEUlS7_S7_E_S7_EEDaPvRmT3_T4_T5_mT6_P12ihipStream_tbENKUlT_T0_E_clISt17integral_constantIbLb1EESZ_EEDaSU_SV_EUlSU_E_NS1_11comp_targetILNS1_3genE5ELNS1_11target_archE942ELNS1_3gpuE9ELNS1_3repE0EEENS1_30default_config_static_selectorELNS0_4arch9wavefront6targetE1EEEvT1_,"axG",@progbits,_ZN7rocprim17ROCPRIM_400000_NS6detail17trampoline_kernelINS0_14default_configENS1_20scan_config_selectorIN3c107complexIfEEEEZZNS1_9scan_implILNS1_25lookback_scan_determinismE0ELb0ELb0ES3_PKS7_PS7_S7_ZZZN2at6native31launch_logcumsumexp_cuda_kernelERKNSE_10TensorBaseESI_lENKUlvE_clEvENKUlvE2_clEvEUlS7_S7_E_S7_EEDaPvRmT3_T4_T5_mT6_P12ihipStream_tbENKUlT_T0_E_clISt17integral_constantIbLb1EESZ_EEDaSU_SV_EUlSU_E_NS1_11comp_targetILNS1_3genE5ELNS1_11target_archE942ELNS1_3gpuE9ELNS1_3repE0EEENS1_30default_config_static_selectorELNS0_4arch9wavefront6targetE1EEEvT1_,comdat
	.globl	_ZN7rocprim17ROCPRIM_400000_NS6detail17trampoline_kernelINS0_14default_configENS1_20scan_config_selectorIN3c107complexIfEEEEZZNS1_9scan_implILNS1_25lookback_scan_determinismE0ELb0ELb0ES3_PKS7_PS7_S7_ZZZN2at6native31launch_logcumsumexp_cuda_kernelERKNSE_10TensorBaseESI_lENKUlvE_clEvENKUlvE2_clEvEUlS7_S7_E_S7_EEDaPvRmT3_T4_T5_mT6_P12ihipStream_tbENKUlT_T0_E_clISt17integral_constantIbLb1EESZ_EEDaSU_SV_EUlSU_E_NS1_11comp_targetILNS1_3genE5ELNS1_11target_archE942ELNS1_3gpuE9ELNS1_3repE0EEENS1_30default_config_static_selectorELNS0_4arch9wavefront6targetE1EEEvT1_ ; -- Begin function _ZN7rocprim17ROCPRIM_400000_NS6detail17trampoline_kernelINS0_14default_configENS1_20scan_config_selectorIN3c107complexIfEEEEZZNS1_9scan_implILNS1_25lookback_scan_determinismE0ELb0ELb0ES3_PKS7_PS7_S7_ZZZN2at6native31launch_logcumsumexp_cuda_kernelERKNSE_10TensorBaseESI_lENKUlvE_clEvENKUlvE2_clEvEUlS7_S7_E_S7_EEDaPvRmT3_T4_T5_mT6_P12ihipStream_tbENKUlT_T0_E_clISt17integral_constantIbLb1EESZ_EEDaSU_SV_EUlSU_E_NS1_11comp_targetILNS1_3genE5ELNS1_11target_archE942ELNS1_3gpuE9ELNS1_3repE0EEENS1_30default_config_static_selectorELNS0_4arch9wavefront6targetE1EEEvT1_
	.p2align	8
	.type	_ZN7rocprim17ROCPRIM_400000_NS6detail17trampoline_kernelINS0_14default_configENS1_20scan_config_selectorIN3c107complexIfEEEEZZNS1_9scan_implILNS1_25lookback_scan_determinismE0ELb0ELb0ES3_PKS7_PS7_S7_ZZZN2at6native31launch_logcumsumexp_cuda_kernelERKNSE_10TensorBaseESI_lENKUlvE_clEvENKUlvE2_clEvEUlS7_S7_E_S7_EEDaPvRmT3_T4_T5_mT6_P12ihipStream_tbENKUlT_T0_E_clISt17integral_constantIbLb1EESZ_EEDaSU_SV_EUlSU_E_NS1_11comp_targetILNS1_3genE5ELNS1_11target_archE942ELNS1_3gpuE9ELNS1_3repE0EEENS1_30default_config_static_selectorELNS0_4arch9wavefront6targetE1EEEvT1_,@function
_ZN7rocprim17ROCPRIM_400000_NS6detail17trampoline_kernelINS0_14default_configENS1_20scan_config_selectorIN3c107complexIfEEEEZZNS1_9scan_implILNS1_25lookback_scan_determinismE0ELb0ELb0ES3_PKS7_PS7_S7_ZZZN2at6native31launch_logcumsumexp_cuda_kernelERKNSE_10TensorBaseESI_lENKUlvE_clEvENKUlvE2_clEvEUlS7_S7_E_S7_EEDaPvRmT3_T4_T5_mT6_P12ihipStream_tbENKUlT_T0_E_clISt17integral_constantIbLb1EESZ_EEDaSU_SV_EUlSU_E_NS1_11comp_targetILNS1_3genE5ELNS1_11target_archE942ELNS1_3gpuE9ELNS1_3repE0EEENS1_30default_config_static_selectorELNS0_4arch9wavefront6targetE1EEEvT1_: ; @_ZN7rocprim17ROCPRIM_400000_NS6detail17trampoline_kernelINS0_14default_configENS1_20scan_config_selectorIN3c107complexIfEEEEZZNS1_9scan_implILNS1_25lookback_scan_determinismE0ELb0ELb0ES3_PKS7_PS7_S7_ZZZN2at6native31launch_logcumsumexp_cuda_kernelERKNSE_10TensorBaseESI_lENKUlvE_clEvENKUlvE2_clEvEUlS7_S7_E_S7_EEDaPvRmT3_T4_T5_mT6_P12ihipStream_tbENKUlT_T0_E_clISt17integral_constantIbLb1EESZ_EEDaSU_SV_EUlSU_E_NS1_11comp_targetILNS1_3genE5ELNS1_11target_archE942ELNS1_3gpuE9ELNS1_3repE0EEENS1_30default_config_static_selectorELNS0_4arch9wavefront6targetE1EEEvT1_
; %bb.0:
	.section	.rodata,"a",@progbits
	.p2align	6, 0x0
	.amdhsa_kernel _ZN7rocprim17ROCPRIM_400000_NS6detail17trampoline_kernelINS0_14default_configENS1_20scan_config_selectorIN3c107complexIfEEEEZZNS1_9scan_implILNS1_25lookback_scan_determinismE0ELb0ELb0ES3_PKS7_PS7_S7_ZZZN2at6native31launch_logcumsumexp_cuda_kernelERKNSE_10TensorBaseESI_lENKUlvE_clEvENKUlvE2_clEvEUlS7_S7_E_S7_EEDaPvRmT3_T4_T5_mT6_P12ihipStream_tbENKUlT_T0_E_clISt17integral_constantIbLb1EESZ_EEDaSU_SV_EUlSU_E_NS1_11comp_targetILNS1_3genE5ELNS1_11target_archE942ELNS1_3gpuE9ELNS1_3repE0EEENS1_30default_config_static_selectorELNS0_4arch9wavefront6targetE1EEEvT1_
		.amdhsa_group_segment_fixed_size 0
		.amdhsa_private_segment_fixed_size 0
		.amdhsa_kernarg_size 104
		.amdhsa_user_sgpr_count 6
		.amdhsa_user_sgpr_private_segment_buffer 1
		.amdhsa_user_sgpr_dispatch_ptr 0
		.amdhsa_user_sgpr_queue_ptr 0
		.amdhsa_user_sgpr_kernarg_segment_ptr 1
		.amdhsa_user_sgpr_dispatch_id 0
		.amdhsa_user_sgpr_flat_scratch_init 0
		.amdhsa_user_sgpr_kernarg_preload_length 0
		.amdhsa_user_sgpr_kernarg_preload_offset 0
		.amdhsa_user_sgpr_private_segment_size 0
		.amdhsa_uses_dynamic_stack 0
		.amdhsa_system_sgpr_private_segment_wavefront_offset 0
		.amdhsa_system_sgpr_workgroup_id_x 1
		.amdhsa_system_sgpr_workgroup_id_y 0
		.amdhsa_system_sgpr_workgroup_id_z 0
		.amdhsa_system_sgpr_workgroup_info 0
		.amdhsa_system_vgpr_workitem_id 0
		.amdhsa_next_free_vgpr 1
		.amdhsa_next_free_sgpr 0
		.amdhsa_accum_offset 4
		.amdhsa_reserve_vcc 0
		.amdhsa_reserve_flat_scratch 0
		.amdhsa_float_round_mode_32 0
		.amdhsa_float_round_mode_16_64 0
		.amdhsa_float_denorm_mode_32 3
		.amdhsa_float_denorm_mode_16_64 3
		.amdhsa_dx10_clamp 1
		.amdhsa_ieee_mode 1
		.amdhsa_fp16_overflow 0
		.amdhsa_tg_split 0
		.amdhsa_exception_fp_ieee_invalid_op 0
		.amdhsa_exception_fp_denorm_src 0
		.amdhsa_exception_fp_ieee_div_zero 0
		.amdhsa_exception_fp_ieee_overflow 0
		.amdhsa_exception_fp_ieee_underflow 0
		.amdhsa_exception_fp_ieee_inexact 0
		.amdhsa_exception_int_div_zero 0
	.end_amdhsa_kernel
	.section	.text._ZN7rocprim17ROCPRIM_400000_NS6detail17trampoline_kernelINS0_14default_configENS1_20scan_config_selectorIN3c107complexIfEEEEZZNS1_9scan_implILNS1_25lookback_scan_determinismE0ELb0ELb0ES3_PKS7_PS7_S7_ZZZN2at6native31launch_logcumsumexp_cuda_kernelERKNSE_10TensorBaseESI_lENKUlvE_clEvENKUlvE2_clEvEUlS7_S7_E_S7_EEDaPvRmT3_T4_T5_mT6_P12ihipStream_tbENKUlT_T0_E_clISt17integral_constantIbLb1EESZ_EEDaSU_SV_EUlSU_E_NS1_11comp_targetILNS1_3genE5ELNS1_11target_archE942ELNS1_3gpuE9ELNS1_3repE0EEENS1_30default_config_static_selectorELNS0_4arch9wavefront6targetE1EEEvT1_,"axG",@progbits,_ZN7rocprim17ROCPRIM_400000_NS6detail17trampoline_kernelINS0_14default_configENS1_20scan_config_selectorIN3c107complexIfEEEEZZNS1_9scan_implILNS1_25lookback_scan_determinismE0ELb0ELb0ES3_PKS7_PS7_S7_ZZZN2at6native31launch_logcumsumexp_cuda_kernelERKNSE_10TensorBaseESI_lENKUlvE_clEvENKUlvE2_clEvEUlS7_S7_E_S7_EEDaPvRmT3_T4_T5_mT6_P12ihipStream_tbENKUlT_T0_E_clISt17integral_constantIbLb1EESZ_EEDaSU_SV_EUlSU_E_NS1_11comp_targetILNS1_3genE5ELNS1_11target_archE942ELNS1_3gpuE9ELNS1_3repE0EEENS1_30default_config_static_selectorELNS0_4arch9wavefront6targetE1EEEvT1_,comdat
.Lfunc_end292:
	.size	_ZN7rocprim17ROCPRIM_400000_NS6detail17trampoline_kernelINS0_14default_configENS1_20scan_config_selectorIN3c107complexIfEEEEZZNS1_9scan_implILNS1_25lookback_scan_determinismE0ELb0ELb0ES3_PKS7_PS7_S7_ZZZN2at6native31launch_logcumsumexp_cuda_kernelERKNSE_10TensorBaseESI_lENKUlvE_clEvENKUlvE2_clEvEUlS7_S7_E_S7_EEDaPvRmT3_T4_T5_mT6_P12ihipStream_tbENKUlT_T0_E_clISt17integral_constantIbLb1EESZ_EEDaSU_SV_EUlSU_E_NS1_11comp_targetILNS1_3genE5ELNS1_11target_archE942ELNS1_3gpuE9ELNS1_3repE0EEENS1_30default_config_static_selectorELNS0_4arch9wavefront6targetE1EEEvT1_, .Lfunc_end292-_ZN7rocprim17ROCPRIM_400000_NS6detail17trampoline_kernelINS0_14default_configENS1_20scan_config_selectorIN3c107complexIfEEEEZZNS1_9scan_implILNS1_25lookback_scan_determinismE0ELb0ELb0ES3_PKS7_PS7_S7_ZZZN2at6native31launch_logcumsumexp_cuda_kernelERKNSE_10TensorBaseESI_lENKUlvE_clEvENKUlvE2_clEvEUlS7_S7_E_S7_EEDaPvRmT3_T4_T5_mT6_P12ihipStream_tbENKUlT_T0_E_clISt17integral_constantIbLb1EESZ_EEDaSU_SV_EUlSU_E_NS1_11comp_targetILNS1_3genE5ELNS1_11target_archE942ELNS1_3gpuE9ELNS1_3repE0EEENS1_30default_config_static_selectorELNS0_4arch9wavefront6targetE1EEEvT1_
                                        ; -- End function
	.section	.AMDGPU.csdata,"",@progbits
; Kernel info:
; codeLenInByte = 0
; NumSgprs: 4
; NumVgprs: 0
; NumAgprs: 0
; TotalNumVgprs: 0
; ScratchSize: 0
; MemoryBound: 0
; FloatMode: 240
; IeeeMode: 1
; LDSByteSize: 0 bytes/workgroup (compile time only)
; SGPRBlocks: 0
; VGPRBlocks: 0
; NumSGPRsForWavesPerEU: 4
; NumVGPRsForWavesPerEU: 1
; AccumOffset: 4
; Occupancy: 8
; WaveLimiterHint : 0
; COMPUTE_PGM_RSRC2:SCRATCH_EN: 0
; COMPUTE_PGM_RSRC2:USER_SGPR: 6
; COMPUTE_PGM_RSRC2:TRAP_HANDLER: 0
; COMPUTE_PGM_RSRC2:TGID_X_EN: 1
; COMPUTE_PGM_RSRC2:TGID_Y_EN: 0
; COMPUTE_PGM_RSRC2:TGID_Z_EN: 0
; COMPUTE_PGM_RSRC2:TIDIG_COMP_CNT: 0
; COMPUTE_PGM_RSRC3_GFX90A:ACCUM_OFFSET: 0
; COMPUTE_PGM_RSRC3_GFX90A:TG_SPLIT: 0
	.section	.text._ZN7rocprim17ROCPRIM_400000_NS6detail17trampoline_kernelINS0_14default_configENS1_20scan_config_selectorIN3c107complexIfEEEEZZNS1_9scan_implILNS1_25lookback_scan_determinismE0ELb0ELb0ES3_PKS7_PS7_S7_ZZZN2at6native31launch_logcumsumexp_cuda_kernelERKNSE_10TensorBaseESI_lENKUlvE_clEvENKUlvE2_clEvEUlS7_S7_E_S7_EEDaPvRmT3_T4_T5_mT6_P12ihipStream_tbENKUlT_T0_E_clISt17integral_constantIbLb1EESZ_EEDaSU_SV_EUlSU_E_NS1_11comp_targetILNS1_3genE4ELNS1_11target_archE910ELNS1_3gpuE8ELNS1_3repE0EEENS1_30default_config_static_selectorELNS0_4arch9wavefront6targetE1EEEvT1_,"axG",@progbits,_ZN7rocprim17ROCPRIM_400000_NS6detail17trampoline_kernelINS0_14default_configENS1_20scan_config_selectorIN3c107complexIfEEEEZZNS1_9scan_implILNS1_25lookback_scan_determinismE0ELb0ELb0ES3_PKS7_PS7_S7_ZZZN2at6native31launch_logcumsumexp_cuda_kernelERKNSE_10TensorBaseESI_lENKUlvE_clEvENKUlvE2_clEvEUlS7_S7_E_S7_EEDaPvRmT3_T4_T5_mT6_P12ihipStream_tbENKUlT_T0_E_clISt17integral_constantIbLb1EESZ_EEDaSU_SV_EUlSU_E_NS1_11comp_targetILNS1_3genE4ELNS1_11target_archE910ELNS1_3gpuE8ELNS1_3repE0EEENS1_30default_config_static_selectorELNS0_4arch9wavefront6targetE1EEEvT1_,comdat
	.globl	_ZN7rocprim17ROCPRIM_400000_NS6detail17trampoline_kernelINS0_14default_configENS1_20scan_config_selectorIN3c107complexIfEEEEZZNS1_9scan_implILNS1_25lookback_scan_determinismE0ELb0ELb0ES3_PKS7_PS7_S7_ZZZN2at6native31launch_logcumsumexp_cuda_kernelERKNSE_10TensorBaseESI_lENKUlvE_clEvENKUlvE2_clEvEUlS7_S7_E_S7_EEDaPvRmT3_T4_T5_mT6_P12ihipStream_tbENKUlT_T0_E_clISt17integral_constantIbLb1EESZ_EEDaSU_SV_EUlSU_E_NS1_11comp_targetILNS1_3genE4ELNS1_11target_archE910ELNS1_3gpuE8ELNS1_3repE0EEENS1_30default_config_static_selectorELNS0_4arch9wavefront6targetE1EEEvT1_ ; -- Begin function _ZN7rocprim17ROCPRIM_400000_NS6detail17trampoline_kernelINS0_14default_configENS1_20scan_config_selectorIN3c107complexIfEEEEZZNS1_9scan_implILNS1_25lookback_scan_determinismE0ELb0ELb0ES3_PKS7_PS7_S7_ZZZN2at6native31launch_logcumsumexp_cuda_kernelERKNSE_10TensorBaseESI_lENKUlvE_clEvENKUlvE2_clEvEUlS7_S7_E_S7_EEDaPvRmT3_T4_T5_mT6_P12ihipStream_tbENKUlT_T0_E_clISt17integral_constantIbLb1EESZ_EEDaSU_SV_EUlSU_E_NS1_11comp_targetILNS1_3genE4ELNS1_11target_archE910ELNS1_3gpuE8ELNS1_3repE0EEENS1_30default_config_static_selectorELNS0_4arch9wavefront6targetE1EEEvT1_
	.p2align	8
	.type	_ZN7rocprim17ROCPRIM_400000_NS6detail17trampoline_kernelINS0_14default_configENS1_20scan_config_selectorIN3c107complexIfEEEEZZNS1_9scan_implILNS1_25lookback_scan_determinismE0ELb0ELb0ES3_PKS7_PS7_S7_ZZZN2at6native31launch_logcumsumexp_cuda_kernelERKNSE_10TensorBaseESI_lENKUlvE_clEvENKUlvE2_clEvEUlS7_S7_E_S7_EEDaPvRmT3_T4_T5_mT6_P12ihipStream_tbENKUlT_T0_E_clISt17integral_constantIbLb1EESZ_EEDaSU_SV_EUlSU_E_NS1_11comp_targetILNS1_3genE4ELNS1_11target_archE910ELNS1_3gpuE8ELNS1_3repE0EEENS1_30default_config_static_selectorELNS0_4arch9wavefront6targetE1EEEvT1_,@function
_ZN7rocprim17ROCPRIM_400000_NS6detail17trampoline_kernelINS0_14default_configENS1_20scan_config_selectorIN3c107complexIfEEEEZZNS1_9scan_implILNS1_25lookback_scan_determinismE0ELb0ELb0ES3_PKS7_PS7_S7_ZZZN2at6native31launch_logcumsumexp_cuda_kernelERKNSE_10TensorBaseESI_lENKUlvE_clEvENKUlvE2_clEvEUlS7_S7_E_S7_EEDaPvRmT3_T4_T5_mT6_P12ihipStream_tbENKUlT_T0_E_clISt17integral_constantIbLb1EESZ_EEDaSU_SV_EUlSU_E_NS1_11comp_targetILNS1_3genE4ELNS1_11target_archE910ELNS1_3gpuE8ELNS1_3repE0EEENS1_30default_config_static_selectorELNS0_4arch9wavefront6targetE1EEEvT1_: ; @_ZN7rocprim17ROCPRIM_400000_NS6detail17trampoline_kernelINS0_14default_configENS1_20scan_config_selectorIN3c107complexIfEEEEZZNS1_9scan_implILNS1_25lookback_scan_determinismE0ELb0ELb0ES3_PKS7_PS7_S7_ZZZN2at6native31launch_logcumsumexp_cuda_kernelERKNSE_10TensorBaseESI_lENKUlvE_clEvENKUlvE2_clEvEUlS7_S7_E_S7_EEDaPvRmT3_T4_T5_mT6_P12ihipStream_tbENKUlT_T0_E_clISt17integral_constantIbLb1EESZ_EEDaSU_SV_EUlSU_E_NS1_11comp_targetILNS1_3genE4ELNS1_11target_archE910ELNS1_3gpuE8ELNS1_3repE0EEENS1_30default_config_static_selectorELNS0_4arch9wavefront6targetE1EEEvT1_
; %bb.0:
	s_load_dwordx2 s[34:35], s[4:5], 0x30
	s_add_u32 flat_scratch_lo, s6, s9
	s_addc_u32 flat_scratch_hi, s7, 0
	s_add_u32 s0, s0, s9
	v_mov_b32_e32 v48, v0
	s_addc_u32 s1, s1, 0
	v_cmp_ne_u32_e64 s[20:21], 0, v48
	v_cmp_eq_u32_e64 s[22:23], 0, v48
	s_mov_b32 s32, 0
	s_and_saveexec_b64 s[6:7], s[22:23]
	s_cbranch_execz .LBB293_4
; %bb.1:
	s_mov_b64 s[10:11], exec
	v_mbcnt_lo_u32_b32 v0, s10, 0
	v_mbcnt_hi_u32_b32 v0, s11, v0
	v_cmp_eq_u32_e32 vcc, 0, v0
                                        ; implicit-def: $vgpr1
	s_and_saveexec_b64 s[8:9], vcc
	s_cbranch_execz .LBB293_3
; %bb.2:
	s_load_dwordx2 s[12:13], s[4:5], 0x60
	s_bcnt1_i32_b64 s10, s[10:11]
	v_mov_b32_e32 v1, 0
	v_mov_b32_e32 v2, s10
	s_waitcnt lgkmcnt(0)
	global_atomic_add v1, v1, v2, s[12:13] glc
.LBB293_3:
	s_or_b64 exec, exec, s[8:9]
	s_waitcnt vmcnt(0)
	v_readfirstlane_b32 s8, v1
	v_add_u32_e32 v0, s8, v0
	v_mov_b32_e32 v1, 0
	ds_write_b32 v1, v0
.LBB293_4:
	s_or_b64 exec, exec, s[6:7]
	s_load_dwordx8 s[24:31], s[4:5], 0x0
	s_load_dword s6, s[4:5], 0x38
	s_load_dwordx8 s[36:43], s[4:5], 0x40
	v_mov_b32_e32 v0, 0
	s_waitcnt lgkmcnt(0)
	s_barrier
	ds_read_b32 v0, v0
	s_lshl_b64 s[26:27], s[26:27], 3
	s_add_u32 s7, s24, s26
	s_addc_u32 s8, s25, s27
	s_add_i32 s6, s6, -1
	s_mul_i32 s9, s6, 0x380
	s_sub_u32 s33, s30, s9
	s_waitcnt lgkmcnt(0)
	v_readfirstlane_b32 s57, v0
	s_subb_u32 s56, s31, 0
	s_mov_b32 s5, 0
	s_mul_i32 s4, s57, 0x380
	s_cmp_lg_u32 s57, s6
	s_cselect_b64 s[44:45], -1, 0
	s_lshl_b64 s[46:47], s[4:5], 3
	s_add_u32 s6, s7, s46
	s_addc_u32 s7, s8, s47
	s_mov_b64 s[4:5], -1
	s_and_b64 vcc, exec, s[44:45]
	v_lshlrev_b32_e32 v63, 3, v48
	s_barrier
	s_cbranch_vccz .LBB293_6
; %bb.5:
	v_mov_b32_e32 v0, s7
	v_add_co_u32_e32 v8, vcc, s6, v63
	v_addc_co_u32_e32 v9, vcc, 0, v0, vcc
	v_add_co_u32_e32 v8, vcc, 0x1000, v8
	v_addc_co_u32_e32 v9, vcc, 0, v9, vcc
	global_load_dwordx2 v[0:1], v63, s[6:7]
	global_load_dwordx2 v[2:3], v63, s[6:7] offset:1024
	global_load_dwordx2 v[4:5], v63, s[6:7] offset:2048
	;; [unrolled: 1-line block ×3, first 2 shown]
	global_load_dwordx2 v[10:11], v[8:9], off
	global_load_dwordx2 v[12:13], v[8:9], off offset:1024
	global_load_dwordx2 v[14:15], v[8:9], off offset:2048
	s_mov_b64 s[4:5], 0
	s_waitcnt vmcnt(5)
	ds_write2st64_b64 v63, v[0:1], v[2:3] offset1:2
	s_waitcnt vmcnt(3)
	ds_write2st64_b64 v63, v[4:5], v[6:7] offset0:4 offset1:6
	s_waitcnt vmcnt(1)
	ds_write2st64_b64 v63, v[10:11], v[12:13] offset0:8 offset1:10
	s_waitcnt vmcnt(0)
	ds_write_b64 v63, v[14:15] offset:6144
	s_waitcnt lgkmcnt(0)
	s_barrier
.LBB293_6:
	s_andn2_b64 vcc, exec, s[4:5]
	v_cmp_gt_u32_e64 s[4:5], s33, v48
	s_cbranch_vccnz .LBB293_22
; %bb.7:
	v_mov_b32_e32 v0, 0
	global_load_dwordx2 v[0:1], v0, s[6:7]
	s_waitcnt vmcnt(0)
	v_pk_mov_b32 v[2:3], v[0:1], v[0:1] op_sel:[0,1]
	s_and_saveexec_b64 s[8:9], s[4:5]
	s_cbranch_execz .LBB293_9
; %bb.8:
	global_load_dwordx2 v[2:3], v63, s[6:7]
.LBB293_9:
	s_or_b64 exec, exec, s[8:9]
	v_or_b32_e32 v4, 0x80, v48
	v_cmp_gt_u32_e32 vcc, s33, v4
	v_pk_mov_b32 v[4:5], v[0:1], v[0:1] op_sel:[0,1]
	s_and_saveexec_b64 s[4:5], vcc
	s_cbranch_execz .LBB293_11
; %bb.10:
	global_load_dwordx2 v[4:5], v63, s[6:7] offset:1024
.LBB293_11:
	s_or_b64 exec, exec, s[4:5]
	v_or_b32_e32 v6, 0x100, v48
	v_cmp_gt_u32_e32 vcc, s33, v6
	v_pk_mov_b32 v[6:7], v[0:1], v[0:1] op_sel:[0,1]
	s_and_saveexec_b64 s[4:5], vcc
	s_cbranch_execz .LBB293_13
; %bb.12:
	global_load_dwordx2 v[6:7], v63, s[6:7] offset:2048
.LBB293_13:
	;; [unrolled: 9-line block ×3, first 2 shown]
	s_or_b64 exec, exec, s[4:5]
	v_or_b32_e32 v12, 0x200, v48
	v_cmp_gt_u32_e32 vcc, s33, v12
	v_pk_mov_b32 v[10:11], v[0:1], v[0:1] op_sel:[0,1]
	s_and_saveexec_b64 s[4:5], vcc
	s_cbranch_execz .LBB293_17
; %bb.16:
	v_lshlrev_b32_e32 v10, 3, v12
	global_load_dwordx2 v[10:11], v10, s[6:7]
.LBB293_17:
	s_or_b64 exec, exec, s[4:5]
	v_or_b32_e32 v14, 0x280, v48
	v_cmp_gt_u32_e32 vcc, s33, v14
	v_pk_mov_b32 v[12:13], v[0:1], v[0:1] op_sel:[0,1]
	s_and_saveexec_b64 s[4:5], vcc
	s_cbranch_execz .LBB293_19
; %bb.18:
	v_lshlrev_b32_e32 v12, 3, v14
	global_load_dwordx2 v[12:13], v12, s[6:7]
.LBB293_19:
	s_or_b64 exec, exec, s[4:5]
	v_or_b32_e32 v14, 0x300, v48
	v_cmp_gt_u32_e32 vcc, s33, v14
	s_and_saveexec_b64 s[4:5], vcc
	s_cbranch_execz .LBB293_21
; %bb.20:
	v_lshlrev_b32_e32 v0, 3, v14
	global_load_dwordx2 v[0:1], v0, s[6:7]
.LBB293_21:
	s_or_b64 exec, exec, s[4:5]
	s_waitcnt vmcnt(0)
	ds_write2st64_b64 v63, v[2:3], v[4:5] offset1:2
	ds_write2st64_b64 v63, v[6:7], v[8:9] offset0:4 offset1:6
	ds_write2st64_b64 v63, v[10:11], v[12:13] offset0:8 offset1:10
	ds_write_b64 v63, v[0:1] offset:6144
	s_waitcnt lgkmcnt(0)
	s_barrier
.LBB293_22:
	v_mul_u32_u24_e32 v62, 7, v48
	v_lshlrev_b32_e32 v64, 3, v62
	ds_read2_b64 v[28:31], v64 offset1:1
	ds_read2_b64 v[36:39], v64 offset0:2 offset1:3
	ds_read2_b64 v[32:35], v64 offset0:4 offset1:5
	ds_read_b64 v[50:51], v64 offset:48
	s_cmp_lg_u32 s57, 0
	s_waitcnt lgkmcnt(0)
	s_barrier
	s_cbranch_scc0 .LBB293_84
; %bb.23:
	v_mov_b32_e32 v0, v28
	v_mov_b32_e32 v1, v29
	;; [unrolled: 1-line block ×4, first 2 shown]
	s_getpc_b64 s[50:51]
	s_add_u32 s50, s50, _ZZZZN2at6native31launch_logcumsumexp_cuda_kernelERKNS_10TensorBaseES3_lENKUlvE_clEvENKUlvE2_clEvENKUlN3c107complexIfEES8_E_clES8_S8_@rel32@lo+4
	s_addc_u32 s51, s51, _ZZZZN2at6native31launch_logcumsumexp_cuda_kernelERKNS_10TensorBaseES3_lENKUlvE_clEvENKUlvE2_clEvENKUlN3c107complexIfEES8_E_clES8_S8_@rel32@hi+12
	s_swappc_b64 s[30:31], s[50:51]
	v_mov_b32_e32 v2, v36
	v_mov_b32_e32 v3, v37
	s_swappc_b64 s[30:31], s[50:51]
	v_mov_b32_e32 v2, v38
	v_mov_b32_e32 v3, v39
	;; [unrolled: 3-line block ×5, first 2 shown]
	s_swappc_b64 s[30:31], s[50:51]
	v_mov_b32_e32 v52, v0
	v_lshrrev_b32_e32 v0, 5, v48
	v_mov_b32_e32 v53, v1
	v_add_lshl_u32 v0, v0, v48, 3
	v_cmp_gt_u32_e64 s[24:25], 64, v48
	ds_write_b64 v0, v[52:53]
	s_waitcnt lgkmcnt(0)
	s_barrier
	s_and_saveexec_b64 s[48:49], s[24:25]
	s_cbranch_execz .LBB293_37
; %bb.24:
	v_lshlrev_b32_e32 v0, 1, v48
	v_lshrrev_b32_e32 v1, 4, v48
	v_add_lshl_u32 v27, v1, v0, 3
	ds_read2_b64 v[40:43], v27 offset1:1
	s_waitcnt lgkmcnt(0)
	v_mov_b32_e32 v0, v40
	v_mov_b32_e32 v1, v41
	;; [unrolled: 1-line block ×4, first 2 shown]
	s_swappc_b64 s[30:31], s[50:51]
	v_mov_b32_e32 v2, v0
	v_mbcnt_lo_u32_b32 v0, -1, 0
	v_mbcnt_hi_u32_b32 v42, -1, v0
	v_mov_b32_e32 v3, v1
	v_and_b32_e32 v43, 15, v42
	v_mov_b32_dpp v0, v2 row_shr:1 row_mask:0xf bank_mask:0xf
	v_mov_b32_dpp v1, v3 row_shr:1 row_mask:0xf bank_mask:0xf
	v_cmp_ne_u32_e32 vcc, 0, v43
	s_and_saveexec_b64 s[50:51], vcc
	s_cbranch_execz .LBB293_26
; %bb.25:
	s_getpc_b64 s[4:5]
	s_add_u32 s4, s4, _ZZZZN2at6native31launch_logcumsumexp_cuda_kernelERKNS_10TensorBaseES3_lENKUlvE_clEvENKUlvE2_clEvENKUlN3c107complexIfEES8_E_clES8_S8_@rel32@lo+4
	s_addc_u32 s5, s5, _ZZZZN2at6native31launch_logcumsumexp_cuda_kernelERKNS_10TensorBaseES3_lENKUlvE_clEvENKUlvE2_clEvENKUlN3c107complexIfEES8_E_clES8_S8_@rel32@hi+12
	s_swappc_b64 s[30:31], s[4:5]
	v_mov_b32_e32 v2, v0
	v_mov_b32_e32 v3, v1
.LBB293_26:
	s_or_b64 exec, exec, s[50:51]
	v_mov_b32_dpp v0, v2 row_shr:2 row_mask:0xf bank_mask:0xf
	v_mov_b32_dpp v1, v3 row_shr:2 row_mask:0xf bank_mask:0xf
	v_cmp_lt_u32_e32 vcc, 1, v43
	s_and_saveexec_b64 s[50:51], vcc
	s_cbranch_execz .LBB293_28
; %bb.27:
	s_getpc_b64 s[4:5]
	s_add_u32 s4, s4, _ZZZZN2at6native31launch_logcumsumexp_cuda_kernelERKNS_10TensorBaseES3_lENKUlvE_clEvENKUlvE2_clEvENKUlN3c107complexIfEES8_E_clES8_S8_@rel32@lo+4
	s_addc_u32 s5, s5, _ZZZZN2at6native31launch_logcumsumexp_cuda_kernelERKNS_10TensorBaseES3_lENKUlvE_clEvENKUlvE2_clEvENKUlN3c107complexIfEES8_E_clES8_S8_@rel32@hi+12
	s_swappc_b64 s[30:31], s[4:5]
	v_mov_b32_e32 v2, v0
	v_mov_b32_e32 v3, v1
.LBB293_28:
	s_or_b64 exec, exec, s[50:51]
	v_mov_b32_dpp v0, v2 row_shr:4 row_mask:0xf bank_mask:0xf
	v_mov_b32_dpp v1, v3 row_shr:4 row_mask:0xf bank_mask:0xf
	v_cmp_lt_u32_e32 vcc, 3, v43
	;; [unrolled: 14-line block ×3, first 2 shown]
	s_and_saveexec_b64 s[50:51], vcc
	s_cbranch_execz .LBB293_32
; %bb.31:
	s_getpc_b64 s[4:5]
	s_add_u32 s4, s4, _ZZZZN2at6native31launch_logcumsumexp_cuda_kernelERKNS_10TensorBaseES3_lENKUlvE_clEvENKUlvE2_clEvENKUlN3c107complexIfEES8_E_clES8_S8_@rel32@lo+4
	s_addc_u32 s5, s5, _ZZZZN2at6native31launch_logcumsumexp_cuda_kernelERKNS_10TensorBaseES3_lENKUlvE_clEvENKUlvE2_clEvENKUlN3c107complexIfEES8_E_clES8_S8_@rel32@hi+12
	s_swappc_b64 s[30:31], s[4:5]
	v_mov_b32_e32 v2, v0
	v_mov_b32_e32 v3, v1
.LBB293_32:
	s_or_b64 exec, exec, s[50:51]
	v_and_b32_e32 v4, 16, v42
	v_mov_b32_dpp v0, v2 row_bcast:15 row_mask:0xf bank_mask:0xf
	v_mov_b32_dpp v1, v3 row_bcast:15 row_mask:0xf bank_mask:0xf
	v_cmp_ne_u32_e32 vcc, 0, v4
	s_and_saveexec_b64 s[50:51], vcc
	s_cbranch_execz .LBB293_34
; %bb.33:
	s_getpc_b64 s[4:5]
	s_add_u32 s4, s4, _ZZZZN2at6native31launch_logcumsumexp_cuda_kernelERKNS_10TensorBaseES3_lENKUlvE_clEvENKUlvE2_clEvENKUlN3c107complexIfEES8_E_clES8_S8_@rel32@lo+4
	s_addc_u32 s5, s5, _ZZZZN2at6native31launch_logcumsumexp_cuda_kernelERKNS_10TensorBaseES3_lENKUlvE_clEvENKUlvE2_clEvENKUlN3c107complexIfEES8_E_clES8_S8_@rel32@hi+12
	s_swappc_b64 s[30:31], s[4:5]
	v_mov_b32_e32 v2, v0
	v_mov_b32_e32 v3, v1
.LBB293_34:
	s_or_b64 exec, exec, s[50:51]
	v_mov_b32_dpp v0, v2 row_bcast:31 row_mask:0xf bank_mask:0xf
	v_mov_b32_dpp v1, v3 row_bcast:31 row_mask:0xf bank_mask:0xf
	v_cmp_lt_u32_e32 vcc, 31, v42
	s_and_saveexec_b64 s[50:51], vcc
	s_cbranch_execz .LBB293_36
; %bb.35:
	s_getpc_b64 s[4:5]
	s_add_u32 s4, s4, _ZZZZN2at6native31launch_logcumsumexp_cuda_kernelERKNS_10TensorBaseES3_lENKUlvE_clEvENKUlvE2_clEvENKUlN3c107complexIfEES8_E_clES8_S8_@rel32@lo+4
	s_addc_u32 s5, s5, _ZZZZN2at6native31launch_logcumsumexp_cuda_kernelERKNS_10TensorBaseES3_lENKUlvE_clEvENKUlvE2_clEvENKUlN3c107complexIfEES8_E_clES8_S8_@rel32@hi+12
	s_swappc_b64 s[30:31], s[4:5]
	v_mov_b32_e32 v2, v0
	v_mov_b32_e32 v3, v1
.LBB293_36:
	s_or_b64 exec, exec, s[50:51]
	v_add_u32_e32 v0, -1, v42
	v_and_b32_e32 v1, 64, v42
	v_cmp_lt_i32_e32 vcc, v0, v1
	v_cndmask_b32_e32 v0, v0, v42, vcc
	v_lshlrev_b32_e32 v1, 2, v0
	ds_bpermute_b32 v0, v1, v2
	ds_bpermute_b32 v1, v1, v3
	v_mov_b32_e32 v2, v40
	v_mov_b32_e32 v3, v41
	s_getpc_b64 s[50:51]
	s_add_u32 s50, s50, _ZZZZN2at6native31launch_logcumsumexp_cuda_kernelERKNS_10TensorBaseES3_lENKUlvE_clEvENKUlvE2_clEvENKUlN3c107complexIfEES8_E_clES8_S8_@rel32@lo+4
	s_addc_u32 s51, s51, _ZZZZN2at6native31launch_logcumsumexp_cuda_kernelERKNS_10TensorBaseES3_lENKUlvE_clEvENKUlvE2_clEvENKUlN3c107complexIfEES8_E_clES8_S8_@rel32@hi+12
	s_swappc_b64 s[30:31], s[50:51]
	v_cndmask_b32_e64 v0, v0, v52, s[22:23]
	v_cndmask_b32_e64 v1, v1, v53, s[22:23]
	; wave barrier
	ds_write_b64 v27, v[0:1]
	; wave barrier
	ds_read_b64 v[2:3], v27 offset:8
	s_swappc_b64 s[30:31], s[50:51]
	ds_write_b64 v27, v[0:1] offset:8
.LBB293_37:
	s_or_b64 exec, exec, s[48:49]
	s_waitcnt lgkmcnt(0)
	s_barrier
	s_and_saveexec_b64 s[4:5], s[20:21]
	s_cbranch_execz .LBB293_39
; %bb.38:
	v_add_u32_e32 v0, -1, v48
	v_lshrrev_b32_e32 v1, 5, v0
	v_add_lshl_u32 v0, v1, v0, 3
	ds_read_b64 v[52:53], v0
.LBB293_39:
	s_or_b64 exec, exec, s[4:5]
	s_and_saveexec_b64 s[48:49], s[24:25]
	s_cbranch_execz .LBB293_89
; %bb.40:
	v_mov_b32_e32 v43, 0
	ds_read_b64 v[40:41], v43 offset:1040
	v_mbcnt_lo_u32_b32 v0, -1, 0
	v_mbcnt_hi_u32_b32 v55, -1, v0
	s_mov_b32 s7, 0
	v_cmp_eq_u32_e64 s[24:25], 0, v55
	s_waitcnt lgkmcnt(0)
	v_readfirstlane_b32 s58, v41
	s_and_saveexec_b64 s[4:5], s[24:25]
	s_cbranch_execz .LBB293_42
; %bb.41:
	s_add_i32 s6, s57, 64
	s_lshl_b64 s[8:9], s[6:7], 4
	s_add_u32 s8, s34, s8
	s_addc_u32 s9, s35, s9
	s_and_b32 s11, s58, 0xff000000
	s_mov_b32 s10, s7
	s_and_b32 s13, s58, 0xff0000
	s_mov_b32 s12, s7
	s_or_b64 s[10:11], s[12:13], s[10:11]
	s_and_b32 s13, s58, 0xff00
	s_or_b64 s[10:11], s[10:11], s[12:13]
	s_and_b32 s13, s58, 0xff
	s_or_b64 s[6:7], s[10:11], s[12:13]
	v_mov_b32_e32 v41, s7
	v_mov_b32_e32 v42, 1
	v_pk_mov_b32 v[0:1], s[8:9], s[8:9] op_sel:[0,1]
	;;#ASMSTART
	global_store_dwordx4 v[0:1], v[40:43] off	
s_waitcnt vmcnt(0)
	;;#ASMEND
.LBB293_42:
	s_or_b64 exec, exec, s[4:5]
	v_xad_u32 v54, v55, -1, s57
	v_add_u32_e32 v42, 64, v54
	v_lshlrev_b64 v[0:1], 4, v[42:43]
	v_mov_b32_e32 v2, s35
	v_add_co_u32_e32 v0, vcc, s34, v0
	s_mov_b32 s4, 0x1000706
	v_addc_co_u32_e32 v1, vcc, v2, v1, vcc
	;;#ASMSTART
	global_load_dwordx4 v[44:47], v[0:1] off glc	
s_waitcnt vmcnt(0)
	;;#ASMEND
	v_perm_b32 v2, v45, v46, s4
	v_lshlrev_b32_e32 v2, 16, v2
	s_mov_b32 s4, 0x7020504
	v_perm_b32 v27, v45, v2, s4
	s_mov_b32 s4, 0x3060504
	v_perm_b32 v45, v44, v44, s4
	v_cmp_eq_u16_sdwa s[6:7], v46, v43 src0_sel:BYTE_0 src1_sel:DWORD
	s_and_saveexec_b64 s[4:5], s[6:7]
	s_cbranch_execz .LBB293_48
; %bb.43:
	s_mov_b32 s8, 1
	s_mov_b64 s[6:7], 0
	v_mov_b32_e32 v2, 0
.LBB293_44:                             ; =>This Loop Header: Depth=1
                                        ;     Child Loop BB293_45 Depth 2
	s_max_u32 s9, s8, 1
.LBB293_45:                             ;   Parent Loop BB293_44 Depth=1
                                        ; =>  This Inner Loop Header: Depth=2
	s_add_i32 s9, s9, -1
	s_cmp_eq_u32 s9, 0
	s_sleep 1
	s_cbranch_scc0 .LBB293_45
; %bb.46:                               ;   in Loop: Header=BB293_44 Depth=1
	s_cmp_lt_u32 s8, 32
	s_cselect_b64 s[10:11], -1, 0
	s_cmp_lg_u64 s[10:11], 0
	s_addc_u32 s8, s8, 0
	;;#ASMSTART
	global_load_dwordx4 v[44:47], v[0:1] off glc	
s_waitcnt vmcnt(0)
	;;#ASMEND
	v_cmp_ne_u16_sdwa s[10:11], v46, v2 src0_sel:BYTE_0 src1_sel:DWORD
	s_or_b64 s[6:7], s[10:11], s[6:7]
	s_andn2_b64 exec, exec, s[6:7]
	s_cbranch_execnz .LBB293_44
; %bb.47:
	s_or_b64 exec, exec, s[6:7]
	s_mov_b32 s6, 0x2010007
	v_perm_b32 v0, v45, v46, s6
	s_mov_b32 s6, 0x1000706
	v_perm_b32 v1, v45, v46, s6
	v_lshlrev_b32_e32 v1, 16, v1
	s_mov_b32 s6, 0xc060100
	v_perm_b32 v1, v1, v45, s6
	s_mov_b32 s6, 0x3020504
	v_lshl_or_b32 v27, v0, 24, v1
	v_perm_b32 v45, v44, v44, s6
.LBB293_48:
	s_or_b64 exec, exec, s[4:5]
	v_mov_b32_e32 v0, 2
	v_cmp_eq_u16_sdwa s[4:5], v46, v0 src0_sel:BYTE_0 src1_sel:DWORD
	v_lshlrev_b64 v[56:57], v55, -1
	v_and_b32_e32 v0, s5, v57
	v_and_b32_e32 v49, 63, v55
	v_or_b32_e32 v0, 0x80000000, v0
	v_cmp_ne_u32_e32 vcc, 63, v49
	v_ffbl_b32_e32 v3, v0
	v_addc_co_u32_e32 v0, vcc, 0, v55, vcc
	v_lshlrev_b32_e32 v58, 2, v0
	ds_bpermute_b32 v0, v58, v45
	ds_bpermute_b32 v1, v58, v27
	v_and_b32_e32 v2, s4, v56
	v_add_u32_e32 v3, 32, v3
	v_ffbl_b32_e32 v2, v2
	v_min_u32_e32 v42, v2, v3
	v_cmp_lt_u32_e32 vcc, v49, v42
	s_and_saveexec_b64 s[50:51], vcc
	s_cbranch_execz .LBB293_50
; %bb.49:
	v_mov_b32_e32 v2, v45
	v_mov_b32_e32 v3, v27
	s_getpc_b64 s[4:5]
	s_add_u32 s4, s4, _ZZZZN2at6native31launch_logcumsumexp_cuda_kernelERKNS_10TensorBaseES3_lENKUlvE_clEvENKUlvE2_clEvENKUlN3c107complexIfEES8_E_clES8_S8_@rel32@lo+4
	s_addc_u32 s5, s5, _ZZZZN2at6native31launch_logcumsumexp_cuda_kernelERKNS_10TensorBaseES3_lENKUlvE_clEvENKUlvE2_clEvENKUlN3c107complexIfEES8_E_clES8_S8_@rel32@hi+12
	s_swappc_b64 s[30:31], s[4:5]
	v_mov_b32_e32 v45, v0
	v_mov_b32_e32 v27, v1
.LBB293_50:
	s_or_b64 exec, exec, s[50:51]
	v_cmp_gt_u32_e32 vcc, 62, v49
	s_waitcnt lgkmcnt(1)
	v_cndmask_b32_e64 v0, 0, 1, vcc
	v_lshlrev_b32_e32 v0, 1, v0
	v_add_lshl_u32 v59, v0, v55, 2
	ds_bpermute_b32 v0, v59, v45
	s_waitcnt lgkmcnt(1)
	ds_bpermute_b32 v1, v59, v27
	v_add_u32_e32 v60, 2, v49
	v_cmp_le_u32_e32 vcc, v60, v42
	s_and_saveexec_b64 s[50:51], vcc
	s_cbranch_execz .LBB293_52
; %bb.51:
	v_mov_b32_e32 v2, v45
	v_mov_b32_e32 v3, v27
	s_getpc_b64 s[4:5]
	s_add_u32 s4, s4, _ZZZZN2at6native31launch_logcumsumexp_cuda_kernelERKNS_10TensorBaseES3_lENKUlvE_clEvENKUlvE2_clEvENKUlN3c107complexIfEES8_E_clES8_S8_@rel32@lo+4
	s_addc_u32 s5, s5, _ZZZZN2at6native31launch_logcumsumexp_cuda_kernelERKNS_10TensorBaseES3_lENKUlvE_clEvENKUlvE2_clEvENKUlN3c107complexIfEES8_E_clES8_S8_@rel32@hi+12
	s_swappc_b64 s[30:31], s[4:5]
	v_mov_b32_e32 v45, v0
	v_mov_b32_e32 v27, v1
.LBB293_52:
	s_or_b64 exec, exec, s[50:51]
	v_cmp_gt_u32_e32 vcc, 60, v49
	s_waitcnt lgkmcnt(1)
	v_cndmask_b32_e64 v0, 0, 1, vcc
	v_lshlrev_b32_e32 v0, 2, v0
	v_add_lshl_u32 v61, v0, v55, 2
	ds_bpermute_b32 v0, v61, v45
	s_waitcnt lgkmcnt(1)
	ds_bpermute_b32 v1, v61, v27
	v_add_u32_e32 v65, 4, v49
	v_cmp_le_u32_e32 vcc, v65, v42
	;; [unrolled: 23-line block ×4, first 2 shown]
	s_and_saveexec_b64 s[50:51], vcc
	s_cbranch_execz .LBB293_58
; %bb.57:
	v_mov_b32_e32 v2, v45
	v_mov_b32_e32 v3, v27
	s_getpc_b64 s[4:5]
	s_add_u32 s4, s4, _ZZZZN2at6native31launch_logcumsumexp_cuda_kernelERKNS_10TensorBaseES3_lENKUlvE_clEvENKUlvE2_clEvENKUlN3c107complexIfEES8_E_clES8_S8_@rel32@lo+4
	s_addc_u32 s5, s5, _ZZZZN2at6native31launch_logcumsumexp_cuda_kernelERKNS_10TensorBaseES3_lENKUlvE_clEvENKUlvE2_clEvENKUlN3c107complexIfEES8_E_clES8_S8_@rel32@hi+12
	s_swappc_b64 s[30:31], s[4:5]
	v_mov_b32_e32 v45, v0
	v_mov_b32_e32 v27, v1
.LBB293_58:
	s_or_b64 exec, exec, s[50:51]
	v_cmp_gt_u32_e32 vcc, 32, v49
	s_waitcnt lgkmcnt(1)
	v_cndmask_b32_e64 v0, 0, 1, vcc
	v_lshlrev_b32_e32 v0, 5, v0
	v_add_lshl_u32 v71, v0, v55, 2
	ds_bpermute_b32 v44, v71, v45
	ds_bpermute_b32 v41, v71, v27
	v_add_u32_e32 v70, 32, v49
	v_cmp_gt_u32_e64 s[4:5], v70, v42
	s_mov_b64 s[50:51], 0
	v_mov_b32_e32 v55, 0
	s_mov_b32 s59, 0x70605
	s_mov_b32 s60, 0x1000706
	;; [unrolled: 1-line block ×4, first 2 shown]
	v_mov_b32_e32 v72, 2
	s_waitcnt lgkmcnt(2)
	v_mov_b32_e32 v1, v27
	v_mov_b32_e32 v0, v45
                                        ; implicit-def: $sgpr52_sgpr53
	s_branch .LBB293_61
.LBB293_59:                             ;   in Loop: Header=BB293_61 Depth=1
	s_or_b64 exec, exec, s[50:51]
	v_subrev_u32_e32 v54, 64, v54
	s_mov_b64 s[4:5], 0
.LBB293_60:                             ;   in Loop: Header=BB293_61 Depth=1
	s_and_b64 vcc, exec, s[4:5]
	s_mov_b64 s[50:51], 0
	v_mov_b32_e32 v27, v43
	v_mov_b32_e32 v45, v42
                                        ; implicit-def: $sgpr52_sgpr53
                                        ; implicit-def: $vgpr1
                                        ; implicit-def: $vgpr0
	s_cbranch_vccnz .LBB293_85
.LBB293_61:                             ; =>This Loop Header: Depth=1
                                        ;     Child Loop BB293_67 Depth 2
                                        ;       Child Loop BB293_68 Depth 3
	s_waitcnt lgkmcnt(1)
	v_mov_b32_e32 v42, v0
	s_waitcnt lgkmcnt(0)
	v_mov_b32_e32 v43, v1
	s_xor_b64 s[8:9], s[4:5], -1
	s_or_b64 s[52:53], s[52:53], exec
                                        ; implicit-def: $sgpr6_sgpr7
                                        ; implicit-def: $vgpr0
                                        ; implicit-def: $vgpr1
	s_and_saveexec_b64 s[10:11], s[8:9]
	s_xor_b64 s[54:55], exec, s[10:11]
	s_cbranch_execz .LBB293_63
; %bb.62:                               ;   in Loop: Header=BB293_61 Depth=1
	s_waitcnt lgkmcnt(1)
	v_mov_b32_e32 v0, v44
	s_waitcnt lgkmcnt(0)
	v_mov_b32_e32 v1, v41
	v_mov_b32_e32 v2, v45
	;; [unrolled: 1-line block ×3, first 2 shown]
	s_getpc_b64 s[4:5]
	s_add_u32 s4, s4, _ZZZZN2at6native31launch_logcumsumexp_cuda_kernelERKNS_10TensorBaseES3_lENKUlvE_clEvENKUlvE2_clEvENKUlN3c107complexIfEES8_E_clES8_S8_@rel32@lo+4
	s_addc_u32 s5, s5, _ZZZZN2at6native31launch_logcumsumexp_cuda_kernelERKNS_10TensorBaseES3_lENKUlvE_clEvENKUlvE2_clEvENKUlN3c107complexIfEES8_E_clES8_S8_@rel32@hi+12
	s_swappc_b64 s[30:31], s[4:5]
	s_mov_b64 s[6:7], -1
	s_andn2_b64 s[52:53], s[52:53], exec
                                        ; implicit-def: $sgpr4_sgpr5
.LBB293_63:                             ;   in Loop: Header=BB293_61 Depth=1
	s_or_b64 exec, exec, s[54:55]
	s_and_b64 s[8:9], exec, s[52:53]
	s_or_b64 s[50:51], s[8:9], s[50:51]
	s_andn2_b64 s[4:5], s[4:5], exec
	s_and_b64 s[6:7], s[6:7], exec
	s_or_b64 s[4:5], s[4:5], s[6:7]
	s_andn2_b64 exec, exec, s[50:51]
	s_cbranch_execnz .LBB293_61
; %bb.64:                               ;   in Loop: Header=BB293_61 Depth=1
	s_or_b64 exec, exec, s[50:51]
	v_cmp_ne_u16_sdwa s[4:5], v46, v72 src0_sel:BYTE_0 src1_sel:DWORD
	v_cndmask_b32_e64 v0, 0, 1, s[4:5]
	;;#ASMSTART
	;;#ASMEND
	v_cmp_ne_u32_e32 vcc, 0, v0
	s_cmp_lg_u64 vcc, exec
	s_cbranch_scc1 .LBB293_83
; %bb.65:                               ;   in Loop: Header=BB293_61 Depth=1
	v_lshlrev_b64 v[0:1], 4, v[54:55]
	v_mov_b32_e32 v2, s35
	v_add_co_u32_e32 v0, vcc, s34, v0
	v_addc_co_u32_e32 v1, vcc, v2, v1, vcc
	s_waitcnt lgkmcnt(1)
	;;#ASMSTART
	global_load_dwordx4 v[44:47], v[0:1] off glc	
s_waitcnt vmcnt(0)
	;;#ASMEND
	v_perm_b32 v2, v45, v46, s59
	v_perm_b32 v3, v45, v46, s60
	;; [unrolled: 1-line block ×3, first 2 shown]
	v_lshlrev_b32_e32 v2, 8, v2
	v_lshlrev_b32_e32 v3, 16, v3
	v_perm_b32 v2, v2, v45, s62
	v_and_b32_e32 v3, 0xff0000, v3
	v_lshlrev_b32_e32 v4, 24, v4
	s_waitcnt lgkmcnt(0)
	v_or3_b32 v41, v2, v3, v4
	v_cmp_eq_u16_sdwa s[6:7], v46, v55 src0_sel:BYTE_0 src1_sel:DWORD
	s_and_saveexec_b64 s[4:5], s[6:7]
	s_cbranch_execz .LBB293_71
; %bb.66:                               ;   in Loop: Header=BB293_61 Depth=1
	s_mov_b32 s8, 1
	s_mov_b64 s[6:7], 0
.LBB293_67:                             ;   Parent Loop BB293_61 Depth=1
                                        ; =>  This Loop Header: Depth=2
                                        ;       Child Loop BB293_68 Depth 3
	s_max_u32 s9, s8, 1
.LBB293_68:                             ;   Parent Loop BB293_61 Depth=1
                                        ;     Parent Loop BB293_67 Depth=2
                                        ; =>    This Inner Loop Header: Depth=3
	s_add_i32 s9, s9, -1
	s_cmp_eq_u32 s9, 0
	s_sleep 1
	s_cbranch_scc0 .LBB293_68
; %bb.69:                               ;   in Loop: Header=BB293_67 Depth=2
	s_cmp_lt_u32 s8, 32
	s_cselect_b64 s[10:11], -1, 0
	s_cmp_lg_u64 s[10:11], 0
	s_addc_u32 s8, s8, 0
	;;#ASMSTART
	global_load_dwordx4 v[44:47], v[0:1] off glc	
s_waitcnt vmcnt(0)
	;;#ASMEND
	v_cmp_ne_u16_sdwa s[10:11], v46, v55 src0_sel:BYTE_0 src1_sel:DWORD
	s_or_b64 s[6:7], s[10:11], s[6:7]
	s_andn2_b64 exec, exec, s[6:7]
	s_cbranch_execnz .LBB293_67
; %bb.70:                               ;   in Loop: Header=BB293_61 Depth=1
	s_or_b64 exec, exec, s[6:7]
	v_perm_b32 v0, v45, v46, s59
	v_perm_b32 v1, v45, v46, s60
	;; [unrolled: 1-line block ×3, first 2 shown]
	v_lshlrev_b32_e32 v0, 8, v0
	v_lshlrev_b32_e32 v1, 16, v1
	v_perm_b32 v0, v0, v45, s62
	v_and_b32_e32 v1, 0xff0000, v1
	v_lshlrev_b32_e32 v2, 24, v2
	v_or3_b32 v41, v0, v1, v2
.LBB293_71:                             ;   in Loop: Header=BB293_61 Depth=1
	s_or_b64 exec, exec, s[4:5]
	v_cmp_eq_u16_sdwa s[4:5], v46, v72 src0_sel:BYTE_0 src1_sel:DWORD
	v_and_b32_e32 v0, s5, v57
	v_or_b32_e32 v0, 0x80000000, v0
	v_ffbl_b32_e32 v3, v0
	ds_bpermute_b32 v0, v58, v44
	ds_bpermute_b32 v1, v58, v41
	v_and_b32_e32 v2, s4, v56
	v_add_u32_e32 v3, 32, v3
	v_ffbl_b32_e32 v2, v2
	v_min_u32_e32 v27, v2, v3
	v_cmp_lt_u32_e32 vcc, v49, v27
	s_and_saveexec_b64 s[50:51], vcc
	s_cbranch_execz .LBB293_73
; %bb.72:                               ;   in Loop: Header=BB293_61 Depth=1
	v_mov_b32_e32 v2, v44
	v_mov_b32_e32 v3, v41
	s_getpc_b64 s[4:5]
	s_add_u32 s4, s4, _ZZZZN2at6native31launch_logcumsumexp_cuda_kernelERKNS_10TensorBaseES3_lENKUlvE_clEvENKUlvE2_clEvENKUlN3c107complexIfEES8_E_clES8_S8_@rel32@lo+4
	s_addc_u32 s5, s5, _ZZZZN2at6native31launch_logcumsumexp_cuda_kernelERKNS_10TensorBaseES3_lENKUlvE_clEvENKUlvE2_clEvENKUlN3c107complexIfEES8_E_clES8_S8_@rel32@hi+12
	s_swappc_b64 s[30:31], s[4:5]
	v_mov_b32_e32 v44, v0
	v_mov_b32_e32 v41, v1
.LBB293_73:                             ;   in Loop: Header=BB293_61 Depth=1
	s_or_b64 exec, exec, s[50:51]
	s_waitcnt lgkmcnt(1)
	ds_bpermute_b32 v0, v59, v44
	s_waitcnt lgkmcnt(1)
	ds_bpermute_b32 v1, v59, v41
	v_cmp_le_u32_e32 vcc, v60, v27
	s_and_saveexec_b64 s[50:51], vcc
	s_cbranch_execz .LBB293_75
; %bb.74:                               ;   in Loop: Header=BB293_61 Depth=1
	v_mov_b32_e32 v2, v44
	v_mov_b32_e32 v3, v41
	s_getpc_b64 s[4:5]
	s_add_u32 s4, s4, _ZZZZN2at6native31launch_logcumsumexp_cuda_kernelERKNS_10TensorBaseES3_lENKUlvE_clEvENKUlvE2_clEvENKUlN3c107complexIfEES8_E_clES8_S8_@rel32@lo+4
	s_addc_u32 s5, s5, _ZZZZN2at6native31launch_logcumsumexp_cuda_kernelERKNS_10TensorBaseES3_lENKUlvE_clEvENKUlvE2_clEvENKUlN3c107complexIfEES8_E_clES8_S8_@rel32@hi+12
	s_swappc_b64 s[30:31], s[4:5]
	v_mov_b32_e32 v44, v0
	v_mov_b32_e32 v41, v1
.LBB293_75:                             ;   in Loop: Header=BB293_61 Depth=1
	s_or_b64 exec, exec, s[50:51]
	s_waitcnt lgkmcnt(1)
	ds_bpermute_b32 v0, v61, v44
	s_waitcnt lgkmcnt(1)
	ds_bpermute_b32 v1, v61, v41
	v_cmp_le_u32_e32 vcc, v65, v27
	;; [unrolled: 18-line block ×5, first 2 shown]
	s_and_saveexec_b64 s[50:51], vcc
	s_cbranch_execz .LBB293_59
; %bb.82:                               ;   in Loop: Header=BB293_61 Depth=1
	v_mov_b32_e32 v2, v44
	v_mov_b32_e32 v3, v41
	s_getpc_b64 s[4:5]
	s_add_u32 s4, s4, _ZZZZN2at6native31launch_logcumsumexp_cuda_kernelERKNS_10TensorBaseES3_lENKUlvE_clEvENKUlvE2_clEvENKUlN3c107complexIfEES8_E_clES8_S8_@rel32@lo+4
	s_addc_u32 s5, s5, _ZZZZN2at6native31launch_logcumsumexp_cuda_kernelERKNS_10TensorBaseES3_lENKUlvE_clEvENKUlvE2_clEvENKUlN3c107complexIfEES8_E_clES8_S8_@rel32@hi+12
	s_swappc_b64 s[30:31], s[4:5]
	v_mov_b32_e32 v44, v0
	v_mov_b32_e32 v41, v1
	s_branch .LBB293_59
.LBB293_83:                             ;   in Loop: Header=BB293_61 Depth=1
	s_mov_b64 s[4:5], -1
                                        ; implicit-def: $vgpr44
                                        ; implicit-def: $vgpr41
	s_branch .LBB293_60
.LBB293_84:
                                        ; implicit-def: $vgpr58_vgpr59_vgpr60_vgpr61
                                        ; implicit-def: $vgpr56_vgpr57_vgpr58_vgpr59
                                        ; implicit-def: $vgpr53
                                        ; implicit-def: $vgpr41
                                        ; implicit-def: $vgpr44
                                        ; implicit-def: $vgpr46
                                        ; implicit-def: $vgpr54_vgpr55_vgpr56_vgpr57
	s_cbranch_execnz .LBB293_92
	s_branch .LBB293_115
.LBB293_85:
	s_and_saveexec_b64 s[50:51], s[24:25]
	s_cbranch_execz .LBB293_87
; %bb.86:
	s_waitcnt lgkmcnt(1)
	v_mov_b32_e32 v0, v42
	s_waitcnt lgkmcnt(0)
	v_mov_b32_e32 v1, v43
	v_mov_b32_e32 v2, v40
	;; [unrolled: 1-line block ×3, first 2 shown]
	s_getpc_b64 s[4:5]
	s_add_u32 s4, s4, _ZZZZN2at6native31launch_logcumsumexp_cuda_kernelERKNS_10TensorBaseES3_lENKUlvE_clEvENKUlvE2_clEvENKUlN3c107complexIfEES8_E_clES8_S8_@rel32@lo+4
	s_addc_u32 s5, s5, _ZZZZN2at6native31launch_logcumsumexp_cuda_kernelERKNS_10TensorBaseES3_lENKUlvE_clEvENKUlvE2_clEvENKUlN3c107complexIfEES8_E_clES8_S8_@rel32@hi+12
	s_swappc_b64 s[30:31], s[4:5]
	s_add_i32 s4, s57, 64
	s_mov_b32 s5, 0
	s_lshl_b64 s[4:5], s[4:5], 4
	s_add_u32 s4, s34, s4
	v_and_b32_e32 v2, 0xff000000, v1
	v_and_b32_e32 v4, 0xff0000, v1
	s_addc_u32 s5, s35, s5
	v_or_b32_e32 v2, v4, v2
	v_and_b32_e32 v4, 0xff00, v1
	v_and_b32_e32 v1, 0xff, v1
	v_mov_b32_e32 v3, 0
	v_or3_b32 v1, v2, v4, v1
	v_mov_b32_e32 v2, 2
	v_pk_mov_b32 v[4:5], s[4:5], s[4:5] op_sel:[0,1]
	;;#ASMSTART
	global_store_dwordx4 v[4:5], v[0:3] off	
s_waitcnt vmcnt(0)
	;;#ASMEND
.LBB293_87:
	s_or_b64 exec, exec, s[50:51]
	s_and_b64 exec, exec, s[22:23]
	s_cbranch_execz .LBB293_89
; %bb.88:
	s_waitcnt lgkmcnt(1)
	v_mov_b32_e32 v0, 0
	ds_write_b64 v0, v[42:43]
.LBB293_89:
	s_or_b64 exec, exec, s[48:49]
	s_waitcnt lgkmcnt(1)
	v_mov_b32_e32 v0, 0
	s_waitcnt lgkmcnt(0)
	s_barrier
	ds_read_b64 v[40:41], v0
	v_mov_b32_e32 v2, v28
	v_mov_b32_e32 v3, v29
	s_and_saveexec_b64 s[24:25], s[20:21]
	s_cbranch_execz .LBB293_91
; %bb.90:
	v_mov_b32_e32 v0, v52
	v_mov_b32_e32 v1, v53
	;; [unrolled: 1-line block ×4, first 2 shown]
	s_getpc_b64 s[4:5]
	s_add_u32 s4, s4, _ZZZZN2at6native31launch_logcumsumexp_cuda_kernelERKNS_10TensorBaseES3_lENKUlvE_clEvENKUlvE2_clEvENKUlN3c107complexIfEES8_E_clES8_S8_@rel32@lo+4
	s_addc_u32 s5, s5, _ZZZZN2at6native31launch_logcumsumexp_cuda_kernelERKNS_10TensorBaseES3_lENKUlvE_clEvENKUlvE2_clEvENKUlN3c107complexIfEES8_E_clES8_S8_@rel32@hi+12
	s_swappc_b64 s[30:31], s[4:5]
	v_mov_b32_e32 v2, v0
	v_mov_b32_e32 v3, v1
.LBB293_91:
	s_or_b64 exec, exec, s[24:25]
	s_waitcnt lgkmcnt(0)
	v_mov_b32_e32 v0, v40
	v_mov_b32_e32 v1, v41
	s_getpc_b64 s[24:25]
	s_add_u32 s24, s24, _ZZZZN2at6native31launch_logcumsumexp_cuda_kernelERKNS_10TensorBaseES3_lENKUlvE_clEvENKUlvE2_clEvENKUlN3c107complexIfEES8_E_clES8_S8_@rel32@lo+4
	s_addc_u32 s25, s25, _ZZZZN2at6native31launch_logcumsumexp_cuda_kernelERKNS_10TensorBaseES3_lENKUlvE_clEvENKUlvE2_clEvENKUlN3c107complexIfEES8_E_clES8_S8_@rel32@hi+12
	s_swappc_b64 s[30:31], s[24:25]
	v_mov_b32_e32 v2, v30
	v_mov_b32_e32 v3, v31
	v_mov_b32_e32 v40, v0
	v_mov_b32_e32 v41, v1
	s_swappc_b64 s[30:31], s[24:25]
	v_mov_b32_e32 v2, v36
	v_mov_b32_e32 v3, v37
	v_mov_b32_e32 v56, v0
	v_mov_b32_e32 v57, v1
	;; [unrolled: 5-line block ×6, first 2 shown]
	s_swappc_b64 s[30:31], s[24:25]
	v_mov_b32_e32 v52, v0
	v_mov_b32_e32 v53, v1
	s_branch .LBB293_115
.LBB293_92:
	s_cmp_lg_u64 s[40:41], 0
	s_cselect_b64 s[4:5], -1, 0
	s_and_b64 s[4:5], s[22:23], s[4:5]
	s_and_saveexec_b64 s[24:25], s[4:5]
	s_cbranch_execz .LBB293_94
; %bb.93:
	v_mov_b32_e32 v0, 0
	global_load_dwordx2 v[0:1], v0, s[36:37]
	v_mov_b32_e32 v2, v28
	v_mov_b32_e32 v3, v29
	s_getpc_b64 s[4:5]
	s_add_u32 s4, s4, _ZZZZN2at6native31launch_logcumsumexp_cuda_kernelERKNS_10TensorBaseES3_lENKUlvE_clEvENKUlvE2_clEvENKUlN3c107complexIfEES8_E_clES8_S8_@rel32@lo+4
	s_addc_u32 s5, s5, _ZZZZN2at6native31launch_logcumsumexp_cuda_kernelERKNS_10TensorBaseES3_lENKUlvE_clEvENKUlvE2_clEvENKUlN3c107complexIfEES8_E_clES8_S8_@rel32@hi+12
	s_swappc_b64 s[30:31], s[4:5]
	v_mov_b32_e32 v28, v0
	v_mov_b32_e32 v29, v1
.LBB293_94:
	s_or_b64 exec, exec, s[24:25]
	v_mov_b32_e32 v0, v28
	v_mov_b32_e32 v1, v29
	;; [unrolled: 1-line block ×4, first 2 shown]
	s_getpc_b64 s[36:37]
	s_add_u32 s36, s36, _ZZZZN2at6native31launch_logcumsumexp_cuda_kernelERKNS_10TensorBaseES3_lENKUlvE_clEvENKUlvE2_clEvENKUlN3c107complexIfEES8_E_clES8_S8_@rel32@lo+4
	s_addc_u32 s37, s37, _ZZZZN2at6native31launch_logcumsumexp_cuda_kernelERKNS_10TensorBaseES3_lENKUlvE_clEvENKUlvE2_clEvENKUlN3c107complexIfEES8_E_clES8_S8_@rel32@hi+12
	s_swappc_b64 s[30:31], s[36:37]
	v_mov_b32_e32 v2, v36
	v_mov_b32_e32 v3, v37
	v_mov_b32_e32 v56, v0
	v_mov_b32_e32 v57, v1
	s_swappc_b64 s[30:31], s[36:37]
	v_mov_b32_e32 v2, v38
	v_mov_b32_e32 v3, v39
	v_mov_b32_e32 v44, v0
	v_mov_b32_e32 v45, v1
	;; [unrolled: 5-line block ×5, first 2 shown]
	s_swappc_b64 s[30:31], s[36:37]
	v_mov_b32_e32 v52, v0
	v_lshrrev_b32_e32 v0, 5, v48
	v_mov_b32_e32 v53, v1
	v_add_lshl_u32 v0, v0, v48, 3
	v_cmp_gt_u32_e32 vcc, 64, v48
	ds_write_b64 v0, v[52:53]
	s_waitcnt lgkmcnt(0)
	s_barrier
	s_and_saveexec_b64 s[24:25], vcc
	s_cbranch_execz .LBB293_108
; %bb.95:
	v_lshlrev_b32_e32 v0, 1, v48
	v_lshrrev_b32_e32 v1, 4, v48
	v_add_lshl_u32 v27, v1, v0, 3
	ds_read2_b64 v[40:43], v27 offset1:1
	s_waitcnt lgkmcnt(0)
	v_mov_b32_e32 v0, v40
	v_mov_b32_e32 v1, v41
	;; [unrolled: 1-line block ×4, first 2 shown]
	s_swappc_b64 s[30:31], s[36:37]
	v_mov_b32_e32 v2, v0
	v_mbcnt_lo_u32_b32 v0, -1, 0
	v_mbcnt_hi_u32_b32 v42, -1, v0
	v_mov_b32_e32 v3, v1
	v_and_b32_e32 v43, 15, v42
	v_mov_b32_dpp v0, v2 row_shr:1 row_mask:0xf bank_mask:0xf
	v_mov_b32_dpp v1, v3 row_shr:1 row_mask:0xf bank_mask:0xf
	v_cmp_ne_u32_e32 vcc, 0, v43
	s_and_saveexec_b64 s[36:37], vcc
	s_cbranch_execz .LBB293_97
; %bb.96:
	s_getpc_b64 s[4:5]
	s_add_u32 s4, s4, _ZZZZN2at6native31launch_logcumsumexp_cuda_kernelERKNS_10TensorBaseES3_lENKUlvE_clEvENKUlvE2_clEvENKUlN3c107complexIfEES8_E_clES8_S8_@rel32@lo+4
	s_addc_u32 s5, s5, _ZZZZN2at6native31launch_logcumsumexp_cuda_kernelERKNS_10TensorBaseES3_lENKUlvE_clEvENKUlvE2_clEvENKUlN3c107complexIfEES8_E_clES8_S8_@rel32@hi+12
	s_swappc_b64 s[30:31], s[4:5]
	v_mov_b32_e32 v2, v0
	v_mov_b32_e32 v3, v1
.LBB293_97:
	s_or_b64 exec, exec, s[36:37]
	v_mov_b32_dpp v0, v2 row_shr:2 row_mask:0xf bank_mask:0xf
	v_mov_b32_dpp v1, v3 row_shr:2 row_mask:0xf bank_mask:0xf
	v_cmp_lt_u32_e32 vcc, 1, v43
	s_and_saveexec_b64 s[36:37], vcc
	s_cbranch_execz .LBB293_99
; %bb.98:
	s_getpc_b64 s[4:5]
	s_add_u32 s4, s4, _ZZZZN2at6native31launch_logcumsumexp_cuda_kernelERKNS_10TensorBaseES3_lENKUlvE_clEvENKUlvE2_clEvENKUlN3c107complexIfEES8_E_clES8_S8_@rel32@lo+4
	s_addc_u32 s5, s5, _ZZZZN2at6native31launch_logcumsumexp_cuda_kernelERKNS_10TensorBaseES3_lENKUlvE_clEvENKUlvE2_clEvENKUlN3c107complexIfEES8_E_clES8_S8_@rel32@hi+12
	s_swappc_b64 s[30:31], s[4:5]
	v_mov_b32_e32 v2, v0
	v_mov_b32_e32 v3, v1
.LBB293_99:
	s_or_b64 exec, exec, s[36:37]
	v_mov_b32_dpp v0, v2 row_shr:4 row_mask:0xf bank_mask:0xf
	v_mov_b32_dpp v1, v3 row_shr:4 row_mask:0xf bank_mask:0xf
	v_cmp_lt_u32_e32 vcc, 3, v43
	s_and_saveexec_b64 s[36:37], vcc
	s_cbranch_execz .LBB293_101
; %bb.100:
	s_getpc_b64 s[4:5]
	s_add_u32 s4, s4, _ZZZZN2at6native31launch_logcumsumexp_cuda_kernelERKNS_10TensorBaseES3_lENKUlvE_clEvENKUlvE2_clEvENKUlN3c107complexIfEES8_E_clES8_S8_@rel32@lo+4
	s_addc_u32 s5, s5, _ZZZZN2at6native31launch_logcumsumexp_cuda_kernelERKNS_10TensorBaseES3_lENKUlvE_clEvENKUlvE2_clEvENKUlN3c107complexIfEES8_E_clES8_S8_@rel32@hi+12
	s_swappc_b64 s[30:31], s[4:5]
	v_mov_b32_e32 v2, v0
	v_mov_b32_e32 v3, v1
.LBB293_101:
	s_or_b64 exec, exec, s[36:37]
	v_mov_b32_dpp v0, v2 row_shr:8 row_mask:0xf bank_mask:0xf
	v_mov_b32_dpp v1, v3 row_shr:8 row_mask:0xf bank_mask:0xf
	v_cmp_lt_u32_e32 vcc, 7, v43
	s_and_saveexec_b64 s[36:37], vcc
	s_cbranch_execz .LBB293_103
; %bb.102:
	s_getpc_b64 s[4:5]
	s_add_u32 s4, s4, _ZZZZN2at6native31launch_logcumsumexp_cuda_kernelERKNS_10TensorBaseES3_lENKUlvE_clEvENKUlvE2_clEvENKUlN3c107complexIfEES8_E_clES8_S8_@rel32@lo+4
	s_addc_u32 s5, s5, _ZZZZN2at6native31launch_logcumsumexp_cuda_kernelERKNS_10TensorBaseES3_lENKUlvE_clEvENKUlvE2_clEvENKUlN3c107complexIfEES8_E_clES8_S8_@rel32@hi+12
	s_swappc_b64 s[30:31], s[4:5]
	v_mov_b32_e32 v2, v0
	v_mov_b32_e32 v3, v1
.LBB293_103:
	s_or_b64 exec, exec, s[36:37]
	v_and_b32_e32 v4, 16, v42
	v_mov_b32_dpp v0, v2 row_bcast:15 row_mask:0xf bank_mask:0xf
	v_mov_b32_dpp v1, v3 row_bcast:15 row_mask:0xf bank_mask:0xf
	v_cmp_ne_u32_e32 vcc, 0, v4
	s_and_saveexec_b64 s[36:37], vcc
	s_cbranch_execz .LBB293_105
; %bb.104:
	s_getpc_b64 s[4:5]
	s_add_u32 s4, s4, _ZZZZN2at6native31launch_logcumsumexp_cuda_kernelERKNS_10TensorBaseES3_lENKUlvE_clEvENKUlvE2_clEvENKUlN3c107complexIfEES8_E_clES8_S8_@rel32@lo+4
	s_addc_u32 s5, s5, _ZZZZN2at6native31launch_logcumsumexp_cuda_kernelERKNS_10TensorBaseES3_lENKUlvE_clEvENKUlvE2_clEvENKUlN3c107complexIfEES8_E_clES8_S8_@rel32@hi+12
	s_swappc_b64 s[30:31], s[4:5]
	v_mov_b32_e32 v2, v0
	v_mov_b32_e32 v3, v1
.LBB293_105:
	s_or_b64 exec, exec, s[36:37]
	v_mov_b32_dpp v0, v2 row_bcast:31 row_mask:0xf bank_mask:0xf
	v_mov_b32_dpp v1, v3 row_bcast:31 row_mask:0xf bank_mask:0xf
	v_cmp_lt_u32_e32 vcc, 31, v42
	s_and_saveexec_b64 s[36:37], vcc
	s_cbranch_execz .LBB293_107
; %bb.106:
	s_getpc_b64 s[4:5]
	s_add_u32 s4, s4, _ZZZZN2at6native31launch_logcumsumexp_cuda_kernelERKNS_10TensorBaseES3_lENKUlvE_clEvENKUlvE2_clEvENKUlN3c107complexIfEES8_E_clES8_S8_@rel32@lo+4
	s_addc_u32 s5, s5, _ZZZZN2at6native31launch_logcumsumexp_cuda_kernelERKNS_10TensorBaseES3_lENKUlvE_clEvENKUlvE2_clEvENKUlN3c107complexIfEES8_E_clES8_S8_@rel32@hi+12
	s_swappc_b64 s[30:31], s[4:5]
	v_mov_b32_e32 v2, v0
	v_mov_b32_e32 v3, v1
.LBB293_107:
	s_or_b64 exec, exec, s[36:37]
	v_add_u32_e32 v0, -1, v42
	v_and_b32_e32 v1, 64, v42
	v_cmp_lt_i32_e32 vcc, v0, v1
	v_cndmask_b32_e32 v0, v0, v42, vcc
	v_lshlrev_b32_e32 v1, 2, v0
	ds_bpermute_b32 v0, v1, v2
	ds_bpermute_b32 v1, v1, v3
	v_mov_b32_e32 v2, v40
	v_mov_b32_e32 v3, v41
	s_getpc_b64 s[36:37]
	s_add_u32 s36, s36, _ZZZZN2at6native31launch_logcumsumexp_cuda_kernelERKNS_10TensorBaseES3_lENKUlvE_clEvENKUlvE2_clEvENKUlN3c107complexIfEES8_E_clES8_S8_@rel32@lo+4
	s_addc_u32 s37, s37, _ZZZZN2at6native31launch_logcumsumexp_cuda_kernelERKNS_10TensorBaseES3_lENKUlvE_clEvENKUlvE2_clEvENKUlN3c107complexIfEES8_E_clES8_S8_@rel32@hi+12
	s_swappc_b64 s[30:31], s[36:37]
	v_cndmask_b32_e64 v0, v0, v52, s[22:23]
	v_cndmask_b32_e64 v1, v1, v53, s[22:23]
	; wave barrier
	ds_write_b64 v27, v[0:1]
	; wave barrier
	ds_read_b64 v[2:3], v27 offset:8
	s_swappc_b64 s[30:31], s[36:37]
	ds_write_b64 v27, v[0:1] offset:8
.LBB293_108:
	s_or_b64 exec, exec, s[24:25]
	v_mov_b32_e32 v1, v53
	v_mov_b32_e32 v0, v52
	s_waitcnt lgkmcnt(0)
	s_barrier
	s_and_saveexec_b64 s[4:5], s[20:21]
	s_cbranch_execz .LBB293_110
; %bb.109:
	v_add_u32_e32 v0, -1, v48
	v_lshrrev_b32_e32 v1, 5, v0
	v_add_lshl_u32 v0, v1, v0, 3
	ds_read_b64 v[0:1], v0
.LBB293_110:
	s_or_b64 exec, exec, s[4:5]
	s_and_saveexec_b64 s[22:23], s[20:21]
	s_cbranch_execz .LBB293_112
; %bb.111:
	v_mov_b32_e32 v2, v28
	v_mov_b32_e32 v3, v29
	s_getpc_b64 s[20:21]
	s_add_u32 s20, s20, _ZZZZN2at6native31launch_logcumsumexp_cuda_kernelERKNS_10TensorBaseES3_lENKUlvE_clEvENKUlvE2_clEvENKUlN3c107complexIfEES8_E_clES8_S8_@rel32@lo+4
	s_addc_u32 s21, s21, _ZZZZN2at6native31launch_logcumsumexp_cuda_kernelERKNS_10TensorBaseES3_lENKUlvE_clEvENKUlvE2_clEvENKUlN3c107complexIfEES8_E_clES8_S8_@rel32@hi+12
	s_swappc_b64 s[30:31], s[20:21]
	v_mov_b32_e32 v2, v30
	v_mov_b32_e32 v3, v31
	;; [unrolled: 1-line block ×4, first 2 shown]
	;;#ASMSTART
	;;#ASMEND
	s_swappc_b64 s[30:31], s[20:21]
	v_mov_b32_e32 v2, v36
	v_mov_b32_e32 v3, v37
	v_mov_b32_e32 v56, v0
	v_mov_b32_e32 v57, v1
	s_swappc_b64 s[30:31], s[20:21]
	v_mov_b32_e32 v2, v38
	v_mov_b32_e32 v3, v39
	v_mov_b32_e32 v44, v0
	v_mov_b32_e32 v45, v1
	;; [unrolled: 5-line block ×5, first 2 shown]
	s_swappc_b64 s[30:31], s[20:21]
	v_mov_b32_e32 v52, v0
	v_mov_b32_e32 v53, v1
.LBB293_112:
	s_or_b64 exec, exec, s[22:23]
	s_movk_i32 s4, 0x7f
	v_cmp_eq_u32_e32 vcc, s4, v48
	s_and_saveexec_b64 s[4:5], vcc
	s_cbranch_execz .LBB293_114
; %bb.113:
	s_add_u32 s6, s34, 0x400
	s_waitcnt lgkmcnt(0)
	v_and_b32_e32 v0, 0xff000000, v53
	v_and_b32_e32 v1, 0xff0000, v53
	s_addc_u32 s7, s35, 0
	v_or_b32_e32 v0, v1, v0
	v_and_b32_e32 v1, 0xff00, v53
	v_and_b32_e32 v2, 0xff, v53
	v_mov_b32_e32 v3, 0
	v_or3_b32 v1, v0, v1, v2
	v_mov_b32_e32 v2, 2
	v_mov_b32_e32 v0, v52
	v_pk_mov_b32 v[4:5], s[6:7], s[6:7] op_sel:[0,1]
	;;#ASMSTART
	global_store_dwordx4 v[4:5], v[0:3] off	
s_waitcnt vmcnt(0)
	;;#ASMEND
.LBB293_114:
	s_or_b64 exec, exec, s[4:5]
	v_mov_b32_e32 v41, v29
	v_mov_b32_e32 v40, v28
.LBB293_115:
	s_add_u32 s4, s28, s26
	s_addc_u32 s5, s29, s27
	s_add_u32 s4, s4, s46
	s_addc_u32 s5, s5, s47
	s_mov_b64 s[6:7], -1
	s_and_b64 vcc, exec, s[44:45]
	s_waitcnt lgkmcnt(0)
	s_barrier
	s_cbranch_vccz .LBB293_117
; %bb.116:
	v_mul_u32_u24_e32 v0, 56, v48
	ds_write2_b64 v0, v[40:41], v[56:57] offset1:1
	ds_write2_b64 v0, v[44:45], v[58:59] offset0:2 offset1:3
	ds_write2_b64 v0, v[46:47], v[60:61] offset0:4 offset1:5
	ds_write_b64 v0, v[52:53] offset:48
	v_mul_i32_i24_e32 v0, 0xffffffd0, v48
	v_mad_u32_u24 v12, v48, 56, v0
	s_waitcnt lgkmcnt(0)
	s_barrier
	ds_read2st64_b64 v[0:3], v12 offset1:2
	ds_read2st64_b64 v[4:7], v12 offset0:4 offset1:6
	ds_read2st64_b64 v[8:11], v12 offset0:8 offset1:10
	ds_read_b64 v[12:13], v12 offset:6144
	v_mov_b32_e32 v14, s5
	v_add_co_u32_e32 v15, vcc, s4, v63
	v_addc_co_u32_e32 v14, vcc, 0, v14, vcc
	s_waitcnt lgkmcnt(3)
	global_store_dwordx2 v63, v[0:1], s[4:5]
	global_store_dwordx2 v63, v[2:3], s[4:5] offset:1024
	s_waitcnt lgkmcnt(2)
	global_store_dwordx2 v63, v[4:5], s[4:5] offset:2048
	global_store_dwordx2 v63, v[6:7], s[4:5] offset:3072
	v_add_co_u32_e32 v0, vcc, 0x1000, v15
	v_addc_co_u32_e32 v1, vcc, 0, v14, vcc
	s_waitcnt lgkmcnt(1)
	global_store_dwordx2 v[0:1], v[8:9], off
	global_store_dwordx2 v[0:1], v[10:11], off offset:1024
	s_waitcnt lgkmcnt(0)
	global_store_dwordx2 v[0:1], v[12:13], off offset:2048
	s_mov_b64 s[6:7], 0
.LBB293_117:
	s_andn2_b64 vcc, exec, s[6:7]
	s_cbranch_vccnz .LBB293_156
; %bb.118:
	s_movk_i32 s6, 0xffd0
	v_mad_i32_i24 v12, v48, s6, v64
	ds_write2_b64 v64, v[40:41], v[56:57] offset1:1
	ds_write2_b64 v64, v[44:45], v[58:59] offset0:2 offset1:3
	ds_write2_b64 v64, v[46:47], v[60:61] offset0:4 offset1:5
	ds_write_b64 v64, v[52:53] offset:48
	s_waitcnt lgkmcnt(0)
	s_barrier
	ds_read2st64_b64 v[0:3], v12 offset1:2
	ds_read2st64_b64 v[4:7], v12 offset0:4 offset1:6
	ds_read2st64_b64 v[8:11], v12 offset0:8 offset1:10
	ds_read_b64 v[12:13], v12 offset:6144
	v_mov_b32_e32 v15, s5
	v_add_co_u32_e32 v14, vcc, s4, v63
	v_addc_co_u32_e32 v15, vcc, 0, v15, vcc
	v_mov_b32_e32 v49, 0
	v_cmp_gt_u32_e32 vcc, s33, v48
	s_and_saveexec_b64 s[4:5], vcc
	s_cbranch_execz .LBB293_120
; %bb.119:
	s_waitcnt lgkmcnt(3)
	global_store_dwordx2 v[14:15], v[0:1], off
.LBB293_120:
	s_or_b64 exec, exec, s[4:5]
	v_or_b32_e32 v16, 0x80, v48
	v_cmp_gt_u32_e32 vcc, s33, v16
	s_and_saveexec_b64 s[4:5], vcc
	s_cbranch_execz .LBB293_122
; %bb.121:
	s_waitcnt lgkmcnt(3)
	global_store_dwordx2 v[14:15], v[2:3], off offset:1024
.LBB293_122:
	s_or_b64 exec, exec, s[4:5]
	v_or_b32_e32 v16, 0x100, v48
	v_cmp_gt_u32_e32 vcc, s33, v16
	s_and_saveexec_b64 s[4:5], vcc
	s_cbranch_execz .LBB293_124
; %bb.123:
	s_waitcnt lgkmcnt(2)
	global_store_dwordx2 v[14:15], v[4:5], off offset:2048
.LBB293_124:
	;; [unrolled: 9-line block ×3, first 2 shown]
	s_or_b64 exec, exec, s[4:5]
	v_or_b32_e32 v16, 0x200, v48
	v_cmp_gt_u32_e32 vcc, s33, v16
	s_and_saveexec_b64 s[4:5], vcc
	s_cbranch_execz .LBB293_128
; %bb.127:
	v_add_co_u32_e32 v16, vcc, 0x1000, v14
	v_addc_co_u32_e32 v17, vcc, 0, v15, vcc
	s_waitcnt lgkmcnt(1)
	global_store_dwordx2 v[16:17], v[8:9], off
.LBB293_128:
	s_or_b64 exec, exec, s[4:5]
	v_or_b32_e32 v16, 0x280, v48
	v_cmp_gt_u32_e32 vcc, s33, v16
	s_and_saveexec_b64 s[4:5], vcc
	s_cbranch_execz .LBB293_130
; %bb.129:
	v_add_co_u32_e32 v16, vcc, 0x1000, v14
	v_addc_co_u32_e32 v17, vcc, 0, v15, vcc
	s_waitcnt lgkmcnt(1)
	global_store_dwordx2 v[16:17], v[10:11], off offset:1024
.LBB293_130:
	s_or_b64 exec, exec, s[4:5]
	v_or_b32_e32 v16, 0x300, v48
	v_cmp_gt_u32_e32 vcc, s33, v16
	s_and_saveexec_b64 s[4:5], vcc
	s_cbranch_execz .LBB293_132
; %bb.131:
	v_add_co_u32_e32 v14, vcc, 0x1000, v14
	v_addc_co_u32_e32 v15, vcc, 0, v15, vcc
	s_waitcnt lgkmcnt(0)
	global_store_dwordx2 v[14:15], v[12:13], off offset:2048
.LBB293_132:
	s_or_b64 exec, exec, s[4:5]
	v_cmp_lt_u64_e64 s[4:5], s[42:43], 2
	s_and_b64 vcc, exec, s[4:5]
	s_cbranch_vccnz .LBB293_156
; %bb.133:
	s_add_u32 s4, s33, -1
	s_addc_u32 s5, s56, -1
	s_add_u32 s6, 0, 0x92481000
	s_addc_u32 s7, 0, 0x64
	s_add_i32 s7, s7, 0x249248c0
	s_mul_hi_u32 s11, s6, -7
	s_sub_i32 s11, s11, s6
	s_mul_i32 s12, s7, -7
	s_mul_i32 s8, s6, -7
	s_add_i32 s11, s11, s12
	s_mul_hi_u32 s9, s7, s8
	s_mul_i32 s10, s7, s8
	s_mul_i32 s13, s6, s11
	s_mul_hi_u32 s8, s6, s8
	s_mul_hi_u32 s12, s6, s11
	s_add_u32 s8, s8, s13
	s_addc_u32 s12, 0, s12
	s_add_u32 s8, s8, s10
	s_mul_hi_u32 s13, s7, s11
	s_addc_u32 s8, s12, s9
	s_addc_u32 s9, s13, 0
	s_mul_i32 s10, s7, s11
	s_add_u32 s8, s8, s10
	v_mov_b32_e32 v14, s8
	s_addc_u32 s9, 0, s9
	v_add_co_u32_e32 v14, vcc, s6, v14
	s_cmp_lg_u64 vcc, 0
	s_addc_u32 s6, s7, s9
	v_readfirstlane_b32 s9, v14
	s_mul_i32 s8, s4, s6
	s_mul_hi_u32 s10, s4, s9
	s_mul_hi_u32 s7, s4, s6
	s_add_u32 s8, s10, s8
	s_addc_u32 s7, 0, s7
	s_mul_hi_u32 s11, s5, s9
	s_mul_i32 s9, s5, s9
	s_add_u32 s8, s8, s9
	s_mul_hi_u32 s10, s5, s6
	s_addc_u32 s7, s7, s11
	s_addc_u32 s8, s10, 0
	s_mul_i32 s6, s5, s6
	s_add_u32 s6, s7, s6
	s_addc_u32 s7, 0, s8
	s_add_u32 s8, s6, 1
	s_addc_u32 s9, s7, 0
	s_add_u32 s10, s6, 2
	s_mul_i32 s12, s7, 7
	s_mul_hi_u32 s13, s6, 7
	s_addc_u32 s11, s7, 0
	s_add_i32 s13, s13, s12
	s_mul_i32 s12, s6, 7
	v_mov_b32_e32 v14, s12
	v_sub_co_u32_e32 v14, vcc, s4, v14
	s_cmp_lg_u64 vcc, 0
	s_subb_u32 s12, s5, s13
	v_subrev_co_u32_e32 v15, vcc, 7, v14
	s_cmp_lg_u64 vcc, 0
	s_subb_u32 s13, s12, 0
	v_readfirstlane_b32 s14, v15
	s_cmp_gt_u32 s14, 6
	s_cselect_b32 s14, -1, 0
	s_cmp_eq_u32 s13, 0
	s_cselect_b32 s13, s14, -1
	s_cmp_lg_u32 s13, 0
	s_cselect_b32 s8, s10, s8
	v_readfirstlane_b32 s10, v14
	s_cselect_b32 s9, s11, s9
	s_cmp_gt_u32 s10, 6
	s_cselect_b32 s10, -1, 0
	s_cmp_eq_u32 s12, 0
	s_cselect_b32 s10, s10, -1
	s_cmp_lg_u32 s10, 0
	s_cselect_b32 s7, s9, s7
	s_cselect_b32 s6, s8, s6
	v_cmp_eq_u64_e32 vcc, s[6:7], v[48:49]
	s_and_saveexec_b64 s[6:7], vcc
	s_cbranch_execz .LBB293_156
; %bb.134:
	v_mul_hi_u32_u24_e32 v15, 7, v48
	v_mov_b32_e32 v16, s5
	v_sub_co_u32_e32 v14, vcc, s4, v62
	v_subb_co_u32_e32 v15, vcc, v16, v15, vcc
	v_cmp_lt_i64_e32 vcc, 3, v[14:15]
	s_and_saveexec_b64 s[4:5], vcc
	s_xor_b64 s[4:5], exec, s[4:5]
	s_cbranch_execz .LBB293_144
; %bb.135:
	v_cmp_lt_i64_e32 vcc, 4, v[14:15]
	s_and_saveexec_b64 s[6:7], vcc
	s_xor_b64 s[6:7], exec, s[6:7]
	s_cbranch_execz .LBB293_141
; %bb.136:
	;; [unrolled: 5-line block ×3, first 2 shown]
	s_waitcnt lgkmcnt(3)
	v_mov_b32_e32 v0, 0
	s_waitcnt lgkmcnt(0)
	global_store_dwordx2 v0, v[12:13], s[38:39]
                                        ; implicit-def: $vgpr8_vgpr9_vgpr10_vgpr11
.LBB293_138:
	s_andn2_saveexec_b64 s[8:9], s[8:9]
	s_cbranch_execz .LBB293_140
; %bb.139:
	s_waitcnt lgkmcnt(3)
	v_mov_b32_e32 v0, 0
	s_waitcnt lgkmcnt(1)
	global_store_dwordx2 v0, v[10:11], s[38:39]
.LBB293_140:
	s_or_b64 exec, exec, s[8:9]
                                        ; implicit-def: $vgpr8_vgpr9_vgpr10_vgpr11
.LBB293_141:
	s_andn2_saveexec_b64 s[6:7], s[6:7]
	s_cbranch_execz .LBB293_143
; %bb.142:
	s_waitcnt lgkmcnt(3)
	v_mov_b32_e32 v0, 0
	s_waitcnt lgkmcnt(1)
	global_store_dwordx2 v0, v[8:9], s[38:39]
.LBB293_143:
	s_or_b64 exec, exec, s[6:7]
                                        ; implicit-def: $vgpr14_vgpr15
                                        ; implicit-def: $vgpr0_vgpr1_vgpr2_vgpr3
                                        ; implicit-def: $vgpr4_vgpr5_vgpr6_vgpr7
.LBB293_144:
	s_andn2_saveexec_b64 s[4:5], s[4:5]
	s_cbranch_execz .LBB293_156
; %bb.145:
	v_cmp_lt_i64_e32 vcc, 1, v[14:15]
	s_and_saveexec_b64 s[4:5], vcc
	s_xor_b64 s[4:5], exec, s[4:5]
	s_cbranch_execz .LBB293_151
; %bb.146:
	v_cmp_lt_i64_e32 vcc, 2, v[14:15]
	s_and_saveexec_b64 s[6:7], vcc
	s_xor_b64 s[6:7], exec, s[6:7]
	s_cbranch_execz .LBB293_148
; %bb.147:
	s_waitcnt lgkmcnt(3)
	v_mov_b32_e32 v0, 0
	s_waitcnt lgkmcnt(2)
	global_store_dwordx2 v0, v[6:7], s[38:39]
                                        ; implicit-def: $vgpr4_vgpr5_vgpr6_vgpr7
.LBB293_148:
	s_andn2_saveexec_b64 s[6:7], s[6:7]
	s_cbranch_execz .LBB293_150
; %bb.149:
	s_waitcnt lgkmcnt(3)
	v_mov_b32_e32 v0, 0
	s_waitcnt lgkmcnt(2)
	global_store_dwordx2 v0, v[4:5], s[38:39]
.LBB293_150:
	s_or_b64 exec, exec, s[6:7]
                                        ; implicit-def: $vgpr0_vgpr1_vgpr2_vgpr3
                                        ; implicit-def: $vgpr14_vgpr15
.LBB293_151:
	s_andn2_saveexec_b64 s[4:5], s[4:5]
	s_cbranch_execz .LBB293_156
; %bb.152:
	v_cmp_ne_u64_e32 vcc, 1, v[14:15]
	s_and_saveexec_b64 s[4:5], vcc
	s_xor_b64 s[4:5], exec, s[4:5]
	s_cbranch_execz .LBB293_154
; %bb.153:
	s_waitcnt lgkmcnt(3)
	v_mov_b32_e32 v2, 0
	global_store_dwordx2 v2, v[0:1], s[38:39]
                                        ; implicit-def: $vgpr0_vgpr1_vgpr2_vgpr3
.LBB293_154:
	s_andn2_saveexec_b64 s[4:5], s[4:5]
	s_cbranch_execz .LBB293_156
; %bb.155:
	s_waitcnt lgkmcnt(3)
	v_mov_b32_e32 v0, 0
	global_store_dwordx2 v0, v[2:3], s[38:39]
.LBB293_156:
	s_endpgm
	.section	.rodata,"a",@progbits
	.p2align	6, 0x0
	.amdhsa_kernel _ZN7rocprim17ROCPRIM_400000_NS6detail17trampoline_kernelINS0_14default_configENS1_20scan_config_selectorIN3c107complexIfEEEEZZNS1_9scan_implILNS1_25lookback_scan_determinismE0ELb0ELb0ES3_PKS7_PS7_S7_ZZZN2at6native31launch_logcumsumexp_cuda_kernelERKNSE_10TensorBaseESI_lENKUlvE_clEvENKUlvE2_clEvEUlS7_S7_E_S7_EEDaPvRmT3_T4_T5_mT6_P12ihipStream_tbENKUlT_T0_E_clISt17integral_constantIbLb1EESZ_EEDaSU_SV_EUlSU_E_NS1_11comp_targetILNS1_3genE4ELNS1_11target_archE910ELNS1_3gpuE8ELNS1_3repE0EEENS1_30default_config_static_selectorELNS0_4arch9wavefront6targetE1EEEvT1_
		.amdhsa_group_segment_fixed_size 7168
		.amdhsa_private_segment_fixed_size 0
		.amdhsa_kernarg_size 104
		.amdhsa_user_sgpr_count 8
		.amdhsa_user_sgpr_private_segment_buffer 1
		.amdhsa_user_sgpr_dispatch_ptr 0
		.amdhsa_user_sgpr_queue_ptr 0
		.amdhsa_user_sgpr_kernarg_segment_ptr 1
		.amdhsa_user_sgpr_dispatch_id 0
		.amdhsa_user_sgpr_flat_scratch_init 1
		.amdhsa_user_sgpr_kernarg_preload_length 0
		.amdhsa_user_sgpr_kernarg_preload_offset 0
		.amdhsa_user_sgpr_private_segment_size 0
		.amdhsa_uses_dynamic_stack 0
		.amdhsa_system_sgpr_private_segment_wavefront_offset 0
		.amdhsa_system_sgpr_workgroup_id_x 1
		.amdhsa_system_sgpr_workgroup_id_y 0
		.amdhsa_system_sgpr_workgroup_id_z 0
		.amdhsa_system_sgpr_workgroup_info 0
		.amdhsa_system_vgpr_workitem_id 0
		.amdhsa_next_free_vgpr 73
		.amdhsa_next_free_sgpr 63
		.amdhsa_accum_offset 76
		.amdhsa_reserve_vcc 1
		.amdhsa_reserve_flat_scratch 1
		.amdhsa_float_round_mode_32 0
		.amdhsa_float_round_mode_16_64 0
		.amdhsa_float_denorm_mode_32 3
		.amdhsa_float_denorm_mode_16_64 3
		.amdhsa_dx10_clamp 1
		.amdhsa_ieee_mode 1
		.amdhsa_fp16_overflow 0
		.amdhsa_tg_split 0
		.amdhsa_exception_fp_ieee_invalid_op 0
		.amdhsa_exception_fp_denorm_src 0
		.amdhsa_exception_fp_ieee_div_zero 0
		.amdhsa_exception_fp_ieee_overflow 0
		.amdhsa_exception_fp_ieee_underflow 0
		.amdhsa_exception_fp_ieee_inexact 0
		.amdhsa_exception_int_div_zero 0
	.end_amdhsa_kernel
	.section	.text._ZN7rocprim17ROCPRIM_400000_NS6detail17trampoline_kernelINS0_14default_configENS1_20scan_config_selectorIN3c107complexIfEEEEZZNS1_9scan_implILNS1_25lookback_scan_determinismE0ELb0ELb0ES3_PKS7_PS7_S7_ZZZN2at6native31launch_logcumsumexp_cuda_kernelERKNSE_10TensorBaseESI_lENKUlvE_clEvENKUlvE2_clEvEUlS7_S7_E_S7_EEDaPvRmT3_T4_T5_mT6_P12ihipStream_tbENKUlT_T0_E_clISt17integral_constantIbLb1EESZ_EEDaSU_SV_EUlSU_E_NS1_11comp_targetILNS1_3genE4ELNS1_11target_archE910ELNS1_3gpuE8ELNS1_3repE0EEENS1_30default_config_static_selectorELNS0_4arch9wavefront6targetE1EEEvT1_,"axG",@progbits,_ZN7rocprim17ROCPRIM_400000_NS6detail17trampoline_kernelINS0_14default_configENS1_20scan_config_selectorIN3c107complexIfEEEEZZNS1_9scan_implILNS1_25lookback_scan_determinismE0ELb0ELb0ES3_PKS7_PS7_S7_ZZZN2at6native31launch_logcumsumexp_cuda_kernelERKNSE_10TensorBaseESI_lENKUlvE_clEvENKUlvE2_clEvEUlS7_S7_E_S7_EEDaPvRmT3_T4_T5_mT6_P12ihipStream_tbENKUlT_T0_E_clISt17integral_constantIbLb1EESZ_EEDaSU_SV_EUlSU_E_NS1_11comp_targetILNS1_3genE4ELNS1_11target_archE910ELNS1_3gpuE8ELNS1_3repE0EEENS1_30default_config_static_selectorELNS0_4arch9wavefront6targetE1EEEvT1_,comdat
.Lfunc_end293:
	.size	_ZN7rocprim17ROCPRIM_400000_NS6detail17trampoline_kernelINS0_14default_configENS1_20scan_config_selectorIN3c107complexIfEEEEZZNS1_9scan_implILNS1_25lookback_scan_determinismE0ELb0ELb0ES3_PKS7_PS7_S7_ZZZN2at6native31launch_logcumsumexp_cuda_kernelERKNSE_10TensorBaseESI_lENKUlvE_clEvENKUlvE2_clEvEUlS7_S7_E_S7_EEDaPvRmT3_T4_T5_mT6_P12ihipStream_tbENKUlT_T0_E_clISt17integral_constantIbLb1EESZ_EEDaSU_SV_EUlSU_E_NS1_11comp_targetILNS1_3genE4ELNS1_11target_archE910ELNS1_3gpuE8ELNS1_3repE0EEENS1_30default_config_static_selectorELNS0_4arch9wavefront6targetE1EEEvT1_, .Lfunc_end293-_ZN7rocprim17ROCPRIM_400000_NS6detail17trampoline_kernelINS0_14default_configENS1_20scan_config_selectorIN3c107complexIfEEEEZZNS1_9scan_implILNS1_25lookback_scan_determinismE0ELb0ELb0ES3_PKS7_PS7_S7_ZZZN2at6native31launch_logcumsumexp_cuda_kernelERKNSE_10TensorBaseESI_lENKUlvE_clEvENKUlvE2_clEvEUlS7_S7_E_S7_EEDaPvRmT3_T4_T5_mT6_P12ihipStream_tbENKUlT_T0_E_clISt17integral_constantIbLb1EESZ_EEDaSU_SV_EUlSU_E_NS1_11comp_targetILNS1_3genE4ELNS1_11target_archE910ELNS1_3gpuE8ELNS1_3repE0EEENS1_30default_config_static_selectorELNS0_4arch9wavefront6targetE1EEEvT1_
                                        ; -- End function
	.section	.AMDGPU.csdata,"",@progbits
; Kernel info:
; codeLenInByte = 6628
; NumSgprs: 69
; NumVgprs: 73
; NumAgprs: 0
; TotalNumVgprs: 73
; ScratchSize: 0
; MemoryBound: 0
; FloatMode: 240
; IeeeMode: 1
; LDSByteSize: 7168 bytes/workgroup (compile time only)
; SGPRBlocks: 8
; VGPRBlocks: 9
; NumSGPRsForWavesPerEU: 69
; NumVGPRsForWavesPerEU: 73
; AccumOffset: 76
; Occupancy: 5
; WaveLimiterHint : 0
; COMPUTE_PGM_RSRC2:SCRATCH_EN: 0
; COMPUTE_PGM_RSRC2:USER_SGPR: 8
; COMPUTE_PGM_RSRC2:TRAP_HANDLER: 0
; COMPUTE_PGM_RSRC2:TGID_X_EN: 1
; COMPUTE_PGM_RSRC2:TGID_Y_EN: 0
; COMPUTE_PGM_RSRC2:TGID_Z_EN: 0
; COMPUTE_PGM_RSRC2:TIDIG_COMP_CNT: 0
; COMPUTE_PGM_RSRC3_GFX90A:ACCUM_OFFSET: 18
; COMPUTE_PGM_RSRC3_GFX90A:TG_SPLIT: 0
	.section	.text._ZN7rocprim17ROCPRIM_400000_NS6detail17trampoline_kernelINS0_14default_configENS1_20scan_config_selectorIN3c107complexIfEEEEZZNS1_9scan_implILNS1_25lookback_scan_determinismE0ELb0ELb0ES3_PKS7_PS7_S7_ZZZN2at6native31launch_logcumsumexp_cuda_kernelERKNSE_10TensorBaseESI_lENKUlvE_clEvENKUlvE2_clEvEUlS7_S7_E_S7_EEDaPvRmT3_T4_T5_mT6_P12ihipStream_tbENKUlT_T0_E_clISt17integral_constantIbLb1EESZ_EEDaSU_SV_EUlSU_E_NS1_11comp_targetILNS1_3genE3ELNS1_11target_archE908ELNS1_3gpuE7ELNS1_3repE0EEENS1_30default_config_static_selectorELNS0_4arch9wavefront6targetE1EEEvT1_,"axG",@progbits,_ZN7rocprim17ROCPRIM_400000_NS6detail17trampoline_kernelINS0_14default_configENS1_20scan_config_selectorIN3c107complexIfEEEEZZNS1_9scan_implILNS1_25lookback_scan_determinismE0ELb0ELb0ES3_PKS7_PS7_S7_ZZZN2at6native31launch_logcumsumexp_cuda_kernelERKNSE_10TensorBaseESI_lENKUlvE_clEvENKUlvE2_clEvEUlS7_S7_E_S7_EEDaPvRmT3_T4_T5_mT6_P12ihipStream_tbENKUlT_T0_E_clISt17integral_constantIbLb1EESZ_EEDaSU_SV_EUlSU_E_NS1_11comp_targetILNS1_3genE3ELNS1_11target_archE908ELNS1_3gpuE7ELNS1_3repE0EEENS1_30default_config_static_selectorELNS0_4arch9wavefront6targetE1EEEvT1_,comdat
	.globl	_ZN7rocprim17ROCPRIM_400000_NS6detail17trampoline_kernelINS0_14default_configENS1_20scan_config_selectorIN3c107complexIfEEEEZZNS1_9scan_implILNS1_25lookback_scan_determinismE0ELb0ELb0ES3_PKS7_PS7_S7_ZZZN2at6native31launch_logcumsumexp_cuda_kernelERKNSE_10TensorBaseESI_lENKUlvE_clEvENKUlvE2_clEvEUlS7_S7_E_S7_EEDaPvRmT3_T4_T5_mT6_P12ihipStream_tbENKUlT_T0_E_clISt17integral_constantIbLb1EESZ_EEDaSU_SV_EUlSU_E_NS1_11comp_targetILNS1_3genE3ELNS1_11target_archE908ELNS1_3gpuE7ELNS1_3repE0EEENS1_30default_config_static_selectorELNS0_4arch9wavefront6targetE1EEEvT1_ ; -- Begin function _ZN7rocprim17ROCPRIM_400000_NS6detail17trampoline_kernelINS0_14default_configENS1_20scan_config_selectorIN3c107complexIfEEEEZZNS1_9scan_implILNS1_25lookback_scan_determinismE0ELb0ELb0ES3_PKS7_PS7_S7_ZZZN2at6native31launch_logcumsumexp_cuda_kernelERKNSE_10TensorBaseESI_lENKUlvE_clEvENKUlvE2_clEvEUlS7_S7_E_S7_EEDaPvRmT3_T4_T5_mT6_P12ihipStream_tbENKUlT_T0_E_clISt17integral_constantIbLb1EESZ_EEDaSU_SV_EUlSU_E_NS1_11comp_targetILNS1_3genE3ELNS1_11target_archE908ELNS1_3gpuE7ELNS1_3repE0EEENS1_30default_config_static_selectorELNS0_4arch9wavefront6targetE1EEEvT1_
	.p2align	8
	.type	_ZN7rocprim17ROCPRIM_400000_NS6detail17trampoline_kernelINS0_14default_configENS1_20scan_config_selectorIN3c107complexIfEEEEZZNS1_9scan_implILNS1_25lookback_scan_determinismE0ELb0ELb0ES3_PKS7_PS7_S7_ZZZN2at6native31launch_logcumsumexp_cuda_kernelERKNSE_10TensorBaseESI_lENKUlvE_clEvENKUlvE2_clEvEUlS7_S7_E_S7_EEDaPvRmT3_T4_T5_mT6_P12ihipStream_tbENKUlT_T0_E_clISt17integral_constantIbLb1EESZ_EEDaSU_SV_EUlSU_E_NS1_11comp_targetILNS1_3genE3ELNS1_11target_archE908ELNS1_3gpuE7ELNS1_3repE0EEENS1_30default_config_static_selectorELNS0_4arch9wavefront6targetE1EEEvT1_,@function
_ZN7rocprim17ROCPRIM_400000_NS6detail17trampoline_kernelINS0_14default_configENS1_20scan_config_selectorIN3c107complexIfEEEEZZNS1_9scan_implILNS1_25lookback_scan_determinismE0ELb0ELb0ES3_PKS7_PS7_S7_ZZZN2at6native31launch_logcumsumexp_cuda_kernelERKNSE_10TensorBaseESI_lENKUlvE_clEvENKUlvE2_clEvEUlS7_S7_E_S7_EEDaPvRmT3_T4_T5_mT6_P12ihipStream_tbENKUlT_T0_E_clISt17integral_constantIbLb1EESZ_EEDaSU_SV_EUlSU_E_NS1_11comp_targetILNS1_3genE3ELNS1_11target_archE908ELNS1_3gpuE7ELNS1_3repE0EEENS1_30default_config_static_selectorELNS0_4arch9wavefront6targetE1EEEvT1_: ; @_ZN7rocprim17ROCPRIM_400000_NS6detail17trampoline_kernelINS0_14default_configENS1_20scan_config_selectorIN3c107complexIfEEEEZZNS1_9scan_implILNS1_25lookback_scan_determinismE0ELb0ELb0ES3_PKS7_PS7_S7_ZZZN2at6native31launch_logcumsumexp_cuda_kernelERKNSE_10TensorBaseESI_lENKUlvE_clEvENKUlvE2_clEvEUlS7_S7_E_S7_EEDaPvRmT3_T4_T5_mT6_P12ihipStream_tbENKUlT_T0_E_clISt17integral_constantIbLb1EESZ_EEDaSU_SV_EUlSU_E_NS1_11comp_targetILNS1_3genE3ELNS1_11target_archE908ELNS1_3gpuE7ELNS1_3repE0EEENS1_30default_config_static_selectorELNS0_4arch9wavefront6targetE1EEEvT1_
; %bb.0:
	.section	.rodata,"a",@progbits
	.p2align	6, 0x0
	.amdhsa_kernel _ZN7rocprim17ROCPRIM_400000_NS6detail17trampoline_kernelINS0_14default_configENS1_20scan_config_selectorIN3c107complexIfEEEEZZNS1_9scan_implILNS1_25lookback_scan_determinismE0ELb0ELb0ES3_PKS7_PS7_S7_ZZZN2at6native31launch_logcumsumexp_cuda_kernelERKNSE_10TensorBaseESI_lENKUlvE_clEvENKUlvE2_clEvEUlS7_S7_E_S7_EEDaPvRmT3_T4_T5_mT6_P12ihipStream_tbENKUlT_T0_E_clISt17integral_constantIbLb1EESZ_EEDaSU_SV_EUlSU_E_NS1_11comp_targetILNS1_3genE3ELNS1_11target_archE908ELNS1_3gpuE7ELNS1_3repE0EEENS1_30default_config_static_selectorELNS0_4arch9wavefront6targetE1EEEvT1_
		.amdhsa_group_segment_fixed_size 0
		.amdhsa_private_segment_fixed_size 0
		.amdhsa_kernarg_size 104
		.amdhsa_user_sgpr_count 6
		.amdhsa_user_sgpr_private_segment_buffer 1
		.amdhsa_user_sgpr_dispatch_ptr 0
		.amdhsa_user_sgpr_queue_ptr 0
		.amdhsa_user_sgpr_kernarg_segment_ptr 1
		.amdhsa_user_sgpr_dispatch_id 0
		.amdhsa_user_sgpr_flat_scratch_init 0
		.amdhsa_user_sgpr_kernarg_preload_length 0
		.amdhsa_user_sgpr_kernarg_preload_offset 0
		.amdhsa_user_sgpr_private_segment_size 0
		.amdhsa_uses_dynamic_stack 0
		.amdhsa_system_sgpr_private_segment_wavefront_offset 0
		.amdhsa_system_sgpr_workgroup_id_x 1
		.amdhsa_system_sgpr_workgroup_id_y 0
		.amdhsa_system_sgpr_workgroup_id_z 0
		.amdhsa_system_sgpr_workgroup_info 0
		.amdhsa_system_vgpr_workitem_id 0
		.amdhsa_next_free_vgpr 1
		.amdhsa_next_free_sgpr 0
		.amdhsa_accum_offset 4
		.amdhsa_reserve_vcc 0
		.amdhsa_reserve_flat_scratch 0
		.amdhsa_float_round_mode_32 0
		.amdhsa_float_round_mode_16_64 0
		.amdhsa_float_denorm_mode_32 3
		.amdhsa_float_denorm_mode_16_64 3
		.amdhsa_dx10_clamp 1
		.amdhsa_ieee_mode 1
		.amdhsa_fp16_overflow 0
		.amdhsa_tg_split 0
		.amdhsa_exception_fp_ieee_invalid_op 0
		.amdhsa_exception_fp_denorm_src 0
		.amdhsa_exception_fp_ieee_div_zero 0
		.amdhsa_exception_fp_ieee_overflow 0
		.amdhsa_exception_fp_ieee_underflow 0
		.amdhsa_exception_fp_ieee_inexact 0
		.amdhsa_exception_int_div_zero 0
	.end_amdhsa_kernel
	.section	.text._ZN7rocprim17ROCPRIM_400000_NS6detail17trampoline_kernelINS0_14default_configENS1_20scan_config_selectorIN3c107complexIfEEEEZZNS1_9scan_implILNS1_25lookback_scan_determinismE0ELb0ELb0ES3_PKS7_PS7_S7_ZZZN2at6native31launch_logcumsumexp_cuda_kernelERKNSE_10TensorBaseESI_lENKUlvE_clEvENKUlvE2_clEvEUlS7_S7_E_S7_EEDaPvRmT3_T4_T5_mT6_P12ihipStream_tbENKUlT_T0_E_clISt17integral_constantIbLb1EESZ_EEDaSU_SV_EUlSU_E_NS1_11comp_targetILNS1_3genE3ELNS1_11target_archE908ELNS1_3gpuE7ELNS1_3repE0EEENS1_30default_config_static_selectorELNS0_4arch9wavefront6targetE1EEEvT1_,"axG",@progbits,_ZN7rocprim17ROCPRIM_400000_NS6detail17trampoline_kernelINS0_14default_configENS1_20scan_config_selectorIN3c107complexIfEEEEZZNS1_9scan_implILNS1_25lookback_scan_determinismE0ELb0ELb0ES3_PKS7_PS7_S7_ZZZN2at6native31launch_logcumsumexp_cuda_kernelERKNSE_10TensorBaseESI_lENKUlvE_clEvENKUlvE2_clEvEUlS7_S7_E_S7_EEDaPvRmT3_T4_T5_mT6_P12ihipStream_tbENKUlT_T0_E_clISt17integral_constantIbLb1EESZ_EEDaSU_SV_EUlSU_E_NS1_11comp_targetILNS1_3genE3ELNS1_11target_archE908ELNS1_3gpuE7ELNS1_3repE0EEENS1_30default_config_static_selectorELNS0_4arch9wavefront6targetE1EEEvT1_,comdat
.Lfunc_end294:
	.size	_ZN7rocprim17ROCPRIM_400000_NS6detail17trampoline_kernelINS0_14default_configENS1_20scan_config_selectorIN3c107complexIfEEEEZZNS1_9scan_implILNS1_25lookback_scan_determinismE0ELb0ELb0ES3_PKS7_PS7_S7_ZZZN2at6native31launch_logcumsumexp_cuda_kernelERKNSE_10TensorBaseESI_lENKUlvE_clEvENKUlvE2_clEvEUlS7_S7_E_S7_EEDaPvRmT3_T4_T5_mT6_P12ihipStream_tbENKUlT_T0_E_clISt17integral_constantIbLb1EESZ_EEDaSU_SV_EUlSU_E_NS1_11comp_targetILNS1_3genE3ELNS1_11target_archE908ELNS1_3gpuE7ELNS1_3repE0EEENS1_30default_config_static_selectorELNS0_4arch9wavefront6targetE1EEEvT1_, .Lfunc_end294-_ZN7rocprim17ROCPRIM_400000_NS6detail17trampoline_kernelINS0_14default_configENS1_20scan_config_selectorIN3c107complexIfEEEEZZNS1_9scan_implILNS1_25lookback_scan_determinismE0ELb0ELb0ES3_PKS7_PS7_S7_ZZZN2at6native31launch_logcumsumexp_cuda_kernelERKNSE_10TensorBaseESI_lENKUlvE_clEvENKUlvE2_clEvEUlS7_S7_E_S7_EEDaPvRmT3_T4_T5_mT6_P12ihipStream_tbENKUlT_T0_E_clISt17integral_constantIbLb1EESZ_EEDaSU_SV_EUlSU_E_NS1_11comp_targetILNS1_3genE3ELNS1_11target_archE908ELNS1_3gpuE7ELNS1_3repE0EEENS1_30default_config_static_selectorELNS0_4arch9wavefront6targetE1EEEvT1_
                                        ; -- End function
	.section	.AMDGPU.csdata,"",@progbits
; Kernel info:
; codeLenInByte = 0
; NumSgprs: 4
; NumVgprs: 0
; NumAgprs: 0
; TotalNumVgprs: 0
; ScratchSize: 0
; MemoryBound: 0
; FloatMode: 240
; IeeeMode: 1
; LDSByteSize: 0 bytes/workgroup (compile time only)
; SGPRBlocks: 0
; VGPRBlocks: 0
; NumSGPRsForWavesPerEU: 4
; NumVGPRsForWavesPerEU: 1
; AccumOffset: 4
; Occupancy: 8
; WaveLimiterHint : 0
; COMPUTE_PGM_RSRC2:SCRATCH_EN: 0
; COMPUTE_PGM_RSRC2:USER_SGPR: 6
; COMPUTE_PGM_RSRC2:TRAP_HANDLER: 0
; COMPUTE_PGM_RSRC2:TGID_X_EN: 1
; COMPUTE_PGM_RSRC2:TGID_Y_EN: 0
; COMPUTE_PGM_RSRC2:TGID_Z_EN: 0
; COMPUTE_PGM_RSRC2:TIDIG_COMP_CNT: 0
; COMPUTE_PGM_RSRC3_GFX90A:ACCUM_OFFSET: 0
; COMPUTE_PGM_RSRC3_GFX90A:TG_SPLIT: 0
	.section	.text._ZN7rocprim17ROCPRIM_400000_NS6detail17trampoline_kernelINS0_14default_configENS1_20scan_config_selectorIN3c107complexIfEEEEZZNS1_9scan_implILNS1_25lookback_scan_determinismE0ELb0ELb0ES3_PKS7_PS7_S7_ZZZN2at6native31launch_logcumsumexp_cuda_kernelERKNSE_10TensorBaseESI_lENKUlvE_clEvENKUlvE2_clEvEUlS7_S7_E_S7_EEDaPvRmT3_T4_T5_mT6_P12ihipStream_tbENKUlT_T0_E_clISt17integral_constantIbLb1EESZ_EEDaSU_SV_EUlSU_E_NS1_11comp_targetILNS1_3genE2ELNS1_11target_archE906ELNS1_3gpuE6ELNS1_3repE0EEENS1_30default_config_static_selectorELNS0_4arch9wavefront6targetE1EEEvT1_,"axG",@progbits,_ZN7rocprim17ROCPRIM_400000_NS6detail17trampoline_kernelINS0_14default_configENS1_20scan_config_selectorIN3c107complexIfEEEEZZNS1_9scan_implILNS1_25lookback_scan_determinismE0ELb0ELb0ES3_PKS7_PS7_S7_ZZZN2at6native31launch_logcumsumexp_cuda_kernelERKNSE_10TensorBaseESI_lENKUlvE_clEvENKUlvE2_clEvEUlS7_S7_E_S7_EEDaPvRmT3_T4_T5_mT6_P12ihipStream_tbENKUlT_T0_E_clISt17integral_constantIbLb1EESZ_EEDaSU_SV_EUlSU_E_NS1_11comp_targetILNS1_3genE2ELNS1_11target_archE906ELNS1_3gpuE6ELNS1_3repE0EEENS1_30default_config_static_selectorELNS0_4arch9wavefront6targetE1EEEvT1_,comdat
	.globl	_ZN7rocprim17ROCPRIM_400000_NS6detail17trampoline_kernelINS0_14default_configENS1_20scan_config_selectorIN3c107complexIfEEEEZZNS1_9scan_implILNS1_25lookback_scan_determinismE0ELb0ELb0ES3_PKS7_PS7_S7_ZZZN2at6native31launch_logcumsumexp_cuda_kernelERKNSE_10TensorBaseESI_lENKUlvE_clEvENKUlvE2_clEvEUlS7_S7_E_S7_EEDaPvRmT3_T4_T5_mT6_P12ihipStream_tbENKUlT_T0_E_clISt17integral_constantIbLb1EESZ_EEDaSU_SV_EUlSU_E_NS1_11comp_targetILNS1_3genE2ELNS1_11target_archE906ELNS1_3gpuE6ELNS1_3repE0EEENS1_30default_config_static_selectorELNS0_4arch9wavefront6targetE1EEEvT1_ ; -- Begin function _ZN7rocprim17ROCPRIM_400000_NS6detail17trampoline_kernelINS0_14default_configENS1_20scan_config_selectorIN3c107complexIfEEEEZZNS1_9scan_implILNS1_25lookback_scan_determinismE0ELb0ELb0ES3_PKS7_PS7_S7_ZZZN2at6native31launch_logcumsumexp_cuda_kernelERKNSE_10TensorBaseESI_lENKUlvE_clEvENKUlvE2_clEvEUlS7_S7_E_S7_EEDaPvRmT3_T4_T5_mT6_P12ihipStream_tbENKUlT_T0_E_clISt17integral_constantIbLb1EESZ_EEDaSU_SV_EUlSU_E_NS1_11comp_targetILNS1_3genE2ELNS1_11target_archE906ELNS1_3gpuE6ELNS1_3repE0EEENS1_30default_config_static_selectorELNS0_4arch9wavefront6targetE1EEEvT1_
	.p2align	8
	.type	_ZN7rocprim17ROCPRIM_400000_NS6detail17trampoline_kernelINS0_14default_configENS1_20scan_config_selectorIN3c107complexIfEEEEZZNS1_9scan_implILNS1_25lookback_scan_determinismE0ELb0ELb0ES3_PKS7_PS7_S7_ZZZN2at6native31launch_logcumsumexp_cuda_kernelERKNSE_10TensorBaseESI_lENKUlvE_clEvENKUlvE2_clEvEUlS7_S7_E_S7_EEDaPvRmT3_T4_T5_mT6_P12ihipStream_tbENKUlT_T0_E_clISt17integral_constantIbLb1EESZ_EEDaSU_SV_EUlSU_E_NS1_11comp_targetILNS1_3genE2ELNS1_11target_archE906ELNS1_3gpuE6ELNS1_3repE0EEENS1_30default_config_static_selectorELNS0_4arch9wavefront6targetE1EEEvT1_,@function
_ZN7rocprim17ROCPRIM_400000_NS6detail17trampoline_kernelINS0_14default_configENS1_20scan_config_selectorIN3c107complexIfEEEEZZNS1_9scan_implILNS1_25lookback_scan_determinismE0ELb0ELb0ES3_PKS7_PS7_S7_ZZZN2at6native31launch_logcumsumexp_cuda_kernelERKNSE_10TensorBaseESI_lENKUlvE_clEvENKUlvE2_clEvEUlS7_S7_E_S7_EEDaPvRmT3_T4_T5_mT6_P12ihipStream_tbENKUlT_T0_E_clISt17integral_constantIbLb1EESZ_EEDaSU_SV_EUlSU_E_NS1_11comp_targetILNS1_3genE2ELNS1_11target_archE906ELNS1_3gpuE6ELNS1_3repE0EEENS1_30default_config_static_selectorELNS0_4arch9wavefront6targetE1EEEvT1_: ; @_ZN7rocprim17ROCPRIM_400000_NS6detail17trampoline_kernelINS0_14default_configENS1_20scan_config_selectorIN3c107complexIfEEEEZZNS1_9scan_implILNS1_25lookback_scan_determinismE0ELb0ELb0ES3_PKS7_PS7_S7_ZZZN2at6native31launch_logcumsumexp_cuda_kernelERKNSE_10TensorBaseESI_lENKUlvE_clEvENKUlvE2_clEvEUlS7_S7_E_S7_EEDaPvRmT3_T4_T5_mT6_P12ihipStream_tbENKUlT_T0_E_clISt17integral_constantIbLb1EESZ_EEDaSU_SV_EUlSU_E_NS1_11comp_targetILNS1_3genE2ELNS1_11target_archE906ELNS1_3gpuE6ELNS1_3repE0EEENS1_30default_config_static_selectorELNS0_4arch9wavefront6targetE1EEEvT1_
; %bb.0:
	.section	.rodata,"a",@progbits
	.p2align	6, 0x0
	.amdhsa_kernel _ZN7rocprim17ROCPRIM_400000_NS6detail17trampoline_kernelINS0_14default_configENS1_20scan_config_selectorIN3c107complexIfEEEEZZNS1_9scan_implILNS1_25lookback_scan_determinismE0ELb0ELb0ES3_PKS7_PS7_S7_ZZZN2at6native31launch_logcumsumexp_cuda_kernelERKNSE_10TensorBaseESI_lENKUlvE_clEvENKUlvE2_clEvEUlS7_S7_E_S7_EEDaPvRmT3_T4_T5_mT6_P12ihipStream_tbENKUlT_T0_E_clISt17integral_constantIbLb1EESZ_EEDaSU_SV_EUlSU_E_NS1_11comp_targetILNS1_3genE2ELNS1_11target_archE906ELNS1_3gpuE6ELNS1_3repE0EEENS1_30default_config_static_selectorELNS0_4arch9wavefront6targetE1EEEvT1_
		.amdhsa_group_segment_fixed_size 0
		.amdhsa_private_segment_fixed_size 0
		.amdhsa_kernarg_size 104
		.amdhsa_user_sgpr_count 6
		.amdhsa_user_sgpr_private_segment_buffer 1
		.amdhsa_user_sgpr_dispatch_ptr 0
		.amdhsa_user_sgpr_queue_ptr 0
		.amdhsa_user_sgpr_kernarg_segment_ptr 1
		.amdhsa_user_sgpr_dispatch_id 0
		.amdhsa_user_sgpr_flat_scratch_init 0
		.amdhsa_user_sgpr_kernarg_preload_length 0
		.amdhsa_user_sgpr_kernarg_preload_offset 0
		.amdhsa_user_sgpr_private_segment_size 0
		.amdhsa_uses_dynamic_stack 0
		.amdhsa_system_sgpr_private_segment_wavefront_offset 0
		.amdhsa_system_sgpr_workgroup_id_x 1
		.amdhsa_system_sgpr_workgroup_id_y 0
		.amdhsa_system_sgpr_workgroup_id_z 0
		.amdhsa_system_sgpr_workgroup_info 0
		.amdhsa_system_vgpr_workitem_id 0
		.amdhsa_next_free_vgpr 1
		.amdhsa_next_free_sgpr 0
		.amdhsa_accum_offset 4
		.amdhsa_reserve_vcc 0
		.amdhsa_reserve_flat_scratch 0
		.amdhsa_float_round_mode_32 0
		.amdhsa_float_round_mode_16_64 0
		.amdhsa_float_denorm_mode_32 3
		.amdhsa_float_denorm_mode_16_64 3
		.amdhsa_dx10_clamp 1
		.amdhsa_ieee_mode 1
		.amdhsa_fp16_overflow 0
		.amdhsa_tg_split 0
		.amdhsa_exception_fp_ieee_invalid_op 0
		.amdhsa_exception_fp_denorm_src 0
		.amdhsa_exception_fp_ieee_div_zero 0
		.amdhsa_exception_fp_ieee_overflow 0
		.amdhsa_exception_fp_ieee_underflow 0
		.amdhsa_exception_fp_ieee_inexact 0
		.amdhsa_exception_int_div_zero 0
	.end_amdhsa_kernel
	.section	.text._ZN7rocprim17ROCPRIM_400000_NS6detail17trampoline_kernelINS0_14default_configENS1_20scan_config_selectorIN3c107complexIfEEEEZZNS1_9scan_implILNS1_25lookback_scan_determinismE0ELb0ELb0ES3_PKS7_PS7_S7_ZZZN2at6native31launch_logcumsumexp_cuda_kernelERKNSE_10TensorBaseESI_lENKUlvE_clEvENKUlvE2_clEvEUlS7_S7_E_S7_EEDaPvRmT3_T4_T5_mT6_P12ihipStream_tbENKUlT_T0_E_clISt17integral_constantIbLb1EESZ_EEDaSU_SV_EUlSU_E_NS1_11comp_targetILNS1_3genE2ELNS1_11target_archE906ELNS1_3gpuE6ELNS1_3repE0EEENS1_30default_config_static_selectorELNS0_4arch9wavefront6targetE1EEEvT1_,"axG",@progbits,_ZN7rocprim17ROCPRIM_400000_NS6detail17trampoline_kernelINS0_14default_configENS1_20scan_config_selectorIN3c107complexIfEEEEZZNS1_9scan_implILNS1_25lookback_scan_determinismE0ELb0ELb0ES3_PKS7_PS7_S7_ZZZN2at6native31launch_logcumsumexp_cuda_kernelERKNSE_10TensorBaseESI_lENKUlvE_clEvENKUlvE2_clEvEUlS7_S7_E_S7_EEDaPvRmT3_T4_T5_mT6_P12ihipStream_tbENKUlT_T0_E_clISt17integral_constantIbLb1EESZ_EEDaSU_SV_EUlSU_E_NS1_11comp_targetILNS1_3genE2ELNS1_11target_archE906ELNS1_3gpuE6ELNS1_3repE0EEENS1_30default_config_static_selectorELNS0_4arch9wavefront6targetE1EEEvT1_,comdat
.Lfunc_end295:
	.size	_ZN7rocprim17ROCPRIM_400000_NS6detail17trampoline_kernelINS0_14default_configENS1_20scan_config_selectorIN3c107complexIfEEEEZZNS1_9scan_implILNS1_25lookback_scan_determinismE0ELb0ELb0ES3_PKS7_PS7_S7_ZZZN2at6native31launch_logcumsumexp_cuda_kernelERKNSE_10TensorBaseESI_lENKUlvE_clEvENKUlvE2_clEvEUlS7_S7_E_S7_EEDaPvRmT3_T4_T5_mT6_P12ihipStream_tbENKUlT_T0_E_clISt17integral_constantIbLb1EESZ_EEDaSU_SV_EUlSU_E_NS1_11comp_targetILNS1_3genE2ELNS1_11target_archE906ELNS1_3gpuE6ELNS1_3repE0EEENS1_30default_config_static_selectorELNS0_4arch9wavefront6targetE1EEEvT1_, .Lfunc_end295-_ZN7rocprim17ROCPRIM_400000_NS6detail17trampoline_kernelINS0_14default_configENS1_20scan_config_selectorIN3c107complexIfEEEEZZNS1_9scan_implILNS1_25lookback_scan_determinismE0ELb0ELb0ES3_PKS7_PS7_S7_ZZZN2at6native31launch_logcumsumexp_cuda_kernelERKNSE_10TensorBaseESI_lENKUlvE_clEvENKUlvE2_clEvEUlS7_S7_E_S7_EEDaPvRmT3_T4_T5_mT6_P12ihipStream_tbENKUlT_T0_E_clISt17integral_constantIbLb1EESZ_EEDaSU_SV_EUlSU_E_NS1_11comp_targetILNS1_3genE2ELNS1_11target_archE906ELNS1_3gpuE6ELNS1_3repE0EEENS1_30default_config_static_selectorELNS0_4arch9wavefront6targetE1EEEvT1_
                                        ; -- End function
	.section	.AMDGPU.csdata,"",@progbits
; Kernel info:
; codeLenInByte = 0
; NumSgprs: 4
; NumVgprs: 0
; NumAgprs: 0
; TotalNumVgprs: 0
; ScratchSize: 0
; MemoryBound: 0
; FloatMode: 240
; IeeeMode: 1
; LDSByteSize: 0 bytes/workgroup (compile time only)
; SGPRBlocks: 0
; VGPRBlocks: 0
; NumSGPRsForWavesPerEU: 4
; NumVGPRsForWavesPerEU: 1
; AccumOffset: 4
; Occupancy: 8
; WaveLimiterHint : 0
; COMPUTE_PGM_RSRC2:SCRATCH_EN: 0
; COMPUTE_PGM_RSRC2:USER_SGPR: 6
; COMPUTE_PGM_RSRC2:TRAP_HANDLER: 0
; COMPUTE_PGM_RSRC2:TGID_X_EN: 1
; COMPUTE_PGM_RSRC2:TGID_Y_EN: 0
; COMPUTE_PGM_RSRC2:TGID_Z_EN: 0
; COMPUTE_PGM_RSRC2:TIDIG_COMP_CNT: 0
; COMPUTE_PGM_RSRC3_GFX90A:ACCUM_OFFSET: 0
; COMPUTE_PGM_RSRC3_GFX90A:TG_SPLIT: 0
	.section	.text._ZN7rocprim17ROCPRIM_400000_NS6detail17trampoline_kernelINS0_14default_configENS1_20scan_config_selectorIN3c107complexIfEEEEZZNS1_9scan_implILNS1_25lookback_scan_determinismE0ELb0ELb0ES3_PKS7_PS7_S7_ZZZN2at6native31launch_logcumsumexp_cuda_kernelERKNSE_10TensorBaseESI_lENKUlvE_clEvENKUlvE2_clEvEUlS7_S7_E_S7_EEDaPvRmT3_T4_T5_mT6_P12ihipStream_tbENKUlT_T0_E_clISt17integral_constantIbLb1EESZ_EEDaSU_SV_EUlSU_E_NS1_11comp_targetILNS1_3genE10ELNS1_11target_archE1201ELNS1_3gpuE5ELNS1_3repE0EEENS1_30default_config_static_selectorELNS0_4arch9wavefront6targetE1EEEvT1_,"axG",@progbits,_ZN7rocprim17ROCPRIM_400000_NS6detail17trampoline_kernelINS0_14default_configENS1_20scan_config_selectorIN3c107complexIfEEEEZZNS1_9scan_implILNS1_25lookback_scan_determinismE0ELb0ELb0ES3_PKS7_PS7_S7_ZZZN2at6native31launch_logcumsumexp_cuda_kernelERKNSE_10TensorBaseESI_lENKUlvE_clEvENKUlvE2_clEvEUlS7_S7_E_S7_EEDaPvRmT3_T4_T5_mT6_P12ihipStream_tbENKUlT_T0_E_clISt17integral_constantIbLb1EESZ_EEDaSU_SV_EUlSU_E_NS1_11comp_targetILNS1_3genE10ELNS1_11target_archE1201ELNS1_3gpuE5ELNS1_3repE0EEENS1_30default_config_static_selectorELNS0_4arch9wavefront6targetE1EEEvT1_,comdat
	.globl	_ZN7rocprim17ROCPRIM_400000_NS6detail17trampoline_kernelINS0_14default_configENS1_20scan_config_selectorIN3c107complexIfEEEEZZNS1_9scan_implILNS1_25lookback_scan_determinismE0ELb0ELb0ES3_PKS7_PS7_S7_ZZZN2at6native31launch_logcumsumexp_cuda_kernelERKNSE_10TensorBaseESI_lENKUlvE_clEvENKUlvE2_clEvEUlS7_S7_E_S7_EEDaPvRmT3_T4_T5_mT6_P12ihipStream_tbENKUlT_T0_E_clISt17integral_constantIbLb1EESZ_EEDaSU_SV_EUlSU_E_NS1_11comp_targetILNS1_3genE10ELNS1_11target_archE1201ELNS1_3gpuE5ELNS1_3repE0EEENS1_30default_config_static_selectorELNS0_4arch9wavefront6targetE1EEEvT1_ ; -- Begin function _ZN7rocprim17ROCPRIM_400000_NS6detail17trampoline_kernelINS0_14default_configENS1_20scan_config_selectorIN3c107complexIfEEEEZZNS1_9scan_implILNS1_25lookback_scan_determinismE0ELb0ELb0ES3_PKS7_PS7_S7_ZZZN2at6native31launch_logcumsumexp_cuda_kernelERKNSE_10TensorBaseESI_lENKUlvE_clEvENKUlvE2_clEvEUlS7_S7_E_S7_EEDaPvRmT3_T4_T5_mT6_P12ihipStream_tbENKUlT_T0_E_clISt17integral_constantIbLb1EESZ_EEDaSU_SV_EUlSU_E_NS1_11comp_targetILNS1_3genE10ELNS1_11target_archE1201ELNS1_3gpuE5ELNS1_3repE0EEENS1_30default_config_static_selectorELNS0_4arch9wavefront6targetE1EEEvT1_
	.p2align	8
	.type	_ZN7rocprim17ROCPRIM_400000_NS6detail17trampoline_kernelINS0_14default_configENS1_20scan_config_selectorIN3c107complexIfEEEEZZNS1_9scan_implILNS1_25lookback_scan_determinismE0ELb0ELb0ES3_PKS7_PS7_S7_ZZZN2at6native31launch_logcumsumexp_cuda_kernelERKNSE_10TensorBaseESI_lENKUlvE_clEvENKUlvE2_clEvEUlS7_S7_E_S7_EEDaPvRmT3_T4_T5_mT6_P12ihipStream_tbENKUlT_T0_E_clISt17integral_constantIbLb1EESZ_EEDaSU_SV_EUlSU_E_NS1_11comp_targetILNS1_3genE10ELNS1_11target_archE1201ELNS1_3gpuE5ELNS1_3repE0EEENS1_30default_config_static_selectorELNS0_4arch9wavefront6targetE1EEEvT1_,@function
_ZN7rocprim17ROCPRIM_400000_NS6detail17trampoline_kernelINS0_14default_configENS1_20scan_config_selectorIN3c107complexIfEEEEZZNS1_9scan_implILNS1_25lookback_scan_determinismE0ELb0ELb0ES3_PKS7_PS7_S7_ZZZN2at6native31launch_logcumsumexp_cuda_kernelERKNSE_10TensorBaseESI_lENKUlvE_clEvENKUlvE2_clEvEUlS7_S7_E_S7_EEDaPvRmT3_T4_T5_mT6_P12ihipStream_tbENKUlT_T0_E_clISt17integral_constantIbLb1EESZ_EEDaSU_SV_EUlSU_E_NS1_11comp_targetILNS1_3genE10ELNS1_11target_archE1201ELNS1_3gpuE5ELNS1_3repE0EEENS1_30default_config_static_selectorELNS0_4arch9wavefront6targetE1EEEvT1_: ; @_ZN7rocprim17ROCPRIM_400000_NS6detail17trampoline_kernelINS0_14default_configENS1_20scan_config_selectorIN3c107complexIfEEEEZZNS1_9scan_implILNS1_25lookback_scan_determinismE0ELb0ELb0ES3_PKS7_PS7_S7_ZZZN2at6native31launch_logcumsumexp_cuda_kernelERKNSE_10TensorBaseESI_lENKUlvE_clEvENKUlvE2_clEvEUlS7_S7_E_S7_EEDaPvRmT3_T4_T5_mT6_P12ihipStream_tbENKUlT_T0_E_clISt17integral_constantIbLb1EESZ_EEDaSU_SV_EUlSU_E_NS1_11comp_targetILNS1_3genE10ELNS1_11target_archE1201ELNS1_3gpuE5ELNS1_3repE0EEENS1_30default_config_static_selectorELNS0_4arch9wavefront6targetE1EEEvT1_
; %bb.0:
	.section	.rodata,"a",@progbits
	.p2align	6, 0x0
	.amdhsa_kernel _ZN7rocprim17ROCPRIM_400000_NS6detail17trampoline_kernelINS0_14default_configENS1_20scan_config_selectorIN3c107complexIfEEEEZZNS1_9scan_implILNS1_25lookback_scan_determinismE0ELb0ELb0ES3_PKS7_PS7_S7_ZZZN2at6native31launch_logcumsumexp_cuda_kernelERKNSE_10TensorBaseESI_lENKUlvE_clEvENKUlvE2_clEvEUlS7_S7_E_S7_EEDaPvRmT3_T4_T5_mT6_P12ihipStream_tbENKUlT_T0_E_clISt17integral_constantIbLb1EESZ_EEDaSU_SV_EUlSU_E_NS1_11comp_targetILNS1_3genE10ELNS1_11target_archE1201ELNS1_3gpuE5ELNS1_3repE0EEENS1_30default_config_static_selectorELNS0_4arch9wavefront6targetE1EEEvT1_
		.amdhsa_group_segment_fixed_size 0
		.amdhsa_private_segment_fixed_size 0
		.amdhsa_kernarg_size 104
		.amdhsa_user_sgpr_count 6
		.amdhsa_user_sgpr_private_segment_buffer 1
		.amdhsa_user_sgpr_dispatch_ptr 0
		.amdhsa_user_sgpr_queue_ptr 0
		.amdhsa_user_sgpr_kernarg_segment_ptr 1
		.amdhsa_user_sgpr_dispatch_id 0
		.amdhsa_user_sgpr_flat_scratch_init 0
		.amdhsa_user_sgpr_kernarg_preload_length 0
		.amdhsa_user_sgpr_kernarg_preload_offset 0
		.amdhsa_user_sgpr_private_segment_size 0
		.amdhsa_uses_dynamic_stack 0
		.amdhsa_system_sgpr_private_segment_wavefront_offset 0
		.amdhsa_system_sgpr_workgroup_id_x 1
		.amdhsa_system_sgpr_workgroup_id_y 0
		.amdhsa_system_sgpr_workgroup_id_z 0
		.amdhsa_system_sgpr_workgroup_info 0
		.amdhsa_system_vgpr_workitem_id 0
		.amdhsa_next_free_vgpr 1
		.amdhsa_next_free_sgpr 0
		.amdhsa_accum_offset 4
		.amdhsa_reserve_vcc 0
		.amdhsa_reserve_flat_scratch 0
		.amdhsa_float_round_mode_32 0
		.amdhsa_float_round_mode_16_64 0
		.amdhsa_float_denorm_mode_32 3
		.amdhsa_float_denorm_mode_16_64 3
		.amdhsa_dx10_clamp 1
		.amdhsa_ieee_mode 1
		.amdhsa_fp16_overflow 0
		.amdhsa_tg_split 0
		.amdhsa_exception_fp_ieee_invalid_op 0
		.amdhsa_exception_fp_denorm_src 0
		.amdhsa_exception_fp_ieee_div_zero 0
		.amdhsa_exception_fp_ieee_overflow 0
		.amdhsa_exception_fp_ieee_underflow 0
		.amdhsa_exception_fp_ieee_inexact 0
		.amdhsa_exception_int_div_zero 0
	.end_amdhsa_kernel
	.section	.text._ZN7rocprim17ROCPRIM_400000_NS6detail17trampoline_kernelINS0_14default_configENS1_20scan_config_selectorIN3c107complexIfEEEEZZNS1_9scan_implILNS1_25lookback_scan_determinismE0ELb0ELb0ES3_PKS7_PS7_S7_ZZZN2at6native31launch_logcumsumexp_cuda_kernelERKNSE_10TensorBaseESI_lENKUlvE_clEvENKUlvE2_clEvEUlS7_S7_E_S7_EEDaPvRmT3_T4_T5_mT6_P12ihipStream_tbENKUlT_T0_E_clISt17integral_constantIbLb1EESZ_EEDaSU_SV_EUlSU_E_NS1_11comp_targetILNS1_3genE10ELNS1_11target_archE1201ELNS1_3gpuE5ELNS1_3repE0EEENS1_30default_config_static_selectorELNS0_4arch9wavefront6targetE1EEEvT1_,"axG",@progbits,_ZN7rocprim17ROCPRIM_400000_NS6detail17trampoline_kernelINS0_14default_configENS1_20scan_config_selectorIN3c107complexIfEEEEZZNS1_9scan_implILNS1_25lookback_scan_determinismE0ELb0ELb0ES3_PKS7_PS7_S7_ZZZN2at6native31launch_logcumsumexp_cuda_kernelERKNSE_10TensorBaseESI_lENKUlvE_clEvENKUlvE2_clEvEUlS7_S7_E_S7_EEDaPvRmT3_T4_T5_mT6_P12ihipStream_tbENKUlT_T0_E_clISt17integral_constantIbLb1EESZ_EEDaSU_SV_EUlSU_E_NS1_11comp_targetILNS1_3genE10ELNS1_11target_archE1201ELNS1_3gpuE5ELNS1_3repE0EEENS1_30default_config_static_selectorELNS0_4arch9wavefront6targetE1EEEvT1_,comdat
.Lfunc_end296:
	.size	_ZN7rocprim17ROCPRIM_400000_NS6detail17trampoline_kernelINS0_14default_configENS1_20scan_config_selectorIN3c107complexIfEEEEZZNS1_9scan_implILNS1_25lookback_scan_determinismE0ELb0ELb0ES3_PKS7_PS7_S7_ZZZN2at6native31launch_logcumsumexp_cuda_kernelERKNSE_10TensorBaseESI_lENKUlvE_clEvENKUlvE2_clEvEUlS7_S7_E_S7_EEDaPvRmT3_T4_T5_mT6_P12ihipStream_tbENKUlT_T0_E_clISt17integral_constantIbLb1EESZ_EEDaSU_SV_EUlSU_E_NS1_11comp_targetILNS1_3genE10ELNS1_11target_archE1201ELNS1_3gpuE5ELNS1_3repE0EEENS1_30default_config_static_selectorELNS0_4arch9wavefront6targetE1EEEvT1_, .Lfunc_end296-_ZN7rocprim17ROCPRIM_400000_NS6detail17trampoline_kernelINS0_14default_configENS1_20scan_config_selectorIN3c107complexIfEEEEZZNS1_9scan_implILNS1_25lookback_scan_determinismE0ELb0ELb0ES3_PKS7_PS7_S7_ZZZN2at6native31launch_logcumsumexp_cuda_kernelERKNSE_10TensorBaseESI_lENKUlvE_clEvENKUlvE2_clEvEUlS7_S7_E_S7_EEDaPvRmT3_T4_T5_mT6_P12ihipStream_tbENKUlT_T0_E_clISt17integral_constantIbLb1EESZ_EEDaSU_SV_EUlSU_E_NS1_11comp_targetILNS1_3genE10ELNS1_11target_archE1201ELNS1_3gpuE5ELNS1_3repE0EEENS1_30default_config_static_selectorELNS0_4arch9wavefront6targetE1EEEvT1_
                                        ; -- End function
	.section	.AMDGPU.csdata,"",@progbits
; Kernel info:
; codeLenInByte = 0
; NumSgprs: 4
; NumVgprs: 0
; NumAgprs: 0
; TotalNumVgprs: 0
; ScratchSize: 0
; MemoryBound: 0
; FloatMode: 240
; IeeeMode: 1
; LDSByteSize: 0 bytes/workgroup (compile time only)
; SGPRBlocks: 0
; VGPRBlocks: 0
; NumSGPRsForWavesPerEU: 4
; NumVGPRsForWavesPerEU: 1
; AccumOffset: 4
; Occupancy: 8
; WaveLimiterHint : 0
; COMPUTE_PGM_RSRC2:SCRATCH_EN: 0
; COMPUTE_PGM_RSRC2:USER_SGPR: 6
; COMPUTE_PGM_RSRC2:TRAP_HANDLER: 0
; COMPUTE_PGM_RSRC2:TGID_X_EN: 1
; COMPUTE_PGM_RSRC2:TGID_Y_EN: 0
; COMPUTE_PGM_RSRC2:TGID_Z_EN: 0
; COMPUTE_PGM_RSRC2:TIDIG_COMP_CNT: 0
; COMPUTE_PGM_RSRC3_GFX90A:ACCUM_OFFSET: 0
; COMPUTE_PGM_RSRC3_GFX90A:TG_SPLIT: 0
	.section	.text._ZN7rocprim17ROCPRIM_400000_NS6detail17trampoline_kernelINS0_14default_configENS1_20scan_config_selectorIN3c107complexIfEEEEZZNS1_9scan_implILNS1_25lookback_scan_determinismE0ELb0ELb0ES3_PKS7_PS7_S7_ZZZN2at6native31launch_logcumsumexp_cuda_kernelERKNSE_10TensorBaseESI_lENKUlvE_clEvENKUlvE2_clEvEUlS7_S7_E_S7_EEDaPvRmT3_T4_T5_mT6_P12ihipStream_tbENKUlT_T0_E_clISt17integral_constantIbLb1EESZ_EEDaSU_SV_EUlSU_E_NS1_11comp_targetILNS1_3genE10ELNS1_11target_archE1200ELNS1_3gpuE4ELNS1_3repE0EEENS1_30default_config_static_selectorELNS0_4arch9wavefront6targetE1EEEvT1_,"axG",@progbits,_ZN7rocprim17ROCPRIM_400000_NS6detail17trampoline_kernelINS0_14default_configENS1_20scan_config_selectorIN3c107complexIfEEEEZZNS1_9scan_implILNS1_25lookback_scan_determinismE0ELb0ELb0ES3_PKS7_PS7_S7_ZZZN2at6native31launch_logcumsumexp_cuda_kernelERKNSE_10TensorBaseESI_lENKUlvE_clEvENKUlvE2_clEvEUlS7_S7_E_S7_EEDaPvRmT3_T4_T5_mT6_P12ihipStream_tbENKUlT_T0_E_clISt17integral_constantIbLb1EESZ_EEDaSU_SV_EUlSU_E_NS1_11comp_targetILNS1_3genE10ELNS1_11target_archE1200ELNS1_3gpuE4ELNS1_3repE0EEENS1_30default_config_static_selectorELNS0_4arch9wavefront6targetE1EEEvT1_,comdat
	.globl	_ZN7rocprim17ROCPRIM_400000_NS6detail17trampoline_kernelINS0_14default_configENS1_20scan_config_selectorIN3c107complexIfEEEEZZNS1_9scan_implILNS1_25lookback_scan_determinismE0ELb0ELb0ES3_PKS7_PS7_S7_ZZZN2at6native31launch_logcumsumexp_cuda_kernelERKNSE_10TensorBaseESI_lENKUlvE_clEvENKUlvE2_clEvEUlS7_S7_E_S7_EEDaPvRmT3_T4_T5_mT6_P12ihipStream_tbENKUlT_T0_E_clISt17integral_constantIbLb1EESZ_EEDaSU_SV_EUlSU_E_NS1_11comp_targetILNS1_3genE10ELNS1_11target_archE1200ELNS1_3gpuE4ELNS1_3repE0EEENS1_30default_config_static_selectorELNS0_4arch9wavefront6targetE1EEEvT1_ ; -- Begin function _ZN7rocprim17ROCPRIM_400000_NS6detail17trampoline_kernelINS0_14default_configENS1_20scan_config_selectorIN3c107complexIfEEEEZZNS1_9scan_implILNS1_25lookback_scan_determinismE0ELb0ELb0ES3_PKS7_PS7_S7_ZZZN2at6native31launch_logcumsumexp_cuda_kernelERKNSE_10TensorBaseESI_lENKUlvE_clEvENKUlvE2_clEvEUlS7_S7_E_S7_EEDaPvRmT3_T4_T5_mT6_P12ihipStream_tbENKUlT_T0_E_clISt17integral_constantIbLb1EESZ_EEDaSU_SV_EUlSU_E_NS1_11comp_targetILNS1_3genE10ELNS1_11target_archE1200ELNS1_3gpuE4ELNS1_3repE0EEENS1_30default_config_static_selectorELNS0_4arch9wavefront6targetE1EEEvT1_
	.p2align	8
	.type	_ZN7rocprim17ROCPRIM_400000_NS6detail17trampoline_kernelINS0_14default_configENS1_20scan_config_selectorIN3c107complexIfEEEEZZNS1_9scan_implILNS1_25lookback_scan_determinismE0ELb0ELb0ES3_PKS7_PS7_S7_ZZZN2at6native31launch_logcumsumexp_cuda_kernelERKNSE_10TensorBaseESI_lENKUlvE_clEvENKUlvE2_clEvEUlS7_S7_E_S7_EEDaPvRmT3_T4_T5_mT6_P12ihipStream_tbENKUlT_T0_E_clISt17integral_constantIbLb1EESZ_EEDaSU_SV_EUlSU_E_NS1_11comp_targetILNS1_3genE10ELNS1_11target_archE1200ELNS1_3gpuE4ELNS1_3repE0EEENS1_30default_config_static_selectorELNS0_4arch9wavefront6targetE1EEEvT1_,@function
_ZN7rocprim17ROCPRIM_400000_NS6detail17trampoline_kernelINS0_14default_configENS1_20scan_config_selectorIN3c107complexIfEEEEZZNS1_9scan_implILNS1_25lookback_scan_determinismE0ELb0ELb0ES3_PKS7_PS7_S7_ZZZN2at6native31launch_logcumsumexp_cuda_kernelERKNSE_10TensorBaseESI_lENKUlvE_clEvENKUlvE2_clEvEUlS7_S7_E_S7_EEDaPvRmT3_T4_T5_mT6_P12ihipStream_tbENKUlT_T0_E_clISt17integral_constantIbLb1EESZ_EEDaSU_SV_EUlSU_E_NS1_11comp_targetILNS1_3genE10ELNS1_11target_archE1200ELNS1_3gpuE4ELNS1_3repE0EEENS1_30default_config_static_selectorELNS0_4arch9wavefront6targetE1EEEvT1_: ; @_ZN7rocprim17ROCPRIM_400000_NS6detail17trampoline_kernelINS0_14default_configENS1_20scan_config_selectorIN3c107complexIfEEEEZZNS1_9scan_implILNS1_25lookback_scan_determinismE0ELb0ELb0ES3_PKS7_PS7_S7_ZZZN2at6native31launch_logcumsumexp_cuda_kernelERKNSE_10TensorBaseESI_lENKUlvE_clEvENKUlvE2_clEvEUlS7_S7_E_S7_EEDaPvRmT3_T4_T5_mT6_P12ihipStream_tbENKUlT_T0_E_clISt17integral_constantIbLb1EESZ_EEDaSU_SV_EUlSU_E_NS1_11comp_targetILNS1_3genE10ELNS1_11target_archE1200ELNS1_3gpuE4ELNS1_3repE0EEENS1_30default_config_static_selectorELNS0_4arch9wavefront6targetE1EEEvT1_
; %bb.0:
	.section	.rodata,"a",@progbits
	.p2align	6, 0x0
	.amdhsa_kernel _ZN7rocprim17ROCPRIM_400000_NS6detail17trampoline_kernelINS0_14default_configENS1_20scan_config_selectorIN3c107complexIfEEEEZZNS1_9scan_implILNS1_25lookback_scan_determinismE0ELb0ELb0ES3_PKS7_PS7_S7_ZZZN2at6native31launch_logcumsumexp_cuda_kernelERKNSE_10TensorBaseESI_lENKUlvE_clEvENKUlvE2_clEvEUlS7_S7_E_S7_EEDaPvRmT3_T4_T5_mT6_P12ihipStream_tbENKUlT_T0_E_clISt17integral_constantIbLb1EESZ_EEDaSU_SV_EUlSU_E_NS1_11comp_targetILNS1_3genE10ELNS1_11target_archE1200ELNS1_3gpuE4ELNS1_3repE0EEENS1_30default_config_static_selectorELNS0_4arch9wavefront6targetE1EEEvT1_
		.amdhsa_group_segment_fixed_size 0
		.amdhsa_private_segment_fixed_size 0
		.amdhsa_kernarg_size 104
		.amdhsa_user_sgpr_count 6
		.amdhsa_user_sgpr_private_segment_buffer 1
		.amdhsa_user_sgpr_dispatch_ptr 0
		.amdhsa_user_sgpr_queue_ptr 0
		.amdhsa_user_sgpr_kernarg_segment_ptr 1
		.amdhsa_user_sgpr_dispatch_id 0
		.amdhsa_user_sgpr_flat_scratch_init 0
		.amdhsa_user_sgpr_kernarg_preload_length 0
		.amdhsa_user_sgpr_kernarg_preload_offset 0
		.amdhsa_user_sgpr_private_segment_size 0
		.amdhsa_uses_dynamic_stack 0
		.amdhsa_system_sgpr_private_segment_wavefront_offset 0
		.amdhsa_system_sgpr_workgroup_id_x 1
		.amdhsa_system_sgpr_workgroup_id_y 0
		.amdhsa_system_sgpr_workgroup_id_z 0
		.amdhsa_system_sgpr_workgroup_info 0
		.amdhsa_system_vgpr_workitem_id 0
		.amdhsa_next_free_vgpr 1
		.amdhsa_next_free_sgpr 0
		.amdhsa_accum_offset 4
		.amdhsa_reserve_vcc 0
		.amdhsa_reserve_flat_scratch 0
		.amdhsa_float_round_mode_32 0
		.amdhsa_float_round_mode_16_64 0
		.amdhsa_float_denorm_mode_32 3
		.amdhsa_float_denorm_mode_16_64 3
		.amdhsa_dx10_clamp 1
		.amdhsa_ieee_mode 1
		.amdhsa_fp16_overflow 0
		.amdhsa_tg_split 0
		.amdhsa_exception_fp_ieee_invalid_op 0
		.amdhsa_exception_fp_denorm_src 0
		.amdhsa_exception_fp_ieee_div_zero 0
		.amdhsa_exception_fp_ieee_overflow 0
		.amdhsa_exception_fp_ieee_underflow 0
		.amdhsa_exception_fp_ieee_inexact 0
		.amdhsa_exception_int_div_zero 0
	.end_amdhsa_kernel
	.section	.text._ZN7rocprim17ROCPRIM_400000_NS6detail17trampoline_kernelINS0_14default_configENS1_20scan_config_selectorIN3c107complexIfEEEEZZNS1_9scan_implILNS1_25lookback_scan_determinismE0ELb0ELb0ES3_PKS7_PS7_S7_ZZZN2at6native31launch_logcumsumexp_cuda_kernelERKNSE_10TensorBaseESI_lENKUlvE_clEvENKUlvE2_clEvEUlS7_S7_E_S7_EEDaPvRmT3_T4_T5_mT6_P12ihipStream_tbENKUlT_T0_E_clISt17integral_constantIbLb1EESZ_EEDaSU_SV_EUlSU_E_NS1_11comp_targetILNS1_3genE10ELNS1_11target_archE1200ELNS1_3gpuE4ELNS1_3repE0EEENS1_30default_config_static_selectorELNS0_4arch9wavefront6targetE1EEEvT1_,"axG",@progbits,_ZN7rocprim17ROCPRIM_400000_NS6detail17trampoline_kernelINS0_14default_configENS1_20scan_config_selectorIN3c107complexIfEEEEZZNS1_9scan_implILNS1_25lookback_scan_determinismE0ELb0ELb0ES3_PKS7_PS7_S7_ZZZN2at6native31launch_logcumsumexp_cuda_kernelERKNSE_10TensorBaseESI_lENKUlvE_clEvENKUlvE2_clEvEUlS7_S7_E_S7_EEDaPvRmT3_T4_T5_mT6_P12ihipStream_tbENKUlT_T0_E_clISt17integral_constantIbLb1EESZ_EEDaSU_SV_EUlSU_E_NS1_11comp_targetILNS1_3genE10ELNS1_11target_archE1200ELNS1_3gpuE4ELNS1_3repE0EEENS1_30default_config_static_selectorELNS0_4arch9wavefront6targetE1EEEvT1_,comdat
.Lfunc_end297:
	.size	_ZN7rocprim17ROCPRIM_400000_NS6detail17trampoline_kernelINS0_14default_configENS1_20scan_config_selectorIN3c107complexIfEEEEZZNS1_9scan_implILNS1_25lookback_scan_determinismE0ELb0ELb0ES3_PKS7_PS7_S7_ZZZN2at6native31launch_logcumsumexp_cuda_kernelERKNSE_10TensorBaseESI_lENKUlvE_clEvENKUlvE2_clEvEUlS7_S7_E_S7_EEDaPvRmT3_T4_T5_mT6_P12ihipStream_tbENKUlT_T0_E_clISt17integral_constantIbLb1EESZ_EEDaSU_SV_EUlSU_E_NS1_11comp_targetILNS1_3genE10ELNS1_11target_archE1200ELNS1_3gpuE4ELNS1_3repE0EEENS1_30default_config_static_selectorELNS0_4arch9wavefront6targetE1EEEvT1_, .Lfunc_end297-_ZN7rocprim17ROCPRIM_400000_NS6detail17trampoline_kernelINS0_14default_configENS1_20scan_config_selectorIN3c107complexIfEEEEZZNS1_9scan_implILNS1_25lookback_scan_determinismE0ELb0ELb0ES3_PKS7_PS7_S7_ZZZN2at6native31launch_logcumsumexp_cuda_kernelERKNSE_10TensorBaseESI_lENKUlvE_clEvENKUlvE2_clEvEUlS7_S7_E_S7_EEDaPvRmT3_T4_T5_mT6_P12ihipStream_tbENKUlT_T0_E_clISt17integral_constantIbLb1EESZ_EEDaSU_SV_EUlSU_E_NS1_11comp_targetILNS1_3genE10ELNS1_11target_archE1200ELNS1_3gpuE4ELNS1_3repE0EEENS1_30default_config_static_selectorELNS0_4arch9wavefront6targetE1EEEvT1_
                                        ; -- End function
	.section	.AMDGPU.csdata,"",@progbits
; Kernel info:
; codeLenInByte = 0
; NumSgprs: 4
; NumVgprs: 0
; NumAgprs: 0
; TotalNumVgprs: 0
; ScratchSize: 0
; MemoryBound: 0
; FloatMode: 240
; IeeeMode: 1
; LDSByteSize: 0 bytes/workgroup (compile time only)
; SGPRBlocks: 0
; VGPRBlocks: 0
; NumSGPRsForWavesPerEU: 4
; NumVGPRsForWavesPerEU: 1
; AccumOffset: 4
; Occupancy: 8
; WaveLimiterHint : 0
; COMPUTE_PGM_RSRC2:SCRATCH_EN: 0
; COMPUTE_PGM_RSRC2:USER_SGPR: 6
; COMPUTE_PGM_RSRC2:TRAP_HANDLER: 0
; COMPUTE_PGM_RSRC2:TGID_X_EN: 1
; COMPUTE_PGM_RSRC2:TGID_Y_EN: 0
; COMPUTE_PGM_RSRC2:TGID_Z_EN: 0
; COMPUTE_PGM_RSRC2:TIDIG_COMP_CNT: 0
; COMPUTE_PGM_RSRC3_GFX90A:ACCUM_OFFSET: 0
; COMPUTE_PGM_RSRC3_GFX90A:TG_SPLIT: 0
	.section	.text._ZN7rocprim17ROCPRIM_400000_NS6detail17trampoline_kernelINS0_14default_configENS1_20scan_config_selectorIN3c107complexIfEEEEZZNS1_9scan_implILNS1_25lookback_scan_determinismE0ELb0ELb0ES3_PKS7_PS7_S7_ZZZN2at6native31launch_logcumsumexp_cuda_kernelERKNSE_10TensorBaseESI_lENKUlvE_clEvENKUlvE2_clEvEUlS7_S7_E_S7_EEDaPvRmT3_T4_T5_mT6_P12ihipStream_tbENKUlT_T0_E_clISt17integral_constantIbLb1EESZ_EEDaSU_SV_EUlSU_E_NS1_11comp_targetILNS1_3genE9ELNS1_11target_archE1100ELNS1_3gpuE3ELNS1_3repE0EEENS1_30default_config_static_selectorELNS0_4arch9wavefront6targetE1EEEvT1_,"axG",@progbits,_ZN7rocprim17ROCPRIM_400000_NS6detail17trampoline_kernelINS0_14default_configENS1_20scan_config_selectorIN3c107complexIfEEEEZZNS1_9scan_implILNS1_25lookback_scan_determinismE0ELb0ELb0ES3_PKS7_PS7_S7_ZZZN2at6native31launch_logcumsumexp_cuda_kernelERKNSE_10TensorBaseESI_lENKUlvE_clEvENKUlvE2_clEvEUlS7_S7_E_S7_EEDaPvRmT3_T4_T5_mT6_P12ihipStream_tbENKUlT_T0_E_clISt17integral_constantIbLb1EESZ_EEDaSU_SV_EUlSU_E_NS1_11comp_targetILNS1_3genE9ELNS1_11target_archE1100ELNS1_3gpuE3ELNS1_3repE0EEENS1_30default_config_static_selectorELNS0_4arch9wavefront6targetE1EEEvT1_,comdat
	.globl	_ZN7rocprim17ROCPRIM_400000_NS6detail17trampoline_kernelINS0_14default_configENS1_20scan_config_selectorIN3c107complexIfEEEEZZNS1_9scan_implILNS1_25lookback_scan_determinismE0ELb0ELb0ES3_PKS7_PS7_S7_ZZZN2at6native31launch_logcumsumexp_cuda_kernelERKNSE_10TensorBaseESI_lENKUlvE_clEvENKUlvE2_clEvEUlS7_S7_E_S7_EEDaPvRmT3_T4_T5_mT6_P12ihipStream_tbENKUlT_T0_E_clISt17integral_constantIbLb1EESZ_EEDaSU_SV_EUlSU_E_NS1_11comp_targetILNS1_3genE9ELNS1_11target_archE1100ELNS1_3gpuE3ELNS1_3repE0EEENS1_30default_config_static_selectorELNS0_4arch9wavefront6targetE1EEEvT1_ ; -- Begin function _ZN7rocprim17ROCPRIM_400000_NS6detail17trampoline_kernelINS0_14default_configENS1_20scan_config_selectorIN3c107complexIfEEEEZZNS1_9scan_implILNS1_25lookback_scan_determinismE0ELb0ELb0ES3_PKS7_PS7_S7_ZZZN2at6native31launch_logcumsumexp_cuda_kernelERKNSE_10TensorBaseESI_lENKUlvE_clEvENKUlvE2_clEvEUlS7_S7_E_S7_EEDaPvRmT3_T4_T5_mT6_P12ihipStream_tbENKUlT_T0_E_clISt17integral_constantIbLb1EESZ_EEDaSU_SV_EUlSU_E_NS1_11comp_targetILNS1_3genE9ELNS1_11target_archE1100ELNS1_3gpuE3ELNS1_3repE0EEENS1_30default_config_static_selectorELNS0_4arch9wavefront6targetE1EEEvT1_
	.p2align	8
	.type	_ZN7rocprim17ROCPRIM_400000_NS6detail17trampoline_kernelINS0_14default_configENS1_20scan_config_selectorIN3c107complexIfEEEEZZNS1_9scan_implILNS1_25lookback_scan_determinismE0ELb0ELb0ES3_PKS7_PS7_S7_ZZZN2at6native31launch_logcumsumexp_cuda_kernelERKNSE_10TensorBaseESI_lENKUlvE_clEvENKUlvE2_clEvEUlS7_S7_E_S7_EEDaPvRmT3_T4_T5_mT6_P12ihipStream_tbENKUlT_T0_E_clISt17integral_constantIbLb1EESZ_EEDaSU_SV_EUlSU_E_NS1_11comp_targetILNS1_3genE9ELNS1_11target_archE1100ELNS1_3gpuE3ELNS1_3repE0EEENS1_30default_config_static_selectorELNS0_4arch9wavefront6targetE1EEEvT1_,@function
_ZN7rocprim17ROCPRIM_400000_NS6detail17trampoline_kernelINS0_14default_configENS1_20scan_config_selectorIN3c107complexIfEEEEZZNS1_9scan_implILNS1_25lookback_scan_determinismE0ELb0ELb0ES3_PKS7_PS7_S7_ZZZN2at6native31launch_logcumsumexp_cuda_kernelERKNSE_10TensorBaseESI_lENKUlvE_clEvENKUlvE2_clEvEUlS7_S7_E_S7_EEDaPvRmT3_T4_T5_mT6_P12ihipStream_tbENKUlT_T0_E_clISt17integral_constantIbLb1EESZ_EEDaSU_SV_EUlSU_E_NS1_11comp_targetILNS1_3genE9ELNS1_11target_archE1100ELNS1_3gpuE3ELNS1_3repE0EEENS1_30default_config_static_selectorELNS0_4arch9wavefront6targetE1EEEvT1_: ; @_ZN7rocprim17ROCPRIM_400000_NS6detail17trampoline_kernelINS0_14default_configENS1_20scan_config_selectorIN3c107complexIfEEEEZZNS1_9scan_implILNS1_25lookback_scan_determinismE0ELb0ELb0ES3_PKS7_PS7_S7_ZZZN2at6native31launch_logcumsumexp_cuda_kernelERKNSE_10TensorBaseESI_lENKUlvE_clEvENKUlvE2_clEvEUlS7_S7_E_S7_EEDaPvRmT3_T4_T5_mT6_P12ihipStream_tbENKUlT_T0_E_clISt17integral_constantIbLb1EESZ_EEDaSU_SV_EUlSU_E_NS1_11comp_targetILNS1_3genE9ELNS1_11target_archE1100ELNS1_3gpuE3ELNS1_3repE0EEENS1_30default_config_static_selectorELNS0_4arch9wavefront6targetE1EEEvT1_
; %bb.0:
	.section	.rodata,"a",@progbits
	.p2align	6, 0x0
	.amdhsa_kernel _ZN7rocprim17ROCPRIM_400000_NS6detail17trampoline_kernelINS0_14default_configENS1_20scan_config_selectorIN3c107complexIfEEEEZZNS1_9scan_implILNS1_25lookback_scan_determinismE0ELb0ELb0ES3_PKS7_PS7_S7_ZZZN2at6native31launch_logcumsumexp_cuda_kernelERKNSE_10TensorBaseESI_lENKUlvE_clEvENKUlvE2_clEvEUlS7_S7_E_S7_EEDaPvRmT3_T4_T5_mT6_P12ihipStream_tbENKUlT_T0_E_clISt17integral_constantIbLb1EESZ_EEDaSU_SV_EUlSU_E_NS1_11comp_targetILNS1_3genE9ELNS1_11target_archE1100ELNS1_3gpuE3ELNS1_3repE0EEENS1_30default_config_static_selectorELNS0_4arch9wavefront6targetE1EEEvT1_
		.amdhsa_group_segment_fixed_size 0
		.amdhsa_private_segment_fixed_size 0
		.amdhsa_kernarg_size 104
		.amdhsa_user_sgpr_count 6
		.amdhsa_user_sgpr_private_segment_buffer 1
		.amdhsa_user_sgpr_dispatch_ptr 0
		.amdhsa_user_sgpr_queue_ptr 0
		.amdhsa_user_sgpr_kernarg_segment_ptr 1
		.amdhsa_user_sgpr_dispatch_id 0
		.amdhsa_user_sgpr_flat_scratch_init 0
		.amdhsa_user_sgpr_kernarg_preload_length 0
		.amdhsa_user_sgpr_kernarg_preload_offset 0
		.amdhsa_user_sgpr_private_segment_size 0
		.amdhsa_uses_dynamic_stack 0
		.amdhsa_system_sgpr_private_segment_wavefront_offset 0
		.amdhsa_system_sgpr_workgroup_id_x 1
		.amdhsa_system_sgpr_workgroup_id_y 0
		.amdhsa_system_sgpr_workgroup_id_z 0
		.amdhsa_system_sgpr_workgroup_info 0
		.amdhsa_system_vgpr_workitem_id 0
		.amdhsa_next_free_vgpr 1
		.amdhsa_next_free_sgpr 0
		.amdhsa_accum_offset 4
		.amdhsa_reserve_vcc 0
		.amdhsa_reserve_flat_scratch 0
		.amdhsa_float_round_mode_32 0
		.amdhsa_float_round_mode_16_64 0
		.amdhsa_float_denorm_mode_32 3
		.amdhsa_float_denorm_mode_16_64 3
		.amdhsa_dx10_clamp 1
		.amdhsa_ieee_mode 1
		.amdhsa_fp16_overflow 0
		.amdhsa_tg_split 0
		.amdhsa_exception_fp_ieee_invalid_op 0
		.amdhsa_exception_fp_denorm_src 0
		.amdhsa_exception_fp_ieee_div_zero 0
		.amdhsa_exception_fp_ieee_overflow 0
		.amdhsa_exception_fp_ieee_underflow 0
		.amdhsa_exception_fp_ieee_inexact 0
		.amdhsa_exception_int_div_zero 0
	.end_amdhsa_kernel
	.section	.text._ZN7rocprim17ROCPRIM_400000_NS6detail17trampoline_kernelINS0_14default_configENS1_20scan_config_selectorIN3c107complexIfEEEEZZNS1_9scan_implILNS1_25lookback_scan_determinismE0ELb0ELb0ES3_PKS7_PS7_S7_ZZZN2at6native31launch_logcumsumexp_cuda_kernelERKNSE_10TensorBaseESI_lENKUlvE_clEvENKUlvE2_clEvEUlS7_S7_E_S7_EEDaPvRmT3_T4_T5_mT6_P12ihipStream_tbENKUlT_T0_E_clISt17integral_constantIbLb1EESZ_EEDaSU_SV_EUlSU_E_NS1_11comp_targetILNS1_3genE9ELNS1_11target_archE1100ELNS1_3gpuE3ELNS1_3repE0EEENS1_30default_config_static_selectorELNS0_4arch9wavefront6targetE1EEEvT1_,"axG",@progbits,_ZN7rocprim17ROCPRIM_400000_NS6detail17trampoline_kernelINS0_14default_configENS1_20scan_config_selectorIN3c107complexIfEEEEZZNS1_9scan_implILNS1_25lookback_scan_determinismE0ELb0ELb0ES3_PKS7_PS7_S7_ZZZN2at6native31launch_logcumsumexp_cuda_kernelERKNSE_10TensorBaseESI_lENKUlvE_clEvENKUlvE2_clEvEUlS7_S7_E_S7_EEDaPvRmT3_T4_T5_mT6_P12ihipStream_tbENKUlT_T0_E_clISt17integral_constantIbLb1EESZ_EEDaSU_SV_EUlSU_E_NS1_11comp_targetILNS1_3genE9ELNS1_11target_archE1100ELNS1_3gpuE3ELNS1_3repE0EEENS1_30default_config_static_selectorELNS0_4arch9wavefront6targetE1EEEvT1_,comdat
.Lfunc_end298:
	.size	_ZN7rocprim17ROCPRIM_400000_NS6detail17trampoline_kernelINS0_14default_configENS1_20scan_config_selectorIN3c107complexIfEEEEZZNS1_9scan_implILNS1_25lookback_scan_determinismE0ELb0ELb0ES3_PKS7_PS7_S7_ZZZN2at6native31launch_logcumsumexp_cuda_kernelERKNSE_10TensorBaseESI_lENKUlvE_clEvENKUlvE2_clEvEUlS7_S7_E_S7_EEDaPvRmT3_T4_T5_mT6_P12ihipStream_tbENKUlT_T0_E_clISt17integral_constantIbLb1EESZ_EEDaSU_SV_EUlSU_E_NS1_11comp_targetILNS1_3genE9ELNS1_11target_archE1100ELNS1_3gpuE3ELNS1_3repE0EEENS1_30default_config_static_selectorELNS0_4arch9wavefront6targetE1EEEvT1_, .Lfunc_end298-_ZN7rocprim17ROCPRIM_400000_NS6detail17trampoline_kernelINS0_14default_configENS1_20scan_config_selectorIN3c107complexIfEEEEZZNS1_9scan_implILNS1_25lookback_scan_determinismE0ELb0ELb0ES3_PKS7_PS7_S7_ZZZN2at6native31launch_logcumsumexp_cuda_kernelERKNSE_10TensorBaseESI_lENKUlvE_clEvENKUlvE2_clEvEUlS7_S7_E_S7_EEDaPvRmT3_T4_T5_mT6_P12ihipStream_tbENKUlT_T0_E_clISt17integral_constantIbLb1EESZ_EEDaSU_SV_EUlSU_E_NS1_11comp_targetILNS1_3genE9ELNS1_11target_archE1100ELNS1_3gpuE3ELNS1_3repE0EEENS1_30default_config_static_selectorELNS0_4arch9wavefront6targetE1EEEvT1_
                                        ; -- End function
	.section	.AMDGPU.csdata,"",@progbits
; Kernel info:
; codeLenInByte = 0
; NumSgprs: 4
; NumVgprs: 0
; NumAgprs: 0
; TotalNumVgprs: 0
; ScratchSize: 0
; MemoryBound: 0
; FloatMode: 240
; IeeeMode: 1
; LDSByteSize: 0 bytes/workgroup (compile time only)
; SGPRBlocks: 0
; VGPRBlocks: 0
; NumSGPRsForWavesPerEU: 4
; NumVGPRsForWavesPerEU: 1
; AccumOffset: 4
; Occupancy: 8
; WaveLimiterHint : 0
; COMPUTE_PGM_RSRC2:SCRATCH_EN: 0
; COMPUTE_PGM_RSRC2:USER_SGPR: 6
; COMPUTE_PGM_RSRC2:TRAP_HANDLER: 0
; COMPUTE_PGM_RSRC2:TGID_X_EN: 1
; COMPUTE_PGM_RSRC2:TGID_Y_EN: 0
; COMPUTE_PGM_RSRC2:TGID_Z_EN: 0
; COMPUTE_PGM_RSRC2:TIDIG_COMP_CNT: 0
; COMPUTE_PGM_RSRC3_GFX90A:ACCUM_OFFSET: 0
; COMPUTE_PGM_RSRC3_GFX90A:TG_SPLIT: 0
	.section	.text._ZN7rocprim17ROCPRIM_400000_NS6detail17trampoline_kernelINS0_14default_configENS1_20scan_config_selectorIN3c107complexIfEEEEZZNS1_9scan_implILNS1_25lookback_scan_determinismE0ELb0ELb0ES3_PKS7_PS7_S7_ZZZN2at6native31launch_logcumsumexp_cuda_kernelERKNSE_10TensorBaseESI_lENKUlvE_clEvENKUlvE2_clEvEUlS7_S7_E_S7_EEDaPvRmT3_T4_T5_mT6_P12ihipStream_tbENKUlT_T0_E_clISt17integral_constantIbLb1EESZ_EEDaSU_SV_EUlSU_E_NS1_11comp_targetILNS1_3genE8ELNS1_11target_archE1030ELNS1_3gpuE2ELNS1_3repE0EEENS1_30default_config_static_selectorELNS0_4arch9wavefront6targetE1EEEvT1_,"axG",@progbits,_ZN7rocprim17ROCPRIM_400000_NS6detail17trampoline_kernelINS0_14default_configENS1_20scan_config_selectorIN3c107complexIfEEEEZZNS1_9scan_implILNS1_25lookback_scan_determinismE0ELb0ELb0ES3_PKS7_PS7_S7_ZZZN2at6native31launch_logcumsumexp_cuda_kernelERKNSE_10TensorBaseESI_lENKUlvE_clEvENKUlvE2_clEvEUlS7_S7_E_S7_EEDaPvRmT3_T4_T5_mT6_P12ihipStream_tbENKUlT_T0_E_clISt17integral_constantIbLb1EESZ_EEDaSU_SV_EUlSU_E_NS1_11comp_targetILNS1_3genE8ELNS1_11target_archE1030ELNS1_3gpuE2ELNS1_3repE0EEENS1_30default_config_static_selectorELNS0_4arch9wavefront6targetE1EEEvT1_,comdat
	.globl	_ZN7rocprim17ROCPRIM_400000_NS6detail17trampoline_kernelINS0_14default_configENS1_20scan_config_selectorIN3c107complexIfEEEEZZNS1_9scan_implILNS1_25lookback_scan_determinismE0ELb0ELb0ES3_PKS7_PS7_S7_ZZZN2at6native31launch_logcumsumexp_cuda_kernelERKNSE_10TensorBaseESI_lENKUlvE_clEvENKUlvE2_clEvEUlS7_S7_E_S7_EEDaPvRmT3_T4_T5_mT6_P12ihipStream_tbENKUlT_T0_E_clISt17integral_constantIbLb1EESZ_EEDaSU_SV_EUlSU_E_NS1_11comp_targetILNS1_3genE8ELNS1_11target_archE1030ELNS1_3gpuE2ELNS1_3repE0EEENS1_30default_config_static_selectorELNS0_4arch9wavefront6targetE1EEEvT1_ ; -- Begin function _ZN7rocprim17ROCPRIM_400000_NS6detail17trampoline_kernelINS0_14default_configENS1_20scan_config_selectorIN3c107complexIfEEEEZZNS1_9scan_implILNS1_25lookback_scan_determinismE0ELb0ELb0ES3_PKS7_PS7_S7_ZZZN2at6native31launch_logcumsumexp_cuda_kernelERKNSE_10TensorBaseESI_lENKUlvE_clEvENKUlvE2_clEvEUlS7_S7_E_S7_EEDaPvRmT3_T4_T5_mT6_P12ihipStream_tbENKUlT_T0_E_clISt17integral_constantIbLb1EESZ_EEDaSU_SV_EUlSU_E_NS1_11comp_targetILNS1_3genE8ELNS1_11target_archE1030ELNS1_3gpuE2ELNS1_3repE0EEENS1_30default_config_static_selectorELNS0_4arch9wavefront6targetE1EEEvT1_
	.p2align	8
	.type	_ZN7rocprim17ROCPRIM_400000_NS6detail17trampoline_kernelINS0_14default_configENS1_20scan_config_selectorIN3c107complexIfEEEEZZNS1_9scan_implILNS1_25lookback_scan_determinismE0ELb0ELb0ES3_PKS7_PS7_S7_ZZZN2at6native31launch_logcumsumexp_cuda_kernelERKNSE_10TensorBaseESI_lENKUlvE_clEvENKUlvE2_clEvEUlS7_S7_E_S7_EEDaPvRmT3_T4_T5_mT6_P12ihipStream_tbENKUlT_T0_E_clISt17integral_constantIbLb1EESZ_EEDaSU_SV_EUlSU_E_NS1_11comp_targetILNS1_3genE8ELNS1_11target_archE1030ELNS1_3gpuE2ELNS1_3repE0EEENS1_30default_config_static_selectorELNS0_4arch9wavefront6targetE1EEEvT1_,@function
_ZN7rocprim17ROCPRIM_400000_NS6detail17trampoline_kernelINS0_14default_configENS1_20scan_config_selectorIN3c107complexIfEEEEZZNS1_9scan_implILNS1_25lookback_scan_determinismE0ELb0ELb0ES3_PKS7_PS7_S7_ZZZN2at6native31launch_logcumsumexp_cuda_kernelERKNSE_10TensorBaseESI_lENKUlvE_clEvENKUlvE2_clEvEUlS7_S7_E_S7_EEDaPvRmT3_T4_T5_mT6_P12ihipStream_tbENKUlT_T0_E_clISt17integral_constantIbLb1EESZ_EEDaSU_SV_EUlSU_E_NS1_11comp_targetILNS1_3genE8ELNS1_11target_archE1030ELNS1_3gpuE2ELNS1_3repE0EEENS1_30default_config_static_selectorELNS0_4arch9wavefront6targetE1EEEvT1_: ; @_ZN7rocprim17ROCPRIM_400000_NS6detail17trampoline_kernelINS0_14default_configENS1_20scan_config_selectorIN3c107complexIfEEEEZZNS1_9scan_implILNS1_25lookback_scan_determinismE0ELb0ELb0ES3_PKS7_PS7_S7_ZZZN2at6native31launch_logcumsumexp_cuda_kernelERKNSE_10TensorBaseESI_lENKUlvE_clEvENKUlvE2_clEvEUlS7_S7_E_S7_EEDaPvRmT3_T4_T5_mT6_P12ihipStream_tbENKUlT_T0_E_clISt17integral_constantIbLb1EESZ_EEDaSU_SV_EUlSU_E_NS1_11comp_targetILNS1_3genE8ELNS1_11target_archE1030ELNS1_3gpuE2ELNS1_3repE0EEENS1_30default_config_static_selectorELNS0_4arch9wavefront6targetE1EEEvT1_
; %bb.0:
	.section	.rodata,"a",@progbits
	.p2align	6, 0x0
	.amdhsa_kernel _ZN7rocprim17ROCPRIM_400000_NS6detail17trampoline_kernelINS0_14default_configENS1_20scan_config_selectorIN3c107complexIfEEEEZZNS1_9scan_implILNS1_25lookback_scan_determinismE0ELb0ELb0ES3_PKS7_PS7_S7_ZZZN2at6native31launch_logcumsumexp_cuda_kernelERKNSE_10TensorBaseESI_lENKUlvE_clEvENKUlvE2_clEvEUlS7_S7_E_S7_EEDaPvRmT3_T4_T5_mT6_P12ihipStream_tbENKUlT_T0_E_clISt17integral_constantIbLb1EESZ_EEDaSU_SV_EUlSU_E_NS1_11comp_targetILNS1_3genE8ELNS1_11target_archE1030ELNS1_3gpuE2ELNS1_3repE0EEENS1_30default_config_static_selectorELNS0_4arch9wavefront6targetE1EEEvT1_
		.amdhsa_group_segment_fixed_size 0
		.amdhsa_private_segment_fixed_size 0
		.amdhsa_kernarg_size 104
		.amdhsa_user_sgpr_count 6
		.amdhsa_user_sgpr_private_segment_buffer 1
		.amdhsa_user_sgpr_dispatch_ptr 0
		.amdhsa_user_sgpr_queue_ptr 0
		.amdhsa_user_sgpr_kernarg_segment_ptr 1
		.amdhsa_user_sgpr_dispatch_id 0
		.amdhsa_user_sgpr_flat_scratch_init 0
		.amdhsa_user_sgpr_kernarg_preload_length 0
		.amdhsa_user_sgpr_kernarg_preload_offset 0
		.amdhsa_user_sgpr_private_segment_size 0
		.amdhsa_uses_dynamic_stack 0
		.amdhsa_system_sgpr_private_segment_wavefront_offset 0
		.amdhsa_system_sgpr_workgroup_id_x 1
		.amdhsa_system_sgpr_workgroup_id_y 0
		.amdhsa_system_sgpr_workgroup_id_z 0
		.amdhsa_system_sgpr_workgroup_info 0
		.amdhsa_system_vgpr_workitem_id 0
		.amdhsa_next_free_vgpr 1
		.amdhsa_next_free_sgpr 0
		.amdhsa_accum_offset 4
		.amdhsa_reserve_vcc 0
		.amdhsa_reserve_flat_scratch 0
		.amdhsa_float_round_mode_32 0
		.amdhsa_float_round_mode_16_64 0
		.amdhsa_float_denorm_mode_32 3
		.amdhsa_float_denorm_mode_16_64 3
		.amdhsa_dx10_clamp 1
		.amdhsa_ieee_mode 1
		.amdhsa_fp16_overflow 0
		.amdhsa_tg_split 0
		.amdhsa_exception_fp_ieee_invalid_op 0
		.amdhsa_exception_fp_denorm_src 0
		.amdhsa_exception_fp_ieee_div_zero 0
		.amdhsa_exception_fp_ieee_overflow 0
		.amdhsa_exception_fp_ieee_underflow 0
		.amdhsa_exception_fp_ieee_inexact 0
		.amdhsa_exception_int_div_zero 0
	.end_amdhsa_kernel
	.section	.text._ZN7rocprim17ROCPRIM_400000_NS6detail17trampoline_kernelINS0_14default_configENS1_20scan_config_selectorIN3c107complexIfEEEEZZNS1_9scan_implILNS1_25lookback_scan_determinismE0ELb0ELb0ES3_PKS7_PS7_S7_ZZZN2at6native31launch_logcumsumexp_cuda_kernelERKNSE_10TensorBaseESI_lENKUlvE_clEvENKUlvE2_clEvEUlS7_S7_E_S7_EEDaPvRmT3_T4_T5_mT6_P12ihipStream_tbENKUlT_T0_E_clISt17integral_constantIbLb1EESZ_EEDaSU_SV_EUlSU_E_NS1_11comp_targetILNS1_3genE8ELNS1_11target_archE1030ELNS1_3gpuE2ELNS1_3repE0EEENS1_30default_config_static_selectorELNS0_4arch9wavefront6targetE1EEEvT1_,"axG",@progbits,_ZN7rocprim17ROCPRIM_400000_NS6detail17trampoline_kernelINS0_14default_configENS1_20scan_config_selectorIN3c107complexIfEEEEZZNS1_9scan_implILNS1_25lookback_scan_determinismE0ELb0ELb0ES3_PKS7_PS7_S7_ZZZN2at6native31launch_logcumsumexp_cuda_kernelERKNSE_10TensorBaseESI_lENKUlvE_clEvENKUlvE2_clEvEUlS7_S7_E_S7_EEDaPvRmT3_T4_T5_mT6_P12ihipStream_tbENKUlT_T0_E_clISt17integral_constantIbLb1EESZ_EEDaSU_SV_EUlSU_E_NS1_11comp_targetILNS1_3genE8ELNS1_11target_archE1030ELNS1_3gpuE2ELNS1_3repE0EEENS1_30default_config_static_selectorELNS0_4arch9wavefront6targetE1EEEvT1_,comdat
.Lfunc_end299:
	.size	_ZN7rocprim17ROCPRIM_400000_NS6detail17trampoline_kernelINS0_14default_configENS1_20scan_config_selectorIN3c107complexIfEEEEZZNS1_9scan_implILNS1_25lookback_scan_determinismE0ELb0ELb0ES3_PKS7_PS7_S7_ZZZN2at6native31launch_logcumsumexp_cuda_kernelERKNSE_10TensorBaseESI_lENKUlvE_clEvENKUlvE2_clEvEUlS7_S7_E_S7_EEDaPvRmT3_T4_T5_mT6_P12ihipStream_tbENKUlT_T0_E_clISt17integral_constantIbLb1EESZ_EEDaSU_SV_EUlSU_E_NS1_11comp_targetILNS1_3genE8ELNS1_11target_archE1030ELNS1_3gpuE2ELNS1_3repE0EEENS1_30default_config_static_selectorELNS0_4arch9wavefront6targetE1EEEvT1_, .Lfunc_end299-_ZN7rocprim17ROCPRIM_400000_NS6detail17trampoline_kernelINS0_14default_configENS1_20scan_config_selectorIN3c107complexIfEEEEZZNS1_9scan_implILNS1_25lookback_scan_determinismE0ELb0ELb0ES3_PKS7_PS7_S7_ZZZN2at6native31launch_logcumsumexp_cuda_kernelERKNSE_10TensorBaseESI_lENKUlvE_clEvENKUlvE2_clEvEUlS7_S7_E_S7_EEDaPvRmT3_T4_T5_mT6_P12ihipStream_tbENKUlT_T0_E_clISt17integral_constantIbLb1EESZ_EEDaSU_SV_EUlSU_E_NS1_11comp_targetILNS1_3genE8ELNS1_11target_archE1030ELNS1_3gpuE2ELNS1_3repE0EEENS1_30default_config_static_selectorELNS0_4arch9wavefront6targetE1EEEvT1_
                                        ; -- End function
	.section	.AMDGPU.csdata,"",@progbits
; Kernel info:
; codeLenInByte = 0
; NumSgprs: 4
; NumVgprs: 0
; NumAgprs: 0
; TotalNumVgprs: 0
; ScratchSize: 0
; MemoryBound: 0
; FloatMode: 240
; IeeeMode: 1
; LDSByteSize: 0 bytes/workgroup (compile time only)
; SGPRBlocks: 0
; VGPRBlocks: 0
; NumSGPRsForWavesPerEU: 4
; NumVGPRsForWavesPerEU: 1
; AccumOffset: 4
; Occupancy: 8
; WaveLimiterHint : 0
; COMPUTE_PGM_RSRC2:SCRATCH_EN: 0
; COMPUTE_PGM_RSRC2:USER_SGPR: 6
; COMPUTE_PGM_RSRC2:TRAP_HANDLER: 0
; COMPUTE_PGM_RSRC2:TGID_X_EN: 1
; COMPUTE_PGM_RSRC2:TGID_Y_EN: 0
; COMPUTE_PGM_RSRC2:TGID_Z_EN: 0
; COMPUTE_PGM_RSRC2:TIDIG_COMP_CNT: 0
; COMPUTE_PGM_RSRC3_GFX90A:ACCUM_OFFSET: 0
; COMPUTE_PGM_RSRC3_GFX90A:TG_SPLIT: 0
	.section	.text._ZN7rocprim17ROCPRIM_400000_NS6detail17trampoline_kernelINS0_14default_configENS1_20scan_config_selectorIN3c107complexIfEEEEZZNS1_9scan_implILNS1_25lookback_scan_determinismE0ELb0ELb0ES3_PKS7_PS7_S7_ZZZN2at6native31launch_logcumsumexp_cuda_kernelERKNSE_10TensorBaseESI_lENKUlvE_clEvENKUlvE2_clEvEUlS7_S7_E_S7_EEDaPvRmT3_T4_T5_mT6_P12ihipStream_tbENKUlT_T0_E_clISt17integral_constantIbLb1EESZ_EEDaSU_SV_EUlSU_E0_NS1_11comp_targetILNS1_3genE0ELNS1_11target_archE4294967295ELNS1_3gpuE0ELNS1_3repE0EEENS1_30default_config_static_selectorELNS0_4arch9wavefront6targetE1EEEvT1_,"axG",@progbits,_ZN7rocprim17ROCPRIM_400000_NS6detail17trampoline_kernelINS0_14default_configENS1_20scan_config_selectorIN3c107complexIfEEEEZZNS1_9scan_implILNS1_25lookback_scan_determinismE0ELb0ELb0ES3_PKS7_PS7_S7_ZZZN2at6native31launch_logcumsumexp_cuda_kernelERKNSE_10TensorBaseESI_lENKUlvE_clEvENKUlvE2_clEvEUlS7_S7_E_S7_EEDaPvRmT3_T4_T5_mT6_P12ihipStream_tbENKUlT_T0_E_clISt17integral_constantIbLb1EESZ_EEDaSU_SV_EUlSU_E0_NS1_11comp_targetILNS1_3genE0ELNS1_11target_archE4294967295ELNS1_3gpuE0ELNS1_3repE0EEENS1_30default_config_static_selectorELNS0_4arch9wavefront6targetE1EEEvT1_,comdat
	.globl	_ZN7rocprim17ROCPRIM_400000_NS6detail17trampoline_kernelINS0_14default_configENS1_20scan_config_selectorIN3c107complexIfEEEEZZNS1_9scan_implILNS1_25lookback_scan_determinismE0ELb0ELb0ES3_PKS7_PS7_S7_ZZZN2at6native31launch_logcumsumexp_cuda_kernelERKNSE_10TensorBaseESI_lENKUlvE_clEvENKUlvE2_clEvEUlS7_S7_E_S7_EEDaPvRmT3_T4_T5_mT6_P12ihipStream_tbENKUlT_T0_E_clISt17integral_constantIbLb1EESZ_EEDaSU_SV_EUlSU_E0_NS1_11comp_targetILNS1_3genE0ELNS1_11target_archE4294967295ELNS1_3gpuE0ELNS1_3repE0EEENS1_30default_config_static_selectorELNS0_4arch9wavefront6targetE1EEEvT1_ ; -- Begin function _ZN7rocprim17ROCPRIM_400000_NS6detail17trampoline_kernelINS0_14default_configENS1_20scan_config_selectorIN3c107complexIfEEEEZZNS1_9scan_implILNS1_25lookback_scan_determinismE0ELb0ELb0ES3_PKS7_PS7_S7_ZZZN2at6native31launch_logcumsumexp_cuda_kernelERKNSE_10TensorBaseESI_lENKUlvE_clEvENKUlvE2_clEvEUlS7_S7_E_S7_EEDaPvRmT3_T4_T5_mT6_P12ihipStream_tbENKUlT_T0_E_clISt17integral_constantIbLb1EESZ_EEDaSU_SV_EUlSU_E0_NS1_11comp_targetILNS1_3genE0ELNS1_11target_archE4294967295ELNS1_3gpuE0ELNS1_3repE0EEENS1_30default_config_static_selectorELNS0_4arch9wavefront6targetE1EEEvT1_
	.p2align	8
	.type	_ZN7rocprim17ROCPRIM_400000_NS6detail17trampoline_kernelINS0_14default_configENS1_20scan_config_selectorIN3c107complexIfEEEEZZNS1_9scan_implILNS1_25lookback_scan_determinismE0ELb0ELb0ES3_PKS7_PS7_S7_ZZZN2at6native31launch_logcumsumexp_cuda_kernelERKNSE_10TensorBaseESI_lENKUlvE_clEvENKUlvE2_clEvEUlS7_S7_E_S7_EEDaPvRmT3_T4_T5_mT6_P12ihipStream_tbENKUlT_T0_E_clISt17integral_constantIbLb1EESZ_EEDaSU_SV_EUlSU_E0_NS1_11comp_targetILNS1_3genE0ELNS1_11target_archE4294967295ELNS1_3gpuE0ELNS1_3repE0EEENS1_30default_config_static_selectorELNS0_4arch9wavefront6targetE1EEEvT1_,@function
_ZN7rocprim17ROCPRIM_400000_NS6detail17trampoline_kernelINS0_14default_configENS1_20scan_config_selectorIN3c107complexIfEEEEZZNS1_9scan_implILNS1_25lookback_scan_determinismE0ELb0ELb0ES3_PKS7_PS7_S7_ZZZN2at6native31launch_logcumsumexp_cuda_kernelERKNSE_10TensorBaseESI_lENKUlvE_clEvENKUlvE2_clEvEUlS7_S7_E_S7_EEDaPvRmT3_T4_T5_mT6_P12ihipStream_tbENKUlT_T0_E_clISt17integral_constantIbLb1EESZ_EEDaSU_SV_EUlSU_E0_NS1_11comp_targetILNS1_3genE0ELNS1_11target_archE4294967295ELNS1_3gpuE0ELNS1_3repE0EEENS1_30default_config_static_selectorELNS0_4arch9wavefront6targetE1EEEvT1_: ; @_ZN7rocprim17ROCPRIM_400000_NS6detail17trampoline_kernelINS0_14default_configENS1_20scan_config_selectorIN3c107complexIfEEEEZZNS1_9scan_implILNS1_25lookback_scan_determinismE0ELb0ELb0ES3_PKS7_PS7_S7_ZZZN2at6native31launch_logcumsumexp_cuda_kernelERKNSE_10TensorBaseESI_lENKUlvE_clEvENKUlvE2_clEvEUlS7_S7_E_S7_EEDaPvRmT3_T4_T5_mT6_P12ihipStream_tbENKUlT_T0_E_clISt17integral_constantIbLb1EESZ_EEDaSU_SV_EUlSU_E0_NS1_11comp_targetILNS1_3genE0ELNS1_11target_archE4294967295ELNS1_3gpuE0ELNS1_3repE0EEENS1_30default_config_static_selectorELNS0_4arch9wavefront6targetE1EEEvT1_
; %bb.0:
	.section	.rodata,"a",@progbits
	.p2align	6, 0x0
	.amdhsa_kernel _ZN7rocprim17ROCPRIM_400000_NS6detail17trampoline_kernelINS0_14default_configENS1_20scan_config_selectorIN3c107complexIfEEEEZZNS1_9scan_implILNS1_25lookback_scan_determinismE0ELb0ELb0ES3_PKS7_PS7_S7_ZZZN2at6native31launch_logcumsumexp_cuda_kernelERKNSE_10TensorBaseESI_lENKUlvE_clEvENKUlvE2_clEvEUlS7_S7_E_S7_EEDaPvRmT3_T4_T5_mT6_P12ihipStream_tbENKUlT_T0_E_clISt17integral_constantIbLb1EESZ_EEDaSU_SV_EUlSU_E0_NS1_11comp_targetILNS1_3genE0ELNS1_11target_archE4294967295ELNS1_3gpuE0ELNS1_3repE0EEENS1_30default_config_static_selectorELNS0_4arch9wavefront6targetE1EEEvT1_
		.amdhsa_group_segment_fixed_size 0
		.amdhsa_private_segment_fixed_size 0
		.amdhsa_kernarg_size 40
		.amdhsa_user_sgpr_count 6
		.amdhsa_user_sgpr_private_segment_buffer 1
		.amdhsa_user_sgpr_dispatch_ptr 0
		.amdhsa_user_sgpr_queue_ptr 0
		.amdhsa_user_sgpr_kernarg_segment_ptr 1
		.amdhsa_user_sgpr_dispatch_id 0
		.amdhsa_user_sgpr_flat_scratch_init 0
		.amdhsa_user_sgpr_kernarg_preload_length 0
		.amdhsa_user_sgpr_kernarg_preload_offset 0
		.amdhsa_user_sgpr_private_segment_size 0
		.amdhsa_uses_dynamic_stack 0
		.amdhsa_system_sgpr_private_segment_wavefront_offset 0
		.amdhsa_system_sgpr_workgroup_id_x 1
		.amdhsa_system_sgpr_workgroup_id_y 0
		.amdhsa_system_sgpr_workgroup_id_z 0
		.amdhsa_system_sgpr_workgroup_info 0
		.amdhsa_system_vgpr_workitem_id 0
		.amdhsa_next_free_vgpr 1
		.amdhsa_next_free_sgpr 0
		.amdhsa_accum_offset 4
		.amdhsa_reserve_vcc 0
		.amdhsa_reserve_flat_scratch 0
		.amdhsa_float_round_mode_32 0
		.amdhsa_float_round_mode_16_64 0
		.amdhsa_float_denorm_mode_32 3
		.amdhsa_float_denorm_mode_16_64 3
		.amdhsa_dx10_clamp 1
		.amdhsa_ieee_mode 1
		.amdhsa_fp16_overflow 0
		.amdhsa_tg_split 0
		.amdhsa_exception_fp_ieee_invalid_op 0
		.amdhsa_exception_fp_denorm_src 0
		.amdhsa_exception_fp_ieee_div_zero 0
		.amdhsa_exception_fp_ieee_overflow 0
		.amdhsa_exception_fp_ieee_underflow 0
		.amdhsa_exception_fp_ieee_inexact 0
		.amdhsa_exception_int_div_zero 0
	.end_amdhsa_kernel
	.section	.text._ZN7rocprim17ROCPRIM_400000_NS6detail17trampoline_kernelINS0_14default_configENS1_20scan_config_selectorIN3c107complexIfEEEEZZNS1_9scan_implILNS1_25lookback_scan_determinismE0ELb0ELb0ES3_PKS7_PS7_S7_ZZZN2at6native31launch_logcumsumexp_cuda_kernelERKNSE_10TensorBaseESI_lENKUlvE_clEvENKUlvE2_clEvEUlS7_S7_E_S7_EEDaPvRmT3_T4_T5_mT6_P12ihipStream_tbENKUlT_T0_E_clISt17integral_constantIbLb1EESZ_EEDaSU_SV_EUlSU_E0_NS1_11comp_targetILNS1_3genE0ELNS1_11target_archE4294967295ELNS1_3gpuE0ELNS1_3repE0EEENS1_30default_config_static_selectorELNS0_4arch9wavefront6targetE1EEEvT1_,"axG",@progbits,_ZN7rocprim17ROCPRIM_400000_NS6detail17trampoline_kernelINS0_14default_configENS1_20scan_config_selectorIN3c107complexIfEEEEZZNS1_9scan_implILNS1_25lookback_scan_determinismE0ELb0ELb0ES3_PKS7_PS7_S7_ZZZN2at6native31launch_logcumsumexp_cuda_kernelERKNSE_10TensorBaseESI_lENKUlvE_clEvENKUlvE2_clEvEUlS7_S7_E_S7_EEDaPvRmT3_T4_T5_mT6_P12ihipStream_tbENKUlT_T0_E_clISt17integral_constantIbLb1EESZ_EEDaSU_SV_EUlSU_E0_NS1_11comp_targetILNS1_3genE0ELNS1_11target_archE4294967295ELNS1_3gpuE0ELNS1_3repE0EEENS1_30default_config_static_selectorELNS0_4arch9wavefront6targetE1EEEvT1_,comdat
.Lfunc_end300:
	.size	_ZN7rocprim17ROCPRIM_400000_NS6detail17trampoline_kernelINS0_14default_configENS1_20scan_config_selectorIN3c107complexIfEEEEZZNS1_9scan_implILNS1_25lookback_scan_determinismE0ELb0ELb0ES3_PKS7_PS7_S7_ZZZN2at6native31launch_logcumsumexp_cuda_kernelERKNSE_10TensorBaseESI_lENKUlvE_clEvENKUlvE2_clEvEUlS7_S7_E_S7_EEDaPvRmT3_T4_T5_mT6_P12ihipStream_tbENKUlT_T0_E_clISt17integral_constantIbLb1EESZ_EEDaSU_SV_EUlSU_E0_NS1_11comp_targetILNS1_3genE0ELNS1_11target_archE4294967295ELNS1_3gpuE0ELNS1_3repE0EEENS1_30default_config_static_selectorELNS0_4arch9wavefront6targetE1EEEvT1_, .Lfunc_end300-_ZN7rocprim17ROCPRIM_400000_NS6detail17trampoline_kernelINS0_14default_configENS1_20scan_config_selectorIN3c107complexIfEEEEZZNS1_9scan_implILNS1_25lookback_scan_determinismE0ELb0ELb0ES3_PKS7_PS7_S7_ZZZN2at6native31launch_logcumsumexp_cuda_kernelERKNSE_10TensorBaseESI_lENKUlvE_clEvENKUlvE2_clEvEUlS7_S7_E_S7_EEDaPvRmT3_T4_T5_mT6_P12ihipStream_tbENKUlT_T0_E_clISt17integral_constantIbLb1EESZ_EEDaSU_SV_EUlSU_E0_NS1_11comp_targetILNS1_3genE0ELNS1_11target_archE4294967295ELNS1_3gpuE0ELNS1_3repE0EEENS1_30default_config_static_selectorELNS0_4arch9wavefront6targetE1EEEvT1_
                                        ; -- End function
	.section	.AMDGPU.csdata,"",@progbits
; Kernel info:
; codeLenInByte = 0
; NumSgprs: 4
; NumVgprs: 0
; NumAgprs: 0
; TotalNumVgprs: 0
; ScratchSize: 0
; MemoryBound: 0
; FloatMode: 240
; IeeeMode: 1
; LDSByteSize: 0 bytes/workgroup (compile time only)
; SGPRBlocks: 0
; VGPRBlocks: 0
; NumSGPRsForWavesPerEU: 4
; NumVGPRsForWavesPerEU: 1
; AccumOffset: 4
; Occupancy: 8
; WaveLimiterHint : 0
; COMPUTE_PGM_RSRC2:SCRATCH_EN: 0
; COMPUTE_PGM_RSRC2:USER_SGPR: 6
; COMPUTE_PGM_RSRC2:TRAP_HANDLER: 0
; COMPUTE_PGM_RSRC2:TGID_X_EN: 1
; COMPUTE_PGM_RSRC2:TGID_Y_EN: 0
; COMPUTE_PGM_RSRC2:TGID_Z_EN: 0
; COMPUTE_PGM_RSRC2:TIDIG_COMP_CNT: 0
; COMPUTE_PGM_RSRC3_GFX90A:ACCUM_OFFSET: 0
; COMPUTE_PGM_RSRC3_GFX90A:TG_SPLIT: 0
	.section	.text._ZN7rocprim17ROCPRIM_400000_NS6detail17trampoline_kernelINS0_14default_configENS1_20scan_config_selectorIN3c107complexIfEEEEZZNS1_9scan_implILNS1_25lookback_scan_determinismE0ELb0ELb0ES3_PKS7_PS7_S7_ZZZN2at6native31launch_logcumsumexp_cuda_kernelERKNSE_10TensorBaseESI_lENKUlvE_clEvENKUlvE2_clEvEUlS7_S7_E_S7_EEDaPvRmT3_T4_T5_mT6_P12ihipStream_tbENKUlT_T0_E_clISt17integral_constantIbLb1EESZ_EEDaSU_SV_EUlSU_E0_NS1_11comp_targetILNS1_3genE5ELNS1_11target_archE942ELNS1_3gpuE9ELNS1_3repE0EEENS1_30default_config_static_selectorELNS0_4arch9wavefront6targetE1EEEvT1_,"axG",@progbits,_ZN7rocprim17ROCPRIM_400000_NS6detail17trampoline_kernelINS0_14default_configENS1_20scan_config_selectorIN3c107complexIfEEEEZZNS1_9scan_implILNS1_25lookback_scan_determinismE0ELb0ELb0ES3_PKS7_PS7_S7_ZZZN2at6native31launch_logcumsumexp_cuda_kernelERKNSE_10TensorBaseESI_lENKUlvE_clEvENKUlvE2_clEvEUlS7_S7_E_S7_EEDaPvRmT3_T4_T5_mT6_P12ihipStream_tbENKUlT_T0_E_clISt17integral_constantIbLb1EESZ_EEDaSU_SV_EUlSU_E0_NS1_11comp_targetILNS1_3genE5ELNS1_11target_archE942ELNS1_3gpuE9ELNS1_3repE0EEENS1_30default_config_static_selectorELNS0_4arch9wavefront6targetE1EEEvT1_,comdat
	.globl	_ZN7rocprim17ROCPRIM_400000_NS6detail17trampoline_kernelINS0_14default_configENS1_20scan_config_selectorIN3c107complexIfEEEEZZNS1_9scan_implILNS1_25lookback_scan_determinismE0ELb0ELb0ES3_PKS7_PS7_S7_ZZZN2at6native31launch_logcumsumexp_cuda_kernelERKNSE_10TensorBaseESI_lENKUlvE_clEvENKUlvE2_clEvEUlS7_S7_E_S7_EEDaPvRmT3_T4_T5_mT6_P12ihipStream_tbENKUlT_T0_E_clISt17integral_constantIbLb1EESZ_EEDaSU_SV_EUlSU_E0_NS1_11comp_targetILNS1_3genE5ELNS1_11target_archE942ELNS1_3gpuE9ELNS1_3repE0EEENS1_30default_config_static_selectorELNS0_4arch9wavefront6targetE1EEEvT1_ ; -- Begin function _ZN7rocprim17ROCPRIM_400000_NS6detail17trampoline_kernelINS0_14default_configENS1_20scan_config_selectorIN3c107complexIfEEEEZZNS1_9scan_implILNS1_25lookback_scan_determinismE0ELb0ELb0ES3_PKS7_PS7_S7_ZZZN2at6native31launch_logcumsumexp_cuda_kernelERKNSE_10TensorBaseESI_lENKUlvE_clEvENKUlvE2_clEvEUlS7_S7_E_S7_EEDaPvRmT3_T4_T5_mT6_P12ihipStream_tbENKUlT_T0_E_clISt17integral_constantIbLb1EESZ_EEDaSU_SV_EUlSU_E0_NS1_11comp_targetILNS1_3genE5ELNS1_11target_archE942ELNS1_3gpuE9ELNS1_3repE0EEENS1_30default_config_static_selectorELNS0_4arch9wavefront6targetE1EEEvT1_
	.p2align	8
	.type	_ZN7rocprim17ROCPRIM_400000_NS6detail17trampoline_kernelINS0_14default_configENS1_20scan_config_selectorIN3c107complexIfEEEEZZNS1_9scan_implILNS1_25lookback_scan_determinismE0ELb0ELb0ES3_PKS7_PS7_S7_ZZZN2at6native31launch_logcumsumexp_cuda_kernelERKNSE_10TensorBaseESI_lENKUlvE_clEvENKUlvE2_clEvEUlS7_S7_E_S7_EEDaPvRmT3_T4_T5_mT6_P12ihipStream_tbENKUlT_T0_E_clISt17integral_constantIbLb1EESZ_EEDaSU_SV_EUlSU_E0_NS1_11comp_targetILNS1_3genE5ELNS1_11target_archE942ELNS1_3gpuE9ELNS1_3repE0EEENS1_30default_config_static_selectorELNS0_4arch9wavefront6targetE1EEEvT1_,@function
_ZN7rocprim17ROCPRIM_400000_NS6detail17trampoline_kernelINS0_14default_configENS1_20scan_config_selectorIN3c107complexIfEEEEZZNS1_9scan_implILNS1_25lookback_scan_determinismE0ELb0ELb0ES3_PKS7_PS7_S7_ZZZN2at6native31launch_logcumsumexp_cuda_kernelERKNSE_10TensorBaseESI_lENKUlvE_clEvENKUlvE2_clEvEUlS7_S7_E_S7_EEDaPvRmT3_T4_T5_mT6_P12ihipStream_tbENKUlT_T0_E_clISt17integral_constantIbLb1EESZ_EEDaSU_SV_EUlSU_E0_NS1_11comp_targetILNS1_3genE5ELNS1_11target_archE942ELNS1_3gpuE9ELNS1_3repE0EEENS1_30default_config_static_selectorELNS0_4arch9wavefront6targetE1EEEvT1_: ; @_ZN7rocprim17ROCPRIM_400000_NS6detail17trampoline_kernelINS0_14default_configENS1_20scan_config_selectorIN3c107complexIfEEEEZZNS1_9scan_implILNS1_25lookback_scan_determinismE0ELb0ELb0ES3_PKS7_PS7_S7_ZZZN2at6native31launch_logcumsumexp_cuda_kernelERKNSE_10TensorBaseESI_lENKUlvE_clEvENKUlvE2_clEvEUlS7_S7_E_S7_EEDaPvRmT3_T4_T5_mT6_P12ihipStream_tbENKUlT_T0_E_clISt17integral_constantIbLb1EESZ_EEDaSU_SV_EUlSU_E0_NS1_11comp_targetILNS1_3genE5ELNS1_11target_archE942ELNS1_3gpuE9ELNS1_3repE0EEENS1_30default_config_static_selectorELNS0_4arch9wavefront6targetE1EEEvT1_
; %bb.0:
	.section	.rodata,"a",@progbits
	.p2align	6, 0x0
	.amdhsa_kernel _ZN7rocprim17ROCPRIM_400000_NS6detail17trampoline_kernelINS0_14default_configENS1_20scan_config_selectorIN3c107complexIfEEEEZZNS1_9scan_implILNS1_25lookback_scan_determinismE0ELb0ELb0ES3_PKS7_PS7_S7_ZZZN2at6native31launch_logcumsumexp_cuda_kernelERKNSE_10TensorBaseESI_lENKUlvE_clEvENKUlvE2_clEvEUlS7_S7_E_S7_EEDaPvRmT3_T4_T5_mT6_P12ihipStream_tbENKUlT_T0_E_clISt17integral_constantIbLb1EESZ_EEDaSU_SV_EUlSU_E0_NS1_11comp_targetILNS1_3genE5ELNS1_11target_archE942ELNS1_3gpuE9ELNS1_3repE0EEENS1_30default_config_static_selectorELNS0_4arch9wavefront6targetE1EEEvT1_
		.amdhsa_group_segment_fixed_size 0
		.amdhsa_private_segment_fixed_size 0
		.amdhsa_kernarg_size 40
		.amdhsa_user_sgpr_count 6
		.amdhsa_user_sgpr_private_segment_buffer 1
		.amdhsa_user_sgpr_dispatch_ptr 0
		.amdhsa_user_sgpr_queue_ptr 0
		.amdhsa_user_sgpr_kernarg_segment_ptr 1
		.amdhsa_user_sgpr_dispatch_id 0
		.amdhsa_user_sgpr_flat_scratch_init 0
		.amdhsa_user_sgpr_kernarg_preload_length 0
		.amdhsa_user_sgpr_kernarg_preload_offset 0
		.amdhsa_user_sgpr_private_segment_size 0
		.amdhsa_uses_dynamic_stack 0
		.amdhsa_system_sgpr_private_segment_wavefront_offset 0
		.amdhsa_system_sgpr_workgroup_id_x 1
		.amdhsa_system_sgpr_workgroup_id_y 0
		.amdhsa_system_sgpr_workgroup_id_z 0
		.amdhsa_system_sgpr_workgroup_info 0
		.amdhsa_system_vgpr_workitem_id 0
		.amdhsa_next_free_vgpr 1
		.amdhsa_next_free_sgpr 0
		.amdhsa_accum_offset 4
		.amdhsa_reserve_vcc 0
		.amdhsa_reserve_flat_scratch 0
		.amdhsa_float_round_mode_32 0
		.amdhsa_float_round_mode_16_64 0
		.amdhsa_float_denorm_mode_32 3
		.amdhsa_float_denorm_mode_16_64 3
		.amdhsa_dx10_clamp 1
		.amdhsa_ieee_mode 1
		.amdhsa_fp16_overflow 0
		.amdhsa_tg_split 0
		.amdhsa_exception_fp_ieee_invalid_op 0
		.amdhsa_exception_fp_denorm_src 0
		.amdhsa_exception_fp_ieee_div_zero 0
		.amdhsa_exception_fp_ieee_overflow 0
		.amdhsa_exception_fp_ieee_underflow 0
		.amdhsa_exception_fp_ieee_inexact 0
		.amdhsa_exception_int_div_zero 0
	.end_amdhsa_kernel
	.section	.text._ZN7rocprim17ROCPRIM_400000_NS6detail17trampoline_kernelINS0_14default_configENS1_20scan_config_selectorIN3c107complexIfEEEEZZNS1_9scan_implILNS1_25lookback_scan_determinismE0ELb0ELb0ES3_PKS7_PS7_S7_ZZZN2at6native31launch_logcumsumexp_cuda_kernelERKNSE_10TensorBaseESI_lENKUlvE_clEvENKUlvE2_clEvEUlS7_S7_E_S7_EEDaPvRmT3_T4_T5_mT6_P12ihipStream_tbENKUlT_T0_E_clISt17integral_constantIbLb1EESZ_EEDaSU_SV_EUlSU_E0_NS1_11comp_targetILNS1_3genE5ELNS1_11target_archE942ELNS1_3gpuE9ELNS1_3repE0EEENS1_30default_config_static_selectorELNS0_4arch9wavefront6targetE1EEEvT1_,"axG",@progbits,_ZN7rocprim17ROCPRIM_400000_NS6detail17trampoline_kernelINS0_14default_configENS1_20scan_config_selectorIN3c107complexIfEEEEZZNS1_9scan_implILNS1_25lookback_scan_determinismE0ELb0ELb0ES3_PKS7_PS7_S7_ZZZN2at6native31launch_logcumsumexp_cuda_kernelERKNSE_10TensorBaseESI_lENKUlvE_clEvENKUlvE2_clEvEUlS7_S7_E_S7_EEDaPvRmT3_T4_T5_mT6_P12ihipStream_tbENKUlT_T0_E_clISt17integral_constantIbLb1EESZ_EEDaSU_SV_EUlSU_E0_NS1_11comp_targetILNS1_3genE5ELNS1_11target_archE942ELNS1_3gpuE9ELNS1_3repE0EEENS1_30default_config_static_selectorELNS0_4arch9wavefront6targetE1EEEvT1_,comdat
.Lfunc_end301:
	.size	_ZN7rocprim17ROCPRIM_400000_NS6detail17trampoline_kernelINS0_14default_configENS1_20scan_config_selectorIN3c107complexIfEEEEZZNS1_9scan_implILNS1_25lookback_scan_determinismE0ELb0ELb0ES3_PKS7_PS7_S7_ZZZN2at6native31launch_logcumsumexp_cuda_kernelERKNSE_10TensorBaseESI_lENKUlvE_clEvENKUlvE2_clEvEUlS7_S7_E_S7_EEDaPvRmT3_T4_T5_mT6_P12ihipStream_tbENKUlT_T0_E_clISt17integral_constantIbLb1EESZ_EEDaSU_SV_EUlSU_E0_NS1_11comp_targetILNS1_3genE5ELNS1_11target_archE942ELNS1_3gpuE9ELNS1_3repE0EEENS1_30default_config_static_selectorELNS0_4arch9wavefront6targetE1EEEvT1_, .Lfunc_end301-_ZN7rocprim17ROCPRIM_400000_NS6detail17trampoline_kernelINS0_14default_configENS1_20scan_config_selectorIN3c107complexIfEEEEZZNS1_9scan_implILNS1_25lookback_scan_determinismE0ELb0ELb0ES3_PKS7_PS7_S7_ZZZN2at6native31launch_logcumsumexp_cuda_kernelERKNSE_10TensorBaseESI_lENKUlvE_clEvENKUlvE2_clEvEUlS7_S7_E_S7_EEDaPvRmT3_T4_T5_mT6_P12ihipStream_tbENKUlT_T0_E_clISt17integral_constantIbLb1EESZ_EEDaSU_SV_EUlSU_E0_NS1_11comp_targetILNS1_3genE5ELNS1_11target_archE942ELNS1_3gpuE9ELNS1_3repE0EEENS1_30default_config_static_selectorELNS0_4arch9wavefront6targetE1EEEvT1_
                                        ; -- End function
	.section	.AMDGPU.csdata,"",@progbits
; Kernel info:
; codeLenInByte = 0
; NumSgprs: 4
; NumVgprs: 0
; NumAgprs: 0
; TotalNumVgprs: 0
; ScratchSize: 0
; MemoryBound: 0
; FloatMode: 240
; IeeeMode: 1
; LDSByteSize: 0 bytes/workgroup (compile time only)
; SGPRBlocks: 0
; VGPRBlocks: 0
; NumSGPRsForWavesPerEU: 4
; NumVGPRsForWavesPerEU: 1
; AccumOffset: 4
; Occupancy: 8
; WaveLimiterHint : 0
; COMPUTE_PGM_RSRC2:SCRATCH_EN: 0
; COMPUTE_PGM_RSRC2:USER_SGPR: 6
; COMPUTE_PGM_RSRC2:TRAP_HANDLER: 0
; COMPUTE_PGM_RSRC2:TGID_X_EN: 1
; COMPUTE_PGM_RSRC2:TGID_Y_EN: 0
; COMPUTE_PGM_RSRC2:TGID_Z_EN: 0
; COMPUTE_PGM_RSRC2:TIDIG_COMP_CNT: 0
; COMPUTE_PGM_RSRC3_GFX90A:ACCUM_OFFSET: 0
; COMPUTE_PGM_RSRC3_GFX90A:TG_SPLIT: 0
	.section	.text._ZN7rocprim17ROCPRIM_400000_NS6detail17trampoline_kernelINS0_14default_configENS1_20scan_config_selectorIN3c107complexIfEEEEZZNS1_9scan_implILNS1_25lookback_scan_determinismE0ELb0ELb0ES3_PKS7_PS7_S7_ZZZN2at6native31launch_logcumsumexp_cuda_kernelERKNSE_10TensorBaseESI_lENKUlvE_clEvENKUlvE2_clEvEUlS7_S7_E_S7_EEDaPvRmT3_T4_T5_mT6_P12ihipStream_tbENKUlT_T0_E_clISt17integral_constantIbLb1EESZ_EEDaSU_SV_EUlSU_E0_NS1_11comp_targetILNS1_3genE4ELNS1_11target_archE910ELNS1_3gpuE8ELNS1_3repE0EEENS1_30default_config_static_selectorELNS0_4arch9wavefront6targetE1EEEvT1_,"axG",@progbits,_ZN7rocprim17ROCPRIM_400000_NS6detail17trampoline_kernelINS0_14default_configENS1_20scan_config_selectorIN3c107complexIfEEEEZZNS1_9scan_implILNS1_25lookback_scan_determinismE0ELb0ELb0ES3_PKS7_PS7_S7_ZZZN2at6native31launch_logcumsumexp_cuda_kernelERKNSE_10TensorBaseESI_lENKUlvE_clEvENKUlvE2_clEvEUlS7_S7_E_S7_EEDaPvRmT3_T4_T5_mT6_P12ihipStream_tbENKUlT_T0_E_clISt17integral_constantIbLb1EESZ_EEDaSU_SV_EUlSU_E0_NS1_11comp_targetILNS1_3genE4ELNS1_11target_archE910ELNS1_3gpuE8ELNS1_3repE0EEENS1_30default_config_static_selectorELNS0_4arch9wavefront6targetE1EEEvT1_,comdat
	.globl	_ZN7rocprim17ROCPRIM_400000_NS6detail17trampoline_kernelINS0_14default_configENS1_20scan_config_selectorIN3c107complexIfEEEEZZNS1_9scan_implILNS1_25lookback_scan_determinismE0ELb0ELb0ES3_PKS7_PS7_S7_ZZZN2at6native31launch_logcumsumexp_cuda_kernelERKNSE_10TensorBaseESI_lENKUlvE_clEvENKUlvE2_clEvEUlS7_S7_E_S7_EEDaPvRmT3_T4_T5_mT6_P12ihipStream_tbENKUlT_T0_E_clISt17integral_constantIbLb1EESZ_EEDaSU_SV_EUlSU_E0_NS1_11comp_targetILNS1_3genE4ELNS1_11target_archE910ELNS1_3gpuE8ELNS1_3repE0EEENS1_30default_config_static_selectorELNS0_4arch9wavefront6targetE1EEEvT1_ ; -- Begin function _ZN7rocprim17ROCPRIM_400000_NS6detail17trampoline_kernelINS0_14default_configENS1_20scan_config_selectorIN3c107complexIfEEEEZZNS1_9scan_implILNS1_25lookback_scan_determinismE0ELb0ELb0ES3_PKS7_PS7_S7_ZZZN2at6native31launch_logcumsumexp_cuda_kernelERKNSE_10TensorBaseESI_lENKUlvE_clEvENKUlvE2_clEvEUlS7_S7_E_S7_EEDaPvRmT3_T4_T5_mT6_P12ihipStream_tbENKUlT_T0_E_clISt17integral_constantIbLb1EESZ_EEDaSU_SV_EUlSU_E0_NS1_11comp_targetILNS1_3genE4ELNS1_11target_archE910ELNS1_3gpuE8ELNS1_3repE0EEENS1_30default_config_static_selectorELNS0_4arch9wavefront6targetE1EEEvT1_
	.p2align	8
	.type	_ZN7rocprim17ROCPRIM_400000_NS6detail17trampoline_kernelINS0_14default_configENS1_20scan_config_selectorIN3c107complexIfEEEEZZNS1_9scan_implILNS1_25lookback_scan_determinismE0ELb0ELb0ES3_PKS7_PS7_S7_ZZZN2at6native31launch_logcumsumexp_cuda_kernelERKNSE_10TensorBaseESI_lENKUlvE_clEvENKUlvE2_clEvEUlS7_S7_E_S7_EEDaPvRmT3_T4_T5_mT6_P12ihipStream_tbENKUlT_T0_E_clISt17integral_constantIbLb1EESZ_EEDaSU_SV_EUlSU_E0_NS1_11comp_targetILNS1_3genE4ELNS1_11target_archE910ELNS1_3gpuE8ELNS1_3repE0EEENS1_30default_config_static_selectorELNS0_4arch9wavefront6targetE1EEEvT1_,@function
_ZN7rocprim17ROCPRIM_400000_NS6detail17trampoline_kernelINS0_14default_configENS1_20scan_config_selectorIN3c107complexIfEEEEZZNS1_9scan_implILNS1_25lookback_scan_determinismE0ELb0ELb0ES3_PKS7_PS7_S7_ZZZN2at6native31launch_logcumsumexp_cuda_kernelERKNSE_10TensorBaseESI_lENKUlvE_clEvENKUlvE2_clEvEUlS7_S7_E_S7_EEDaPvRmT3_T4_T5_mT6_P12ihipStream_tbENKUlT_T0_E_clISt17integral_constantIbLb1EESZ_EEDaSU_SV_EUlSU_E0_NS1_11comp_targetILNS1_3genE4ELNS1_11target_archE910ELNS1_3gpuE8ELNS1_3repE0EEENS1_30default_config_static_selectorELNS0_4arch9wavefront6targetE1EEEvT1_: ; @_ZN7rocprim17ROCPRIM_400000_NS6detail17trampoline_kernelINS0_14default_configENS1_20scan_config_selectorIN3c107complexIfEEEEZZNS1_9scan_implILNS1_25lookback_scan_determinismE0ELb0ELb0ES3_PKS7_PS7_S7_ZZZN2at6native31launch_logcumsumexp_cuda_kernelERKNSE_10TensorBaseESI_lENKUlvE_clEvENKUlvE2_clEvEUlS7_S7_E_S7_EEDaPvRmT3_T4_T5_mT6_P12ihipStream_tbENKUlT_T0_E_clISt17integral_constantIbLb1EESZ_EEDaSU_SV_EUlSU_E0_NS1_11comp_targetILNS1_3genE4ELNS1_11target_archE910ELNS1_3gpuE8ELNS1_3repE0EEENS1_30default_config_static_selectorELNS0_4arch9wavefront6targetE1EEEvT1_
; %bb.0:
	s_add_u32 flat_scratch_lo, s6, s9
	s_addc_u32 flat_scratch_hi, s7, 0
	s_add_u32 s0, s0, s9
	s_load_dwordx4 s[8:11], s[4:5], 0x0
	v_mov_b32_e32 v27, v0
	s_addc_u32 s1, s1, 0
	v_lshlrev_b32_e32 v58, 3, v27
	s_mov_b32 s32, 0
	s_waitcnt lgkmcnt(0)
	s_load_dwordx2 s[6:7], s[8:9], 0x0
	v_cmp_gt_u32_e64 s[20:21], s10, v27
	s_waitcnt lgkmcnt(0)
	v_pk_mov_b32 v[0:1], s[6:7], s[6:7] op_sel:[0,1]
	s_and_saveexec_b64 s[12:13], s[20:21]
	s_cbranch_execz .LBB302_2
; %bb.1:
	global_load_dwordx2 v[0:1], v58, s[8:9]
.LBB302_2:
	s_or_b64 exec, exec, s[12:13]
	v_or_b32_e32 v2, 0x80, v27
	v_cmp_gt_u32_e64 s[22:23], s10, v2
	v_pk_mov_b32 v[2:3], s[6:7], s[6:7] op_sel:[0,1]
	s_and_saveexec_b64 s[12:13], s[22:23]
	s_cbranch_execz .LBB302_4
; %bb.3:
	global_load_dwordx2 v[2:3], v58, s[8:9] offset:1024
.LBB302_4:
	s_or_b64 exec, exec, s[12:13]
	v_or_b32_e32 v4, 0x100, v27
	v_cmp_gt_u32_e64 s[24:25], s10, v4
	v_pk_mov_b32 v[4:5], s[6:7], s[6:7] op_sel:[0,1]
	s_and_saveexec_b64 s[12:13], s[24:25]
	s_cbranch_execz .LBB302_6
; %bb.5:
	global_load_dwordx2 v[4:5], v58, s[8:9] offset:2048
.LBB302_6:
	;; [unrolled: 9-line block ×3, first 2 shown]
	s_or_b64 exec, exec, s[12:13]
	v_or_b32_e32 v10, 0x200, v27
	v_cmp_gt_u32_e64 s[28:29], s10, v10
	v_pk_mov_b32 v[8:9], s[6:7], s[6:7] op_sel:[0,1]
	s_and_saveexec_b64 s[12:13], s[28:29]
	s_cbranch_execz .LBB302_10
; %bb.9:
	v_lshlrev_b32_e32 v8, 3, v10
	global_load_dwordx2 v[8:9], v8, s[8:9]
.LBB302_10:
	s_or_b64 exec, exec, s[12:13]
	v_or_b32_e32 v12, 0x280, v27
	v_cmp_gt_u32_e64 s[34:35], s10, v12
	v_pk_mov_b32 v[10:11], s[6:7], s[6:7] op_sel:[0,1]
	s_and_saveexec_b64 s[12:13], s[34:35]
	s_cbranch_execz .LBB302_12
; %bb.11:
	v_lshlrev_b32_e32 v10, 3, v12
	global_load_dwordx2 v[10:11], v10, s[8:9]
.LBB302_12:
	;; [unrolled: 10-line block ×3, first 2 shown]
	s_or_b64 exec, exec, s[6:7]
	s_load_dwordx2 s[38:39], s[4:5], 0x20
	v_mad_u32_u24 v59, v27, 48, v58
	s_waitcnt vmcnt(0)
	ds_write2st64_b64 v58, v[0:1], v[2:3] offset1:2
	ds_write2st64_b64 v58, v[4:5], v[6:7] offset0:4 offset1:6
	ds_write2st64_b64 v58, v[8:9], v[10:11] offset0:8 offset1:10
	ds_write_b64 v58, v[12:13] offset:6144
	s_waitcnt lgkmcnt(0)
	s_barrier
	ds_read2_b64 v[28:31], v59 offset1:1
	ds_read2_b64 v[36:39], v59 offset0:2 offset1:3
	ds_read2_b64 v[32:35], v59 offset0:4 offset1:5
	ds_read_b64 v[52:53], v59 offset:48
	s_waitcnt lgkmcnt(0)
	v_mov_b32_e32 v0, v28
	v_mov_b32_e32 v1, v29
	;; [unrolled: 1-line block ×4, first 2 shown]
	s_barrier
	s_getpc_b64 s[42:43]
	s_add_u32 s42, s42, _ZZZZN2at6native31launch_logcumsumexp_cuda_kernelERKNS_10TensorBaseES3_lENKUlvE_clEvENKUlvE2_clEvENKUlN3c107complexIfEES8_E_clES8_S8_@rel32@lo+4
	s_addc_u32 s43, s43, _ZZZZN2at6native31launch_logcumsumexp_cuda_kernelERKNS_10TensorBaseES3_lENKUlvE_clEvENKUlvE2_clEvENKUlN3c107complexIfEES8_E_clES8_S8_@rel32@hi+12
	s_swappc_b64 s[30:31], s[42:43]
	v_mov_b32_e32 v2, v36
	v_mov_b32_e32 v3, v37
	v_mov_b32_e32 v56, v0
	v_mov_b32_e32 v57, v1
	s_swappc_b64 s[30:31], s[42:43]
	v_mov_b32_e32 v2, v38
	v_mov_b32_e32 v3, v39
	v_mov_b32_e32 v44, v0
	v_mov_b32_e32 v45, v1
	;; [unrolled: 5-line block ×5, first 2 shown]
	s_swappc_b64 s[30:31], s[42:43]
	v_mov_b32_e32 v54, v0
	v_lshrrev_b32_e32 v0, 2, v27
	v_and_b32_e32 v0, 24, v0
	v_mov_b32_e32 v55, v1
	v_add_u32_e32 v0, v58, v0
	v_cmp_gt_u32_e32 vcc, 64, v27
	ds_write_b64 v0, v[54:55]
	s_waitcnt lgkmcnt(0)
	s_barrier
	s_and_saveexec_b64 s[40:41], vcc
	s_cbranch_execz .LBB302_28
; %bb.15:
	v_lshlrev_b32_e32 v0, 1, v27
	v_lshrrev_b32_e32 v1, 4, v27
	v_add_lshl_u32 v60, v1, v0, 3
	ds_read2_b64 v[40:43], v60 offset1:1
	s_waitcnt lgkmcnt(0)
	v_mov_b32_e32 v0, v40
	v_mov_b32_e32 v1, v41
	;; [unrolled: 1-line block ×4, first 2 shown]
	s_swappc_b64 s[30:31], s[42:43]
	v_mov_b32_e32 v2, v0
	v_mbcnt_lo_u32_b32 v0, -1, 0
	v_mbcnt_hi_u32_b32 v42, -1, v0
	v_mov_b32_e32 v3, v1
	v_and_b32_e32 v43, 15, v42
	v_mov_b32_dpp v0, v2 row_shr:1 row_mask:0xf bank_mask:0xf
	v_mov_b32_dpp v1, v3 row_shr:1 row_mask:0xf bank_mask:0xf
	v_cmp_ne_u32_e32 vcc, 0, v43
	s_and_saveexec_b64 s[42:43], vcc
	s_cbranch_execz .LBB302_17
; %bb.16:
	s_getpc_b64 s[4:5]
	s_add_u32 s4, s4, _ZZZZN2at6native31launch_logcumsumexp_cuda_kernelERKNS_10TensorBaseES3_lENKUlvE_clEvENKUlvE2_clEvENKUlN3c107complexIfEES8_E_clES8_S8_@rel32@lo+4
	s_addc_u32 s5, s5, _ZZZZN2at6native31launch_logcumsumexp_cuda_kernelERKNS_10TensorBaseES3_lENKUlvE_clEvENKUlvE2_clEvENKUlN3c107complexIfEES8_E_clES8_S8_@rel32@hi+12
	s_swappc_b64 s[30:31], s[4:5]
	v_mov_b32_e32 v2, v0
	v_mov_b32_e32 v3, v1
.LBB302_17:
	s_or_b64 exec, exec, s[42:43]
	v_mov_b32_dpp v0, v2 row_shr:2 row_mask:0xf bank_mask:0xf
	v_mov_b32_dpp v1, v3 row_shr:2 row_mask:0xf bank_mask:0xf
	v_cmp_lt_u32_e32 vcc, 1, v43
	s_and_saveexec_b64 s[42:43], vcc
	s_cbranch_execz .LBB302_19
; %bb.18:
	s_getpc_b64 s[4:5]
	s_add_u32 s4, s4, _ZZZZN2at6native31launch_logcumsumexp_cuda_kernelERKNS_10TensorBaseES3_lENKUlvE_clEvENKUlvE2_clEvENKUlN3c107complexIfEES8_E_clES8_S8_@rel32@lo+4
	s_addc_u32 s5, s5, _ZZZZN2at6native31launch_logcumsumexp_cuda_kernelERKNS_10TensorBaseES3_lENKUlvE_clEvENKUlvE2_clEvENKUlN3c107complexIfEES8_E_clES8_S8_@rel32@hi+12
	s_swappc_b64 s[30:31], s[4:5]
	v_mov_b32_e32 v2, v0
	v_mov_b32_e32 v3, v1
.LBB302_19:
	s_or_b64 exec, exec, s[42:43]
	v_mov_b32_dpp v0, v2 row_shr:4 row_mask:0xf bank_mask:0xf
	v_mov_b32_dpp v1, v3 row_shr:4 row_mask:0xf bank_mask:0xf
	v_cmp_lt_u32_e32 vcc, 3, v43
	s_and_saveexec_b64 s[42:43], vcc
	s_cbranch_execz .LBB302_21
; %bb.20:
	s_getpc_b64 s[4:5]
	s_add_u32 s4, s4, _ZZZZN2at6native31launch_logcumsumexp_cuda_kernelERKNS_10TensorBaseES3_lENKUlvE_clEvENKUlvE2_clEvENKUlN3c107complexIfEES8_E_clES8_S8_@rel32@lo+4
	s_addc_u32 s5, s5, _ZZZZN2at6native31launch_logcumsumexp_cuda_kernelERKNS_10TensorBaseES3_lENKUlvE_clEvENKUlvE2_clEvENKUlN3c107complexIfEES8_E_clES8_S8_@rel32@hi+12
	s_swappc_b64 s[30:31], s[4:5]
	v_mov_b32_e32 v2, v0
	v_mov_b32_e32 v3, v1
.LBB302_21:
	s_or_b64 exec, exec, s[42:43]
	v_mov_b32_dpp v0, v2 row_shr:8 row_mask:0xf bank_mask:0xf
	v_mov_b32_dpp v1, v3 row_shr:8 row_mask:0xf bank_mask:0xf
	v_cmp_lt_u32_e32 vcc, 7, v43
	s_and_saveexec_b64 s[42:43], vcc
	s_cbranch_execz .LBB302_23
; %bb.22:
	s_getpc_b64 s[4:5]
	s_add_u32 s4, s4, _ZZZZN2at6native31launch_logcumsumexp_cuda_kernelERKNS_10TensorBaseES3_lENKUlvE_clEvENKUlvE2_clEvENKUlN3c107complexIfEES8_E_clES8_S8_@rel32@lo+4
	s_addc_u32 s5, s5, _ZZZZN2at6native31launch_logcumsumexp_cuda_kernelERKNS_10TensorBaseES3_lENKUlvE_clEvENKUlvE2_clEvENKUlN3c107complexIfEES8_E_clES8_S8_@rel32@hi+12
	s_swappc_b64 s[30:31], s[4:5]
	v_mov_b32_e32 v2, v0
	v_mov_b32_e32 v3, v1
.LBB302_23:
	s_or_b64 exec, exec, s[42:43]
	v_and_b32_e32 v4, 16, v42
	v_mov_b32_dpp v0, v2 row_bcast:15 row_mask:0xf bank_mask:0xf
	v_mov_b32_dpp v1, v3 row_bcast:15 row_mask:0xf bank_mask:0xf
	v_cmp_ne_u32_e32 vcc, 0, v4
	s_and_saveexec_b64 s[42:43], vcc
	s_cbranch_execz .LBB302_25
; %bb.24:
	s_getpc_b64 s[4:5]
	s_add_u32 s4, s4, _ZZZZN2at6native31launch_logcumsumexp_cuda_kernelERKNS_10TensorBaseES3_lENKUlvE_clEvENKUlvE2_clEvENKUlN3c107complexIfEES8_E_clES8_S8_@rel32@lo+4
	s_addc_u32 s5, s5, _ZZZZN2at6native31launch_logcumsumexp_cuda_kernelERKNS_10TensorBaseES3_lENKUlvE_clEvENKUlvE2_clEvENKUlN3c107complexIfEES8_E_clES8_S8_@rel32@hi+12
	s_swappc_b64 s[30:31], s[4:5]
	v_mov_b32_e32 v2, v0
	v_mov_b32_e32 v3, v1
.LBB302_25:
	s_or_b64 exec, exec, s[42:43]
	v_mov_b32_dpp v0, v2 row_bcast:31 row_mask:0xf bank_mask:0xf
	v_mov_b32_dpp v1, v3 row_bcast:31 row_mask:0xf bank_mask:0xf
	v_cmp_lt_u32_e32 vcc, 31, v42
	s_and_saveexec_b64 s[42:43], vcc
	s_cbranch_execz .LBB302_27
; %bb.26:
	s_getpc_b64 s[4:5]
	s_add_u32 s4, s4, _ZZZZN2at6native31launch_logcumsumexp_cuda_kernelERKNS_10TensorBaseES3_lENKUlvE_clEvENKUlvE2_clEvENKUlN3c107complexIfEES8_E_clES8_S8_@rel32@lo+4
	s_addc_u32 s5, s5, _ZZZZN2at6native31launch_logcumsumexp_cuda_kernelERKNS_10TensorBaseES3_lENKUlvE_clEvENKUlvE2_clEvENKUlN3c107complexIfEES8_E_clES8_S8_@rel32@hi+12
	s_swappc_b64 s[30:31], s[4:5]
	v_mov_b32_e32 v2, v0
	v_mov_b32_e32 v3, v1
.LBB302_27:
	s_or_b64 exec, exec, s[42:43]
	v_add_u32_e32 v0, -1, v42
	v_and_b32_e32 v1, 64, v42
	v_cmp_lt_i32_e32 vcc, v0, v1
	v_cndmask_b32_e32 v0, v0, v42, vcc
	v_lshlrev_b32_e32 v1, 2, v0
	ds_bpermute_b32 v0, v1, v2
	ds_bpermute_b32 v1, v1, v3
	v_mov_b32_e32 v2, v40
	v_mov_b32_e32 v3, v41
	s_getpc_b64 s[42:43]
	s_add_u32 s42, s42, _ZZZZN2at6native31launch_logcumsumexp_cuda_kernelERKNS_10TensorBaseES3_lENKUlvE_clEvENKUlvE2_clEvENKUlN3c107complexIfEES8_E_clES8_S8_@rel32@lo+4
	s_addc_u32 s43, s43, _ZZZZN2at6native31launch_logcumsumexp_cuda_kernelERKNS_10TensorBaseES3_lENKUlvE_clEvENKUlvE2_clEvENKUlN3c107complexIfEES8_E_clES8_S8_@rel32@hi+12
	s_swappc_b64 s[30:31], s[42:43]
	v_cmp_eq_u32_e32 vcc, 0, v27
	v_cndmask_b32_e32 v0, v0, v54, vcc
	v_cndmask_b32_e32 v1, v1, v55, vcc
	; wave barrier
	ds_write_b64 v60, v[0:1]
	; wave barrier
	ds_read_b64 v[2:3], v60 offset:8
	s_swappc_b64 s[30:31], s[42:43]
	ds_write_b64 v60, v[0:1] offset:8
.LBB302_28:
	s_or_b64 exec, exec, s[40:41]
	v_cmp_ne_u32_e32 vcc, 0, v27
	v_mov_b32_e32 v1, v55
	v_mov_b32_e32 v0, v54
	s_waitcnt lgkmcnt(0)
	s_barrier
	s_and_saveexec_b64 s[4:5], vcc
	s_cbranch_execnz .LBB302_40
; %bb.29:
	s_or_b64 exec, exec, s[4:5]
	s_and_saveexec_b64 s[4:5], vcc
	s_xor_b64 s[40:41], exec, s[4:5]
	s_cbranch_execnz .LBB302_41
.LBB302_30:
	s_andn2_saveexec_b64 s[4:5], s[40:41]
.LBB302_31:
	v_mov_b32_e32 v30, v56
	v_mov_b32_e32 v31, v57
.LBB302_32:
	s_or_b64 exec, exec, s[4:5]
	s_movk_i32 s4, 0xffd0
	s_waitcnt lgkmcnt(0)
	v_mad_i32_i24 v0, v27, s4, v59
	s_barrier
	ds_write2_b64 v59, v[28:29], v[30:31] offset1:1
	ds_write2_b64 v59, v[44:45], v[46:47] offset0:2 offset1:3
	ds_write2_b64 v59, v[48:49], v[50:51] offset0:4 offset1:5
	ds_write_b64 v59, v[54:55] offset:48
	s_waitcnt lgkmcnt(0)
	s_barrier
	ds_read2st64_b64 v[8:11], v0 offset0:2 offset1:4
	ds_read2st64_b64 v[4:7], v0 offset0:6 offset1:8
	;; [unrolled: 1-line block ×3, first 2 shown]
	v_mov_b32_e32 v13, s39
	v_add_co_u32_e32 v12, vcc, s38, v58
	v_addc_co_u32_e32 v13, vcc, 0, v13, vcc
	s_and_saveexec_b64 s[4:5], s[20:21]
	s_cbranch_execnz .LBB302_42
; %bb.33:
	s_or_b64 exec, exec, s[4:5]
	s_and_saveexec_b64 s[4:5], s[22:23]
	s_cbranch_execnz .LBB302_43
.LBB302_34:
	s_or_b64 exec, exec, s[4:5]
	s_and_saveexec_b64 s[4:5], s[24:25]
	s_cbranch_execnz .LBB302_44
.LBB302_35:
	s_or_b64 exec, exec, s[4:5]
	s_and_saveexec_b64 s[4:5], s[26:27]
	s_cbranch_execnz .LBB302_45
.LBB302_36:
	s_or_b64 exec, exec, s[4:5]
	s_and_saveexec_b64 s[4:5], s[28:29]
	s_cbranch_execnz .LBB302_46
.LBB302_37:
	s_or_b64 exec, exec, s[4:5]
	s_and_saveexec_b64 s[4:5], s[34:35]
	s_cbranch_execnz .LBB302_47
.LBB302_38:
	s_or_b64 exec, exec, s[4:5]
	s_and_saveexec_b64 s[4:5], s[36:37]
	s_cbranch_execnz .LBB302_48
.LBB302_39:
	s_endpgm
.LBB302_40:
	v_add_u32_e32 v0, -1, v27
	v_lshrrev_b32_e32 v1, 5, v0
	v_add_lshl_u32 v0, v1, v0, 3
	ds_read_b64 v[0:1], v0
	s_or_b64 exec, exec, s[4:5]
	s_and_saveexec_b64 s[4:5], vcc
	s_xor_b64 s[40:41], exec, s[4:5]
	s_cbranch_execz .LBB302_30
.LBB302_41:
	v_mov_b32_e32 v2, v28
	v_mov_b32_e32 v3, v29
	s_getpc_b64 s[42:43]
	s_add_u32 s42, s42, _ZZZZN2at6native31launch_logcumsumexp_cuda_kernelERKNS_10TensorBaseES3_lENKUlvE_clEvENKUlvE2_clEvENKUlN3c107complexIfEES8_E_clES8_S8_@rel32@lo+4
	s_addc_u32 s43, s43, _ZZZZN2at6native31launch_logcumsumexp_cuda_kernelERKNS_10TensorBaseES3_lENKUlvE_clEvENKUlvE2_clEvENKUlN3c107complexIfEES8_E_clES8_S8_@rel32@hi+12
	s_swappc_b64 s[30:31], s[42:43]
	v_mov_b32_e32 v2, v30
	v_mov_b32_e32 v3, v31
	;; [unrolled: 1-line block ×4, first 2 shown]
	;;#ASMSTART
	;;#ASMEND
	s_swappc_b64 s[30:31], s[42:43]
	v_mov_b32_e32 v2, v36
	v_mov_b32_e32 v3, v37
	v_mov_b32_e32 v30, v0
	v_mov_b32_e32 v31, v1
	s_swappc_b64 s[30:31], s[42:43]
	v_mov_b32_e32 v2, v38
	v_mov_b32_e32 v3, v39
	v_mov_b32_e32 v44, v0
	v_mov_b32_e32 v45, v1
	;; [unrolled: 5-line block ×5, first 2 shown]
	s_swappc_b64 s[30:31], s[42:43]
	v_mov_b32_e32 v54, v0
	v_mov_b32_e32 v55, v1
                                        ; implicit-def: $vgpr56
                                        ; implicit-def: $vgpr57
	s_andn2_saveexec_b64 s[4:5], s[40:41]
	s_cbranch_execnz .LBB302_31
	s_branch .LBB302_32
.LBB302_42:
	ds_read_b64 v[14:15], v58
	s_waitcnt lgkmcnt(0)
	global_store_dwordx2 v[12:13], v[14:15], off
	s_or_b64 exec, exec, s[4:5]
	s_and_saveexec_b64 s[4:5], s[22:23]
	s_cbranch_execz .LBB302_34
.LBB302_43:
	s_waitcnt lgkmcnt(2)
	global_store_dwordx2 v[12:13], v[8:9], off offset:1024
	s_or_b64 exec, exec, s[4:5]
	s_and_saveexec_b64 s[4:5], s[24:25]
	s_cbranch_execz .LBB302_35
.LBB302_44:
	s_waitcnt lgkmcnt(2)
	global_store_dwordx2 v[12:13], v[10:11], off offset:2048
	s_or_b64 exec, exec, s[4:5]
	s_and_saveexec_b64 s[4:5], s[26:27]
	s_cbranch_execz .LBB302_36
.LBB302_45:
	s_waitcnt lgkmcnt(1)
	global_store_dwordx2 v[12:13], v[4:5], off offset:3072
	s_or_b64 exec, exec, s[4:5]
	s_and_saveexec_b64 s[4:5], s[28:29]
	s_cbranch_execz .LBB302_37
.LBB302_46:
	s_waitcnt lgkmcnt(1)
	v_add_co_u32_e32 v4, vcc, 0x1000, v12
	v_addc_co_u32_e32 v5, vcc, 0, v13, vcc
	global_store_dwordx2 v[4:5], v[6:7], off
	s_or_b64 exec, exec, s[4:5]
	s_and_saveexec_b64 s[4:5], s[34:35]
	s_cbranch_execz .LBB302_38
.LBB302_47:
	s_waitcnt lgkmcnt(1)
	v_add_co_u32_e32 v4, vcc, 0x1000, v12
	v_addc_co_u32_e32 v5, vcc, 0, v13, vcc
	s_waitcnt lgkmcnt(0)
	global_store_dwordx2 v[4:5], v[0:1], off offset:1024
	s_or_b64 exec, exec, s[4:5]
	s_and_saveexec_b64 s[4:5], s[36:37]
	s_cbranch_execz .LBB302_39
.LBB302_48:
	s_waitcnt lgkmcnt(0)
	v_add_co_u32_e32 v0, vcc, 0x1000, v12
	v_addc_co_u32_e32 v1, vcc, 0, v13, vcc
	global_store_dwordx2 v[0:1], v[2:3], off offset:2048
	s_endpgm
	.section	.rodata,"a",@progbits
	.p2align	6, 0x0
	.amdhsa_kernel _ZN7rocprim17ROCPRIM_400000_NS6detail17trampoline_kernelINS0_14default_configENS1_20scan_config_selectorIN3c107complexIfEEEEZZNS1_9scan_implILNS1_25lookback_scan_determinismE0ELb0ELb0ES3_PKS7_PS7_S7_ZZZN2at6native31launch_logcumsumexp_cuda_kernelERKNSE_10TensorBaseESI_lENKUlvE_clEvENKUlvE2_clEvEUlS7_S7_E_S7_EEDaPvRmT3_T4_T5_mT6_P12ihipStream_tbENKUlT_T0_E_clISt17integral_constantIbLb1EESZ_EEDaSU_SV_EUlSU_E0_NS1_11comp_targetILNS1_3genE4ELNS1_11target_archE910ELNS1_3gpuE8ELNS1_3repE0EEENS1_30default_config_static_selectorELNS0_4arch9wavefront6targetE1EEEvT1_
		.amdhsa_group_segment_fixed_size 7168
		.amdhsa_private_segment_fixed_size 0
		.amdhsa_kernarg_size 40
		.amdhsa_user_sgpr_count 8
		.amdhsa_user_sgpr_private_segment_buffer 1
		.amdhsa_user_sgpr_dispatch_ptr 0
		.amdhsa_user_sgpr_queue_ptr 0
		.amdhsa_user_sgpr_kernarg_segment_ptr 1
		.amdhsa_user_sgpr_dispatch_id 0
		.amdhsa_user_sgpr_flat_scratch_init 1
		.amdhsa_user_sgpr_kernarg_preload_length 0
		.amdhsa_user_sgpr_kernarg_preload_offset 0
		.amdhsa_user_sgpr_private_segment_size 0
		.amdhsa_uses_dynamic_stack 0
		.amdhsa_system_sgpr_private_segment_wavefront_offset 0
		.amdhsa_system_sgpr_workgroup_id_x 1
		.amdhsa_system_sgpr_workgroup_id_y 0
		.amdhsa_system_sgpr_workgroup_id_z 0
		.amdhsa_system_sgpr_workgroup_info 0
		.amdhsa_system_vgpr_workitem_id 0
		.amdhsa_next_free_vgpr 61
		.amdhsa_next_free_sgpr 44
		.amdhsa_accum_offset 64
		.amdhsa_reserve_vcc 1
		.amdhsa_reserve_flat_scratch 1
		.amdhsa_float_round_mode_32 0
		.amdhsa_float_round_mode_16_64 0
		.amdhsa_float_denorm_mode_32 3
		.amdhsa_float_denorm_mode_16_64 3
		.amdhsa_dx10_clamp 1
		.amdhsa_ieee_mode 1
		.amdhsa_fp16_overflow 0
		.amdhsa_tg_split 0
		.amdhsa_exception_fp_ieee_invalid_op 0
		.amdhsa_exception_fp_denorm_src 0
		.amdhsa_exception_fp_ieee_div_zero 0
		.amdhsa_exception_fp_ieee_overflow 0
		.amdhsa_exception_fp_ieee_underflow 0
		.amdhsa_exception_fp_ieee_inexact 0
		.amdhsa_exception_int_div_zero 0
	.end_amdhsa_kernel
	.section	.text._ZN7rocprim17ROCPRIM_400000_NS6detail17trampoline_kernelINS0_14default_configENS1_20scan_config_selectorIN3c107complexIfEEEEZZNS1_9scan_implILNS1_25lookback_scan_determinismE0ELb0ELb0ES3_PKS7_PS7_S7_ZZZN2at6native31launch_logcumsumexp_cuda_kernelERKNSE_10TensorBaseESI_lENKUlvE_clEvENKUlvE2_clEvEUlS7_S7_E_S7_EEDaPvRmT3_T4_T5_mT6_P12ihipStream_tbENKUlT_T0_E_clISt17integral_constantIbLb1EESZ_EEDaSU_SV_EUlSU_E0_NS1_11comp_targetILNS1_3genE4ELNS1_11target_archE910ELNS1_3gpuE8ELNS1_3repE0EEENS1_30default_config_static_selectorELNS0_4arch9wavefront6targetE1EEEvT1_,"axG",@progbits,_ZN7rocprim17ROCPRIM_400000_NS6detail17trampoline_kernelINS0_14default_configENS1_20scan_config_selectorIN3c107complexIfEEEEZZNS1_9scan_implILNS1_25lookback_scan_determinismE0ELb0ELb0ES3_PKS7_PS7_S7_ZZZN2at6native31launch_logcumsumexp_cuda_kernelERKNSE_10TensorBaseESI_lENKUlvE_clEvENKUlvE2_clEvEUlS7_S7_E_S7_EEDaPvRmT3_T4_T5_mT6_P12ihipStream_tbENKUlT_T0_E_clISt17integral_constantIbLb1EESZ_EEDaSU_SV_EUlSU_E0_NS1_11comp_targetILNS1_3genE4ELNS1_11target_archE910ELNS1_3gpuE8ELNS1_3repE0EEENS1_30default_config_static_selectorELNS0_4arch9wavefront6targetE1EEEvT1_,comdat
.Lfunc_end302:
	.size	_ZN7rocprim17ROCPRIM_400000_NS6detail17trampoline_kernelINS0_14default_configENS1_20scan_config_selectorIN3c107complexIfEEEEZZNS1_9scan_implILNS1_25lookback_scan_determinismE0ELb0ELb0ES3_PKS7_PS7_S7_ZZZN2at6native31launch_logcumsumexp_cuda_kernelERKNSE_10TensorBaseESI_lENKUlvE_clEvENKUlvE2_clEvEUlS7_S7_E_S7_EEDaPvRmT3_T4_T5_mT6_P12ihipStream_tbENKUlT_T0_E_clISt17integral_constantIbLb1EESZ_EEDaSU_SV_EUlSU_E0_NS1_11comp_targetILNS1_3genE4ELNS1_11target_archE910ELNS1_3gpuE8ELNS1_3repE0EEENS1_30default_config_static_selectorELNS0_4arch9wavefront6targetE1EEEvT1_, .Lfunc_end302-_ZN7rocprim17ROCPRIM_400000_NS6detail17trampoline_kernelINS0_14default_configENS1_20scan_config_selectorIN3c107complexIfEEEEZZNS1_9scan_implILNS1_25lookback_scan_determinismE0ELb0ELb0ES3_PKS7_PS7_S7_ZZZN2at6native31launch_logcumsumexp_cuda_kernelERKNSE_10TensorBaseESI_lENKUlvE_clEvENKUlvE2_clEvEUlS7_S7_E_S7_EEDaPvRmT3_T4_T5_mT6_P12ihipStream_tbENKUlT_T0_E_clISt17integral_constantIbLb1EESZ_EEDaSU_SV_EUlSU_E0_NS1_11comp_targetILNS1_3genE4ELNS1_11target_archE910ELNS1_3gpuE8ELNS1_3repE0EEENS1_30default_config_static_selectorELNS0_4arch9wavefront6targetE1EEEvT1_
                                        ; -- End function
	.section	.AMDGPU.csdata,"",@progbits
; Kernel info:
; codeLenInByte = 1888
; NumSgprs: 50
; NumVgprs: 61
; NumAgprs: 0
; TotalNumVgprs: 61
; ScratchSize: 0
; MemoryBound: 0
; FloatMode: 240
; IeeeMode: 1
; LDSByteSize: 7168 bytes/workgroup (compile time only)
; SGPRBlocks: 6
; VGPRBlocks: 7
; NumSGPRsForWavesPerEU: 50
; NumVGPRsForWavesPerEU: 61
; AccumOffset: 64
; Occupancy: 5
; WaveLimiterHint : 0
; COMPUTE_PGM_RSRC2:SCRATCH_EN: 0
; COMPUTE_PGM_RSRC2:USER_SGPR: 8
; COMPUTE_PGM_RSRC2:TRAP_HANDLER: 0
; COMPUTE_PGM_RSRC2:TGID_X_EN: 1
; COMPUTE_PGM_RSRC2:TGID_Y_EN: 0
; COMPUTE_PGM_RSRC2:TGID_Z_EN: 0
; COMPUTE_PGM_RSRC2:TIDIG_COMP_CNT: 0
; COMPUTE_PGM_RSRC3_GFX90A:ACCUM_OFFSET: 15
; COMPUTE_PGM_RSRC3_GFX90A:TG_SPLIT: 0
	.section	.text._ZN7rocprim17ROCPRIM_400000_NS6detail17trampoline_kernelINS0_14default_configENS1_20scan_config_selectorIN3c107complexIfEEEEZZNS1_9scan_implILNS1_25lookback_scan_determinismE0ELb0ELb0ES3_PKS7_PS7_S7_ZZZN2at6native31launch_logcumsumexp_cuda_kernelERKNSE_10TensorBaseESI_lENKUlvE_clEvENKUlvE2_clEvEUlS7_S7_E_S7_EEDaPvRmT3_T4_T5_mT6_P12ihipStream_tbENKUlT_T0_E_clISt17integral_constantIbLb1EESZ_EEDaSU_SV_EUlSU_E0_NS1_11comp_targetILNS1_3genE3ELNS1_11target_archE908ELNS1_3gpuE7ELNS1_3repE0EEENS1_30default_config_static_selectorELNS0_4arch9wavefront6targetE1EEEvT1_,"axG",@progbits,_ZN7rocprim17ROCPRIM_400000_NS6detail17trampoline_kernelINS0_14default_configENS1_20scan_config_selectorIN3c107complexIfEEEEZZNS1_9scan_implILNS1_25lookback_scan_determinismE0ELb0ELb0ES3_PKS7_PS7_S7_ZZZN2at6native31launch_logcumsumexp_cuda_kernelERKNSE_10TensorBaseESI_lENKUlvE_clEvENKUlvE2_clEvEUlS7_S7_E_S7_EEDaPvRmT3_T4_T5_mT6_P12ihipStream_tbENKUlT_T0_E_clISt17integral_constantIbLb1EESZ_EEDaSU_SV_EUlSU_E0_NS1_11comp_targetILNS1_3genE3ELNS1_11target_archE908ELNS1_3gpuE7ELNS1_3repE0EEENS1_30default_config_static_selectorELNS0_4arch9wavefront6targetE1EEEvT1_,comdat
	.globl	_ZN7rocprim17ROCPRIM_400000_NS6detail17trampoline_kernelINS0_14default_configENS1_20scan_config_selectorIN3c107complexIfEEEEZZNS1_9scan_implILNS1_25lookback_scan_determinismE0ELb0ELb0ES3_PKS7_PS7_S7_ZZZN2at6native31launch_logcumsumexp_cuda_kernelERKNSE_10TensorBaseESI_lENKUlvE_clEvENKUlvE2_clEvEUlS7_S7_E_S7_EEDaPvRmT3_T4_T5_mT6_P12ihipStream_tbENKUlT_T0_E_clISt17integral_constantIbLb1EESZ_EEDaSU_SV_EUlSU_E0_NS1_11comp_targetILNS1_3genE3ELNS1_11target_archE908ELNS1_3gpuE7ELNS1_3repE0EEENS1_30default_config_static_selectorELNS0_4arch9wavefront6targetE1EEEvT1_ ; -- Begin function _ZN7rocprim17ROCPRIM_400000_NS6detail17trampoline_kernelINS0_14default_configENS1_20scan_config_selectorIN3c107complexIfEEEEZZNS1_9scan_implILNS1_25lookback_scan_determinismE0ELb0ELb0ES3_PKS7_PS7_S7_ZZZN2at6native31launch_logcumsumexp_cuda_kernelERKNSE_10TensorBaseESI_lENKUlvE_clEvENKUlvE2_clEvEUlS7_S7_E_S7_EEDaPvRmT3_T4_T5_mT6_P12ihipStream_tbENKUlT_T0_E_clISt17integral_constantIbLb1EESZ_EEDaSU_SV_EUlSU_E0_NS1_11comp_targetILNS1_3genE3ELNS1_11target_archE908ELNS1_3gpuE7ELNS1_3repE0EEENS1_30default_config_static_selectorELNS0_4arch9wavefront6targetE1EEEvT1_
	.p2align	8
	.type	_ZN7rocprim17ROCPRIM_400000_NS6detail17trampoline_kernelINS0_14default_configENS1_20scan_config_selectorIN3c107complexIfEEEEZZNS1_9scan_implILNS1_25lookback_scan_determinismE0ELb0ELb0ES3_PKS7_PS7_S7_ZZZN2at6native31launch_logcumsumexp_cuda_kernelERKNSE_10TensorBaseESI_lENKUlvE_clEvENKUlvE2_clEvEUlS7_S7_E_S7_EEDaPvRmT3_T4_T5_mT6_P12ihipStream_tbENKUlT_T0_E_clISt17integral_constantIbLb1EESZ_EEDaSU_SV_EUlSU_E0_NS1_11comp_targetILNS1_3genE3ELNS1_11target_archE908ELNS1_3gpuE7ELNS1_3repE0EEENS1_30default_config_static_selectorELNS0_4arch9wavefront6targetE1EEEvT1_,@function
_ZN7rocprim17ROCPRIM_400000_NS6detail17trampoline_kernelINS0_14default_configENS1_20scan_config_selectorIN3c107complexIfEEEEZZNS1_9scan_implILNS1_25lookback_scan_determinismE0ELb0ELb0ES3_PKS7_PS7_S7_ZZZN2at6native31launch_logcumsumexp_cuda_kernelERKNSE_10TensorBaseESI_lENKUlvE_clEvENKUlvE2_clEvEUlS7_S7_E_S7_EEDaPvRmT3_T4_T5_mT6_P12ihipStream_tbENKUlT_T0_E_clISt17integral_constantIbLb1EESZ_EEDaSU_SV_EUlSU_E0_NS1_11comp_targetILNS1_3genE3ELNS1_11target_archE908ELNS1_3gpuE7ELNS1_3repE0EEENS1_30default_config_static_selectorELNS0_4arch9wavefront6targetE1EEEvT1_: ; @_ZN7rocprim17ROCPRIM_400000_NS6detail17trampoline_kernelINS0_14default_configENS1_20scan_config_selectorIN3c107complexIfEEEEZZNS1_9scan_implILNS1_25lookback_scan_determinismE0ELb0ELb0ES3_PKS7_PS7_S7_ZZZN2at6native31launch_logcumsumexp_cuda_kernelERKNSE_10TensorBaseESI_lENKUlvE_clEvENKUlvE2_clEvEUlS7_S7_E_S7_EEDaPvRmT3_T4_T5_mT6_P12ihipStream_tbENKUlT_T0_E_clISt17integral_constantIbLb1EESZ_EEDaSU_SV_EUlSU_E0_NS1_11comp_targetILNS1_3genE3ELNS1_11target_archE908ELNS1_3gpuE7ELNS1_3repE0EEENS1_30default_config_static_selectorELNS0_4arch9wavefront6targetE1EEEvT1_
; %bb.0:
	.section	.rodata,"a",@progbits
	.p2align	6, 0x0
	.amdhsa_kernel _ZN7rocprim17ROCPRIM_400000_NS6detail17trampoline_kernelINS0_14default_configENS1_20scan_config_selectorIN3c107complexIfEEEEZZNS1_9scan_implILNS1_25lookback_scan_determinismE0ELb0ELb0ES3_PKS7_PS7_S7_ZZZN2at6native31launch_logcumsumexp_cuda_kernelERKNSE_10TensorBaseESI_lENKUlvE_clEvENKUlvE2_clEvEUlS7_S7_E_S7_EEDaPvRmT3_T4_T5_mT6_P12ihipStream_tbENKUlT_T0_E_clISt17integral_constantIbLb1EESZ_EEDaSU_SV_EUlSU_E0_NS1_11comp_targetILNS1_3genE3ELNS1_11target_archE908ELNS1_3gpuE7ELNS1_3repE0EEENS1_30default_config_static_selectorELNS0_4arch9wavefront6targetE1EEEvT1_
		.amdhsa_group_segment_fixed_size 0
		.amdhsa_private_segment_fixed_size 0
		.amdhsa_kernarg_size 40
		.amdhsa_user_sgpr_count 6
		.amdhsa_user_sgpr_private_segment_buffer 1
		.amdhsa_user_sgpr_dispatch_ptr 0
		.amdhsa_user_sgpr_queue_ptr 0
		.amdhsa_user_sgpr_kernarg_segment_ptr 1
		.amdhsa_user_sgpr_dispatch_id 0
		.amdhsa_user_sgpr_flat_scratch_init 0
		.amdhsa_user_sgpr_kernarg_preload_length 0
		.amdhsa_user_sgpr_kernarg_preload_offset 0
		.amdhsa_user_sgpr_private_segment_size 0
		.amdhsa_uses_dynamic_stack 0
		.amdhsa_system_sgpr_private_segment_wavefront_offset 0
		.amdhsa_system_sgpr_workgroup_id_x 1
		.amdhsa_system_sgpr_workgroup_id_y 0
		.amdhsa_system_sgpr_workgroup_id_z 0
		.amdhsa_system_sgpr_workgroup_info 0
		.amdhsa_system_vgpr_workitem_id 0
		.amdhsa_next_free_vgpr 1
		.amdhsa_next_free_sgpr 0
		.amdhsa_accum_offset 4
		.amdhsa_reserve_vcc 0
		.amdhsa_reserve_flat_scratch 0
		.amdhsa_float_round_mode_32 0
		.amdhsa_float_round_mode_16_64 0
		.amdhsa_float_denorm_mode_32 3
		.amdhsa_float_denorm_mode_16_64 3
		.amdhsa_dx10_clamp 1
		.amdhsa_ieee_mode 1
		.amdhsa_fp16_overflow 0
		.amdhsa_tg_split 0
		.amdhsa_exception_fp_ieee_invalid_op 0
		.amdhsa_exception_fp_denorm_src 0
		.amdhsa_exception_fp_ieee_div_zero 0
		.amdhsa_exception_fp_ieee_overflow 0
		.amdhsa_exception_fp_ieee_underflow 0
		.amdhsa_exception_fp_ieee_inexact 0
		.amdhsa_exception_int_div_zero 0
	.end_amdhsa_kernel
	.section	.text._ZN7rocprim17ROCPRIM_400000_NS6detail17trampoline_kernelINS0_14default_configENS1_20scan_config_selectorIN3c107complexIfEEEEZZNS1_9scan_implILNS1_25lookback_scan_determinismE0ELb0ELb0ES3_PKS7_PS7_S7_ZZZN2at6native31launch_logcumsumexp_cuda_kernelERKNSE_10TensorBaseESI_lENKUlvE_clEvENKUlvE2_clEvEUlS7_S7_E_S7_EEDaPvRmT3_T4_T5_mT6_P12ihipStream_tbENKUlT_T0_E_clISt17integral_constantIbLb1EESZ_EEDaSU_SV_EUlSU_E0_NS1_11comp_targetILNS1_3genE3ELNS1_11target_archE908ELNS1_3gpuE7ELNS1_3repE0EEENS1_30default_config_static_selectorELNS0_4arch9wavefront6targetE1EEEvT1_,"axG",@progbits,_ZN7rocprim17ROCPRIM_400000_NS6detail17trampoline_kernelINS0_14default_configENS1_20scan_config_selectorIN3c107complexIfEEEEZZNS1_9scan_implILNS1_25lookback_scan_determinismE0ELb0ELb0ES3_PKS7_PS7_S7_ZZZN2at6native31launch_logcumsumexp_cuda_kernelERKNSE_10TensorBaseESI_lENKUlvE_clEvENKUlvE2_clEvEUlS7_S7_E_S7_EEDaPvRmT3_T4_T5_mT6_P12ihipStream_tbENKUlT_T0_E_clISt17integral_constantIbLb1EESZ_EEDaSU_SV_EUlSU_E0_NS1_11comp_targetILNS1_3genE3ELNS1_11target_archE908ELNS1_3gpuE7ELNS1_3repE0EEENS1_30default_config_static_selectorELNS0_4arch9wavefront6targetE1EEEvT1_,comdat
.Lfunc_end303:
	.size	_ZN7rocprim17ROCPRIM_400000_NS6detail17trampoline_kernelINS0_14default_configENS1_20scan_config_selectorIN3c107complexIfEEEEZZNS1_9scan_implILNS1_25lookback_scan_determinismE0ELb0ELb0ES3_PKS7_PS7_S7_ZZZN2at6native31launch_logcumsumexp_cuda_kernelERKNSE_10TensorBaseESI_lENKUlvE_clEvENKUlvE2_clEvEUlS7_S7_E_S7_EEDaPvRmT3_T4_T5_mT6_P12ihipStream_tbENKUlT_T0_E_clISt17integral_constantIbLb1EESZ_EEDaSU_SV_EUlSU_E0_NS1_11comp_targetILNS1_3genE3ELNS1_11target_archE908ELNS1_3gpuE7ELNS1_3repE0EEENS1_30default_config_static_selectorELNS0_4arch9wavefront6targetE1EEEvT1_, .Lfunc_end303-_ZN7rocprim17ROCPRIM_400000_NS6detail17trampoline_kernelINS0_14default_configENS1_20scan_config_selectorIN3c107complexIfEEEEZZNS1_9scan_implILNS1_25lookback_scan_determinismE0ELb0ELb0ES3_PKS7_PS7_S7_ZZZN2at6native31launch_logcumsumexp_cuda_kernelERKNSE_10TensorBaseESI_lENKUlvE_clEvENKUlvE2_clEvEUlS7_S7_E_S7_EEDaPvRmT3_T4_T5_mT6_P12ihipStream_tbENKUlT_T0_E_clISt17integral_constantIbLb1EESZ_EEDaSU_SV_EUlSU_E0_NS1_11comp_targetILNS1_3genE3ELNS1_11target_archE908ELNS1_3gpuE7ELNS1_3repE0EEENS1_30default_config_static_selectorELNS0_4arch9wavefront6targetE1EEEvT1_
                                        ; -- End function
	.section	.AMDGPU.csdata,"",@progbits
; Kernel info:
; codeLenInByte = 0
; NumSgprs: 4
; NumVgprs: 0
; NumAgprs: 0
; TotalNumVgprs: 0
; ScratchSize: 0
; MemoryBound: 0
; FloatMode: 240
; IeeeMode: 1
; LDSByteSize: 0 bytes/workgroup (compile time only)
; SGPRBlocks: 0
; VGPRBlocks: 0
; NumSGPRsForWavesPerEU: 4
; NumVGPRsForWavesPerEU: 1
; AccumOffset: 4
; Occupancy: 8
; WaveLimiterHint : 0
; COMPUTE_PGM_RSRC2:SCRATCH_EN: 0
; COMPUTE_PGM_RSRC2:USER_SGPR: 6
; COMPUTE_PGM_RSRC2:TRAP_HANDLER: 0
; COMPUTE_PGM_RSRC2:TGID_X_EN: 1
; COMPUTE_PGM_RSRC2:TGID_Y_EN: 0
; COMPUTE_PGM_RSRC2:TGID_Z_EN: 0
; COMPUTE_PGM_RSRC2:TIDIG_COMP_CNT: 0
; COMPUTE_PGM_RSRC3_GFX90A:ACCUM_OFFSET: 0
; COMPUTE_PGM_RSRC3_GFX90A:TG_SPLIT: 0
	.section	.text._ZN7rocprim17ROCPRIM_400000_NS6detail17trampoline_kernelINS0_14default_configENS1_20scan_config_selectorIN3c107complexIfEEEEZZNS1_9scan_implILNS1_25lookback_scan_determinismE0ELb0ELb0ES3_PKS7_PS7_S7_ZZZN2at6native31launch_logcumsumexp_cuda_kernelERKNSE_10TensorBaseESI_lENKUlvE_clEvENKUlvE2_clEvEUlS7_S7_E_S7_EEDaPvRmT3_T4_T5_mT6_P12ihipStream_tbENKUlT_T0_E_clISt17integral_constantIbLb1EESZ_EEDaSU_SV_EUlSU_E0_NS1_11comp_targetILNS1_3genE2ELNS1_11target_archE906ELNS1_3gpuE6ELNS1_3repE0EEENS1_30default_config_static_selectorELNS0_4arch9wavefront6targetE1EEEvT1_,"axG",@progbits,_ZN7rocprim17ROCPRIM_400000_NS6detail17trampoline_kernelINS0_14default_configENS1_20scan_config_selectorIN3c107complexIfEEEEZZNS1_9scan_implILNS1_25lookback_scan_determinismE0ELb0ELb0ES3_PKS7_PS7_S7_ZZZN2at6native31launch_logcumsumexp_cuda_kernelERKNSE_10TensorBaseESI_lENKUlvE_clEvENKUlvE2_clEvEUlS7_S7_E_S7_EEDaPvRmT3_T4_T5_mT6_P12ihipStream_tbENKUlT_T0_E_clISt17integral_constantIbLb1EESZ_EEDaSU_SV_EUlSU_E0_NS1_11comp_targetILNS1_3genE2ELNS1_11target_archE906ELNS1_3gpuE6ELNS1_3repE0EEENS1_30default_config_static_selectorELNS0_4arch9wavefront6targetE1EEEvT1_,comdat
	.globl	_ZN7rocprim17ROCPRIM_400000_NS6detail17trampoline_kernelINS0_14default_configENS1_20scan_config_selectorIN3c107complexIfEEEEZZNS1_9scan_implILNS1_25lookback_scan_determinismE0ELb0ELb0ES3_PKS7_PS7_S7_ZZZN2at6native31launch_logcumsumexp_cuda_kernelERKNSE_10TensorBaseESI_lENKUlvE_clEvENKUlvE2_clEvEUlS7_S7_E_S7_EEDaPvRmT3_T4_T5_mT6_P12ihipStream_tbENKUlT_T0_E_clISt17integral_constantIbLb1EESZ_EEDaSU_SV_EUlSU_E0_NS1_11comp_targetILNS1_3genE2ELNS1_11target_archE906ELNS1_3gpuE6ELNS1_3repE0EEENS1_30default_config_static_selectorELNS0_4arch9wavefront6targetE1EEEvT1_ ; -- Begin function _ZN7rocprim17ROCPRIM_400000_NS6detail17trampoline_kernelINS0_14default_configENS1_20scan_config_selectorIN3c107complexIfEEEEZZNS1_9scan_implILNS1_25lookback_scan_determinismE0ELb0ELb0ES3_PKS7_PS7_S7_ZZZN2at6native31launch_logcumsumexp_cuda_kernelERKNSE_10TensorBaseESI_lENKUlvE_clEvENKUlvE2_clEvEUlS7_S7_E_S7_EEDaPvRmT3_T4_T5_mT6_P12ihipStream_tbENKUlT_T0_E_clISt17integral_constantIbLb1EESZ_EEDaSU_SV_EUlSU_E0_NS1_11comp_targetILNS1_3genE2ELNS1_11target_archE906ELNS1_3gpuE6ELNS1_3repE0EEENS1_30default_config_static_selectorELNS0_4arch9wavefront6targetE1EEEvT1_
	.p2align	8
	.type	_ZN7rocprim17ROCPRIM_400000_NS6detail17trampoline_kernelINS0_14default_configENS1_20scan_config_selectorIN3c107complexIfEEEEZZNS1_9scan_implILNS1_25lookback_scan_determinismE0ELb0ELb0ES3_PKS7_PS7_S7_ZZZN2at6native31launch_logcumsumexp_cuda_kernelERKNSE_10TensorBaseESI_lENKUlvE_clEvENKUlvE2_clEvEUlS7_S7_E_S7_EEDaPvRmT3_T4_T5_mT6_P12ihipStream_tbENKUlT_T0_E_clISt17integral_constantIbLb1EESZ_EEDaSU_SV_EUlSU_E0_NS1_11comp_targetILNS1_3genE2ELNS1_11target_archE906ELNS1_3gpuE6ELNS1_3repE0EEENS1_30default_config_static_selectorELNS0_4arch9wavefront6targetE1EEEvT1_,@function
_ZN7rocprim17ROCPRIM_400000_NS6detail17trampoline_kernelINS0_14default_configENS1_20scan_config_selectorIN3c107complexIfEEEEZZNS1_9scan_implILNS1_25lookback_scan_determinismE0ELb0ELb0ES3_PKS7_PS7_S7_ZZZN2at6native31launch_logcumsumexp_cuda_kernelERKNSE_10TensorBaseESI_lENKUlvE_clEvENKUlvE2_clEvEUlS7_S7_E_S7_EEDaPvRmT3_T4_T5_mT6_P12ihipStream_tbENKUlT_T0_E_clISt17integral_constantIbLb1EESZ_EEDaSU_SV_EUlSU_E0_NS1_11comp_targetILNS1_3genE2ELNS1_11target_archE906ELNS1_3gpuE6ELNS1_3repE0EEENS1_30default_config_static_selectorELNS0_4arch9wavefront6targetE1EEEvT1_: ; @_ZN7rocprim17ROCPRIM_400000_NS6detail17trampoline_kernelINS0_14default_configENS1_20scan_config_selectorIN3c107complexIfEEEEZZNS1_9scan_implILNS1_25lookback_scan_determinismE0ELb0ELb0ES3_PKS7_PS7_S7_ZZZN2at6native31launch_logcumsumexp_cuda_kernelERKNSE_10TensorBaseESI_lENKUlvE_clEvENKUlvE2_clEvEUlS7_S7_E_S7_EEDaPvRmT3_T4_T5_mT6_P12ihipStream_tbENKUlT_T0_E_clISt17integral_constantIbLb1EESZ_EEDaSU_SV_EUlSU_E0_NS1_11comp_targetILNS1_3genE2ELNS1_11target_archE906ELNS1_3gpuE6ELNS1_3repE0EEENS1_30default_config_static_selectorELNS0_4arch9wavefront6targetE1EEEvT1_
; %bb.0:
	.section	.rodata,"a",@progbits
	.p2align	6, 0x0
	.amdhsa_kernel _ZN7rocprim17ROCPRIM_400000_NS6detail17trampoline_kernelINS0_14default_configENS1_20scan_config_selectorIN3c107complexIfEEEEZZNS1_9scan_implILNS1_25lookback_scan_determinismE0ELb0ELb0ES3_PKS7_PS7_S7_ZZZN2at6native31launch_logcumsumexp_cuda_kernelERKNSE_10TensorBaseESI_lENKUlvE_clEvENKUlvE2_clEvEUlS7_S7_E_S7_EEDaPvRmT3_T4_T5_mT6_P12ihipStream_tbENKUlT_T0_E_clISt17integral_constantIbLb1EESZ_EEDaSU_SV_EUlSU_E0_NS1_11comp_targetILNS1_3genE2ELNS1_11target_archE906ELNS1_3gpuE6ELNS1_3repE0EEENS1_30default_config_static_selectorELNS0_4arch9wavefront6targetE1EEEvT1_
		.amdhsa_group_segment_fixed_size 0
		.amdhsa_private_segment_fixed_size 0
		.amdhsa_kernarg_size 40
		.amdhsa_user_sgpr_count 6
		.amdhsa_user_sgpr_private_segment_buffer 1
		.amdhsa_user_sgpr_dispatch_ptr 0
		.amdhsa_user_sgpr_queue_ptr 0
		.amdhsa_user_sgpr_kernarg_segment_ptr 1
		.amdhsa_user_sgpr_dispatch_id 0
		.amdhsa_user_sgpr_flat_scratch_init 0
		.amdhsa_user_sgpr_kernarg_preload_length 0
		.amdhsa_user_sgpr_kernarg_preload_offset 0
		.amdhsa_user_sgpr_private_segment_size 0
		.amdhsa_uses_dynamic_stack 0
		.amdhsa_system_sgpr_private_segment_wavefront_offset 0
		.amdhsa_system_sgpr_workgroup_id_x 1
		.amdhsa_system_sgpr_workgroup_id_y 0
		.amdhsa_system_sgpr_workgroup_id_z 0
		.amdhsa_system_sgpr_workgroup_info 0
		.amdhsa_system_vgpr_workitem_id 0
		.amdhsa_next_free_vgpr 1
		.amdhsa_next_free_sgpr 0
		.amdhsa_accum_offset 4
		.amdhsa_reserve_vcc 0
		.amdhsa_reserve_flat_scratch 0
		.amdhsa_float_round_mode_32 0
		.amdhsa_float_round_mode_16_64 0
		.amdhsa_float_denorm_mode_32 3
		.amdhsa_float_denorm_mode_16_64 3
		.amdhsa_dx10_clamp 1
		.amdhsa_ieee_mode 1
		.amdhsa_fp16_overflow 0
		.amdhsa_tg_split 0
		.amdhsa_exception_fp_ieee_invalid_op 0
		.amdhsa_exception_fp_denorm_src 0
		.amdhsa_exception_fp_ieee_div_zero 0
		.amdhsa_exception_fp_ieee_overflow 0
		.amdhsa_exception_fp_ieee_underflow 0
		.amdhsa_exception_fp_ieee_inexact 0
		.amdhsa_exception_int_div_zero 0
	.end_amdhsa_kernel
	.section	.text._ZN7rocprim17ROCPRIM_400000_NS6detail17trampoline_kernelINS0_14default_configENS1_20scan_config_selectorIN3c107complexIfEEEEZZNS1_9scan_implILNS1_25lookback_scan_determinismE0ELb0ELb0ES3_PKS7_PS7_S7_ZZZN2at6native31launch_logcumsumexp_cuda_kernelERKNSE_10TensorBaseESI_lENKUlvE_clEvENKUlvE2_clEvEUlS7_S7_E_S7_EEDaPvRmT3_T4_T5_mT6_P12ihipStream_tbENKUlT_T0_E_clISt17integral_constantIbLb1EESZ_EEDaSU_SV_EUlSU_E0_NS1_11comp_targetILNS1_3genE2ELNS1_11target_archE906ELNS1_3gpuE6ELNS1_3repE0EEENS1_30default_config_static_selectorELNS0_4arch9wavefront6targetE1EEEvT1_,"axG",@progbits,_ZN7rocprim17ROCPRIM_400000_NS6detail17trampoline_kernelINS0_14default_configENS1_20scan_config_selectorIN3c107complexIfEEEEZZNS1_9scan_implILNS1_25lookback_scan_determinismE0ELb0ELb0ES3_PKS7_PS7_S7_ZZZN2at6native31launch_logcumsumexp_cuda_kernelERKNSE_10TensorBaseESI_lENKUlvE_clEvENKUlvE2_clEvEUlS7_S7_E_S7_EEDaPvRmT3_T4_T5_mT6_P12ihipStream_tbENKUlT_T0_E_clISt17integral_constantIbLb1EESZ_EEDaSU_SV_EUlSU_E0_NS1_11comp_targetILNS1_3genE2ELNS1_11target_archE906ELNS1_3gpuE6ELNS1_3repE0EEENS1_30default_config_static_selectorELNS0_4arch9wavefront6targetE1EEEvT1_,comdat
.Lfunc_end304:
	.size	_ZN7rocprim17ROCPRIM_400000_NS6detail17trampoline_kernelINS0_14default_configENS1_20scan_config_selectorIN3c107complexIfEEEEZZNS1_9scan_implILNS1_25lookback_scan_determinismE0ELb0ELb0ES3_PKS7_PS7_S7_ZZZN2at6native31launch_logcumsumexp_cuda_kernelERKNSE_10TensorBaseESI_lENKUlvE_clEvENKUlvE2_clEvEUlS7_S7_E_S7_EEDaPvRmT3_T4_T5_mT6_P12ihipStream_tbENKUlT_T0_E_clISt17integral_constantIbLb1EESZ_EEDaSU_SV_EUlSU_E0_NS1_11comp_targetILNS1_3genE2ELNS1_11target_archE906ELNS1_3gpuE6ELNS1_3repE0EEENS1_30default_config_static_selectorELNS0_4arch9wavefront6targetE1EEEvT1_, .Lfunc_end304-_ZN7rocprim17ROCPRIM_400000_NS6detail17trampoline_kernelINS0_14default_configENS1_20scan_config_selectorIN3c107complexIfEEEEZZNS1_9scan_implILNS1_25lookback_scan_determinismE0ELb0ELb0ES3_PKS7_PS7_S7_ZZZN2at6native31launch_logcumsumexp_cuda_kernelERKNSE_10TensorBaseESI_lENKUlvE_clEvENKUlvE2_clEvEUlS7_S7_E_S7_EEDaPvRmT3_T4_T5_mT6_P12ihipStream_tbENKUlT_T0_E_clISt17integral_constantIbLb1EESZ_EEDaSU_SV_EUlSU_E0_NS1_11comp_targetILNS1_3genE2ELNS1_11target_archE906ELNS1_3gpuE6ELNS1_3repE0EEENS1_30default_config_static_selectorELNS0_4arch9wavefront6targetE1EEEvT1_
                                        ; -- End function
	.section	.AMDGPU.csdata,"",@progbits
; Kernel info:
; codeLenInByte = 0
; NumSgprs: 4
; NumVgprs: 0
; NumAgprs: 0
; TotalNumVgprs: 0
; ScratchSize: 0
; MemoryBound: 0
; FloatMode: 240
; IeeeMode: 1
; LDSByteSize: 0 bytes/workgroup (compile time only)
; SGPRBlocks: 0
; VGPRBlocks: 0
; NumSGPRsForWavesPerEU: 4
; NumVGPRsForWavesPerEU: 1
; AccumOffset: 4
; Occupancy: 8
; WaveLimiterHint : 0
; COMPUTE_PGM_RSRC2:SCRATCH_EN: 0
; COMPUTE_PGM_RSRC2:USER_SGPR: 6
; COMPUTE_PGM_RSRC2:TRAP_HANDLER: 0
; COMPUTE_PGM_RSRC2:TGID_X_EN: 1
; COMPUTE_PGM_RSRC2:TGID_Y_EN: 0
; COMPUTE_PGM_RSRC2:TGID_Z_EN: 0
; COMPUTE_PGM_RSRC2:TIDIG_COMP_CNT: 0
; COMPUTE_PGM_RSRC3_GFX90A:ACCUM_OFFSET: 0
; COMPUTE_PGM_RSRC3_GFX90A:TG_SPLIT: 0
	.section	.text._ZN7rocprim17ROCPRIM_400000_NS6detail17trampoline_kernelINS0_14default_configENS1_20scan_config_selectorIN3c107complexIfEEEEZZNS1_9scan_implILNS1_25lookback_scan_determinismE0ELb0ELb0ES3_PKS7_PS7_S7_ZZZN2at6native31launch_logcumsumexp_cuda_kernelERKNSE_10TensorBaseESI_lENKUlvE_clEvENKUlvE2_clEvEUlS7_S7_E_S7_EEDaPvRmT3_T4_T5_mT6_P12ihipStream_tbENKUlT_T0_E_clISt17integral_constantIbLb1EESZ_EEDaSU_SV_EUlSU_E0_NS1_11comp_targetILNS1_3genE10ELNS1_11target_archE1201ELNS1_3gpuE5ELNS1_3repE0EEENS1_30default_config_static_selectorELNS0_4arch9wavefront6targetE1EEEvT1_,"axG",@progbits,_ZN7rocprim17ROCPRIM_400000_NS6detail17trampoline_kernelINS0_14default_configENS1_20scan_config_selectorIN3c107complexIfEEEEZZNS1_9scan_implILNS1_25lookback_scan_determinismE0ELb0ELb0ES3_PKS7_PS7_S7_ZZZN2at6native31launch_logcumsumexp_cuda_kernelERKNSE_10TensorBaseESI_lENKUlvE_clEvENKUlvE2_clEvEUlS7_S7_E_S7_EEDaPvRmT3_T4_T5_mT6_P12ihipStream_tbENKUlT_T0_E_clISt17integral_constantIbLb1EESZ_EEDaSU_SV_EUlSU_E0_NS1_11comp_targetILNS1_3genE10ELNS1_11target_archE1201ELNS1_3gpuE5ELNS1_3repE0EEENS1_30default_config_static_selectorELNS0_4arch9wavefront6targetE1EEEvT1_,comdat
	.globl	_ZN7rocprim17ROCPRIM_400000_NS6detail17trampoline_kernelINS0_14default_configENS1_20scan_config_selectorIN3c107complexIfEEEEZZNS1_9scan_implILNS1_25lookback_scan_determinismE0ELb0ELb0ES3_PKS7_PS7_S7_ZZZN2at6native31launch_logcumsumexp_cuda_kernelERKNSE_10TensorBaseESI_lENKUlvE_clEvENKUlvE2_clEvEUlS7_S7_E_S7_EEDaPvRmT3_T4_T5_mT6_P12ihipStream_tbENKUlT_T0_E_clISt17integral_constantIbLb1EESZ_EEDaSU_SV_EUlSU_E0_NS1_11comp_targetILNS1_3genE10ELNS1_11target_archE1201ELNS1_3gpuE5ELNS1_3repE0EEENS1_30default_config_static_selectorELNS0_4arch9wavefront6targetE1EEEvT1_ ; -- Begin function _ZN7rocprim17ROCPRIM_400000_NS6detail17trampoline_kernelINS0_14default_configENS1_20scan_config_selectorIN3c107complexIfEEEEZZNS1_9scan_implILNS1_25lookback_scan_determinismE0ELb0ELb0ES3_PKS7_PS7_S7_ZZZN2at6native31launch_logcumsumexp_cuda_kernelERKNSE_10TensorBaseESI_lENKUlvE_clEvENKUlvE2_clEvEUlS7_S7_E_S7_EEDaPvRmT3_T4_T5_mT6_P12ihipStream_tbENKUlT_T0_E_clISt17integral_constantIbLb1EESZ_EEDaSU_SV_EUlSU_E0_NS1_11comp_targetILNS1_3genE10ELNS1_11target_archE1201ELNS1_3gpuE5ELNS1_3repE0EEENS1_30default_config_static_selectorELNS0_4arch9wavefront6targetE1EEEvT1_
	.p2align	8
	.type	_ZN7rocprim17ROCPRIM_400000_NS6detail17trampoline_kernelINS0_14default_configENS1_20scan_config_selectorIN3c107complexIfEEEEZZNS1_9scan_implILNS1_25lookback_scan_determinismE0ELb0ELb0ES3_PKS7_PS7_S7_ZZZN2at6native31launch_logcumsumexp_cuda_kernelERKNSE_10TensorBaseESI_lENKUlvE_clEvENKUlvE2_clEvEUlS7_S7_E_S7_EEDaPvRmT3_T4_T5_mT6_P12ihipStream_tbENKUlT_T0_E_clISt17integral_constantIbLb1EESZ_EEDaSU_SV_EUlSU_E0_NS1_11comp_targetILNS1_3genE10ELNS1_11target_archE1201ELNS1_3gpuE5ELNS1_3repE0EEENS1_30default_config_static_selectorELNS0_4arch9wavefront6targetE1EEEvT1_,@function
_ZN7rocprim17ROCPRIM_400000_NS6detail17trampoline_kernelINS0_14default_configENS1_20scan_config_selectorIN3c107complexIfEEEEZZNS1_9scan_implILNS1_25lookback_scan_determinismE0ELb0ELb0ES3_PKS7_PS7_S7_ZZZN2at6native31launch_logcumsumexp_cuda_kernelERKNSE_10TensorBaseESI_lENKUlvE_clEvENKUlvE2_clEvEUlS7_S7_E_S7_EEDaPvRmT3_T4_T5_mT6_P12ihipStream_tbENKUlT_T0_E_clISt17integral_constantIbLb1EESZ_EEDaSU_SV_EUlSU_E0_NS1_11comp_targetILNS1_3genE10ELNS1_11target_archE1201ELNS1_3gpuE5ELNS1_3repE0EEENS1_30default_config_static_selectorELNS0_4arch9wavefront6targetE1EEEvT1_: ; @_ZN7rocprim17ROCPRIM_400000_NS6detail17trampoline_kernelINS0_14default_configENS1_20scan_config_selectorIN3c107complexIfEEEEZZNS1_9scan_implILNS1_25lookback_scan_determinismE0ELb0ELb0ES3_PKS7_PS7_S7_ZZZN2at6native31launch_logcumsumexp_cuda_kernelERKNSE_10TensorBaseESI_lENKUlvE_clEvENKUlvE2_clEvEUlS7_S7_E_S7_EEDaPvRmT3_T4_T5_mT6_P12ihipStream_tbENKUlT_T0_E_clISt17integral_constantIbLb1EESZ_EEDaSU_SV_EUlSU_E0_NS1_11comp_targetILNS1_3genE10ELNS1_11target_archE1201ELNS1_3gpuE5ELNS1_3repE0EEENS1_30default_config_static_selectorELNS0_4arch9wavefront6targetE1EEEvT1_
; %bb.0:
	.section	.rodata,"a",@progbits
	.p2align	6, 0x0
	.amdhsa_kernel _ZN7rocprim17ROCPRIM_400000_NS6detail17trampoline_kernelINS0_14default_configENS1_20scan_config_selectorIN3c107complexIfEEEEZZNS1_9scan_implILNS1_25lookback_scan_determinismE0ELb0ELb0ES3_PKS7_PS7_S7_ZZZN2at6native31launch_logcumsumexp_cuda_kernelERKNSE_10TensorBaseESI_lENKUlvE_clEvENKUlvE2_clEvEUlS7_S7_E_S7_EEDaPvRmT3_T4_T5_mT6_P12ihipStream_tbENKUlT_T0_E_clISt17integral_constantIbLb1EESZ_EEDaSU_SV_EUlSU_E0_NS1_11comp_targetILNS1_3genE10ELNS1_11target_archE1201ELNS1_3gpuE5ELNS1_3repE0EEENS1_30default_config_static_selectorELNS0_4arch9wavefront6targetE1EEEvT1_
		.amdhsa_group_segment_fixed_size 0
		.amdhsa_private_segment_fixed_size 0
		.amdhsa_kernarg_size 40
		.amdhsa_user_sgpr_count 6
		.amdhsa_user_sgpr_private_segment_buffer 1
		.amdhsa_user_sgpr_dispatch_ptr 0
		.amdhsa_user_sgpr_queue_ptr 0
		.amdhsa_user_sgpr_kernarg_segment_ptr 1
		.amdhsa_user_sgpr_dispatch_id 0
		.amdhsa_user_sgpr_flat_scratch_init 0
		.amdhsa_user_sgpr_kernarg_preload_length 0
		.amdhsa_user_sgpr_kernarg_preload_offset 0
		.amdhsa_user_sgpr_private_segment_size 0
		.amdhsa_uses_dynamic_stack 0
		.amdhsa_system_sgpr_private_segment_wavefront_offset 0
		.amdhsa_system_sgpr_workgroup_id_x 1
		.amdhsa_system_sgpr_workgroup_id_y 0
		.amdhsa_system_sgpr_workgroup_id_z 0
		.amdhsa_system_sgpr_workgroup_info 0
		.amdhsa_system_vgpr_workitem_id 0
		.amdhsa_next_free_vgpr 1
		.amdhsa_next_free_sgpr 0
		.amdhsa_accum_offset 4
		.amdhsa_reserve_vcc 0
		.amdhsa_reserve_flat_scratch 0
		.amdhsa_float_round_mode_32 0
		.amdhsa_float_round_mode_16_64 0
		.amdhsa_float_denorm_mode_32 3
		.amdhsa_float_denorm_mode_16_64 3
		.amdhsa_dx10_clamp 1
		.amdhsa_ieee_mode 1
		.amdhsa_fp16_overflow 0
		.amdhsa_tg_split 0
		.amdhsa_exception_fp_ieee_invalid_op 0
		.amdhsa_exception_fp_denorm_src 0
		.amdhsa_exception_fp_ieee_div_zero 0
		.amdhsa_exception_fp_ieee_overflow 0
		.amdhsa_exception_fp_ieee_underflow 0
		.amdhsa_exception_fp_ieee_inexact 0
		.amdhsa_exception_int_div_zero 0
	.end_amdhsa_kernel
	.section	.text._ZN7rocprim17ROCPRIM_400000_NS6detail17trampoline_kernelINS0_14default_configENS1_20scan_config_selectorIN3c107complexIfEEEEZZNS1_9scan_implILNS1_25lookback_scan_determinismE0ELb0ELb0ES3_PKS7_PS7_S7_ZZZN2at6native31launch_logcumsumexp_cuda_kernelERKNSE_10TensorBaseESI_lENKUlvE_clEvENKUlvE2_clEvEUlS7_S7_E_S7_EEDaPvRmT3_T4_T5_mT6_P12ihipStream_tbENKUlT_T0_E_clISt17integral_constantIbLb1EESZ_EEDaSU_SV_EUlSU_E0_NS1_11comp_targetILNS1_3genE10ELNS1_11target_archE1201ELNS1_3gpuE5ELNS1_3repE0EEENS1_30default_config_static_selectorELNS0_4arch9wavefront6targetE1EEEvT1_,"axG",@progbits,_ZN7rocprim17ROCPRIM_400000_NS6detail17trampoline_kernelINS0_14default_configENS1_20scan_config_selectorIN3c107complexIfEEEEZZNS1_9scan_implILNS1_25lookback_scan_determinismE0ELb0ELb0ES3_PKS7_PS7_S7_ZZZN2at6native31launch_logcumsumexp_cuda_kernelERKNSE_10TensorBaseESI_lENKUlvE_clEvENKUlvE2_clEvEUlS7_S7_E_S7_EEDaPvRmT3_T4_T5_mT6_P12ihipStream_tbENKUlT_T0_E_clISt17integral_constantIbLb1EESZ_EEDaSU_SV_EUlSU_E0_NS1_11comp_targetILNS1_3genE10ELNS1_11target_archE1201ELNS1_3gpuE5ELNS1_3repE0EEENS1_30default_config_static_selectorELNS0_4arch9wavefront6targetE1EEEvT1_,comdat
.Lfunc_end305:
	.size	_ZN7rocprim17ROCPRIM_400000_NS6detail17trampoline_kernelINS0_14default_configENS1_20scan_config_selectorIN3c107complexIfEEEEZZNS1_9scan_implILNS1_25lookback_scan_determinismE0ELb0ELb0ES3_PKS7_PS7_S7_ZZZN2at6native31launch_logcumsumexp_cuda_kernelERKNSE_10TensorBaseESI_lENKUlvE_clEvENKUlvE2_clEvEUlS7_S7_E_S7_EEDaPvRmT3_T4_T5_mT6_P12ihipStream_tbENKUlT_T0_E_clISt17integral_constantIbLb1EESZ_EEDaSU_SV_EUlSU_E0_NS1_11comp_targetILNS1_3genE10ELNS1_11target_archE1201ELNS1_3gpuE5ELNS1_3repE0EEENS1_30default_config_static_selectorELNS0_4arch9wavefront6targetE1EEEvT1_, .Lfunc_end305-_ZN7rocprim17ROCPRIM_400000_NS6detail17trampoline_kernelINS0_14default_configENS1_20scan_config_selectorIN3c107complexIfEEEEZZNS1_9scan_implILNS1_25lookback_scan_determinismE0ELb0ELb0ES3_PKS7_PS7_S7_ZZZN2at6native31launch_logcumsumexp_cuda_kernelERKNSE_10TensorBaseESI_lENKUlvE_clEvENKUlvE2_clEvEUlS7_S7_E_S7_EEDaPvRmT3_T4_T5_mT6_P12ihipStream_tbENKUlT_T0_E_clISt17integral_constantIbLb1EESZ_EEDaSU_SV_EUlSU_E0_NS1_11comp_targetILNS1_3genE10ELNS1_11target_archE1201ELNS1_3gpuE5ELNS1_3repE0EEENS1_30default_config_static_selectorELNS0_4arch9wavefront6targetE1EEEvT1_
                                        ; -- End function
	.section	.AMDGPU.csdata,"",@progbits
; Kernel info:
; codeLenInByte = 0
; NumSgprs: 4
; NumVgprs: 0
; NumAgprs: 0
; TotalNumVgprs: 0
; ScratchSize: 0
; MemoryBound: 0
; FloatMode: 240
; IeeeMode: 1
; LDSByteSize: 0 bytes/workgroup (compile time only)
; SGPRBlocks: 0
; VGPRBlocks: 0
; NumSGPRsForWavesPerEU: 4
; NumVGPRsForWavesPerEU: 1
; AccumOffset: 4
; Occupancy: 8
; WaveLimiterHint : 0
; COMPUTE_PGM_RSRC2:SCRATCH_EN: 0
; COMPUTE_PGM_RSRC2:USER_SGPR: 6
; COMPUTE_PGM_RSRC2:TRAP_HANDLER: 0
; COMPUTE_PGM_RSRC2:TGID_X_EN: 1
; COMPUTE_PGM_RSRC2:TGID_Y_EN: 0
; COMPUTE_PGM_RSRC2:TGID_Z_EN: 0
; COMPUTE_PGM_RSRC2:TIDIG_COMP_CNT: 0
; COMPUTE_PGM_RSRC3_GFX90A:ACCUM_OFFSET: 0
; COMPUTE_PGM_RSRC3_GFX90A:TG_SPLIT: 0
	.section	.text._ZN7rocprim17ROCPRIM_400000_NS6detail17trampoline_kernelINS0_14default_configENS1_20scan_config_selectorIN3c107complexIfEEEEZZNS1_9scan_implILNS1_25lookback_scan_determinismE0ELb0ELb0ES3_PKS7_PS7_S7_ZZZN2at6native31launch_logcumsumexp_cuda_kernelERKNSE_10TensorBaseESI_lENKUlvE_clEvENKUlvE2_clEvEUlS7_S7_E_S7_EEDaPvRmT3_T4_T5_mT6_P12ihipStream_tbENKUlT_T0_E_clISt17integral_constantIbLb1EESZ_EEDaSU_SV_EUlSU_E0_NS1_11comp_targetILNS1_3genE10ELNS1_11target_archE1200ELNS1_3gpuE4ELNS1_3repE0EEENS1_30default_config_static_selectorELNS0_4arch9wavefront6targetE1EEEvT1_,"axG",@progbits,_ZN7rocprim17ROCPRIM_400000_NS6detail17trampoline_kernelINS0_14default_configENS1_20scan_config_selectorIN3c107complexIfEEEEZZNS1_9scan_implILNS1_25lookback_scan_determinismE0ELb0ELb0ES3_PKS7_PS7_S7_ZZZN2at6native31launch_logcumsumexp_cuda_kernelERKNSE_10TensorBaseESI_lENKUlvE_clEvENKUlvE2_clEvEUlS7_S7_E_S7_EEDaPvRmT3_T4_T5_mT6_P12ihipStream_tbENKUlT_T0_E_clISt17integral_constantIbLb1EESZ_EEDaSU_SV_EUlSU_E0_NS1_11comp_targetILNS1_3genE10ELNS1_11target_archE1200ELNS1_3gpuE4ELNS1_3repE0EEENS1_30default_config_static_selectorELNS0_4arch9wavefront6targetE1EEEvT1_,comdat
	.globl	_ZN7rocprim17ROCPRIM_400000_NS6detail17trampoline_kernelINS0_14default_configENS1_20scan_config_selectorIN3c107complexIfEEEEZZNS1_9scan_implILNS1_25lookback_scan_determinismE0ELb0ELb0ES3_PKS7_PS7_S7_ZZZN2at6native31launch_logcumsumexp_cuda_kernelERKNSE_10TensorBaseESI_lENKUlvE_clEvENKUlvE2_clEvEUlS7_S7_E_S7_EEDaPvRmT3_T4_T5_mT6_P12ihipStream_tbENKUlT_T0_E_clISt17integral_constantIbLb1EESZ_EEDaSU_SV_EUlSU_E0_NS1_11comp_targetILNS1_3genE10ELNS1_11target_archE1200ELNS1_3gpuE4ELNS1_3repE0EEENS1_30default_config_static_selectorELNS0_4arch9wavefront6targetE1EEEvT1_ ; -- Begin function _ZN7rocprim17ROCPRIM_400000_NS6detail17trampoline_kernelINS0_14default_configENS1_20scan_config_selectorIN3c107complexIfEEEEZZNS1_9scan_implILNS1_25lookback_scan_determinismE0ELb0ELb0ES3_PKS7_PS7_S7_ZZZN2at6native31launch_logcumsumexp_cuda_kernelERKNSE_10TensorBaseESI_lENKUlvE_clEvENKUlvE2_clEvEUlS7_S7_E_S7_EEDaPvRmT3_T4_T5_mT6_P12ihipStream_tbENKUlT_T0_E_clISt17integral_constantIbLb1EESZ_EEDaSU_SV_EUlSU_E0_NS1_11comp_targetILNS1_3genE10ELNS1_11target_archE1200ELNS1_3gpuE4ELNS1_3repE0EEENS1_30default_config_static_selectorELNS0_4arch9wavefront6targetE1EEEvT1_
	.p2align	8
	.type	_ZN7rocprim17ROCPRIM_400000_NS6detail17trampoline_kernelINS0_14default_configENS1_20scan_config_selectorIN3c107complexIfEEEEZZNS1_9scan_implILNS1_25lookback_scan_determinismE0ELb0ELb0ES3_PKS7_PS7_S7_ZZZN2at6native31launch_logcumsumexp_cuda_kernelERKNSE_10TensorBaseESI_lENKUlvE_clEvENKUlvE2_clEvEUlS7_S7_E_S7_EEDaPvRmT3_T4_T5_mT6_P12ihipStream_tbENKUlT_T0_E_clISt17integral_constantIbLb1EESZ_EEDaSU_SV_EUlSU_E0_NS1_11comp_targetILNS1_3genE10ELNS1_11target_archE1200ELNS1_3gpuE4ELNS1_3repE0EEENS1_30default_config_static_selectorELNS0_4arch9wavefront6targetE1EEEvT1_,@function
_ZN7rocprim17ROCPRIM_400000_NS6detail17trampoline_kernelINS0_14default_configENS1_20scan_config_selectorIN3c107complexIfEEEEZZNS1_9scan_implILNS1_25lookback_scan_determinismE0ELb0ELb0ES3_PKS7_PS7_S7_ZZZN2at6native31launch_logcumsumexp_cuda_kernelERKNSE_10TensorBaseESI_lENKUlvE_clEvENKUlvE2_clEvEUlS7_S7_E_S7_EEDaPvRmT3_T4_T5_mT6_P12ihipStream_tbENKUlT_T0_E_clISt17integral_constantIbLb1EESZ_EEDaSU_SV_EUlSU_E0_NS1_11comp_targetILNS1_3genE10ELNS1_11target_archE1200ELNS1_3gpuE4ELNS1_3repE0EEENS1_30default_config_static_selectorELNS0_4arch9wavefront6targetE1EEEvT1_: ; @_ZN7rocprim17ROCPRIM_400000_NS6detail17trampoline_kernelINS0_14default_configENS1_20scan_config_selectorIN3c107complexIfEEEEZZNS1_9scan_implILNS1_25lookback_scan_determinismE0ELb0ELb0ES3_PKS7_PS7_S7_ZZZN2at6native31launch_logcumsumexp_cuda_kernelERKNSE_10TensorBaseESI_lENKUlvE_clEvENKUlvE2_clEvEUlS7_S7_E_S7_EEDaPvRmT3_T4_T5_mT6_P12ihipStream_tbENKUlT_T0_E_clISt17integral_constantIbLb1EESZ_EEDaSU_SV_EUlSU_E0_NS1_11comp_targetILNS1_3genE10ELNS1_11target_archE1200ELNS1_3gpuE4ELNS1_3repE0EEENS1_30default_config_static_selectorELNS0_4arch9wavefront6targetE1EEEvT1_
; %bb.0:
	.section	.rodata,"a",@progbits
	.p2align	6, 0x0
	.amdhsa_kernel _ZN7rocprim17ROCPRIM_400000_NS6detail17trampoline_kernelINS0_14default_configENS1_20scan_config_selectorIN3c107complexIfEEEEZZNS1_9scan_implILNS1_25lookback_scan_determinismE0ELb0ELb0ES3_PKS7_PS7_S7_ZZZN2at6native31launch_logcumsumexp_cuda_kernelERKNSE_10TensorBaseESI_lENKUlvE_clEvENKUlvE2_clEvEUlS7_S7_E_S7_EEDaPvRmT3_T4_T5_mT6_P12ihipStream_tbENKUlT_T0_E_clISt17integral_constantIbLb1EESZ_EEDaSU_SV_EUlSU_E0_NS1_11comp_targetILNS1_3genE10ELNS1_11target_archE1200ELNS1_3gpuE4ELNS1_3repE0EEENS1_30default_config_static_selectorELNS0_4arch9wavefront6targetE1EEEvT1_
		.amdhsa_group_segment_fixed_size 0
		.amdhsa_private_segment_fixed_size 0
		.amdhsa_kernarg_size 40
		.amdhsa_user_sgpr_count 6
		.amdhsa_user_sgpr_private_segment_buffer 1
		.amdhsa_user_sgpr_dispatch_ptr 0
		.amdhsa_user_sgpr_queue_ptr 0
		.amdhsa_user_sgpr_kernarg_segment_ptr 1
		.amdhsa_user_sgpr_dispatch_id 0
		.amdhsa_user_sgpr_flat_scratch_init 0
		.amdhsa_user_sgpr_kernarg_preload_length 0
		.amdhsa_user_sgpr_kernarg_preload_offset 0
		.amdhsa_user_sgpr_private_segment_size 0
		.amdhsa_uses_dynamic_stack 0
		.amdhsa_system_sgpr_private_segment_wavefront_offset 0
		.amdhsa_system_sgpr_workgroup_id_x 1
		.amdhsa_system_sgpr_workgroup_id_y 0
		.amdhsa_system_sgpr_workgroup_id_z 0
		.amdhsa_system_sgpr_workgroup_info 0
		.amdhsa_system_vgpr_workitem_id 0
		.amdhsa_next_free_vgpr 1
		.amdhsa_next_free_sgpr 0
		.amdhsa_accum_offset 4
		.amdhsa_reserve_vcc 0
		.amdhsa_reserve_flat_scratch 0
		.amdhsa_float_round_mode_32 0
		.amdhsa_float_round_mode_16_64 0
		.amdhsa_float_denorm_mode_32 3
		.amdhsa_float_denorm_mode_16_64 3
		.amdhsa_dx10_clamp 1
		.amdhsa_ieee_mode 1
		.amdhsa_fp16_overflow 0
		.amdhsa_tg_split 0
		.amdhsa_exception_fp_ieee_invalid_op 0
		.amdhsa_exception_fp_denorm_src 0
		.amdhsa_exception_fp_ieee_div_zero 0
		.amdhsa_exception_fp_ieee_overflow 0
		.amdhsa_exception_fp_ieee_underflow 0
		.amdhsa_exception_fp_ieee_inexact 0
		.amdhsa_exception_int_div_zero 0
	.end_amdhsa_kernel
	.section	.text._ZN7rocprim17ROCPRIM_400000_NS6detail17trampoline_kernelINS0_14default_configENS1_20scan_config_selectorIN3c107complexIfEEEEZZNS1_9scan_implILNS1_25lookback_scan_determinismE0ELb0ELb0ES3_PKS7_PS7_S7_ZZZN2at6native31launch_logcumsumexp_cuda_kernelERKNSE_10TensorBaseESI_lENKUlvE_clEvENKUlvE2_clEvEUlS7_S7_E_S7_EEDaPvRmT3_T4_T5_mT6_P12ihipStream_tbENKUlT_T0_E_clISt17integral_constantIbLb1EESZ_EEDaSU_SV_EUlSU_E0_NS1_11comp_targetILNS1_3genE10ELNS1_11target_archE1200ELNS1_3gpuE4ELNS1_3repE0EEENS1_30default_config_static_selectorELNS0_4arch9wavefront6targetE1EEEvT1_,"axG",@progbits,_ZN7rocprim17ROCPRIM_400000_NS6detail17trampoline_kernelINS0_14default_configENS1_20scan_config_selectorIN3c107complexIfEEEEZZNS1_9scan_implILNS1_25lookback_scan_determinismE0ELb0ELb0ES3_PKS7_PS7_S7_ZZZN2at6native31launch_logcumsumexp_cuda_kernelERKNSE_10TensorBaseESI_lENKUlvE_clEvENKUlvE2_clEvEUlS7_S7_E_S7_EEDaPvRmT3_T4_T5_mT6_P12ihipStream_tbENKUlT_T0_E_clISt17integral_constantIbLb1EESZ_EEDaSU_SV_EUlSU_E0_NS1_11comp_targetILNS1_3genE10ELNS1_11target_archE1200ELNS1_3gpuE4ELNS1_3repE0EEENS1_30default_config_static_selectorELNS0_4arch9wavefront6targetE1EEEvT1_,comdat
.Lfunc_end306:
	.size	_ZN7rocprim17ROCPRIM_400000_NS6detail17trampoline_kernelINS0_14default_configENS1_20scan_config_selectorIN3c107complexIfEEEEZZNS1_9scan_implILNS1_25lookback_scan_determinismE0ELb0ELb0ES3_PKS7_PS7_S7_ZZZN2at6native31launch_logcumsumexp_cuda_kernelERKNSE_10TensorBaseESI_lENKUlvE_clEvENKUlvE2_clEvEUlS7_S7_E_S7_EEDaPvRmT3_T4_T5_mT6_P12ihipStream_tbENKUlT_T0_E_clISt17integral_constantIbLb1EESZ_EEDaSU_SV_EUlSU_E0_NS1_11comp_targetILNS1_3genE10ELNS1_11target_archE1200ELNS1_3gpuE4ELNS1_3repE0EEENS1_30default_config_static_selectorELNS0_4arch9wavefront6targetE1EEEvT1_, .Lfunc_end306-_ZN7rocprim17ROCPRIM_400000_NS6detail17trampoline_kernelINS0_14default_configENS1_20scan_config_selectorIN3c107complexIfEEEEZZNS1_9scan_implILNS1_25lookback_scan_determinismE0ELb0ELb0ES3_PKS7_PS7_S7_ZZZN2at6native31launch_logcumsumexp_cuda_kernelERKNSE_10TensorBaseESI_lENKUlvE_clEvENKUlvE2_clEvEUlS7_S7_E_S7_EEDaPvRmT3_T4_T5_mT6_P12ihipStream_tbENKUlT_T0_E_clISt17integral_constantIbLb1EESZ_EEDaSU_SV_EUlSU_E0_NS1_11comp_targetILNS1_3genE10ELNS1_11target_archE1200ELNS1_3gpuE4ELNS1_3repE0EEENS1_30default_config_static_selectorELNS0_4arch9wavefront6targetE1EEEvT1_
                                        ; -- End function
	.section	.AMDGPU.csdata,"",@progbits
; Kernel info:
; codeLenInByte = 0
; NumSgprs: 4
; NumVgprs: 0
; NumAgprs: 0
; TotalNumVgprs: 0
; ScratchSize: 0
; MemoryBound: 0
; FloatMode: 240
; IeeeMode: 1
; LDSByteSize: 0 bytes/workgroup (compile time only)
; SGPRBlocks: 0
; VGPRBlocks: 0
; NumSGPRsForWavesPerEU: 4
; NumVGPRsForWavesPerEU: 1
; AccumOffset: 4
; Occupancy: 8
; WaveLimiterHint : 0
; COMPUTE_PGM_RSRC2:SCRATCH_EN: 0
; COMPUTE_PGM_RSRC2:USER_SGPR: 6
; COMPUTE_PGM_RSRC2:TRAP_HANDLER: 0
; COMPUTE_PGM_RSRC2:TGID_X_EN: 1
; COMPUTE_PGM_RSRC2:TGID_Y_EN: 0
; COMPUTE_PGM_RSRC2:TGID_Z_EN: 0
; COMPUTE_PGM_RSRC2:TIDIG_COMP_CNT: 0
; COMPUTE_PGM_RSRC3_GFX90A:ACCUM_OFFSET: 0
; COMPUTE_PGM_RSRC3_GFX90A:TG_SPLIT: 0
	.section	.text._ZN7rocprim17ROCPRIM_400000_NS6detail17trampoline_kernelINS0_14default_configENS1_20scan_config_selectorIN3c107complexIfEEEEZZNS1_9scan_implILNS1_25lookback_scan_determinismE0ELb0ELb0ES3_PKS7_PS7_S7_ZZZN2at6native31launch_logcumsumexp_cuda_kernelERKNSE_10TensorBaseESI_lENKUlvE_clEvENKUlvE2_clEvEUlS7_S7_E_S7_EEDaPvRmT3_T4_T5_mT6_P12ihipStream_tbENKUlT_T0_E_clISt17integral_constantIbLb1EESZ_EEDaSU_SV_EUlSU_E0_NS1_11comp_targetILNS1_3genE9ELNS1_11target_archE1100ELNS1_3gpuE3ELNS1_3repE0EEENS1_30default_config_static_selectorELNS0_4arch9wavefront6targetE1EEEvT1_,"axG",@progbits,_ZN7rocprim17ROCPRIM_400000_NS6detail17trampoline_kernelINS0_14default_configENS1_20scan_config_selectorIN3c107complexIfEEEEZZNS1_9scan_implILNS1_25lookback_scan_determinismE0ELb0ELb0ES3_PKS7_PS7_S7_ZZZN2at6native31launch_logcumsumexp_cuda_kernelERKNSE_10TensorBaseESI_lENKUlvE_clEvENKUlvE2_clEvEUlS7_S7_E_S7_EEDaPvRmT3_T4_T5_mT6_P12ihipStream_tbENKUlT_T0_E_clISt17integral_constantIbLb1EESZ_EEDaSU_SV_EUlSU_E0_NS1_11comp_targetILNS1_3genE9ELNS1_11target_archE1100ELNS1_3gpuE3ELNS1_3repE0EEENS1_30default_config_static_selectorELNS0_4arch9wavefront6targetE1EEEvT1_,comdat
	.globl	_ZN7rocprim17ROCPRIM_400000_NS6detail17trampoline_kernelINS0_14default_configENS1_20scan_config_selectorIN3c107complexIfEEEEZZNS1_9scan_implILNS1_25lookback_scan_determinismE0ELb0ELb0ES3_PKS7_PS7_S7_ZZZN2at6native31launch_logcumsumexp_cuda_kernelERKNSE_10TensorBaseESI_lENKUlvE_clEvENKUlvE2_clEvEUlS7_S7_E_S7_EEDaPvRmT3_T4_T5_mT6_P12ihipStream_tbENKUlT_T0_E_clISt17integral_constantIbLb1EESZ_EEDaSU_SV_EUlSU_E0_NS1_11comp_targetILNS1_3genE9ELNS1_11target_archE1100ELNS1_3gpuE3ELNS1_3repE0EEENS1_30default_config_static_selectorELNS0_4arch9wavefront6targetE1EEEvT1_ ; -- Begin function _ZN7rocprim17ROCPRIM_400000_NS6detail17trampoline_kernelINS0_14default_configENS1_20scan_config_selectorIN3c107complexIfEEEEZZNS1_9scan_implILNS1_25lookback_scan_determinismE0ELb0ELb0ES3_PKS7_PS7_S7_ZZZN2at6native31launch_logcumsumexp_cuda_kernelERKNSE_10TensorBaseESI_lENKUlvE_clEvENKUlvE2_clEvEUlS7_S7_E_S7_EEDaPvRmT3_T4_T5_mT6_P12ihipStream_tbENKUlT_T0_E_clISt17integral_constantIbLb1EESZ_EEDaSU_SV_EUlSU_E0_NS1_11comp_targetILNS1_3genE9ELNS1_11target_archE1100ELNS1_3gpuE3ELNS1_3repE0EEENS1_30default_config_static_selectorELNS0_4arch9wavefront6targetE1EEEvT1_
	.p2align	8
	.type	_ZN7rocprim17ROCPRIM_400000_NS6detail17trampoline_kernelINS0_14default_configENS1_20scan_config_selectorIN3c107complexIfEEEEZZNS1_9scan_implILNS1_25lookback_scan_determinismE0ELb0ELb0ES3_PKS7_PS7_S7_ZZZN2at6native31launch_logcumsumexp_cuda_kernelERKNSE_10TensorBaseESI_lENKUlvE_clEvENKUlvE2_clEvEUlS7_S7_E_S7_EEDaPvRmT3_T4_T5_mT6_P12ihipStream_tbENKUlT_T0_E_clISt17integral_constantIbLb1EESZ_EEDaSU_SV_EUlSU_E0_NS1_11comp_targetILNS1_3genE9ELNS1_11target_archE1100ELNS1_3gpuE3ELNS1_3repE0EEENS1_30default_config_static_selectorELNS0_4arch9wavefront6targetE1EEEvT1_,@function
_ZN7rocprim17ROCPRIM_400000_NS6detail17trampoline_kernelINS0_14default_configENS1_20scan_config_selectorIN3c107complexIfEEEEZZNS1_9scan_implILNS1_25lookback_scan_determinismE0ELb0ELb0ES3_PKS7_PS7_S7_ZZZN2at6native31launch_logcumsumexp_cuda_kernelERKNSE_10TensorBaseESI_lENKUlvE_clEvENKUlvE2_clEvEUlS7_S7_E_S7_EEDaPvRmT3_T4_T5_mT6_P12ihipStream_tbENKUlT_T0_E_clISt17integral_constantIbLb1EESZ_EEDaSU_SV_EUlSU_E0_NS1_11comp_targetILNS1_3genE9ELNS1_11target_archE1100ELNS1_3gpuE3ELNS1_3repE0EEENS1_30default_config_static_selectorELNS0_4arch9wavefront6targetE1EEEvT1_: ; @_ZN7rocprim17ROCPRIM_400000_NS6detail17trampoline_kernelINS0_14default_configENS1_20scan_config_selectorIN3c107complexIfEEEEZZNS1_9scan_implILNS1_25lookback_scan_determinismE0ELb0ELb0ES3_PKS7_PS7_S7_ZZZN2at6native31launch_logcumsumexp_cuda_kernelERKNSE_10TensorBaseESI_lENKUlvE_clEvENKUlvE2_clEvEUlS7_S7_E_S7_EEDaPvRmT3_T4_T5_mT6_P12ihipStream_tbENKUlT_T0_E_clISt17integral_constantIbLb1EESZ_EEDaSU_SV_EUlSU_E0_NS1_11comp_targetILNS1_3genE9ELNS1_11target_archE1100ELNS1_3gpuE3ELNS1_3repE0EEENS1_30default_config_static_selectorELNS0_4arch9wavefront6targetE1EEEvT1_
; %bb.0:
	.section	.rodata,"a",@progbits
	.p2align	6, 0x0
	.amdhsa_kernel _ZN7rocprim17ROCPRIM_400000_NS6detail17trampoline_kernelINS0_14default_configENS1_20scan_config_selectorIN3c107complexIfEEEEZZNS1_9scan_implILNS1_25lookback_scan_determinismE0ELb0ELb0ES3_PKS7_PS7_S7_ZZZN2at6native31launch_logcumsumexp_cuda_kernelERKNSE_10TensorBaseESI_lENKUlvE_clEvENKUlvE2_clEvEUlS7_S7_E_S7_EEDaPvRmT3_T4_T5_mT6_P12ihipStream_tbENKUlT_T0_E_clISt17integral_constantIbLb1EESZ_EEDaSU_SV_EUlSU_E0_NS1_11comp_targetILNS1_3genE9ELNS1_11target_archE1100ELNS1_3gpuE3ELNS1_3repE0EEENS1_30default_config_static_selectorELNS0_4arch9wavefront6targetE1EEEvT1_
		.amdhsa_group_segment_fixed_size 0
		.amdhsa_private_segment_fixed_size 0
		.amdhsa_kernarg_size 40
		.amdhsa_user_sgpr_count 6
		.amdhsa_user_sgpr_private_segment_buffer 1
		.amdhsa_user_sgpr_dispatch_ptr 0
		.amdhsa_user_sgpr_queue_ptr 0
		.amdhsa_user_sgpr_kernarg_segment_ptr 1
		.amdhsa_user_sgpr_dispatch_id 0
		.amdhsa_user_sgpr_flat_scratch_init 0
		.amdhsa_user_sgpr_kernarg_preload_length 0
		.amdhsa_user_sgpr_kernarg_preload_offset 0
		.amdhsa_user_sgpr_private_segment_size 0
		.amdhsa_uses_dynamic_stack 0
		.amdhsa_system_sgpr_private_segment_wavefront_offset 0
		.amdhsa_system_sgpr_workgroup_id_x 1
		.amdhsa_system_sgpr_workgroup_id_y 0
		.amdhsa_system_sgpr_workgroup_id_z 0
		.amdhsa_system_sgpr_workgroup_info 0
		.amdhsa_system_vgpr_workitem_id 0
		.amdhsa_next_free_vgpr 1
		.amdhsa_next_free_sgpr 0
		.amdhsa_accum_offset 4
		.amdhsa_reserve_vcc 0
		.amdhsa_reserve_flat_scratch 0
		.amdhsa_float_round_mode_32 0
		.amdhsa_float_round_mode_16_64 0
		.amdhsa_float_denorm_mode_32 3
		.amdhsa_float_denorm_mode_16_64 3
		.amdhsa_dx10_clamp 1
		.amdhsa_ieee_mode 1
		.amdhsa_fp16_overflow 0
		.amdhsa_tg_split 0
		.amdhsa_exception_fp_ieee_invalid_op 0
		.amdhsa_exception_fp_denorm_src 0
		.amdhsa_exception_fp_ieee_div_zero 0
		.amdhsa_exception_fp_ieee_overflow 0
		.amdhsa_exception_fp_ieee_underflow 0
		.amdhsa_exception_fp_ieee_inexact 0
		.amdhsa_exception_int_div_zero 0
	.end_amdhsa_kernel
	.section	.text._ZN7rocprim17ROCPRIM_400000_NS6detail17trampoline_kernelINS0_14default_configENS1_20scan_config_selectorIN3c107complexIfEEEEZZNS1_9scan_implILNS1_25lookback_scan_determinismE0ELb0ELb0ES3_PKS7_PS7_S7_ZZZN2at6native31launch_logcumsumexp_cuda_kernelERKNSE_10TensorBaseESI_lENKUlvE_clEvENKUlvE2_clEvEUlS7_S7_E_S7_EEDaPvRmT3_T4_T5_mT6_P12ihipStream_tbENKUlT_T0_E_clISt17integral_constantIbLb1EESZ_EEDaSU_SV_EUlSU_E0_NS1_11comp_targetILNS1_3genE9ELNS1_11target_archE1100ELNS1_3gpuE3ELNS1_3repE0EEENS1_30default_config_static_selectorELNS0_4arch9wavefront6targetE1EEEvT1_,"axG",@progbits,_ZN7rocprim17ROCPRIM_400000_NS6detail17trampoline_kernelINS0_14default_configENS1_20scan_config_selectorIN3c107complexIfEEEEZZNS1_9scan_implILNS1_25lookback_scan_determinismE0ELb0ELb0ES3_PKS7_PS7_S7_ZZZN2at6native31launch_logcumsumexp_cuda_kernelERKNSE_10TensorBaseESI_lENKUlvE_clEvENKUlvE2_clEvEUlS7_S7_E_S7_EEDaPvRmT3_T4_T5_mT6_P12ihipStream_tbENKUlT_T0_E_clISt17integral_constantIbLb1EESZ_EEDaSU_SV_EUlSU_E0_NS1_11comp_targetILNS1_3genE9ELNS1_11target_archE1100ELNS1_3gpuE3ELNS1_3repE0EEENS1_30default_config_static_selectorELNS0_4arch9wavefront6targetE1EEEvT1_,comdat
.Lfunc_end307:
	.size	_ZN7rocprim17ROCPRIM_400000_NS6detail17trampoline_kernelINS0_14default_configENS1_20scan_config_selectorIN3c107complexIfEEEEZZNS1_9scan_implILNS1_25lookback_scan_determinismE0ELb0ELb0ES3_PKS7_PS7_S7_ZZZN2at6native31launch_logcumsumexp_cuda_kernelERKNSE_10TensorBaseESI_lENKUlvE_clEvENKUlvE2_clEvEUlS7_S7_E_S7_EEDaPvRmT3_T4_T5_mT6_P12ihipStream_tbENKUlT_T0_E_clISt17integral_constantIbLb1EESZ_EEDaSU_SV_EUlSU_E0_NS1_11comp_targetILNS1_3genE9ELNS1_11target_archE1100ELNS1_3gpuE3ELNS1_3repE0EEENS1_30default_config_static_selectorELNS0_4arch9wavefront6targetE1EEEvT1_, .Lfunc_end307-_ZN7rocprim17ROCPRIM_400000_NS6detail17trampoline_kernelINS0_14default_configENS1_20scan_config_selectorIN3c107complexIfEEEEZZNS1_9scan_implILNS1_25lookback_scan_determinismE0ELb0ELb0ES3_PKS7_PS7_S7_ZZZN2at6native31launch_logcumsumexp_cuda_kernelERKNSE_10TensorBaseESI_lENKUlvE_clEvENKUlvE2_clEvEUlS7_S7_E_S7_EEDaPvRmT3_T4_T5_mT6_P12ihipStream_tbENKUlT_T0_E_clISt17integral_constantIbLb1EESZ_EEDaSU_SV_EUlSU_E0_NS1_11comp_targetILNS1_3genE9ELNS1_11target_archE1100ELNS1_3gpuE3ELNS1_3repE0EEENS1_30default_config_static_selectorELNS0_4arch9wavefront6targetE1EEEvT1_
                                        ; -- End function
	.section	.AMDGPU.csdata,"",@progbits
; Kernel info:
; codeLenInByte = 0
; NumSgprs: 4
; NumVgprs: 0
; NumAgprs: 0
; TotalNumVgprs: 0
; ScratchSize: 0
; MemoryBound: 0
; FloatMode: 240
; IeeeMode: 1
; LDSByteSize: 0 bytes/workgroup (compile time only)
; SGPRBlocks: 0
; VGPRBlocks: 0
; NumSGPRsForWavesPerEU: 4
; NumVGPRsForWavesPerEU: 1
; AccumOffset: 4
; Occupancy: 8
; WaveLimiterHint : 0
; COMPUTE_PGM_RSRC2:SCRATCH_EN: 0
; COMPUTE_PGM_RSRC2:USER_SGPR: 6
; COMPUTE_PGM_RSRC2:TRAP_HANDLER: 0
; COMPUTE_PGM_RSRC2:TGID_X_EN: 1
; COMPUTE_PGM_RSRC2:TGID_Y_EN: 0
; COMPUTE_PGM_RSRC2:TGID_Z_EN: 0
; COMPUTE_PGM_RSRC2:TIDIG_COMP_CNT: 0
; COMPUTE_PGM_RSRC3_GFX90A:ACCUM_OFFSET: 0
; COMPUTE_PGM_RSRC3_GFX90A:TG_SPLIT: 0
	.section	.text._ZN7rocprim17ROCPRIM_400000_NS6detail17trampoline_kernelINS0_14default_configENS1_20scan_config_selectorIN3c107complexIfEEEEZZNS1_9scan_implILNS1_25lookback_scan_determinismE0ELb0ELb0ES3_PKS7_PS7_S7_ZZZN2at6native31launch_logcumsumexp_cuda_kernelERKNSE_10TensorBaseESI_lENKUlvE_clEvENKUlvE2_clEvEUlS7_S7_E_S7_EEDaPvRmT3_T4_T5_mT6_P12ihipStream_tbENKUlT_T0_E_clISt17integral_constantIbLb1EESZ_EEDaSU_SV_EUlSU_E0_NS1_11comp_targetILNS1_3genE8ELNS1_11target_archE1030ELNS1_3gpuE2ELNS1_3repE0EEENS1_30default_config_static_selectorELNS0_4arch9wavefront6targetE1EEEvT1_,"axG",@progbits,_ZN7rocprim17ROCPRIM_400000_NS6detail17trampoline_kernelINS0_14default_configENS1_20scan_config_selectorIN3c107complexIfEEEEZZNS1_9scan_implILNS1_25lookback_scan_determinismE0ELb0ELb0ES3_PKS7_PS7_S7_ZZZN2at6native31launch_logcumsumexp_cuda_kernelERKNSE_10TensorBaseESI_lENKUlvE_clEvENKUlvE2_clEvEUlS7_S7_E_S7_EEDaPvRmT3_T4_T5_mT6_P12ihipStream_tbENKUlT_T0_E_clISt17integral_constantIbLb1EESZ_EEDaSU_SV_EUlSU_E0_NS1_11comp_targetILNS1_3genE8ELNS1_11target_archE1030ELNS1_3gpuE2ELNS1_3repE0EEENS1_30default_config_static_selectorELNS0_4arch9wavefront6targetE1EEEvT1_,comdat
	.globl	_ZN7rocprim17ROCPRIM_400000_NS6detail17trampoline_kernelINS0_14default_configENS1_20scan_config_selectorIN3c107complexIfEEEEZZNS1_9scan_implILNS1_25lookback_scan_determinismE0ELb0ELb0ES3_PKS7_PS7_S7_ZZZN2at6native31launch_logcumsumexp_cuda_kernelERKNSE_10TensorBaseESI_lENKUlvE_clEvENKUlvE2_clEvEUlS7_S7_E_S7_EEDaPvRmT3_T4_T5_mT6_P12ihipStream_tbENKUlT_T0_E_clISt17integral_constantIbLb1EESZ_EEDaSU_SV_EUlSU_E0_NS1_11comp_targetILNS1_3genE8ELNS1_11target_archE1030ELNS1_3gpuE2ELNS1_3repE0EEENS1_30default_config_static_selectorELNS0_4arch9wavefront6targetE1EEEvT1_ ; -- Begin function _ZN7rocprim17ROCPRIM_400000_NS6detail17trampoline_kernelINS0_14default_configENS1_20scan_config_selectorIN3c107complexIfEEEEZZNS1_9scan_implILNS1_25lookback_scan_determinismE0ELb0ELb0ES3_PKS7_PS7_S7_ZZZN2at6native31launch_logcumsumexp_cuda_kernelERKNSE_10TensorBaseESI_lENKUlvE_clEvENKUlvE2_clEvEUlS7_S7_E_S7_EEDaPvRmT3_T4_T5_mT6_P12ihipStream_tbENKUlT_T0_E_clISt17integral_constantIbLb1EESZ_EEDaSU_SV_EUlSU_E0_NS1_11comp_targetILNS1_3genE8ELNS1_11target_archE1030ELNS1_3gpuE2ELNS1_3repE0EEENS1_30default_config_static_selectorELNS0_4arch9wavefront6targetE1EEEvT1_
	.p2align	8
	.type	_ZN7rocprim17ROCPRIM_400000_NS6detail17trampoline_kernelINS0_14default_configENS1_20scan_config_selectorIN3c107complexIfEEEEZZNS1_9scan_implILNS1_25lookback_scan_determinismE0ELb0ELb0ES3_PKS7_PS7_S7_ZZZN2at6native31launch_logcumsumexp_cuda_kernelERKNSE_10TensorBaseESI_lENKUlvE_clEvENKUlvE2_clEvEUlS7_S7_E_S7_EEDaPvRmT3_T4_T5_mT6_P12ihipStream_tbENKUlT_T0_E_clISt17integral_constantIbLb1EESZ_EEDaSU_SV_EUlSU_E0_NS1_11comp_targetILNS1_3genE8ELNS1_11target_archE1030ELNS1_3gpuE2ELNS1_3repE0EEENS1_30default_config_static_selectorELNS0_4arch9wavefront6targetE1EEEvT1_,@function
_ZN7rocprim17ROCPRIM_400000_NS6detail17trampoline_kernelINS0_14default_configENS1_20scan_config_selectorIN3c107complexIfEEEEZZNS1_9scan_implILNS1_25lookback_scan_determinismE0ELb0ELb0ES3_PKS7_PS7_S7_ZZZN2at6native31launch_logcumsumexp_cuda_kernelERKNSE_10TensorBaseESI_lENKUlvE_clEvENKUlvE2_clEvEUlS7_S7_E_S7_EEDaPvRmT3_T4_T5_mT6_P12ihipStream_tbENKUlT_T0_E_clISt17integral_constantIbLb1EESZ_EEDaSU_SV_EUlSU_E0_NS1_11comp_targetILNS1_3genE8ELNS1_11target_archE1030ELNS1_3gpuE2ELNS1_3repE0EEENS1_30default_config_static_selectorELNS0_4arch9wavefront6targetE1EEEvT1_: ; @_ZN7rocprim17ROCPRIM_400000_NS6detail17trampoline_kernelINS0_14default_configENS1_20scan_config_selectorIN3c107complexIfEEEEZZNS1_9scan_implILNS1_25lookback_scan_determinismE0ELb0ELb0ES3_PKS7_PS7_S7_ZZZN2at6native31launch_logcumsumexp_cuda_kernelERKNSE_10TensorBaseESI_lENKUlvE_clEvENKUlvE2_clEvEUlS7_S7_E_S7_EEDaPvRmT3_T4_T5_mT6_P12ihipStream_tbENKUlT_T0_E_clISt17integral_constantIbLb1EESZ_EEDaSU_SV_EUlSU_E0_NS1_11comp_targetILNS1_3genE8ELNS1_11target_archE1030ELNS1_3gpuE2ELNS1_3repE0EEENS1_30default_config_static_selectorELNS0_4arch9wavefront6targetE1EEEvT1_
; %bb.0:
	.section	.rodata,"a",@progbits
	.p2align	6, 0x0
	.amdhsa_kernel _ZN7rocprim17ROCPRIM_400000_NS6detail17trampoline_kernelINS0_14default_configENS1_20scan_config_selectorIN3c107complexIfEEEEZZNS1_9scan_implILNS1_25lookback_scan_determinismE0ELb0ELb0ES3_PKS7_PS7_S7_ZZZN2at6native31launch_logcumsumexp_cuda_kernelERKNSE_10TensorBaseESI_lENKUlvE_clEvENKUlvE2_clEvEUlS7_S7_E_S7_EEDaPvRmT3_T4_T5_mT6_P12ihipStream_tbENKUlT_T0_E_clISt17integral_constantIbLb1EESZ_EEDaSU_SV_EUlSU_E0_NS1_11comp_targetILNS1_3genE8ELNS1_11target_archE1030ELNS1_3gpuE2ELNS1_3repE0EEENS1_30default_config_static_selectorELNS0_4arch9wavefront6targetE1EEEvT1_
		.amdhsa_group_segment_fixed_size 0
		.amdhsa_private_segment_fixed_size 0
		.amdhsa_kernarg_size 40
		.amdhsa_user_sgpr_count 6
		.amdhsa_user_sgpr_private_segment_buffer 1
		.amdhsa_user_sgpr_dispatch_ptr 0
		.amdhsa_user_sgpr_queue_ptr 0
		.amdhsa_user_sgpr_kernarg_segment_ptr 1
		.amdhsa_user_sgpr_dispatch_id 0
		.amdhsa_user_sgpr_flat_scratch_init 0
		.amdhsa_user_sgpr_kernarg_preload_length 0
		.amdhsa_user_sgpr_kernarg_preload_offset 0
		.amdhsa_user_sgpr_private_segment_size 0
		.amdhsa_uses_dynamic_stack 0
		.amdhsa_system_sgpr_private_segment_wavefront_offset 0
		.amdhsa_system_sgpr_workgroup_id_x 1
		.amdhsa_system_sgpr_workgroup_id_y 0
		.amdhsa_system_sgpr_workgroup_id_z 0
		.amdhsa_system_sgpr_workgroup_info 0
		.amdhsa_system_vgpr_workitem_id 0
		.amdhsa_next_free_vgpr 1
		.amdhsa_next_free_sgpr 0
		.amdhsa_accum_offset 4
		.amdhsa_reserve_vcc 0
		.amdhsa_reserve_flat_scratch 0
		.amdhsa_float_round_mode_32 0
		.amdhsa_float_round_mode_16_64 0
		.amdhsa_float_denorm_mode_32 3
		.amdhsa_float_denorm_mode_16_64 3
		.amdhsa_dx10_clamp 1
		.amdhsa_ieee_mode 1
		.amdhsa_fp16_overflow 0
		.amdhsa_tg_split 0
		.amdhsa_exception_fp_ieee_invalid_op 0
		.amdhsa_exception_fp_denorm_src 0
		.amdhsa_exception_fp_ieee_div_zero 0
		.amdhsa_exception_fp_ieee_overflow 0
		.amdhsa_exception_fp_ieee_underflow 0
		.amdhsa_exception_fp_ieee_inexact 0
		.amdhsa_exception_int_div_zero 0
	.end_amdhsa_kernel
	.section	.text._ZN7rocprim17ROCPRIM_400000_NS6detail17trampoline_kernelINS0_14default_configENS1_20scan_config_selectorIN3c107complexIfEEEEZZNS1_9scan_implILNS1_25lookback_scan_determinismE0ELb0ELb0ES3_PKS7_PS7_S7_ZZZN2at6native31launch_logcumsumexp_cuda_kernelERKNSE_10TensorBaseESI_lENKUlvE_clEvENKUlvE2_clEvEUlS7_S7_E_S7_EEDaPvRmT3_T4_T5_mT6_P12ihipStream_tbENKUlT_T0_E_clISt17integral_constantIbLb1EESZ_EEDaSU_SV_EUlSU_E0_NS1_11comp_targetILNS1_3genE8ELNS1_11target_archE1030ELNS1_3gpuE2ELNS1_3repE0EEENS1_30default_config_static_selectorELNS0_4arch9wavefront6targetE1EEEvT1_,"axG",@progbits,_ZN7rocprim17ROCPRIM_400000_NS6detail17trampoline_kernelINS0_14default_configENS1_20scan_config_selectorIN3c107complexIfEEEEZZNS1_9scan_implILNS1_25lookback_scan_determinismE0ELb0ELb0ES3_PKS7_PS7_S7_ZZZN2at6native31launch_logcumsumexp_cuda_kernelERKNSE_10TensorBaseESI_lENKUlvE_clEvENKUlvE2_clEvEUlS7_S7_E_S7_EEDaPvRmT3_T4_T5_mT6_P12ihipStream_tbENKUlT_T0_E_clISt17integral_constantIbLb1EESZ_EEDaSU_SV_EUlSU_E0_NS1_11comp_targetILNS1_3genE8ELNS1_11target_archE1030ELNS1_3gpuE2ELNS1_3repE0EEENS1_30default_config_static_selectorELNS0_4arch9wavefront6targetE1EEEvT1_,comdat
.Lfunc_end308:
	.size	_ZN7rocprim17ROCPRIM_400000_NS6detail17trampoline_kernelINS0_14default_configENS1_20scan_config_selectorIN3c107complexIfEEEEZZNS1_9scan_implILNS1_25lookback_scan_determinismE0ELb0ELb0ES3_PKS7_PS7_S7_ZZZN2at6native31launch_logcumsumexp_cuda_kernelERKNSE_10TensorBaseESI_lENKUlvE_clEvENKUlvE2_clEvEUlS7_S7_E_S7_EEDaPvRmT3_T4_T5_mT6_P12ihipStream_tbENKUlT_T0_E_clISt17integral_constantIbLb1EESZ_EEDaSU_SV_EUlSU_E0_NS1_11comp_targetILNS1_3genE8ELNS1_11target_archE1030ELNS1_3gpuE2ELNS1_3repE0EEENS1_30default_config_static_selectorELNS0_4arch9wavefront6targetE1EEEvT1_, .Lfunc_end308-_ZN7rocprim17ROCPRIM_400000_NS6detail17trampoline_kernelINS0_14default_configENS1_20scan_config_selectorIN3c107complexIfEEEEZZNS1_9scan_implILNS1_25lookback_scan_determinismE0ELb0ELb0ES3_PKS7_PS7_S7_ZZZN2at6native31launch_logcumsumexp_cuda_kernelERKNSE_10TensorBaseESI_lENKUlvE_clEvENKUlvE2_clEvEUlS7_S7_E_S7_EEDaPvRmT3_T4_T5_mT6_P12ihipStream_tbENKUlT_T0_E_clISt17integral_constantIbLb1EESZ_EEDaSU_SV_EUlSU_E0_NS1_11comp_targetILNS1_3genE8ELNS1_11target_archE1030ELNS1_3gpuE2ELNS1_3repE0EEENS1_30default_config_static_selectorELNS0_4arch9wavefront6targetE1EEEvT1_
                                        ; -- End function
	.section	.AMDGPU.csdata,"",@progbits
; Kernel info:
; codeLenInByte = 0
; NumSgprs: 4
; NumVgprs: 0
; NumAgprs: 0
; TotalNumVgprs: 0
; ScratchSize: 0
; MemoryBound: 0
; FloatMode: 240
; IeeeMode: 1
; LDSByteSize: 0 bytes/workgroup (compile time only)
; SGPRBlocks: 0
; VGPRBlocks: 0
; NumSGPRsForWavesPerEU: 4
; NumVGPRsForWavesPerEU: 1
; AccumOffset: 4
; Occupancy: 8
; WaveLimiterHint : 0
; COMPUTE_PGM_RSRC2:SCRATCH_EN: 0
; COMPUTE_PGM_RSRC2:USER_SGPR: 6
; COMPUTE_PGM_RSRC2:TRAP_HANDLER: 0
; COMPUTE_PGM_RSRC2:TGID_X_EN: 1
; COMPUTE_PGM_RSRC2:TGID_Y_EN: 0
; COMPUTE_PGM_RSRC2:TGID_Z_EN: 0
; COMPUTE_PGM_RSRC2:TIDIG_COMP_CNT: 0
; COMPUTE_PGM_RSRC3_GFX90A:ACCUM_OFFSET: 0
; COMPUTE_PGM_RSRC3_GFX90A:TG_SPLIT: 0
	.section	.text._ZN7rocprim17ROCPRIM_400000_NS6detail31init_lookback_scan_state_kernelINS1_19lookback_scan_stateIN3c107complexIfEELb1ELb1EEENS1_16block_id_wrapperIjLb0EEEEEvT_jT0_jPNSA_10value_typeE,"axG",@progbits,_ZN7rocprim17ROCPRIM_400000_NS6detail31init_lookback_scan_state_kernelINS1_19lookback_scan_stateIN3c107complexIfEELb1ELb1EEENS1_16block_id_wrapperIjLb0EEEEEvT_jT0_jPNSA_10value_typeE,comdat
	.protected	_ZN7rocprim17ROCPRIM_400000_NS6detail31init_lookback_scan_state_kernelINS1_19lookback_scan_stateIN3c107complexIfEELb1ELb1EEENS1_16block_id_wrapperIjLb0EEEEEvT_jT0_jPNSA_10value_typeE ; -- Begin function _ZN7rocprim17ROCPRIM_400000_NS6detail31init_lookback_scan_state_kernelINS1_19lookback_scan_stateIN3c107complexIfEELb1ELb1EEENS1_16block_id_wrapperIjLb0EEEEEvT_jT0_jPNSA_10value_typeE
	.globl	_ZN7rocprim17ROCPRIM_400000_NS6detail31init_lookback_scan_state_kernelINS1_19lookback_scan_stateIN3c107complexIfEELb1ELb1EEENS1_16block_id_wrapperIjLb0EEEEEvT_jT0_jPNSA_10value_typeE
	.p2align	8
	.type	_ZN7rocprim17ROCPRIM_400000_NS6detail31init_lookback_scan_state_kernelINS1_19lookback_scan_stateIN3c107complexIfEELb1ELb1EEENS1_16block_id_wrapperIjLb0EEEEEvT_jT0_jPNSA_10value_typeE,@function
_ZN7rocprim17ROCPRIM_400000_NS6detail31init_lookback_scan_state_kernelINS1_19lookback_scan_stateIN3c107complexIfEELb1ELb1EEENS1_16block_id_wrapperIjLb0EEEEEvT_jT0_jPNSA_10value_typeE: ; @_ZN7rocprim17ROCPRIM_400000_NS6detail31init_lookback_scan_state_kernelINS1_19lookback_scan_stateIN3c107complexIfEELb1ELb1EEENS1_16block_id_wrapperIjLb0EEEEEvT_jT0_jPNSA_10value_typeE
; %bb.0:
	s_load_dword s7, s[4:5], 0x2c
	s_load_dwordx2 s[2:3], s[4:5], 0x18
	s_load_dwordx2 s[0:1], s[4:5], 0x0
	s_load_dword s12, s[4:5], 0x8
	s_waitcnt lgkmcnt(0)
	s_and_b32 s7, s7, 0xffff
	s_mul_i32 s6, s6, s7
	s_cmp_eq_u64 s[2:3], 0
	v_add_u32_e32 v0, s6, v0
	s_cbranch_scc1 .LBB309_10
; %bb.1:
	s_load_dword s6, s[4:5], 0x10
	s_mov_b32 s7, 0
	s_waitcnt lgkmcnt(0)
	s_cmp_lt_u32 s6, s12
	s_cselect_b32 s4, s6, 0
	v_cmp_eq_u32_e32 vcc, s4, v0
	s_and_saveexec_b64 s[4:5], vcc
	s_cbranch_execz .LBB309_9
; %bb.2:
	s_add_i32 s6, s6, 64
	s_lshl_b64 s[6:7], s[6:7], 4
	s_add_u32 s10, s0, s6
	s_addc_u32 s11, s1, s7
	v_pk_mov_b32 v[2:3], s[10:11], s[10:11] op_sel:[0,1]
	;;#ASMSTART
	global_load_dwordx4 v[2:5], v[2:3] off glc	
s_waitcnt vmcnt(0)
	;;#ASMEND
	v_mov_b32_e32 v7, 0
	v_and_b32_e32 v6, 0xff, v4
	v_mov_b32_e32 v8, v3
	s_mov_b64 s[8:9], 0
	v_cmp_eq_u64_e32 vcc, 0, v[6:7]
	s_and_saveexec_b64 s[6:7], vcc
	s_cbranch_execz .LBB309_8
; %bb.3:
	s_mov_b32 s13, 1
	v_pk_mov_b32 v[8:9], s[10:11], s[10:11] op_sel:[0,1]
.LBB309_4:                              ; =>This Loop Header: Depth=1
                                        ;     Child Loop BB309_5 Depth 2
	s_max_u32 s10, s13, 1
.LBB309_5:                              ;   Parent Loop BB309_4 Depth=1
                                        ; =>  This Inner Loop Header: Depth=2
	s_add_i32 s10, s10, -1
	s_cmp_eq_u32 s10, 0
	s_sleep 1
	s_cbranch_scc0 .LBB309_5
; %bb.6:                                ;   in Loop: Header=BB309_4 Depth=1
	s_cmp_lt_u32 s13, 32
	s_cselect_b64 s[10:11], -1, 0
	s_cmp_lg_u64 s[10:11], 0
	;;#ASMSTART
	global_load_dwordx4 v[2:5], v[8:9] off glc	
s_waitcnt vmcnt(0)
	;;#ASMEND
	v_and_b32_e32 v6, 0xff, v4
	s_addc_u32 s13, s13, 0
	v_cmp_ne_u64_e32 vcc, 0, v[6:7]
	s_or_b64 s[8:9], vcc, s[8:9]
	s_andn2_b64 exec, exec, s[8:9]
	s_cbranch_execnz .LBB309_4
; %bb.7:
	s_or_b64 exec, exec, s[8:9]
	v_mov_b32_e32 v8, v3
.LBB309_8:
	s_or_b64 exec, exec, s[6:7]
	v_mov_b32_e32 v3, v8
	v_mov_b32_e32 v1, 0
	global_store_dwordx2 v1, v[2:3], s[2:3]
.LBB309_9:
	s_or_b64 exec, exec, s[4:5]
.LBB309_10:
	v_cmp_gt_u32_e32 vcc, s12, v0
	s_and_saveexec_b64 s[2:3], vcc
	s_cbranch_execnz .LBB309_13
; %bb.11:
	s_or_b64 exec, exec, s[2:3]
	v_cmp_gt_u32_e32 vcc, 64, v0
	s_and_saveexec_b64 s[2:3], vcc
	s_cbranch_execnz .LBB309_14
.LBB309_12:
	s_endpgm
.LBB309_13:
	v_add_u32_e32 v2, 64, v0
	v_mov_b32_e32 v3, 0
	v_lshlrev_b64 v[4:5], 4, v[2:3]
	v_mov_b32_e32 v1, s1
	v_add_co_u32_e32 v6, vcc, s0, v4
	v_addc_co_u32_e32 v7, vcc, v1, v5, vcc
	v_mov_b32_e32 v2, v3
	v_mov_b32_e32 v4, v3
	;; [unrolled: 1-line block ×3, first 2 shown]
	global_store_dwordx4 v[6:7], v[2:5], off
	s_or_b64 exec, exec, s[2:3]
	v_cmp_gt_u32_e32 vcc, 64, v0
	s_and_saveexec_b64 s[2:3], vcc
	s_cbranch_execz .LBB309_12
.LBB309_14:
	v_mov_b32_e32 v1, 0
	v_lshlrev_b64 v[2:3], 4, v[0:1]
	v_mov_b32_e32 v0, s1
	v_add_co_u32_e32 v4, vcc, s0, v2
	v_addc_co_u32_e32 v5, vcc, v0, v3, vcc
	v_mov_b32_e32 v2, 0xff
	v_mov_b32_e32 v0, v1
	;; [unrolled: 1-line block ×3, first 2 shown]
	global_store_dwordx4 v[4:5], v[0:3], off
	s_endpgm
	.section	.rodata,"a",@progbits
	.p2align	6, 0x0
	.amdhsa_kernel _ZN7rocprim17ROCPRIM_400000_NS6detail31init_lookback_scan_state_kernelINS1_19lookback_scan_stateIN3c107complexIfEELb1ELb1EEENS1_16block_id_wrapperIjLb0EEEEEvT_jT0_jPNSA_10value_typeE
		.amdhsa_group_segment_fixed_size 0
		.amdhsa_private_segment_fixed_size 0
		.amdhsa_kernarg_size 288
		.amdhsa_user_sgpr_count 6
		.amdhsa_user_sgpr_private_segment_buffer 1
		.amdhsa_user_sgpr_dispatch_ptr 0
		.amdhsa_user_sgpr_queue_ptr 0
		.amdhsa_user_sgpr_kernarg_segment_ptr 1
		.amdhsa_user_sgpr_dispatch_id 0
		.amdhsa_user_sgpr_flat_scratch_init 0
		.amdhsa_user_sgpr_kernarg_preload_length 0
		.amdhsa_user_sgpr_kernarg_preload_offset 0
		.amdhsa_user_sgpr_private_segment_size 0
		.amdhsa_uses_dynamic_stack 0
		.amdhsa_system_sgpr_private_segment_wavefront_offset 0
		.amdhsa_system_sgpr_workgroup_id_x 1
		.amdhsa_system_sgpr_workgroup_id_y 0
		.amdhsa_system_sgpr_workgroup_id_z 0
		.amdhsa_system_sgpr_workgroup_info 0
		.amdhsa_system_vgpr_workitem_id 0
		.amdhsa_next_free_vgpr 10
		.amdhsa_next_free_sgpr 14
		.amdhsa_accum_offset 12
		.amdhsa_reserve_vcc 1
		.amdhsa_reserve_flat_scratch 0
		.amdhsa_float_round_mode_32 0
		.amdhsa_float_round_mode_16_64 0
		.amdhsa_float_denorm_mode_32 3
		.amdhsa_float_denorm_mode_16_64 3
		.amdhsa_dx10_clamp 1
		.amdhsa_ieee_mode 1
		.amdhsa_fp16_overflow 0
		.amdhsa_tg_split 0
		.amdhsa_exception_fp_ieee_invalid_op 0
		.amdhsa_exception_fp_denorm_src 0
		.amdhsa_exception_fp_ieee_div_zero 0
		.amdhsa_exception_fp_ieee_overflow 0
		.amdhsa_exception_fp_ieee_underflow 0
		.amdhsa_exception_fp_ieee_inexact 0
		.amdhsa_exception_int_div_zero 0
	.end_amdhsa_kernel
	.section	.text._ZN7rocprim17ROCPRIM_400000_NS6detail31init_lookback_scan_state_kernelINS1_19lookback_scan_stateIN3c107complexIfEELb1ELb1EEENS1_16block_id_wrapperIjLb0EEEEEvT_jT0_jPNSA_10value_typeE,"axG",@progbits,_ZN7rocprim17ROCPRIM_400000_NS6detail31init_lookback_scan_state_kernelINS1_19lookback_scan_stateIN3c107complexIfEELb1ELb1EEENS1_16block_id_wrapperIjLb0EEEEEvT_jT0_jPNSA_10value_typeE,comdat
.Lfunc_end309:
	.size	_ZN7rocprim17ROCPRIM_400000_NS6detail31init_lookback_scan_state_kernelINS1_19lookback_scan_stateIN3c107complexIfEELb1ELb1EEENS1_16block_id_wrapperIjLb0EEEEEvT_jT0_jPNSA_10value_typeE, .Lfunc_end309-_ZN7rocprim17ROCPRIM_400000_NS6detail31init_lookback_scan_state_kernelINS1_19lookback_scan_stateIN3c107complexIfEELb1ELb1EEENS1_16block_id_wrapperIjLb0EEEEEvT_jT0_jPNSA_10value_typeE
                                        ; -- End function
	.section	.AMDGPU.csdata,"",@progbits
; Kernel info:
; codeLenInByte = 436
; NumSgprs: 18
; NumVgprs: 10
; NumAgprs: 0
; TotalNumVgprs: 10
; ScratchSize: 0
; MemoryBound: 0
; FloatMode: 240
; IeeeMode: 1
; LDSByteSize: 0 bytes/workgroup (compile time only)
; SGPRBlocks: 2
; VGPRBlocks: 1
; NumSGPRsForWavesPerEU: 18
; NumVGPRsForWavesPerEU: 10
; AccumOffset: 12
; Occupancy: 8
; WaveLimiterHint : 0
; COMPUTE_PGM_RSRC2:SCRATCH_EN: 0
; COMPUTE_PGM_RSRC2:USER_SGPR: 6
; COMPUTE_PGM_RSRC2:TRAP_HANDLER: 0
; COMPUTE_PGM_RSRC2:TGID_X_EN: 1
; COMPUTE_PGM_RSRC2:TGID_Y_EN: 0
; COMPUTE_PGM_RSRC2:TGID_Z_EN: 0
; COMPUTE_PGM_RSRC2:TIDIG_COMP_CNT: 0
; COMPUTE_PGM_RSRC3_GFX90A:ACCUM_OFFSET: 2
; COMPUTE_PGM_RSRC3_GFX90A:TG_SPLIT: 0
	.section	.text._ZN7rocprim17ROCPRIM_400000_NS6detail17trampoline_kernelINS0_14default_configENS1_20scan_config_selectorIN3c107complexIfEEEEZZNS1_9scan_implILNS1_25lookback_scan_determinismE0ELb0ELb0ES3_PKS7_PS7_S7_ZZZN2at6native31launch_logcumsumexp_cuda_kernelERKNSE_10TensorBaseESI_lENKUlvE_clEvENKUlvE2_clEvEUlS7_S7_E_S7_EEDaPvRmT3_T4_T5_mT6_P12ihipStream_tbENKUlT_T0_E_clISt17integral_constantIbLb1EESY_IbLb0EEEEDaSU_SV_EUlSU_E_NS1_11comp_targetILNS1_3genE0ELNS1_11target_archE4294967295ELNS1_3gpuE0ELNS1_3repE0EEENS1_30default_config_static_selectorELNS0_4arch9wavefront6targetE1EEEvT1_,"axG",@progbits,_ZN7rocprim17ROCPRIM_400000_NS6detail17trampoline_kernelINS0_14default_configENS1_20scan_config_selectorIN3c107complexIfEEEEZZNS1_9scan_implILNS1_25lookback_scan_determinismE0ELb0ELb0ES3_PKS7_PS7_S7_ZZZN2at6native31launch_logcumsumexp_cuda_kernelERKNSE_10TensorBaseESI_lENKUlvE_clEvENKUlvE2_clEvEUlS7_S7_E_S7_EEDaPvRmT3_T4_T5_mT6_P12ihipStream_tbENKUlT_T0_E_clISt17integral_constantIbLb1EESY_IbLb0EEEEDaSU_SV_EUlSU_E_NS1_11comp_targetILNS1_3genE0ELNS1_11target_archE4294967295ELNS1_3gpuE0ELNS1_3repE0EEENS1_30default_config_static_selectorELNS0_4arch9wavefront6targetE1EEEvT1_,comdat
	.globl	_ZN7rocprim17ROCPRIM_400000_NS6detail17trampoline_kernelINS0_14default_configENS1_20scan_config_selectorIN3c107complexIfEEEEZZNS1_9scan_implILNS1_25lookback_scan_determinismE0ELb0ELb0ES3_PKS7_PS7_S7_ZZZN2at6native31launch_logcumsumexp_cuda_kernelERKNSE_10TensorBaseESI_lENKUlvE_clEvENKUlvE2_clEvEUlS7_S7_E_S7_EEDaPvRmT3_T4_T5_mT6_P12ihipStream_tbENKUlT_T0_E_clISt17integral_constantIbLb1EESY_IbLb0EEEEDaSU_SV_EUlSU_E_NS1_11comp_targetILNS1_3genE0ELNS1_11target_archE4294967295ELNS1_3gpuE0ELNS1_3repE0EEENS1_30default_config_static_selectorELNS0_4arch9wavefront6targetE1EEEvT1_ ; -- Begin function _ZN7rocprim17ROCPRIM_400000_NS6detail17trampoline_kernelINS0_14default_configENS1_20scan_config_selectorIN3c107complexIfEEEEZZNS1_9scan_implILNS1_25lookback_scan_determinismE0ELb0ELb0ES3_PKS7_PS7_S7_ZZZN2at6native31launch_logcumsumexp_cuda_kernelERKNSE_10TensorBaseESI_lENKUlvE_clEvENKUlvE2_clEvEUlS7_S7_E_S7_EEDaPvRmT3_T4_T5_mT6_P12ihipStream_tbENKUlT_T0_E_clISt17integral_constantIbLb1EESY_IbLb0EEEEDaSU_SV_EUlSU_E_NS1_11comp_targetILNS1_3genE0ELNS1_11target_archE4294967295ELNS1_3gpuE0ELNS1_3repE0EEENS1_30default_config_static_selectorELNS0_4arch9wavefront6targetE1EEEvT1_
	.p2align	8
	.type	_ZN7rocprim17ROCPRIM_400000_NS6detail17trampoline_kernelINS0_14default_configENS1_20scan_config_selectorIN3c107complexIfEEEEZZNS1_9scan_implILNS1_25lookback_scan_determinismE0ELb0ELb0ES3_PKS7_PS7_S7_ZZZN2at6native31launch_logcumsumexp_cuda_kernelERKNSE_10TensorBaseESI_lENKUlvE_clEvENKUlvE2_clEvEUlS7_S7_E_S7_EEDaPvRmT3_T4_T5_mT6_P12ihipStream_tbENKUlT_T0_E_clISt17integral_constantIbLb1EESY_IbLb0EEEEDaSU_SV_EUlSU_E_NS1_11comp_targetILNS1_3genE0ELNS1_11target_archE4294967295ELNS1_3gpuE0ELNS1_3repE0EEENS1_30default_config_static_selectorELNS0_4arch9wavefront6targetE1EEEvT1_,@function
_ZN7rocprim17ROCPRIM_400000_NS6detail17trampoline_kernelINS0_14default_configENS1_20scan_config_selectorIN3c107complexIfEEEEZZNS1_9scan_implILNS1_25lookback_scan_determinismE0ELb0ELb0ES3_PKS7_PS7_S7_ZZZN2at6native31launch_logcumsumexp_cuda_kernelERKNSE_10TensorBaseESI_lENKUlvE_clEvENKUlvE2_clEvEUlS7_S7_E_S7_EEDaPvRmT3_T4_T5_mT6_P12ihipStream_tbENKUlT_T0_E_clISt17integral_constantIbLb1EESY_IbLb0EEEEDaSU_SV_EUlSU_E_NS1_11comp_targetILNS1_3genE0ELNS1_11target_archE4294967295ELNS1_3gpuE0ELNS1_3repE0EEENS1_30default_config_static_selectorELNS0_4arch9wavefront6targetE1EEEvT1_: ; @_ZN7rocprim17ROCPRIM_400000_NS6detail17trampoline_kernelINS0_14default_configENS1_20scan_config_selectorIN3c107complexIfEEEEZZNS1_9scan_implILNS1_25lookback_scan_determinismE0ELb0ELb0ES3_PKS7_PS7_S7_ZZZN2at6native31launch_logcumsumexp_cuda_kernelERKNSE_10TensorBaseESI_lENKUlvE_clEvENKUlvE2_clEvEUlS7_S7_E_S7_EEDaPvRmT3_T4_T5_mT6_P12ihipStream_tbENKUlT_T0_E_clISt17integral_constantIbLb1EESY_IbLb0EEEEDaSU_SV_EUlSU_E_NS1_11comp_targetILNS1_3genE0ELNS1_11target_archE4294967295ELNS1_3gpuE0ELNS1_3repE0EEENS1_30default_config_static_selectorELNS0_4arch9wavefront6targetE1EEEvT1_
; %bb.0:
	.section	.rodata,"a",@progbits
	.p2align	6, 0x0
	.amdhsa_kernel _ZN7rocprim17ROCPRIM_400000_NS6detail17trampoline_kernelINS0_14default_configENS1_20scan_config_selectorIN3c107complexIfEEEEZZNS1_9scan_implILNS1_25lookback_scan_determinismE0ELb0ELb0ES3_PKS7_PS7_S7_ZZZN2at6native31launch_logcumsumexp_cuda_kernelERKNSE_10TensorBaseESI_lENKUlvE_clEvENKUlvE2_clEvEUlS7_S7_E_S7_EEDaPvRmT3_T4_T5_mT6_P12ihipStream_tbENKUlT_T0_E_clISt17integral_constantIbLb1EESY_IbLb0EEEEDaSU_SV_EUlSU_E_NS1_11comp_targetILNS1_3genE0ELNS1_11target_archE4294967295ELNS1_3gpuE0ELNS1_3repE0EEENS1_30default_config_static_selectorELNS0_4arch9wavefront6targetE1EEEvT1_
		.amdhsa_group_segment_fixed_size 0
		.amdhsa_private_segment_fixed_size 0
		.amdhsa_kernarg_size 104
		.amdhsa_user_sgpr_count 6
		.amdhsa_user_sgpr_private_segment_buffer 1
		.amdhsa_user_sgpr_dispatch_ptr 0
		.amdhsa_user_sgpr_queue_ptr 0
		.amdhsa_user_sgpr_kernarg_segment_ptr 1
		.amdhsa_user_sgpr_dispatch_id 0
		.amdhsa_user_sgpr_flat_scratch_init 0
		.amdhsa_user_sgpr_kernarg_preload_length 0
		.amdhsa_user_sgpr_kernarg_preload_offset 0
		.amdhsa_user_sgpr_private_segment_size 0
		.amdhsa_uses_dynamic_stack 0
		.amdhsa_system_sgpr_private_segment_wavefront_offset 0
		.amdhsa_system_sgpr_workgroup_id_x 1
		.amdhsa_system_sgpr_workgroup_id_y 0
		.amdhsa_system_sgpr_workgroup_id_z 0
		.amdhsa_system_sgpr_workgroup_info 0
		.amdhsa_system_vgpr_workitem_id 0
		.amdhsa_next_free_vgpr 1
		.amdhsa_next_free_sgpr 0
		.amdhsa_accum_offset 4
		.amdhsa_reserve_vcc 0
		.amdhsa_reserve_flat_scratch 0
		.amdhsa_float_round_mode_32 0
		.amdhsa_float_round_mode_16_64 0
		.amdhsa_float_denorm_mode_32 3
		.amdhsa_float_denorm_mode_16_64 3
		.amdhsa_dx10_clamp 1
		.amdhsa_ieee_mode 1
		.amdhsa_fp16_overflow 0
		.amdhsa_tg_split 0
		.amdhsa_exception_fp_ieee_invalid_op 0
		.amdhsa_exception_fp_denorm_src 0
		.amdhsa_exception_fp_ieee_div_zero 0
		.amdhsa_exception_fp_ieee_overflow 0
		.amdhsa_exception_fp_ieee_underflow 0
		.amdhsa_exception_fp_ieee_inexact 0
		.amdhsa_exception_int_div_zero 0
	.end_amdhsa_kernel
	.section	.text._ZN7rocprim17ROCPRIM_400000_NS6detail17trampoline_kernelINS0_14default_configENS1_20scan_config_selectorIN3c107complexIfEEEEZZNS1_9scan_implILNS1_25lookback_scan_determinismE0ELb0ELb0ES3_PKS7_PS7_S7_ZZZN2at6native31launch_logcumsumexp_cuda_kernelERKNSE_10TensorBaseESI_lENKUlvE_clEvENKUlvE2_clEvEUlS7_S7_E_S7_EEDaPvRmT3_T4_T5_mT6_P12ihipStream_tbENKUlT_T0_E_clISt17integral_constantIbLb1EESY_IbLb0EEEEDaSU_SV_EUlSU_E_NS1_11comp_targetILNS1_3genE0ELNS1_11target_archE4294967295ELNS1_3gpuE0ELNS1_3repE0EEENS1_30default_config_static_selectorELNS0_4arch9wavefront6targetE1EEEvT1_,"axG",@progbits,_ZN7rocprim17ROCPRIM_400000_NS6detail17trampoline_kernelINS0_14default_configENS1_20scan_config_selectorIN3c107complexIfEEEEZZNS1_9scan_implILNS1_25lookback_scan_determinismE0ELb0ELb0ES3_PKS7_PS7_S7_ZZZN2at6native31launch_logcumsumexp_cuda_kernelERKNSE_10TensorBaseESI_lENKUlvE_clEvENKUlvE2_clEvEUlS7_S7_E_S7_EEDaPvRmT3_T4_T5_mT6_P12ihipStream_tbENKUlT_T0_E_clISt17integral_constantIbLb1EESY_IbLb0EEEEDaSU_SV_EUlSU_E_NS1_11comp_targetILNS1_3genE0ELNS1_11target_archE4294967295ELNS1_3gpuE0ELNS1_3repE0EEENS1_30default_config_static_selectorELNS0_4arch9wavefront6targetE1EEEvT1_,comdat
.Lfunc_end310:
	.size	_ZN7rocprim17ROCPRIM_400000_NS6detail17trampoline_kernelINS0_14default_configENS1_20scan_config_selectorIN3c107complexIfEEEEZZNS1_9scan_implILNS1_25lookback_scan_determinismE0ELb0ELb0ES3_PKS7_PS7_S7_ZZZN2at6native31launch_logcumsumexp_cuda_kernelERKNSE_10TensorBaseESI_lENKUlvE_clEvENKUlvE2_clEvEUlS7_S7_E_S7_EEDaPvRmT3_T4_T5_mT6_P12ihipStream_tbENKUlT_T0_E_clISt17integral_constantIbLb1EESY_IbLb0EEEEDaSU_SV_EUlSU_E_NS1_11comp_targetILNS1_3genE0ELNS1_11target_archE4294967295ELNS1_3gpuE0ELNS1_3repE0EEENS1_30default_config_static_selectorELNS0_4arch9wavefront6targetE1EEEvT1_, .Lfunc_end310-_ZN7rocprim17ROCPRIM_400000_NS6detail17trampoline_kernelINS0_14default_configENS1_20scan_config_selectorIN3c107complexIfEEEEZZNS1_9scan_implILNS1_25lookback_scan_determinismE0ELb0ELb0ES3_PKS7_PS7_S7_ZZZN2at6native31launch_logcumsumexp_cuda_kernelERKNSE_10TensorBaseESI_lENKUlvE_clEvENKUlvE2_clEvEUlS7_S7_E_S7_EEDaPvRmT3_T4_T5_mT6_P12ihipStream_tbENKUlT_T0_E_clISt17integral_constantIbLb1EESY_IbLb0EEEEDaSU_SV_EUlSU_E_NS1_11comp_targetILNS1_3genE0ELNS1_11target_archE4294967295ELNS1_3gpuE0ELNS1_3repE0EEENS1_30default_config_static_selectorELNS0_4arch9wavefront6targetE1EEEvT1_
                                        ; -- End function
	.section	.AMDGPU.csdata,"",@progbits
; Kernel info:
; codeLenInByte = 0
; NumSgprs: 4
; NumVgprs: 0
; NumAgprs: 0
; TotalNumVgprs: 0
; ScratchSize: 0
; MemoryBound: 0
; FloatMode: 240
; IeeeMode: 1
; LDSByteSize: 0 bytes/workgroup (compile time only)
; SGPRBlocks: 0
; VGPRBlocks: 0
; NumSGPRsForWavesPerEU: 4
; NumVGPRsForWavesPerEU: 1
; AccumOffset: 4
; Occupancy: 8
; WaveLimiterHint : 0
; COMPUTE_PGM_RSRC2:SCRATCH_EN: 0
; COMPUTE_PGM_RSRC2:USER_SGPR: 6
; COMPUTE_PGM_RSRC2:TRAP_HANDLER: 0
; COMPUTE_PGM_RSRC2:TGID_X_EN: 1
; COMPUTE_PGM_RSRC2:TGID_Y_EN: 0
; COMPUTE_PGM_RSRC2:TGID_Z_EN: 0
; COMPUTE_PGM_RSRC2:TIDIG_COMP_CNT: 0
; COMPUTE_PGM_RSRC3_GFX90A:ACCUM_OFFSET: 0
; COMPUTE_PGM_RSRC3_GFX90A:TG_SPLIT: 0
	.section	.text._ZN7rocprim17ROCPRIM_400000_NS6detail17trampoline_kernelINS0_14default_configENS1_20scan_config_selectorIN3c107complexIfEEEEZZNS1_9scan_implILNS1_25lookback_scan_determinismE0ELb0ELb0ES3_PKS7_PS7_S7_ZZZN2at6native31launch_logcumsumexp_cuda_kernelERKNSE_10TensorBaseESI_lENKUlvE_clEvENKUlvE2_clEvEUlS7_S7_E_S7_EEDaPvRmT3_T4_T5_mT6_P12ihipStream_tbENKUlT_T0_E_clISt17integral_constantIbLb1EESY_IbLb0EEEEDaSU_SV_EUlSU_E_NS1_11comp_targetILNS1_3genE5ELNS1_11target_archE942ELNS1_3gpuE9ELNS1_3repE0EEENS1_30default_config_static_selectorELNS0_4arch9wavefront6targetE1EEEvT1_,"axG",@progbits,_ZN7rocprim17ROCPRIM_400000_NS6detail17trampoline_kernelINS0_14default_configENS1_20scan_config_selectorIN3c107complexIfEEEEZZNS1_9scan_implILNS1_25lookback_scan_determinismE0ELb0ELb0ES3_PKS7_PS7_S7_ZZZN2at6native31launch_logcumsumexp_cuda_kernelERKNSE_10TensorBaseESI_lENKUlvE_clEvENKUlvE2_clEvEUlS7_S7_E_S7_EEDaPvRmT3_T4_T5_mT6_P12ihipStream_tbENKUlT_T0_E_clISt17integral_constantIbLb1EESY_IbLb0EEEEDaSU_SV_EUlSU_E_NS1_11comp_targetILNS1_3genE5ELNS1_11target_archE942ELNS1_3gpuE9ELNS1_3repE0EEENS1_30default_config_static_selectorELNS0_4arch9wavefront6targetE1EEEvT1_,comdat
	.globl	_ZN7rocprim17ROCPRIM_400000_NS6detail17trampoline_kernelINS0_14default_configENS1_20scan_config_selectorIN3c107complexIfEEEEZZNS1_9scan_implILNS1_25lookback_scan_determinismE0ELb0ELb0ES3_PKS7_PS7_S7_ZZZN2at6native31launch_logcumsumexp_cuda_kernelERKNSE_10TensorBaseESI_lENKUlvE_clEvENKUlvE2_clEvEUlS7_S7_E_S7_EEDaPvRmT3_T4_T5_mT6_P12ihipStream_tbENKUlT_T0_E_clISt17integral_constantIbLb1EESY_IbLb0EEEEDaSU_SV_EUlSU_E_NS1_11comp_targetILNS1_3genE5ELNS1_11target_archE942ELNS1_3gpuE9ELNS1_3repE0EEENS1_30default_config_static_selectorELNS0_4arch9wavefront6targetE1EEEvT1_ ; -- Begin function _ZN7rocprim17ROCPRIM_400000_NS6detail17trampoline_kernelINS0_14default_configENS1_20scan_config_selectorIN3c107complexIfEEEEZZNS1_9scan_implILNS1_25lookback_scan_determinismE0ELb0ELb0ES3_PKS7_PS7_S7_ZZZN2at6native31launch_logcumsumexp_cuda_kernelERKNSE_10TensorBaseESI_lENKUlvE_clEvENKUlvE2_clEvEUlS7_S7_E_S7_EEDaPvRmT3_T4_T5_mT6_P12ihipStream_tbENKUlT_T0_E_clISt17integral_constantIbLb1EESY_IbLb0EEEEDaSU_SV_EUlSU_E_NS1_11comp_targetILNS1_3genE5ELNS1_11target_archE942ELNS1_3gpuE9ELNS1_3repE0EEENS1_30default_config_static_selectorELNS0_4arch9wavefront6targetE1EEEvT1_
	.p2align	8
	.type	_ZN7rocprim17ROCPRIM_400000_NS6detail17trampoline_kernelINS0_14default_configENS1_20scan_config_selectorIN3c107complexIfEEEEZZNS1_9scan_implILNS1_25lookback_scan_determinismE0ELb0ELb0ES3_PKS7_PS7_S7_ZZZN2at6native31launch_logcumsumexp_cuda_kernelERKNSE_10TensorBaseESI_lENKUlvE_clEvENKUlvE2_clEvEUlS7_S7_E_S7_EEDaPvRmT3_T4_T5_mT6_P12ihipStream_tbENKUlT_T0_E_clISt17integral_constantIbLb1EESY_IbLb0EEEEDaSU_SV_EUlSU_E_NS1_11comp_targetILNS1_3genE5ELNS1_11target_archE942ELNS1_3gpuE9ELNS1_3repE0EEENS1_30default_config_static_selectorELNS0_4arch9wavefront6targetE1EEEvT1_,@function
_ZN7rocprim17ROCPRIM_400000_NS6detail17trampoline_kernelINS0_14default_configENS1_20scan_config_selectorIN3c107complexIfEEEEZZNS1_9scan_implILNS1_25lookback_scan_determinismE0ELb0ELb0ES3_PKS7_PS7_S7_ZZZN2at6native31launch_logcumsumexp_cuda_kernelERKNSE_10TensorBaseESI_lENKUlvE_clEvENKUlvE2_clEvEUlS7_S7_E_S7_EEDaPvRmT3_T4_T5_mT6_P12ihipStream_tbENKUlT_T0_E_clISt17integral_constantIbLb1EESY_IbLb0EEEEDaSU_SV_EUlSU_E_NS1_11comp_targetILNS1_3genE5ELNS1_11target_archE942ELNS1_3gpuE9ELNS1_3repE0EEENS1_30default_config_static_selectorELNS0_4arch9wavefront6targetE1EEEvT1_: ; @_ZN7rocprim17ROCPRIM_400000_NS6detail17trampoline_kernelINS0_14default_configENS1_20scan_config_selectorIN3c107complexIfEEEEZZNS1_9scan_implILNS1_25lookback_scan_determinismE0ELb0ELb0ES3_PKS7_PS7_S7_ZZZN2at6native31launch_logcumsumexp_cuda_kernelERKNSE_10TensorBaseESI_lENKUlvE_clEvENKUlvE2_clEvEUlS7_S7_E_S7_EEDaPvRmT3_T4_T5_mT6_P12ihipStream_tbENKUlT_T0_E_clISt17integral_constantIbLb1EESY_IbLb0EEEEDaSU_SV_EUlSU_E_NS1_11comp_targetILNS1_3genE5ELNS1_11target_archE942ELNS1_3gpuE9ELNS1_3repE0EEENS1_30default_config_static_selectorELNS0_4arch9wavefront6targetE1EEEvT1_
; %bb.0:
	.section	.rodata,"a",@progbits
	.p2align	6, 0x0
	.amdhsa_kernel _ZN7rocprim17ROCPRIM_400000_NS6detail17trampoline_kernelINS0_14default_configENS1_20scan_config_selectorIN3c107complexIfEEEEZZNS1_9scan_implILNS1_25lookback_scan_determinismE0ELb0ELb0ES3_PKS7_PS7_S7_ZZZN2at6native31launch_logcumsumexp_cuda_kernelERKNSE_10TensorBaseESI_lENKUlvE_clEvENKUlvE2_clEvEUlS7_S7_E_S7_EEDaPvRmT3_T4_T5_mT6_P12ihipStream_tbENKUlT_T0_E_clISt17integral_constantIbLb1EESY_IbLb0EEEEDaSU_SV_EUlSU_E_NS1_11comp_targetILNS1_3genE5ELNS1_11target_archE942ELNS1_3gpuE9ELNS1_3repE0EEENS1_30default_config_static_selectorELNS0_4arch9wavefront6targetE1EEEvT1_
		.amdhsa_group_segment_fixed_size 0
		.amdhsa_private_segment_fixed_size 0
		.amdhsa_kernarg_size 104
		.amdhsa_user_sgpr_count 6
		.amdhsa_user_sgpr_private_segment_buffer 1
		.amdhsa_user_sgpr_dispatch_ptr 0
		.amdhsa_user_sgpr_queue_ptr 0
		.amdhsa_user_sgpr_kernarg_segment_ptr 1
		.amdhsa_user_sgpr_dispatch_id 0
		.amdhsa_user_sgpr_flat_scratch_init 0
		.amdhsa_user_sgpr_kernarg_preload_length 0
		.amdhsa_user_sgpr_kernarg_preload_offset 0
		.amdhsa_user_sgpr_private_segment_size 0
		.amdhsa_uses_dynamic_stack 0
		.amdhsa_system_sgpr_private_segment_wavefront_offset 0
		.amdhsa_system_sgpr_workgroup_id_x 1
		.amdhsa_system_sgpr_workgroup_id_y 0
		.amdhsa_system_sgpr_workgroup_id_z 0
		.amdhsa_system_sgpr_workgroup_info 0
		.amdhsa_system_vgpr_workitem_id 0
		.amdhsa_next_free_vgpr 1
		.amdhsa_next_free_sgpr 0
		.amdhsa_accum_offset 4
		.amdhsa_reserve_vcc 0
		.amdhsa_reserve_flat_scratch 0
		.amdhsa_float_round_mode_32 0
		.amdhsa_float_round_mode_16_64 0
		.amdhsa_float_denorm_mode_32 3
		.amdhsa_float_denorm_mode_16_64 3
		.amdhsa_dx10_clamp 1
		.amdhsa_ieee_mode 1
		.amdhsa_fp16_overflow 0
		.amdhsa_tg_split 0
		.amdhsa_exception_fp_ieee_invalid_op 0
		.amdhsa_exception_fp_denorm_src 0
		.amdhsa_exception_fp_ieee_div_zero 0
		.amdhsa_exception_fp_ieee_overflow 0
		.amdhsa_exception_fp_ieee_underflow 0
		.amdhsa_exception_fp_ieee_inexact 0
		.amdhsa_exception_int_div_zero 0
	.end_amdhsa_kernel
	.section	.text._ZN7rocprim17ROCPRIM_400000_NS6detail17trampoline_kernelINS0_14default_configENS1_20scan_config_selectorIN3c107complexIfEEEEZZNS1_9scan_implILNS1_25lookback_scan_determinismE0ELb0ELb0ES3_PKS7_PS7_S7_ZZZN2at6native31launch_logcumsumexp_cuda_kernelERKNSE_10TensorBaseESI_lENKUlvE_clEvENKUlvE2_clEvEUlS7_S7_E_S7_EEDaPvRmT3_T4_T5_mT6_P12ihipStream_tbENKUlT_T0_E_clISt17integral_constantIbLb1EESY_IbLb0EEEEDaSU_SV_EUlSU_E_NS1_11comp_targetILNS1_3genE5ELNS1_11target_archE942ELNS1_3gpuE9ELNS1_3repE0EEENS1_30default_config_static_selectorELNS0_4arch9wavefront6targetE1EEEvT1_,"axG",@progbits,_ZN7rocprim17ROCPRIM_400000_NS6detail17trampoline_kernelINS0_14default_configENS1_20scan_config_selectorIN3c107complexIfEEEEZZNS1_9scan_implILNS1_25lookback_scan_determinismE0ELb0ELb0ES3_PKS7_PS7_S7_ZZZN2at6native31launch_logcumsumexp_cuda_kernelERKNSE_10TensorBaseESI_lENKUlvE_clEvENKUlvE2_clEvEUlS7_S7_E_S7_EEDaPvRmT3_T4_T5_mT6_P12ihipStream_tbENKUlT_T0_E_clISt17integral_constantIbLb1EESY_IbLb0EEEEDaSU_SV_EUlSU_E_NS1_11comp_targetILNS1_3genE5ELNS1_11target_archE942ELNS1_3gpuE9ELNS1_3repE0EEENS1_30default_config_static_selectorELNS0_4arch9wavefront6targetE1EEEvT1_,comdat
.Lfunc_end311:
	.size	_ZN7rocprim17ROCPRIM_400000_NS6detail17trampoline_kernelINS0_14default_configENS1_20scan_config_selectorIN3c107complexIfEEEEZZNS1_9scan_implILNS1_25lookback_scan_determinismE0ELb0ELb0ES3_PKS7_PS7_S7_ZZZN2at6native31launch_logcumsumexp_cuda_kernelERKNSE_10TensorBaseESI_lENKUlvE_clEvENKUlvE2_clEvEUlS7_S7_E_S7_EEDaPvRmT3_T4_T5_mT6_P12ihipStream_tbENKUlT_T0_E_clISt17integral_constantIbLb1EESY_IbLb0EEEEDaSU_SV_EUlSU_E_NS1_11comp_targetILNS1_3genE5ELNS1_11target_archE942ELNS1_3gpuE9ELNS1_3repE0EEENS1_30default_config_static_selectorELNS0_4arch9wavefront6targetE1EEEvT1_, .Lfunc_end311-_ZN7rocprim17ROCPRIM_400000_NS6detail17trampoline_kernelINS0_14default_configENS1_20scan_config_selectorIN3c107complexIfEEEEZZNS1_9scan_implILNS1_25lookback_scan_determinismE0ELb0ELb0ES3_PKS7_PS7_S7_ZZZN2at6native31launch_logcumsumexp_cuda_kernelERKNSE_10TensorBaseESI_lENKUlvE_clEvENKUlvE2_clEvEUlS7_S7_E_S7_EEDaPvRmT3_T4_T5_mT6_P12ihipStream_tbENKUlT_T0_E_clISt17integral_constantIbLb1EESY_IbLb0EEEEDaSU_SV_EUlSU_E_NS1_11comp_targetILNS1_3genE5ELNS1_11target_archE942ELNS1_3gpuE9ELNS1_3repE0EEENS1_30default_config_static_selectorELNS0_4arch9wavefront6targetE1EEEvT1_
                                        ; -- End function
	.section	.AMDGPU.csdata,"",@progbits
; Kernel info:
; codeLenInByte = 0
; NumSgprs: 4
; NumVgprs: 0
; NumAgprs: 0
; TotalNumVgprs: 0
; ScratchSize: 0
; MemoryBound: 0
; FloatMode: 240
; IeeeMode: 1
; LDSByteSize: 0 bytes/workgroup (compile time only)
; SGPRBlocks: 0
; VGPRBlocks: 0
; NumSGPRsForWavesPerEU: 4
; NumVGPRsForWavesPerEU: 1
; AccumOffset: 4
; Occupancy: 8
; WaveLimiterHint : 0
; COMPUTE_PGM_RSRC2:SCRATCH_EN: 0
; COMPUTE_PGM_RSRC2:USER_SGPR: 6
; COMPUTE_PGM_RSRC2:TRAP_HANDLER: 0
; COMPUTE_PGM_RSRC2:TGID_X_EN: 1
; COMPUTE_PGM_RSRC2:TGID_Y_EN: 0
; COMPUTE_PGM_RSRC2:TGID_Z_EN: 0
; COMPUTE_PGM_RSRC2:TIDIG_COMP_CNT: 0
; COMPUTE_PGM_RSRC3_GFX90A:ACCUM_OFFSET: 0
; COMPUTE_PGM_RSRC3_GFX90A:TG_SPLIT: 0
	.section	.text._ZN7rocprim17ROCPRIM_400000_NS6detail17trampoline_kernelINS0_14default_configENS1_20scan_config_selectorIN3c107complexIfEEEEZZNS1_9scan_implILNS1_25lookback_scan_determinismE0ELb0ELb0ES3_PKS7_PS7_S7_ZZZN2at6native31launch_logcumsumexp_cuda_kernelERKNSE_10TensorBaseESI_lENKUlvE_clEvENKUlvE2_clEvEUlS7_S7_E_S7_EEDaPvRmT3_T4_T5_mT6_P12ihipStream_tbENKUlT_T0_E_clISt17integral_constantIbLb1EESY_IbLb0EEEEDaSU_SV_EUlSU_E_NS1_11comp_targetILNS1_3genE4ELNS1_11target_archE910ELNS1_3gpuE8ELNS1_3repE0EEENS1_30default_config_static_selectorELNS0_4arch9wavefront6targetE1EEEvT1_,"axG",@progbits,_ZN7rocprim17ROCPRIM_400000_NS6detail17trampoline_kernelINS0_14default_configENS1_20scan_config_selectorIN3c107complexIfEEEEZZNS1_9scan_implILNS1_25lookback_scan_determinismE0ELb0ELb0ES3_PKS7_PS7_S7_ZZZN2at6native31launch_logcumsumexp_cuda_kernelERKNSE_10TensorBaseESI_lENKUlvE_clEvENKUlvE2_clEvEUlS7_S7_E_S7_EEDaPvRmT3_T4_T5_mT6_P12ihipStream_tbENKUlT_T0_E_clISt17integral_constantIbLb1EESY_IbLb0EEEEDaSU_SV_EUlSU_E_NS1_11comp_targetILNS1_3genE4ELNS1_11target_archE910ELNS1_3gpuE8ELNS1_3repE0EEENS1_30default_config_static_selectorELNS0_4arch9wavefront6targetE1EEEvT1_,comdat
	.globl	_ZN7rocprim17ROCPRIM_400000_NS6detail17trampoline_kernelINS0_14default_configENS1_20scan_config_selectorIN3c107complexIfEEEEZZNS1_9scan_implILNS1_25lookback_scan_determinismE0ELb0ELb0ES3_PKS7_PS7_S7_ZZZN2at6native31launch_logcumsumexp_cuda_kernelERKNSE_10TensorBaseESI_lENKUlvE_clEvENKUlvE2_clEvEUlS7_S7_E_S7_EEDaPvRmT3_T4_T5_mT6_P12ihipStream_tbENKUlT_T0_E_clISt17integral_constantIbLb1EESY_IbLb0EEEEDaSU_SV_EUlSU_E_NS1_11comp_targetILNS1_3genE4ELNS1_11target_archE910ELNS1_3gpuE8ELNS1_3repE0EEENS1_30default_config_static_selectorELNS0_4arch9wavefront6targetE1EEEvT1_ ; -- Begin function _ZN7rocprim17ROCPRIM_400000_NS6detail17trampoline_kernelINS0_14default_configENS1_20scan_config_selectorIN3c107complexIfEEEEZZNS1_9scan_implILNS1_25lookback_scan_determinismE0ELb0ELb0ES3_PKS7_PS7_S7_ZZZN2at6native31launch_logcumsumexp_cuda_kernelERKNSE_10TensorBaseESI_lENKUlvE_clEvENKUlvE2_clEvEUlS7_S7_E_S7_EEDaPvRmT3_T4_T5_mT6_P12ihipStream_tbENKUlT_T0_E_clISt17integral_constantIbLb1EESY_IbLb0EEEEDaSU_SV_EUlSU_E_NS1_11comp_targetILNS1_3genE4ELNS1_11target_archE910ELNS1_3gpuE8ELNS1_3repE0EEENS1_30default_config_static_selectorELNS0_4arch9wavefront6targetE1EEEvT1_
	.p2align	8
	.type	_ZN7rocprim17ROCPRIM_400000_NS6detail17trampoline_kernelINS0_14default_configENS1_20scan_config_selectorIN3c107complexIfEEEEZZNS1_9scan_implILNS1_25lookback_scan_determinismE0ELb0ELb0ES3_PKS7_PS7_S7_ZZZN2at6native31launch_logcumsumexp_cuda_kernelERKNSE_10TensorBaseESI_lENKUlvE_clEvENKUlvE2_clEvEUlS7_S7_E_S7_EEDaPvRmT3_T4_T5_mT6_P12ihipStream_tbENKUlT_T0_E_clISt17integral_constantIbLb1EESY_IbLb0EEEEDaSU_SV_EUlSU_E_NS1_11comp_targetILNS1_3genE4ELNS1_11target_archE910ELNS1_3gpuE8ELNS1_3repE0EEENS1_30default_config_static_selectorELNS0_4arch9wavefront6targetE1EEEvT1_,@function
_ZN7rocprim17ROCPRIM_400000_NS6detail17trampoline_kernelINS0_14default_configENS1_20scan_config_selectorIN3c107complexIfEEEEZZNS1_9scan_implILNS1_25lookback_scan_determinismE0ELb0ELb0ES3_PKS7_PS7_S7_ZZZN2at6native31launch_logcumsumexp_cuda_kernelERKNSE_10TensorBaseESI_lENKUlvE_clEvENKUlvE2_clEvEUlS7_S7_E_S7_EEDaPvRmT3_T4_T5_mT6_P12ihipStream_tbENKUlT_T0_E_clISt17integral_constantIbLb1EESY_IbLb0EEEEDaSU_SV_EUlSU_E_NS1_11comp_targetILNS1_3genE4ELNS1_11target_archE910ELNS1_3gpuE8ELNS1_3repE0EEENS1_30default_config_static_selectorELNS0_4arch9wavefront6targetE1EEEvT1_: ; @_ZN7rocprim17ROCPRIM_400000_NS6detail17trampoline_kernelINS0_14default_configENS1_20scan_config_selectorIN3c107complexIfEEEEZZNS1_9scan_implILNS1_25lookback_scan_determinismE0ELb0ELb0ES3_PKS7_PS7_S7_ZZZN2at6native31launch_logcumsumexp_cuda_kernelERKNSE_10TensorBaseESI_lENKUlvE_clEvENKUlvE2_clEvEUlS7_S7_E_S7_EEDaPvRmT3_T4_T5_mT6_P12ihipStream_tbENKUlT_T0_E_clISt17integral_constantIbLb1EESY_IbLb0EEEEDaSU_SV_EUlSU_E_NS1_11comp_targetILNS1_3genE4ELNS1_11target_archE910ELNS1_3gpuE8ELNS1_3repE0EEENS1_30default_config_static_selectorELNS0_4arch9wavefront6targetE1EEEvT1_
; %bb.0:
	s_mov_b64 s[20:21], s[4:5]
	s_load_dwordx8 s[36:43], s[4:5], 0x0
	s_nop 0
	s_load_dword s4, s[4:5], 0x38
	s_add_u32 flat_scratch_lo, s6, s9
	s_addc_u32 flat_scratch_hi, s7, 0
	s_add_u32 s0, s0, s9
	s_addc_u32 s1, s1, 0
	s_waitcnt lgkmcnt(0)
	s_lshl_b64 s[38:39], s[38:39], 3
	s_add_u32 s6, s36, s38
	s_mov_b32 s28, s8
	s_addc_u32 s7, s37, s39
	s_add_i32 s8, s4, -1
	s_mul_i32 s9, s8, 0x380
	s_sub_u32 s29, s42, s9
	s_subb_u32 s33, s43, 0
	s_mov_b32 s5, 0
	s_mul_i32 s4, s28, 0x380
	s_cmp_lg_u32 s28, s8
	s_cselect_b64 s[34:35], -1, 0
	s_lshl_b64 s[36:37], s[4:5], 3
	v_mov_b32_e32 v48, v0
	s_add_u32 s6, s6, s36
	s_addc_u32 s7, s7, s37
	s_mov_b64 s[4:5], -1
	s_and_b64 vcc, exec, s[34:35]
	v_lshlrev_b32_e32 v63, 3, v48
	s_mov_b32 s32, 0
	s_cbranch_vccz .LBB312_2
; %bb.1:
	v_mov_b32_e32 v0, s7
	v_add_co_u32_e32 v8, vcc, s6, v63
	v_addc_co_u32_e32 v9, vcc, 0, v0, vcc
	v_add_co_u32_e32 v8, vcc, 0x1000, v8
	v_addc_co_u32_e32 v9, vcc, 0, v9, vcc
	global_load_dwordx2 v[0:1], v63, s[6:7]
	global_load_dwordx2 v[2:3], v63, s[6:7] offset:1024
	global_load_dwordx2 v[4:5], v63, s[6:7] offset:2048
	;; [unrolled: 1-line block ×3, first 2 shown]
	global_load_dwordx2 v[10:11], v[8:9], off
	global_load_dwordx2 v[12:13], v[8:9], off offset:1024
	global_load_dwordx2 v[14:15], v[8:9], off offset:2048
	s_mov_b64 s[4:5], 0
	s_waitcnt vmcnt(5)
	ds_write2st64_b64 v63, v[0:1], v[2:3] offset1:2
	s_waitcnt vmcnt(3)
	ds_write2st64_b64 v63, v[4:5], v[6:7] offset0:4 offset1:6
	s_waitcnt vmcnt(1)
	ds_write2st64_b64 v63, v[10:11], v[12:13] offset0:8 offset1:10
	s_waitcnt vmcnt(0)
	ds_write_b64 v63, v[14:15] offset:6144
	s_waitcnt lgkmcnt(0)
	s_barrier
.LBB312_2:
	s_load_dwordx2 s[42:43], s[20:21], 0x30
	s_andn2_b64 vcc, exec, s[4:5]
	v_cmp_gt_u32_e64 s[4:5], s29, v48
	s_cbranch_vccnz .LBB312_18
; %bb.3:
	s_load_dwordx2 s[8:9], s[6:7], 0x0
	s_waitcnt lgkmcnt(0)
	v_pk_mov_b32 v[0:1], s[8:9], s[8:9] op_sel:[0,1]
	s_and_saveexec_b64 s[10:11], s[4:5]
	s_cbranch_execz .LBB312_5
; %bb.4:
	global_load_dwordx2 v[0:1], v63, s[6:7]
.LBB312_5:
	s_or_b64 exec, exec, s[10:11]
	v_or_b32_e32 v2, 0x80, v48
	v_cmp_gt_u32_e32 vcc, s29, v2
	v_pk_mov_b32 v[2:3], s[8:9], s[8:9] op_sel:[0,1]
	s_and_saveexec_b64 s[4:5], vcc
	s_cbranch_execz .LBB312_7
; %bb.6:
	global_load_dwordx2 v[2:3], v63, s[6:7] offset:1024
.LBB312_7:
	s_or_b64 exec, exec, s[4:5]
	v_or_b32_e32 v4, 0x100, v48
	v_cmp_gt_u32_e32 vcc, s29, v4
	v_pk_mov_b32 v[4:5], s[8:9], s[8:9] op_sel:[0,1]
	s_and_saveexec_b64 s[4:5], vcc
	s_cbranch_execz .LBB312_9
; %bb.8:
	global_load_dwordx2 v[4:5], v63, s[6:7] offset:2048
.LBB312_9:
	;; [unrolled: 9-line block ×3, first 2 shown]
	s_or_b64 exec, exec, s[4:5]
	v_or_b32_e32 v10, 0x200, v48
	v_cmp_gt_u32_e32 vcc, s29, v10
	v_pk_mov_b32 v[8:9], s[8:9], s[8:9] op_sel:[0,1]
	s_and_saveexec_b64 s[4:5], vcc
	s_cbranch_execz .LBB312_13
; %bb.12:
	v_lshlrev_b32_e32 v8, 3, v10
	global_load_dwordx2 v[8:9], v8, s[6:7]
.LBB312_13:
	s_or_b64 exec, exec, s[4:5]
	v_or_b32_e32 v12, 0x280, v48
	v_cmp_gt_u32_e32 vcc, s29, v12
	v_pk_mov_b32 v[10:11], s[8:9], s[8:9] op_sel:[0,1]
	s_and_saveexec_b64 s[4:5], vcc
	s_cbranch_execz .LBB312_15
; %bb.14:
	v_lshlrev_b32_e32 v10, 3, v12
	global_load_dwordx2 v[10:11], v10, s[6:7]
.LBB312_15:
	;; [unrolled: 10-line block ×3, first 2 shown]
	s_or_b64 exec, exec, s[4:5]
	s_waitcnt vmcnt(0)
	ds_write2st64_b64 v63, v[0:1], v[2:3] offset1:2
	ds_write2st64_b64 v63, v[4:5], v[6:7] offset0:4 offset1:6
	ds_write2st64_b64 v63, v[8:9], v[10:11] offset0:8 offset1:10
	ds_write_b64 v63, v[12:13] offset:6144
	s_waitcnt lgkmcnt(0)
	s_barrier
.LBB312_18:
	v_mul_u32_u24_e32 v62, 7, v48
	v_lshlrev_b32_e32 v64, 3, v62
	s_waitcnt lgkmcnt(0)
	ds_read2_b64 v[28:31], v64 offset1:1
	ds_read2_b64 v[36:39], v64 offset0:2 offset1:3
	ds_read2_b64 v[32:35], v64 offset0:4 offset1:5
	ds_read_b64 v[50:51], v64 offset:48
	s_cmp_lg_u32 s28, 0
	s_waitcnt lgkmcnt(0)
	s_barrier
	s_cbranch_scc0 .LBB312_80
; %bb.19:
	v_mov_b32_e32 v0, v28
	v_mov_b32_e32 v1, v29
	v_mov_b32_e32 v2, v30
	v_mov_b32_e32 v3, v31
	s_getpc_b64 s[24:25]
	s_add_u32 s24, s24, _ZZZZN2at6native31launch_logcumsumexp_cuda_kernelERKNS_10TensorBaseES3_lENKUlvE_clEvENKUlvE2_clEvENKUlN3c107complexIfEES8_E_clES8_S8_@rel32@lo+4
	s_addc_u32 s25, s25, _ZZZZN2at6native31launch_logcumsumexp_cuda_kernelERKNS_10TensorBaseES3_lENKUlvE_clEvENKUlvE2_clEvENKUlN3c107complexIfEES8_E_clES8_S8_@rel32@hi+12
	s_swappc_b64 s[30:31], s[24:25]
	v_mov_b32_e32 v2, v36
	v_mov_b32_e32 v3, v37
	s_swappc_b64 s[30:31], s[24:25]
	v_mov_b32_e32 v2, v38
	v_mov_b32_e32 v3, v39
	;; [unrolled: 3-line block ×5, first 2 shown]
	s_swappc_b64 s[30:31], s[24:25]
	v_mov_b32_e32 v52, v0
	v_lshrrev_b32_e32 v0, 5, v48
	v_mov_b32_e32 v53, v1
	v_add_lshl_u32 v0, v0, v48, 3
	v_cmp_gt_u32_e64 s[26:27], 64, v48
	ds_write_b64 v0, v[52:53]
	s_waitcnt lgkmcnt(0)
	s_barrier
	s_and_saveexec_b64 s[22:23], s[26:27]
	s_cbranch_execz .LBB312_33
; %bb.20:
	v_lshlrev_b32_e32 v0, 1, v48
	v_lshrrev_b32_e32 v1, 4, v48
	v_add_lshl_u32 v27, v1, v0, 3
	ds_read2_b64 v[40:43], v27 offset1:1
	s_waitcnt lgkmcnt(0)
	v_mov_b32_e32 v0, v40
	v_mov_b32_e32 v1, v41
	;; [unrolled: 1-line block ×4, first 2 shown]
	s_swappc_b64 s[30:31], s[24:25]
	v_mov_b32_e32 v2, v0
	v_mbcnt_lo_u32_b32 v0, -1, 0
	v_mbcnt_hi_u32_b32 v42, -1, v0
	v_mov_b32_e32 v3, v1
	v_and_b32_e32 v43, 15, v42
	v_mov_b32_dpp v0, v2 row_shr:1 row_mask:0xf bank_mask:0xf
	v_mov_b32_dpp v1, v3 row_shr:1 row_mask:0xf bank_mask:0xf
	v_cmp_ne_u32_e32 vcc, 0, v43
	s_and_saveexec_b64 s[24:25], vcc
	s_cbranch_execz .LBB312_22
; %bb.21:
	s_getpc_b64 s[4:5]
	s_add_u32 s4, s4, _ZZZZN2at6native31launch_logcumsumexp_cuda_kernelERKNS_10TensorBaseES3_lENKUlvE_clEvENKUlvE2_clEvENKUlN3c107complexIfEES8_E_clES8_S8_@rel32@lo+4
	s_addc_u32 s5, s5, _ZZZZN2at6native31launch_logcumsumexp_cuda_kernelERKNS_10TensorBaseES3_lENKUlvE_clEvENKUlvE2_clEvENKUlN3c107complexIfEES8_E_clES8_S8_@rel32@hi+12
	s_swappc_b64 s[30:31], s[4:5]
	v_mov_b32_e32 v2, v0
	v_mov_b32_e32 v3, v1
.LBB312_22:
	s_or_b64 exec, exec, s[24:25]
	v_mov_b32_dpp v0, v2 row_shr:2 row_mask:0xf bank_mask:0xf
	v_mov_b32_dpp v1, v3 row_shr:2 row_mask:0xf bank_mask:0xf
	v_cmp_lt_u32_e32 vcc, 1, v43
	s_and_saveexec_b64 s[24:25], vcc
	s_cbranch_execz .LBB312_24
; %bb.23:
	s_getpc_b64 s[4:5]
	s_add_u32 s4, s4, _ZZZZN2at6native31launch_logcumsumexp_cuda_kernelERKNS_10TensorBaseES3_lENKUlvE_clEvENKUlvE2_clEvENKUlN3c107complexIfEES8_E_clES8_S8_@rel32@lo+4
	s_addc_u32 s5, s5, _ZZZZN2at6native31launch_logcumsumexp_cuda_kernelERKNS_10TensorBaseES3_lENKUlvE_clEvENKUlvE2_clEvENKUlN3c107complexIfEES8_E_clES8_S8_@rel32@hi+12
	s_swappc_b64 s[30:31], s[4:5]
	v_mov_b32_e32 v2, v0
	v_mov_b32_e32 v3, v1
.LBB312_24:
	s_or_b64 exec, exec, s[24:25]
	v_mov_b32_dpp v0, v2 row_shr:4 row_mask:0xf bank_mask:0xf
	v_mov_b32_dpp v1, v3 row_shr:4 row_mask:0xf bank_mask:0xf
	v_cmp_lt_u32_e32 vcc, 3, v43
	;; [unrolled: 14-line block ×3, first 2 shown]
	s_and_saveexec_b64 s[24:25], vcc
	s_cbranch_execz .LBB312_28
; %bb.27:
	s_getpc_b64 s[4:5]
	s_add_u32 s4, s4, _ZZZZN2at6native31launch_logcumsumexp_cuda_kernelERKNS_10TensorBaseES3_lENKUlvE_clEvENKUlvE2_clEvENKUlN3c107complexIfEES8_E_clES8_S8_@rel32@lo+4
	s_addc_u32 s5, s5, _ZZZZN2at6native31launch_logcumsumexp_cuda_kernelERKNS_10TensorBaseES3_lENKUlvE_clEvENKUlvE2_clEvENKUlN3c107complexIfEES8_E_clES8_S8_@rel32@hi+12
	s_swappc_b64 s[30:31], s[4:5]
	v_mov_b32_e32 v2, v0
	v_mov_b32_e32 v3, v1
.LBB312_28:
	s_or_b64 exec, exec, s[24:25]
	v_and_b32_e32 v4, 16, v42
	v_mov_b32_dpp v0, v2 row_bcast:15 row_mask:0xf bank_mask:0xf
	v_mov_b32_dpp v1, v3 row_bcast:15 row_mask:0xf bank_mask:0xf
	v_cmp_ne_u32_e32 vcc, 0, v4
	s_and_saveexec_b64 s[24:25], vcc
	s_cbranch_execz .LBB312_30
; %bb.29:
	s_getpc_b64 s[4:5]
	s_add_u32 s4, s4, _ZZZZN2at6native31launch_logcumsumexp_cuda_kernelERKNS_10TensorBaseES3_lENKUlvE_clEvENKUlvE2_clEvENKUlN3c107complexIfEES8_E_clES8_S8_@rel32@lo+4
	s_addc_u32 s5, s5, _ZZZZN2at6native31launch_logcumsumexp_cuda_kernelERKNS_10TensorBaseES3_lENKUlvE_clEvENKUlvE2_clEvENKUlN3c107complexIfEES8_E_clES8_S8_@rel32@hi+12
	s_swappc_b64 s[30:31], s[4:5]
	v_mov_b32_e32 v2, v0
	v_mov_b32_e32 v3, v1
.LBB312_30:
	s_or_b64 exec, exec, s[24:25]
	v_mov_b32_dpp v0, v2 row_bcast:31 row_mask:0xf bank_mask:0xf
	v_mov_b32_dpp v1, v3 row_bcast:31 row_mask:0xf bank_mask:0xf
	v_cmp_lt_u32_e32 vcc, 31, v42
	s_and_saveexec_b64 s[24:25], vcc
	s_cbranch_execz .LBB312_32
; %bb.31:
	s_getpc_b64 s[4:5]
	s_add_u32 s4, s4, _ZZZZN2at6native31launch_logcumsumexp_cuda_kernelERKNS_10TensorBaseES3_lENKUlvE_clEvENKUlvE2_clEvENKUlN3c107complexIfEES8_E_clES8_S8_@rel32@lo+4
	s_addc_u32 s5, s5, _ZZZZN2at6native31launch_logcumsumexp_cuda_kernelERKNS_10TensorBaseES3_lENKUlvE_clEvENKUlvE2_clEvENKUlN3c107complexIfEES8_E_clES8_S8_@rel32@hi+12
	s_swappc_b64 s[30:31], s[4:5]
	v_mov_b32_e32 v2, v0
	v_mov_b32_e32 v3, v1
.LBB312_32:
	s_or_b64 exec, exec, s[24:25]
	v_add_u32_e32 v0, -1, v42
	v_and_b32_e32 v1, 64, v42
	v_cmp_lt_i32_e32 vcc, v0, v1
	v_cndmask_b32_e32 v0, v0, v42, vcc
	v_lshlrev_b32_e32 v1, 2, v0
	ds_bpermute_b32 v0, v1, v2
	ds_bpermute_b32 v1, v1, v3
	v_mov_b32_e32 v2, v40
	v_mov_b32_e32 v3, v41
	s_getpc_b64 s[24:25]
	s_add_u32 s24, s24, _ZZZZN2at6native31launch_logcumsumexp_cuda_kernelERKNS_10TensorBaseES3_lENKUlvE_clEvENKUlvE2_clEvENKUlN3c107complexIfEES8_E_clES8_S8_@rel32@lo+4
	s_addc_u32 s25, s25, _ZZZZN2at6native31launch_logcumsumexp_cuda_kernelERKNS_10TensorBaseES3_lENKUlvE_clEvENKUlvE2_clEvENKUlN3c107complexIfEES8_E_clES8_S8_@rel32@hi+12
	s_swappc_b64 s[30:31], s[24:25]
	v_cmp_eq_u32_e32 vcc, 0, v48
	v_cndmask_b32_e32 v0, v0, v52, vcc
	v_cndmask_b32_e32 v1, v1, v53, vcc
	; wave barrier
	ds_write_b64 v27, v[0:1]
	; wave barrier
	ds_read_b64 v[2:3], v27 offset:8
	s_swappc_b64 s[30:31], s[24:25]
	ds_write_b64 v27, v[0:1] offset:8
.LBB312_33:
	s_or_b64 exec, exec, s[22:23]
	v_cmp_eq_u32_e64 s[24:25], 0, v48
	v_cmp_ne_u32_e64 s[22:23], 0, v48
	s_waitcnt lgkmcnt(0)
	s_barrier
	s_and_saveexec_b64 s[4:5], s[22:23]
	s_cbranch_execz .LBB312_35
; %bb.34:
	v_add_u32_e32 v0, -1, v48
	v_lshrrev_b32_e32 v1, 5, v0
	v_add_lshl_u32 v0, v1, v0, 3
	ds_read_b64 v[52:53], v0
.LBB312_35:
	s_or_b64 exec, exec, s[4:5]
	s_and_saveexec_b64 s[44:45], s[26:27]
	s_cbranch_execz .LBB312_85
; %bb.36:
	v_mov_b32_e32 v43, 0
	ds_read_b64 v[40:41], v43 offset:1040
	v_mbcnt_lo_u32_b32 v0, -1, 0
	v_mbcnt_hi_u32_b32 v55, -1, v0
	s_mov_b32 s7, 0
	v_cmp_eq_u32_e64 s[26:27], 0, v55
	s_waitcnt lgkmcnt(0)
	v_readfirstlane_b32 s52, v41
	s_and_saveexec_b64 s[4:5], s[26:27]
	s_cbranch_execz .LBB312_38
; %bb.37:
	s_add_i32 s6, s28, 64
	s_lshl_b64 s[8:9], s[6:7], 4
	s_add_u32 s8, s42, s8
	s_addc_u32 s9, s43, s9
	s_and_b32 s11, s52, 0xff000000
	s_mov_b32 s10, s7
	s_and_b32 s13, s52, 0xff0000
	s_mov_b32 s12, s7
	s_or_b64 s[10:11], s[12:13], s[10:11]
	s_and_b32 s13, s52, 0xff00
	s_or_b64 s[10:11], s[10:11], s[12:13]
	s_and_b32 s13, s52, 0xff
	s_or_b64 s[6:7], s[10:11], s[12:13]
	v_mov_b32_e32 v41, s7
	v_mov_b32_e32 v42, 1
	v_pk_mov_b32 v[0:1], s[8:9], s[8:9] op_sel:[0,1]
	;;#ASMSTART
	global_store_dwordx4 v[0:1], v[40:43] off	
s_waitcnt vmcnt(0)
	;;#ASMEND
.LBB312_38:
	s_or_b64 exec, exec, s[4:5]
	v_xad_u32 v54, v55, -1, s28
	v_add_u32_e32 v42, 64, v54
	v_lshlrev_b64 v[0:1], 4, v[42:43]
	v_mov_b32_e32 v2, s43
	v_add_co_u32_e32 v0, vcc, s42, v0
	s_mov_b32 s4, 0x1000706
	v_addc_co_u32_e32 v1, vcc, v2, v1, vcc
	;;#ASMSTART
	global_load_dwordx4 v[44:47], v[0:1] off glc	
s_waitcnt vmcnt(0)
	;;#ASMEND
	v_perm_b32 v2, v45, v46, s4
	v_lshlrev_b32_e32 v2, 16, v2
	s_mov_b32 s4, 0x7020504
	v_perm_b32 v27, v45, v2, s4
	s_mov_b32 s4, 0x3060504
	v_perm_b32 v45, v44, v44, s4
	v_cmp_eq_u16_sdwa s[6:7], v46, v43 src0_sel:BYTE_0 src1_sel:DWORD
	s_and_saveexec_b64 s[4:5], s[6:7]
	s_cbranch_execz .LBB312_44
; %bb.39:
	s_mov_b32 s8, 1
	s_mov_b64 s[6:7], 0
	v_mov_b32_e32 v2, 0
.LBB312_40:                             ; =>This Loop Header: Depth=1
                                        ;     Child Loop BB312_41 Depth 2
	s_max_u32 s9, s8, 1
.LBB312_41:                             ;   Parent Loop BB312_40 Depth=1
                                        ; =>  This Inner Loop Header: Depth=2
	s_add_i32 s9, s9, -1
	s_cmp_eq_u32 s9, 0
	s_sleep 1
	s_cbranch_scc0 .LBB312_41
; %bb.42:                               ;   in Loop: Header=BB312_40 Depth=1
	s_cmp_lt_u32 s8, 32
	s_cselect_b64 s[10:11], -1, 0
	s_cmp_lg_u64 s[10:11], 0
	s_addc_u32 s8, s8, 0
	;;#ASMSTART
	global_load_dwordx4 v[44:47], v[0:1] off glc	
s_waitcnt vmcnt(0)
	;;#ASMEND
	v_cmp_ne_u16_sdwa s[10:11], v46, v2 src0_sel:BYTE_0 src1_sel:DWORD
	s_or_b64 s[6:7], s[10:11], s[6:7]
	s_andn2_b64 exec, exec, s[6:7]
	s_cbranch_execnz .LBB312_40
; %bb.43:
	s_or_b64 exec, exec, s[6:7]
	s_mov_b32 s6, 0x2010007
	v_perm_b32 v0, v45, v46, s6
	s_mov_b32 s6, 0x1000706
	v_perm_b32 v1, v45, v46, s6
	v_lshlrev_b32_e32 v1, 16, v1
	s_mov_b32 s6, 0xc060100
	v_perm_b32 v1, v1, v45, s6
	s_mov_b32 s6, 0x3020504
	v_lshl_or_b32 v27, v0, 24, v1
	v_perm_b32 v45, v44, v44, s6
.LBB312_44:
	s_or_b64 exec, exec, s[4:5]
	v_mov_b32_e32 v0, 2
	v_cmp_eq_u16_sdwa s[4:5], v46, v0 src0_sel:BYTE_0 src1_sel:DWORD
	v_lshlrev_b64 v[56:57], v55, -1
	v_and_b32_e32 v0, s5, v57
	v_and_b32_e32 v49, 63, v55
	v_or_b32_e32 v0, 0x80000000, v0
	v_cmp_ne_u32_e32 vcc, 63, v49
	v_ffbl_b32_e32 v3, v0
	v_addc_co_u32_e32 v0, vcc, 0, v55, vcc
	v_lshlrev_b32_e32 v58, 2, v0
	ds_bpermute_b32 v0, v58, v45
	ds_bpermute_b32 v1, v58, v27
	v_and_b32_e32 v2, s4, v56
	v_add_u32_e32 v3, 32, v3
	v_ffbl_b32_e32 v2, v2
	v_min_u32_e32 v42, v2, v3
	v_cmp_lt_u32_e32 vcc, v49, v42
	s_and_saveexec_b64 s[46:47], vcc
	s_cbranch_execz .LBB312_46
; %bb.45:
	v_mov_b32_e32 v2, v45
	v_mov_b32_e32 v3, v27
	s_getpc_b64 s[4:5]
	s_add_u32 s4, s4, _ZZZZN2at6native31launch_logcumsumexp_cuda_kernelERKNS_10TensorBaseES3_lENKUlvE_clEvENKUlvE2_clEvENKUlN3c107complexIfEES8_E_clES8_S8_@rel32@lo+4
	s_addc_u32 s5, s5, _ZZZZN2at6native31launch_logcumsumexp_cuda_kernelERKNS_10TensorBaseES3_lENKUlvE_clEvENKUlvE2_clEvENKUlN3c107complexIfEES8_E_clES8_S8_@rel32@hi+12
	s_swappc_b64 s[30:31], s[4:5]
	v_mov_b32_e32 v45, v0
	v_mov_b32_e32 v27, v1
.LBB312_46:
	s_or_b64 exec, exec, s[46:47]
	v_cmp_gt_u32_e32 vcc, 62, v49
	s_waitcnt lgkmcnt(1)
	v_cndmask_b32_e64 v0, 0, 1, vcc
	v_lshlrev_b32_e32 v0, 1, v0
	v_add_lshl_u32 v59, v0, v55, 2
	ds_bpermute_b32 v0, v59, v45
	s_waitcnt lgkmcnt(1)
	ds_bpermute_b32 v1, v59, v27
	v_add_u32_e32 v60, 2, v49
	v_cmp_le_u32_e32 vcc, v60, v42
	s_and_saveexec_b64 s[46:47], vcc
	s_cbranch_execz .LBB312_48
; %bb.47:
	v_mov_b32_e32 v2, v45
	v_mov_b32_e32 v3, v27
	s_getpc_b64 s[4:5]
	s_add_u32 s4, s4, _ZZZZN2at6native31launch_logcumsumexp_cuda_kernelERKNS_10TensorBaseES3_lENKUlvE_clEvENKUlvE2_clEvENKUlN3c107complexIfEES8_E_clES8_S8_@rel32@lo+4
	s_addc_u32 s5, s5, _ZZZZN2at6native31launch_logcumsumexp_cuda_kernelERKNS_10TensorBaseES3_lENKUlvE_clEvENKUlvE2_clEvENKUlN3c107complexIfEES8_E_clES8_S8_@rel32@hi+12
	s_swappc_b64 s[30:31], s[4:5]
	v_mov_b32_e32 v45, v0
	v_mov_b32_e32 v27, v1
.LBB312_48:
	s_or_b64 exec, exec, s[46:47]
	v_cmp_gt_u32_e32 vcc, 60, v49
	s_waitcnt lgkmcnt(1)
	v_cndmask_b32_e64 v0, 0, 1, vcc
	v_lshlrev_b32_e32 v0, 2, v0
	v_add_lshl_u32 v61, v0, v55, 2
	ds_bpermute_b32 v0, v61, v45
	s_waitcnt lgkmcnt(1)
	ds_bpermute_b32 v1, v61, v27
	v_add_u32_e32 v65, 4, v49
	v_cmp_le_u32_e32 vcc, v65, v42
	;; [unrolled: 23-line block ×4, first 2 shown]
	s_and_saveexec_b64 s[46:47], vcc
	s_cbranch_execz .LBB312_54
; %bb.53:
	v_mov_b32_e32 v2, v45
	v_mov_b32_e32 v3, v27
	s_getpc_b64 s[4:5]
	s_add_u32 s4, s4, _ZZZZN2at6native31launch_logcumsumexp_cuda_kernelERKNS_10TensorBaseES3_lENKUlvE_clEvENKUlvE2_clEvENKUlN3c107complexIfEES8_E_clES8_S8_@rel32@lo+4
	s_addc_u32 s5, s5, _ZZZZN2at6native31launch_logcumsumexp_cuda_kernelERKNS_10TensorBaseES3_lENKUlvE_clEvENKUlvE2_clEvENKUlN3c107complexIfEES8_E_clES8_S8_@rel32@hi+12
	s_swappc_b64 s[30:31], s[4:5]
	v_mov_b32_e32 v45, v0
	v_mov_b32_e32 v27, v1
.LBB312_54:
	s_or_b64 exec, exec, s[46:47]
	v_cmp_gt_u32_e32 vcc, 32, v49
	s_waitcnt lgkmcnt(1)
	v_cndmask_b32_e64 v0, 0, 1, vcc
	v_lshlrev_b32_e32 v0, 5, v0
	v_add_lshl_u32 v71, v0, v55, 2
	ds_bpermute_b32 v44, v71, v45
	ds_bpermute_b32 v41, v71, v27
	v_add_u32_e32 v70, 32, v49
	v_cmp_gt_u32_e64 s[4:5], v70, v42
	s_mov_b64 s[46:47], 0
	v_mov_b32_e32 v55, 0
	s_mov_b32 s53, 0x70605
	s_mov_b32 s54, 0x1000706
	;; [unrolled: 1-line block ×4, first 2 shown]
	v_mov_b32_e32 v72, 2
	s_waitcnt lgkmcnt(2)
	v_mov_b32_e32 v1, v27
	v_mov_b32_e32 v0, v45
                                        ; implicit-def: $sgpr48_sgpr49
	s_branch .LBB312_57
.LBB312_55:                             ;   in Loop: Header=BB312_57 Depth=1
	s_or_b64 exec, exec, s[46:47]
	v_subrev_u32_e32 v54, 64, v54
	s_mov_b64 s[4:5], 0
.LBB312_56:                             ;   in Loop: Header=BB312_57 Depth=1
	s_and_b64 vcc, exec, s[4:5]
	s_mov_b64 s[46:47], 0
	v_mov_b32_e32 v27, v43
	v_mov_b32_e32 v45, v42
                                        ; implicit-def: $sgpr48_sgpr49
                                        ; implicit-def: $vgpr1
                                        ; implicit-def: $vgpr0
	s_cbranch_vccnz .LBB312_81
.LBB312_57:                             ; =>This Loop Header: Depth=1
                                        ;     Child Loop BB312_63 Depth 2
                                        ;       Child Loop BB312_64 Depth 3
	s_waitcnt lgkmcnt(1)
	v_mov_b32_e32 v42, v0
	s_waitcnt lgkmcnt(0)
	v_mov_b32_e32 v43, v1
	s_xor_b64 s[8:9], s[4:5], -1
	s_or_b64 s[48:49], s[48:49], exec
                                        ; implicit-def: $sgpr6_sgpr7
                                        ; implicit-def: $vgpr0
                                        ; implicit-def: $vgpr1
	s_and_saveexec_b64 s[10:11], s[8:9]
	s_xor_b64 s[50:51], exec, s[10:11]
	s_cbranch_execz .LBB312_59
; %bb.58:                               ;   in Loop: Header=BB312_57 Depth=1
	s_waitcnt lgkmcnt(1)
	v_mov_b32_e32 v0, v44
	s_waitcnt lgkmcnt(0)
	v_mov_b32_e32 v1, v41
	v_mov_b32_e32 v2, v45
	;; [unrolled: 1-line block ×3, first 2 shown]
	s_getpc_b64 s[4:5]
	s_add_u32 s4, s4, _ZZZZN2at6native31launch_logcumsumexp_cuda_kernelERKNS_10TensorBaseES3_lENKUlvE_clEvENKUlvE2_clEvENKUlN3c107complexIfEES8_E_clES8_S8_@rel32@lo+4
	s_addc_u32 s5, s5, _ZZZZN2at6native31launch_logcumsumexp_cuda_kernelERKNS_10TensorBaseES3_lENKUlvE_clEvENKUlvE2_clEvENKUlN3c107complexIfEES8_E_clES8_S8_@rel32@hi+12
	s_swappc_b64 s[30:31], s[4:5]
	s_mov_b64 s[6:7], -1
	s_andn2_b64 s[48:49], s[48:49], exec
                                        ; implicit-def: $sgpr4_sgpr5
.LBB312_59:                             ;   in Loop: Header=BB312_57 Depth=1
	s_or_b64 exec, exec, s[50:51]
	s_and_b64 s[8:9], exec, s[48:49]
	s_or_b64 s[46:47], s[8:9], s[46:47]
	s_andn2_b64 s[4:5], s[4:5], exec
	s_and_b64 s[6:7], s[6:7], exec
	s_or_b64 s[4:5], s[4:5], s[6:7]
	s_andn2_b64 exec, exec, s[46:47]
	s_cbranch_execnz .LBB312_57
; %bb.60:                               ;   in Loop: Header=BB312_57 Depth=1
	s_or_b64 exec, exec, s[46:47]
	v_cmp_ne_u16_sdwa s[4:5], v46, v72 src0_sel:BYTE_0 src1_sel:DWORD
	v_cndmask_b32_e64 v0, 0, 1, s[4:5]
	;;#ASMSTART
	;;#ASMEND
	v_cmp_ne_u32_e32 vcc, 0, v0
	s_cmp_lg_u64 vcc, exec
	s_cbranch_scc1 .LBB312_79
; %bb.61:                               ;   in Loop: Header=BB312_57 Depth=1
	v_lshlrev_b64 v[0:1], 4, v[54:55]
	v_mov_b32_e32 v2, s43
	v_add_co_u32_e32 v0, vcc, s42, v0
	v_addc_co_u32_e32 v1, vcc, v2, v1, vcc
	s_waitcnt lgkmcnt(1)
	;;#ASMSTART
	global_load_dwordx4 v[44:47], v[0:1] off glc	
s_waitcnt vmcnt(0)
	;;#ASMEND
	v_perm_b32 v2, v45, v46, s53
	v_perm_b32 v3, v45, v46, s54
	;; [unrolled: 1-line block ×3, first 2 shown]
	v_lshlrev_b32_e32 v2, 8, v2
	v_lshlrev_b32_e32 v3, 16, v3
	v_perm_b32 v2, v2, v45, s56
	v_and_b32_e32 v3, 0xff0000, v3
	v_lshlrev_b32_e32 v4, 24, v4
	s_waitcnt lgkmcnt(0)
	v_or3_b32 v41, v2, v3, v4
	v_cmp_eq_u16_sdwa s[6:7], v46, v55 src0_sel:BYTE_0 src1_sel:DWORD
	s_and_saveexec_b64 s[4:5], s[6:7]
	s_cbranch_execz .LBB312_67
; %bb.62:                               ;   in Loop: Header=BB312_57 Depth=1
	s_mov_b32 s8, 1
	s_mov_b64 s[6:7], 0
.LBB312_63:                             ;   Parent Loop BB312_57 Depth=1
                                        ; =>  This Loop Header: Depth=2
                                        ;       Child Loop BB312_64 Depth 3
	s_max_u32 s9, s8, 1
.LBB312_64:                             ;   Parent Loop BB312_57 Depth=1
                                        ;     Parent Loop BB312_63 Depth=2
                                        ; =>    This Inner Loop Header: Depth=3
	s_add_i32 s9, s9, -1
	s_cmp_eq_u32 s9, 0
	s_sleep 1
	s_cbranch_scc0 .LBB312_64
; %bb.65:                               ;   in Loop: Header=BB312_63 Depth=2
	s_cmp_lt_u32 s8, 32
	s_cselect_b64 s[10:11], -1, 0
	s_cmp_lg_u64 s[10:11], 0
	s_addc_u32 s8, s8, 0
	;;#ASMSTART
	global_load_dwordx4 v[44:47], v[0:1] off glc	
s_waitcnt vmcnt(0)
	;;#ASMEND
	v_cmp_ne_u16_sdwa s[10:11], v46, v55 src0_sel:BYTE_0 src1_sel:DWORD
	s_or_b64 s[6:7], s[10:11], s[6:7]
	s_andn2_b64 exec, exec, s[6:7]
	s_cbranch_execnz .LBB312_63
; %bb.66:                               ;   in Loop: Header=BB312_57 Depth=1
	s_or_b64 exec, exec, s[6:7]
	v_perm_b32 v0, v45, v46, s53
	v_perm_b32 v1, v45, v46, s54
	;; [unrolled: 1-line block ×3, first 2 shown]
	v_lshlrev_b32_e32 v0, 8, v0
	v_lshlrev_b32_e32 v1, 16, v1
	v_perm_b32 v0, v0, v45, s56
	v_and_b32_e32 v1, 0xff0000, v1
	v_lshlrev_b32_e32 v2, 24, v2
	v_or3_b32 v41, v0, v1, v2
.LBB312_67:                             ;   in Loop: Header=BB312_57 Depth=1
	s_or_b64 exec, exec, s[4:5]
	v_cmp_eq_u16_sdwa s[4:5], v46, v72 src0_sel:BYTE_0 src1_sel:DWORD
	v_and_b32_e32 v0, s5, v57
	v_or_b32_e32 v0, 0x80000000, v0
	v_ffbl_b32_e32 v3, v0
	ds_bpermute_b32 v0, v58, v44
	ds_bpermute_b32 v1, v58, v41
	v_and_b32_e32 v2, s4, v56
	v_add_u32_e32 v3, 32, v3
	v_ffbl_b32_e32 v2, v2
	v_min_u32_e32 v27, v2, v3
	v_cmp_lt_u32_e32 vcc, v49, v27
	s_and_saveexec_b64 s[46:47], vcc
	s_cbranch_execz .LBB312_69
; %bb.68:                               ;   in Loop: Header=BB312_57 Depth=1
	v_mov_b32_e32 v2, v44
	v_mov_b32_e32 v3, v41
	s_getpc_b64 s[4:5]
	s_add_u32 s4, s4, _ZZZZN2at6native31launch_logcumsumexp_cuda_kernelERKNS_10TensorBaseES3_lENKUlvE_clEvENKUlvE2_clEvENKUlN3c107complexIfEES8_E_clES8_S8_@rel32@lo+4
	s_addc_u32 s5, s5, _ZZZZN2at6native31launch_logcumsumexp_cuda_kernelERKNS_10TensorBaseES3_lENKUlvE_clEvENKUlvE2_clEvENKUlN3c107complexIfEES8_E_clES8_S8_@rel32@hi+12
	s_swappc_b64 s[30:31], s[4:5]
	v_mov_b32_e32 v44, v0
	v_mov_b32_e32 v41, v1
.LBB312_69:                             ;   in Loop: Header=BB312_57 Depth=1
	s_or_b64 exec, exec, s[46:47]
	s_waitcnt lgkmcnt(1)
	ds_bpermute_b32 v0, v59, v44
	s_waitcnt lgkmcnt(1)
	ds_bpermute_b32 v1, v59, v41
	v_cmp_le_u32_e32 vcc, v60, v27
	s_and_saveexec_b64 s[46:47], vcc
	s_cbranch_execz .LBB312_71
; %bb.70:                               ;   in Loop: Header=BB312_57 Depth=1
	v_mov_b32_e32 v2, v44
	v_mov_b32_e32 v3, v41
	s_getpc_b64 s[4:5]
	s_add_u32 s4, s4, _ZZZZN2at6native31launch_logcumsumexp_cuda_kernelERKNS_10TensorBaseES3_lENKUlvE_clEvENKUlvE2_clEvENKUlN3c107complexIfEES8_E_clES8_S8_@rel32@lo+4
	s_addc_u32 s5, s5, _ZZZZN2at6native31launch_logcumsumexp_cuda_kernelERKNS_10TensorBaseES3_lENKUlvE_clEvENKUlvE2_clEvENKUlN3c107complexIfEES8_E_clES8_S8_@rel32@hi+12
	s_swappc_b64 s[30:31], s[4:5]
	v_mov_b32_e32 v44, v0
	v_mov_b32_e32 v41, v1
.LBB312_71:                             ;   in Loop: Header=BB312_57 Depth=1
	s_or_b64 exec, exec, s[46:47]
	s_waitcnt lgkmcnt(1)
	ds_bpermute_b32 v0, v61, v44
	s_waitcnt lgkmcnt(1)
	ds_bpermute_b32 v1, v61, v41
	v_cmp_le_u32_e32 vcc, v65, v27
	;; [unrolled: 18-line block ×5, first 2 shown]
	s_and_saveexec_b64 s[46:47], vcc
	s_cbranch_execz .LBB312_55
; %bb.78:                               ;   in Loop: Header=BB312_57 Depth=1
	v_mov_b32_e32 v2, v44
	v_mov_b32_e32 v3, v41
	s_getpc_b64 s[4:5]
	s_add_u32 s4, s4, _ZZZZN2at6native31launch_logcumsumexp_cuda_kernelERKNS_10TensorBaseES3_lENKUlvE_clEvENKUlvE2_clEvENKUlN3c107complexIfEES8_E_clES8_S8_@rel32@lo+4
	s_addc_u32 s5, s5, _ZZZZN2at6native31launch_logcumsumexp_cuda_kernelERKNS_10TensorBaseES3_lENKUlvE_clEvENKUlvE2_clEvENKUlN3c107complexIfEES8_E_clES8_S8_@rel32@hi+12
	s_swappc_b64 s[30:31], s[4:5]
	v_mov_b32_e32 v44, v0
	v_mov_b32_e32 v41, v1
	s_branch .LBB312_55
.LBB312_79:                             ;   in Loop: Header=BB312_57 Depth=1
	s_mov_b64 s[4:5], -1
                                        ; implicit-def: $vgpr44
                                        ; implicit-def: $vgpr41
	s_branch .LBB312_56
.LBB312_80:
                                        ; implicit-def: $vgpr58_vgpr59_vgpr60_vgpr61
                                        ; implicit-def: $vgpr56_vgpr57_vgpr58_vgpr59
                                        ; implicit-def: $vgpr53
                                        ; implicit-def: $vgpr41
                                        ; implicit-def: $vgpr44
                                        ; implicit-def: $vgpr46
                                        ; implicit-def: $vgpr54_vgpr55_vgpr56_vgpr57
	s_load_dwordx8 s[44:51], s[20:21], 0x40
	s_cbranch_execnz .LBB312_88
	s_branch .LBB312_111
.LBB312_81:
	s_and_saveexec_b64 s[46:47], s[26:27]
	s_cbranch_execz .LBB312_83
; %bb.82:
	s_waitcnt lgkmcnt(1)
	v_mov_b32_e32 v0, v42
	s_waitcnt lgkmcnt(0)
	v_mov_b32_e32 v1, v43
	v_mov_b32_e32 v2, v40
	;; [unrolled: 1-line block ×3, first 2 shown]
	s_getpc_b64 s[4:5]
	s_add_u32 s4, s4, _ZZZZN2at6native31launch_logcumsumexp_cuda_kernelERKNS_10TensorBaseES3_lENKUlvE_clEvENKUlvE2_clEvENKUlN3c107complexIfEES8_E_clES8_S8_@rel32@lo+4
	s_addc_u32 s5, s5, _ZZZZN2at6native31launch_logcumsumexp_cuda_kernelERKNS_10TensorBaseES3_lENKUlvE_clEvENKUlvE2_clEvENKUlN3c107complexIfEES8_E_clES8_S8_@rel32@hi+12
	s_swappc_b64 s[30:31], s[4:5]
	s_add_i32 s4, s28, 64
	s_mov_b32 s5, 0
	s_lshl_b64 s[4:5], s[4:5], 4
	s_add_u32 s4, s42, s4
	v_and_b32_e32 v2, 0xff000000, v1
	v_and_b32_e32 v4, 0xff0000, v1
	s_addc_u32 s5, s43, s5
	v_or_b32_e32 v2, v4, v2
	v_and_b32_e32 v4, 0xff00, v1
	v_and_b32_e32 v1, 0xff, v1
	v_mov_b32_e32 v3, 0
	v_or3_b32 v1, v2, v4, v1
	v_mov_b32_e32 v2, 2
	v_pk_mov_b32 v[4:5], s[4:5], s[4:5] op_sel:[0,1]
	;;#ASMSTART
	global_store_dwordx4 v[4:5], v[0:3] off	
s_waitcnt vmcnt(0)
	;;#ASMEND
.LBB312_83:
	s_or_b64 exec, exec, s[46:47]
	s_and_b64 exec, exec, s[24:25]
	s_cbranch_execz .LBB312_85
; %bb.84:
	s_waitcnt lgkmcnt(1)
	v_mov_b32_e32 v0, 0
	ds_write_b64 v0, v[42:43]
.LBB312_85:
	s_or_b64 exec, exec, s[44:45]
	s_waitcnt lgkmcnt(1)
	v_mov_b32_e32 v0, 0
	s_waitcnt lgkmcnt(0)
	s_barrier
	ds_read_b64 v[40:41], v0
	v_mov_b32_e32 v2, v28
	v_mov_b32_e32 v3, v29
	s_and_saveexec_b64 s[24:25], s[22:23]
	s_cbranch_execz .LBB312_87
; %bb.86:
	v_mov_b32_e32 v0, v52
	v_mov_b32_e32 v1, v53
	;; [unrolled: 1-line block ×4, first 2 shown]
	s_getpc_b64 s[4:5]
	s_add_u32 s4, s4, _ZZZZN2at6native31launch_logcumsumexp_cuda_kernelERKNS_10TensorBaseES3_lENKUlvE_clEvENKUlvE2_clEvENKUlN3c107complexIfEES8_E_clES8_S8_@rel32@lo+4
	s_addc_u32 s5, s5, _ZZZZN2at6native31launch_logcumsumexp_cuda_kernelERKNS_10TensorBaseES3_lENKUlvE_clEvENKUlvE2_clEvENKUlN3c107complexIfEES8_E_clES8_S8_@rel32@hi+12
	s_swappc_b64 s[30:31], s[4:5]
	v_mov_b32_e32 v2, v0
	v_mov_b32_e32 v3, v1
.LBB312_87:
	s_or_b64 exec, exec, s[24:25]
	s_waitcnt lgkmcnt(0)
	v_mov_b32_e32 v0, v40
	v_mov_b32_e32 v1, v41
	s_getpc_b64 s[22:23]
	s_add_u32 s22, s22, _ZZZZN2at6native31launch_logcumsumexp_cuda_kernelERKNS_10TensorBaseES3_lENKUlvE_clEvENKUlvE2_clEvENKUlN3c107complexIfEES8_E_clES8_S8_@rel32@lo+4
	s_addc_u32 s23, s23, _ZZZZN2at6native31launch_logcumsumexp_cuda_kernelERKNS_10TensorBaseES3_lENKUlvE_clEvENKUlvE2_clEvENKUlN3c107complexIfEES8_E_clES8_S8_@rel32@hi+12
	s_swappc_b64 s[30:31], s[22:23]
	v_mov_b32_e32 v2, v30
	v_mov_b32_e32 v3, v31
	v_mov_b32_e32 v40, v0
	v_mov_b32_e32 v41, v1
	s_swappc_b64 s[30:31], s[22:23]
	v_mov_b32_e32 v2, v36
	v_mov_b32_e32 v3, v37
	v_mov_b32_e32 v56, v0
	v_mov_b32_e32 v57, v1
	;; [unrolled: 5-line block ×6, first 2 shown]
	s_swappc_b64 s[30:31], s[22:23]
	v_mov_b32_e32 v52, v0
	v_mov_b32_e32 v53, v1
	s_load_dwordx8 s[44:51], s[20:21], 0x40
	s_branch .LBB312_111
.LBB312_88:
	s_waitcnt lgkmcnt(0)
	s_cmp_lg_u64 s[48:49], 0
	s_cselect_b64 s[4:5], -1, 0
	v_cmp_eq_u32_e64 s[22:23], 0, v48
	v_cmp_ne_u32_e64 s[20:21], 0, v48
	s_and_b64 s[4:5], s[22:23], s[4:5]
	s_and_saveexec_b64 s[24:25], s[4:5]
	s_cbranch_execz .LBB312_90
; %bb.89:
	v_mov_b32_e32 v0, 0
	global_load_dwordx2 v[0:1], v0, s[44:45]
	v_mov_b32_e32 v2, v28
	v_mov_b32_e32 v3, v29
	s_getpc_b64 s[4:5]
	s_add_u32 s4, s4, _ZZZZN2at6native31launch_logcumsumexp_cuda_kernelERKNS_10TensorBaseES3_lENKUlvE_clEvENKUlvE2_clEvENKUlN3c107complexIfEES8_E_clES8_S8_@rel32@lo+4
	s_addc_u32 s5, s5, _ZZZZN2at6native31launch_logcumsumexp_cuda_kernelERKNS_10TensorBaseES3_lENKUlvE_clEvENKUlvE2_clEvENKUlN3c107complexIfEES8_E_clES8_S8_@rel32@hi+12
	s_swappc_b64 s[30:31], s[4:5]
	v_mov_b32_e32 v28, v0
	v_mov_b32_e32 v29, v1
.LBB312_90:
	s_or_b64 exec, exec, s[24:25]
	v_mov_b32_e32 v0, v28
	v_mov_b32_e32 v1, v29
	;; [unrolled: 1-line block ×4, first 2 shown]
	s_getpc_b64 s[26:27]
	s_add_u32 s26, s26, _ZZZZN2at6native31launch_logcumsumexp_cuda_kernelERKNS_10TensorBaseES3_lENKUlvE_clEvENKUlvE2_clEvENKUlN3c107complexIfEES8_E_clES8_S8_@rel32@lo+4
	s_addc_u32 s27, s27, _ZZZZN2at6native31launch_logcumsumexp_cuda_kernelERKNS_10TensorBaseES3_lENKUlvE_clEvENKUlvE2_clEvENKUlN3c107complexIfEES8_E_clES8_S8_@rel32@hi+12
	s_swappc_b64 s[30:31], s[26:27]
	v_mov_b32_e32 v2, v36
	v_mov_b32_e32 v3, v37
	v_mov_b32_e32 v56, v0
	v_mov_b32_e32 v57, v1
	s_swappc_b64 s[30:31], s[26:27]
	v_mov_b32_e32 v2, v38
	v_mov_b32_e32 v3, v39
	v_mov_b32_e32 v44, v0
	v_mov_b32_e32 v45, v1
	;; [unrolled: 5-line block ×5, first 2 shown]
	s_swappc_b64 s[30:31], s[26:27]
	v_mov_b32_e32 v52, v0
	v_lshrrev_b32_e32 v0, 5, v48
	v_mov_b32_e32 v53, v1
	v_add_lshl_u32 v0, v0, v48, 3
	v_cmp_gt_u32_e32 vcc, 64, v48
	ds_write_b64 v0, v[52:53]
	s_waitcnt lgkmcnt(0)
	s_barrier
	s_and_saveexec_b64 s[24:25], vcc
	s_cbranch_execz .LBB312_104
; %bb.91:
	v_lshlrev_b32_e32 v0, 1, v48
	v_lshrrev_b32_e32 v1, 4, v48
	v_add_lshl_u32 v27, v1, v0, 3
	ds_read2_b64 v[40:43], v27 offset1:1
	s_waitcnt lgkmcnt(0)
	v_mov_b32_e32 v0, v40
	v_mov_b32_e32 v1, v41
	;; [unrolled: 1-line block ×4, first 2 shown]
	s_swappc_b64 s[30:31], s[26:27]
	v_mov_b32_e32 v2, v0
	v_mbcnt_lo_u32_b32 v0, -1, 0
	v_mbcnt_hi_u32_b32 v42, -1, v0
	v_mov_b32_e32 v3, v1
	v_and_b32_e32 v43, 15, v42
	v_mov_b32_dpp v0, v2 row_shr:1 row_mask:0xf bank_mask:0xf
	v_mov_b32_dpp v1, v3 row_shr:1 row_mask:0xf bank_mask:0xf
	v_cmp_ne_u32_e32 vcc, 0, v43
	s_and_saveexec_b64 s[26:27], vcc
	s_cbranch_execz .LBB312_93
; %bb.92:
	s_getpc_b64 s[4:5]
	s_add_u32 s4, s4, _ZZZZN2at6native31launch_logcumsumexp_cuda_kernelERKNS_10TensorBaseES3_lENKUlvE_clEvENKUlvE2_clEvENKUlN3c107complexIfEES8_E_clES8_S8_@rel32@lo+4
	s_addc_u32 s5, s5, _ZZZZN2at6native31launch_logcumsumexp_cuda_kernelERKNS_10TensorBaseES3_lENKUlvE_clEvENKUlvE2_clEvENKUlN3c107complexIfEES8_E_clES8_S8_@rel32@hi+12
	s_swappc_b64 s[30:31], s[4:5]
	v_mov_b32_e32 v2, v0
	v_mov_b32_e32 v3, v1
.LBB312_93:
	s_or_b64 exec, exec, s[26:27]
	v_mov_b32_dpp v0, v2 row_shr:2 row_mask:0xf bank_mask:0xf
	v_mov_b32_dpp v1, v3 row_shr:2 row_mask:0xf bank_mask:0xf
	v_cmp_lt_u32_e32 vcc, 1, v43
	s_and_saveexec_b64 s[26:27], vcc
	s_cbranch_execz .LBB312_95
; %bb.94:
	s_getpc_b64 s[4:5]
	s_add_u32 s4, s4, _ZZZZN2at6native31launch_logcumsumexp_cuda_kernelERKNS_10TensorBaseES3_lENKUlvE_clEvENKUlvE2_clEvENKUlN3c107complexIfEES8_E_clES8_S8_@rel32@lo+4
	s_addc_u32 s5, s5, _ZZZZN2at6native31launch_logcumsumexp_cuda_kernelERKNS_10TensorBaseES3_lENKUlvE_clEvENKUlvE2_clEvENKUlN3c107complexIfEES8_E_clES8_S8_@rel32@hi+12
	s_swappc_b64 s[30:31], s[4:5]
	v_mov_b32_e32 v2, v0
	v_mov_b32_e32 v3, v1
.LBB312_95:
	s_or_b64 exec, exec, s[26:27]
	v_mov_b32_dpp v0, v2 row_shr:4 row_mask:0xf bank_mask:0xf
	v_mov_b32_dpp v1, v3 row_shr:4 row_mask:0xf bank_mask:0xf
	v_cmp_lt_u32_e32 vcc, 3, v43
	s_and_saveexec_b64 s[26:27], vcc
	s_cbranch_execz .LBB312_97
; %bb.96:
	s_getpc_b64 s[4:5]
	s_add_u32 s4, s4, _ZZZZN2at6native31launch_logcumsumexp_cuda_kernelERKNS_10TensorBaseES3_lENKUlvE_clEvENKUlvE2_clEvENKUlN3c107complexIfEES8_E_clES8_S8_@rel32@lo+4
	s_addc_u32 s5, s5, _ZZZZN2at6native31launch_logcumsumexp_cuda_kernelERKNS_10TensorBaseES3_lENKUlvE_clEvENKUlvE2_clEvENKUlN3c107complexIfEES8_E_clES8_S8_@rel32@hi+12
	s_swappc_b64 s[30:31], s[4:5]
	v_mov_b32_e32 v2, v0
	v_mov_b32_e32 v3, v1
.LBB312_97:
	s_or_b64 exec, exec, s[26:27]
	v_mov_b32_dpp v0, v2 row_shr:8 row_mask:0xf bank_mask:0xf
	v_mov_b32_dpp v1, v3 row_shr:8 row_mask:0xf bank_mask:0xf
	v_cmp_lt_u32_e32 vcc, 7, v43
	s_and_saveexec_b64 s[26:27], vcc
	s_cbranch_execz .LBB312_99
; %bb.98:
	s_getpc_b64 s[4:5]
	s_add_u32 s4, s4, _ZZZZN2at6native31launch_logcumsumexp_cuda_kernelERKNS_10TensorBaseES3_lENKUlvE_clEvENKUlvE2_clEvENKUlN3c107complexIfEES8_E_clES8_S8_@rel32@lo+4
	s_addc_u32 s5, s5, _ZZZZN2at6native31launch_logcumsumexp_cuda_kernelERKNS_10TensorBaseES3_lENKUlvE_clEvENKUlvE2_clEvENKUlN3c107complexIfEES8_E_clES8_S8_@rel32@hi+12
	s_swappc_b64 s[30:31], s[4:5]
	v_mov_b32_e32 v2, v0
	v_mov_b32_e32 v3, v1
.LBB312_99:
	s_or_b64 exec, exec, s[26:27]
	v_and_b32_e32 v4, 16, v42
	v_mov_b32_dpp v0, v2 row_bcast:15 row_mask:0xf bank_mask:0xf
	v_mov_b32_dpp v1, v3 row_bcast:15 row_mask:0xf bank_mask:0xf
	v_cmp_ne_u32_e32 vcc, 0, v4
	s_and_saveexec_b64 s[26:27], vcc
	s_cbranch_execz .LBB312_101
; %bb.100:
	s_getpc_b64 s[4:5]
	s_add_u32 s4, s4, _ZZZZN2at6native31launch_logcumsumexp_cuda_kernelERKNS_10TensorBaseES3_lENKUlvE_clEvENKUlvE2_clEvENKUlN3c107complexIfEES8_E_clES8_S8_@rel32@lo+4
	s_addc_u32 s5, s5, _ZZZZN2at6native31launch_logcumsumexp_cuda_kernelERKNS_10TensorBaseES3_lENKUlvE_clEvENKUlvE2_clEvENKUlN3c107complexIfEES8_E_clES8_S8_@rel32@hi+12
	s_swappc_b64 s[30:31], s[4:5]
	v_mov_b32_e32 v2, v0
	v_mov_b32_e32 v3, v1
.LBB312_101:
	s_or_b64 exec, exec, s[26:27]
	v_mov_b32_dpp v0, v2 row_bcast:31 row_mask:0xf bank_mask:0xf
	v_mov_b32_dpp v1, v3 row_bcast:31 row_mask:0xf bank_mask:0xf
	v_cmp_lt_u32_e32 vcc, 31, v42
	s_and_saveexec_b64 s[26:27], vcc
	s_cbranch_execz .LBB312_103
; %bb.102:
	s_getpc_b64 s[4:5]
	s_add_u32 s4, s4, _ZZZZN2at6native31launch_logcumsumexp_cuda_kernelERKNS_10TensorBaseES3_lENKUlvE_clEvENKUlvE2_clEvENKUlN3c107complexIfEES8_E_clES8_S8_@rel32@lo+4
	s_addc_u32 s5, s5, _ZZZZN2at6native31launch_logcumsumexp_cuda_kernelERKNS_10TensorBaseES3_lENKUlvE_clEvENKUlvE2_clEvENKUlN3c107complexIfEES8_E_clES8_S8_@rel32@hi+12
	s_swappc_b64 s[30:31], s[4:5]
	v_mov_b32_e32 v2, v0
	v_mov_b32_e32 v3, v1
.LBB312_103:
	s_or_b64 exec, exec, s[26:27]
	v_add_u32_e32 v0, -1, v42
	v_and_b32_e32 v1, 64, v42
	v_cmp_lt_i32_e32 vcc, v0, v1
	v_cndmask_b32_e32 v0, v0, v42, vcc
	v_lshlrev_b32_e32 v1, 2, v0
	ds_bpermute_b32 v0, v1, v2
	ds_bpermute_b32 v1, v1, v3
	v_mov_b32_e32 v2, v40
	v_mov_b32_e32 v3, v41
	s_getpc_b64 s[26:27]
	s_add_u32 s26, s26, _ZZZZN2at6native31launch_logcumsumexp_cuda_kernelERKNS_10TensorBaseES3_lENKUlvE_clEvENKUlvE2_clEvENKUlN3c107complexIfEES8_E_clES8_S8_@rel32@lo+4
	s_addc_u32 s27, s27, _ZZZZN2at6native31launch_logcumsumexp_cuda_kernelERKNS_10TensorBaseES3_lENKUlvE_clEvENKUlvE2_clEvENKUlN3c107complexIfEES8_E_clES8_S8_@rel32@hi+12
	s_swappc_b64 s[30:31], s[26:27]
	v_cndmask_b32_e64 v0, v0, v52, s[22:23]
	v_cndmask_b32_e64 v1, v1, v53, s[22:23]
	; wave barrier
	ds_write_b64 v27, v[0:1]
	; wave barrier
	ds_read_b64 v[2:3], v27 offset:8
	s_swappc_b64 s[30:31], s[26:27]
	ds_write_b64 v27, v[0:1] offset:8
.LBB312_104:
	s_or_b64 exec, exec, s[24:25]
	v_mov_b32_e32 v1, v53
	v_mov_b32_e32 v0, v52
	s_waitcnt lgkmcnt(0)
	s_barrier
	s_and_saveexec_b64 s[4:5], s[20:21]
	s_cbranch_execz .LBB312_106
; %bb.105:
	v_add_u32_e32 v0, -1, v48
	v_lshrrev_b32_e32 v1, 5, v0
	v_add_lshl_u32 v0, v1, v0, 3
	ds_read_b64 v[0:1], v0
.LBB312_106:
	s_or_b64 exec, exec, s[4:5]
	s_and_saveexec_b64 s[22:23], s[20:21]
	s_cbranch_execz .LBB312_108
; %bb.107:
	v_mov_b32_e32 v2, v28
	v_mov_b32_e32 v3, v29
	s_getpc_b64 s[20:21]
	s_add_u32 s20, s20, _ZZZZN2at6native31launch_logcumsumexp_cuda_kernelERKNS_10TensorBaseES3_lENKUlvE_clEvENKUlvE2_clEvENKUlN3c107complexIfEES8_E_clES8_S8_@rel32@lo+4
	s_addc_u32 s21, s21, _ZZZZN2at6native31launch_logcumsumexp_cuda_kernelERKNS_10TensorBaseES3_lENKUlvE_clEvENKUlvE2_clEvENKUlN3c107complexIfEES8_E_clES8_S8_@rel32@hi+12
	s_swappc_b64 s[30:31], s[20:21]
	v_mov_b32_e32 v2, v30
	v_mov_b32_e32 v3, v31
	;; [unrolled: 1-line block ×4, first 2 shown]
	;;#ASMSTART
	;;#ASMEND
	s_swappc_b64 s[30:31], s[20:21]
	v_mov_b32_e32 v2, v36
	v_mov_b32_e32 v3, v37
	v_mov_b32_e32 v56, v0
	v_mov_b32_e32 v57, v1
	s_swappc_b64 s[30:31], s[20:21]
	v_mov_b32_e32 v2, v38
	v_mov_b32_e32 v3, v39
	v_mov_b32_e32 v44, v0
	v_mov_b32_e32 v45, v1
	;; [unrolled: 5-line block ×5, first 2 shown]
	s_swappc_b64 s[30:31], s[20:21]
	v_mov_b32_e32 v52, v0
	v_mov_b32_e32 v53, v1
.LBB312_108:
	s_or_b64 exec, exec, s[22:23]
	s_movk_i32 s4, 0x7f
	v_cmp_eq_u32_e32 vcc, s4, v48
	s_and_saveexec_b64 s[4:5], vcc
	s_cbranch_execz .LBB312_110
; %bb.109:
	s_add_u32 s6, s42, 0x400
	s_waitcnt lgkmcnt(0)
	v_and_b32_e32 v0, 0xff000000, v53
	v_and_b32_e32 v1, 0xff0000, v53
	s_addc_u32 s7, s43, 0
	v_or_b32_e32 v0, v1, v0
	v_and_b32_e32 v1, 0xff00, v53
	v_and_b32_e32 v2, 0xff, v53
	v_mov_b32_e32 v3, 0
	v_or3_b32 v1, v0, v1, v2
	v_mov_b32_e32 v2, 2
	v_mov_b32_e32 v0, v52
	v_pk_mov_b32 v[4:5], s[6:7], s[6:7] op_sel:[0,1]
	;;#ASMSTART
	global_store_dwordx4 v[4:5], v[0:3] off	
s_waitcnt vmcnt(0)
	;;#ASMEND
.LBB312_110:
	s_or_b64 exec, exec, s[4:5]
	v_mov_b32_e32 v41, v29
	v_mov_b32_e32 v40, v28
.LBB312_111:
	s_add_u32 s4, s40, s38
	s_addc_u32 s5, s41, s39
	s_add_u32 s4, s4, s36
	s_addc_u32 s5, s5, s37
	s_mov_b64 s[6:7], -1
	s_and_b64 vcc, exec, s[34:35]
	s_waitcnt lgkmcnt(0)
	s_barrier
	s_cbranch_vccz .LBB312_113
; %bb.112:
	v_mul_u32_u24_e32 v0, 56, v48
	ds_write2_b64 v0, v[40:41], v[56:57] offset1:1
	ds_write2_b64 v0, v[44:45], v[58:59] offset0:2 offset1:3
	ds_write2_b64 v0, v[46:47], v[60:61] offset0:4 offset1:5
	ds_write_b64 v0, v[52:53] offset:48
	v_mul_i32_i24_e32 v0, 0xffffffd0, v48
	v_mad_u32_u24 v12, v48, 56, v0
	s_waitcnt lgkmcnt(0)
	s_barrier
	ds_read2st64_b64 v[0:3], v12 offset1:2
	ds_read2st64_b64 v[4:7], v12 offset0:4 offset1:6
	ds_read2st64_b64 v[8:11], v12 offset0:8 offset1:10
	ds_read_b64 v[12:13], v12 offset:6144
	v_mov_b32_e32 v14, s5
	v_add_co_u32_e32 v15, vcc, s4, v63
	v_addc_co_u32_e32 v14, vcc, 0, v14, vcc
	s_waitcnt lgkmcnt(3)
	global_store_dwordx2 v63, v[0:1], s[4:5]
	global_store_dwordx2 v63, v[2:3], s[4:5] offset:1024
	s_waitcnt lgkmcnt(2)
	global_store_dwordx2 v63, v[4:5], s[4:5] offset:2048
	global_store_dwordx2 v63, v[6:7], s[4:5] offset:3072
	v_add_co_u32_e32 v0, vcc, 0x1000, v15
	v_addc_co_u32_e32 v1, vcc, 0, v14, vcc
	s_waitcnt lgkmcnt(1)
	global_store_dwordx2 v[0:1], v[8:9], off
	global_store_dwordx2 v[0:1], v[10:11], off offset:1024
	s_waitcnt lgkmcnt(0)
	global_store_dwordx2 v[0:1], v[12:13], off offset:2048
	s_mov_b64 s[6:7], 0
.LBB312_113:
	s_andn2_b64 vcc, exec, s[6:7]
	s_cbranch_vccnz .LBB312_152
; %bb.114:
	s_movk_i32 s6, 0xffd0
	v_mad_i32_i24 v12, v48, s6, v64
	ds_write2_b64 v64, v[40:41], v[56:57] offset1:1
	ds_write2_b64 v64, v[44:45], v[58:59] offset0:2 offset1:3
	ds_write2_b64 v64, v[46:47], v[60:61] offset0:4 offset1:5
	ds_write_b64 v64, v[52:53] offset:48
	s_waitcnt lgkmcnt(0)
	s_barrier
	ds_read2st64_b64 v[0:3], v12 offset1:2
	ds_read2st64_b64 v[4:7], v12 offset0:4 offset1:6
	ds_read2st64_b64 v[8:11], v12 offset0:8 offset1:10
	ds_read_b64 v[12:13], v12 offset:6144
	v_mov_b32_e32 v15, s5
	v_add_co_u32_e32 v14, vcc, s4, v63
	v_addc_co_u32_e32 v15, vcc, 0, v15, vcc
	v_mov_b32_e32 v49, 0
	v_cmp_gt_u32_e32 vcc, s29, v48
	s_and_saveexec_b64 s[4:5], vcc
	s_cbranch_execz .LBB312_116
; %bb.115:
	s_waitcnt lgkmcnt(3)
	global_store_dwordx2 v[14:15], v[0:1], off
.LBB312_116:
	s_or_b64 exec, exec, s[4:5]
	v_or_b32_e32 v16, 0x80, v48
	v_cmp_gt_u32_e32 vcc, s29, v16
	s_and_saveexec_b64 s[4:5], vcc
	s_cbranch_execz .LBB312_118
; %bb.117:
	s_waitcnt lgkmcnt(3)
	global_store_dwordx2 v[14:15], v[2:3], off offset:1024
.LBB312_118:
	s_or_b64 exec, exec, s[4:5]
	v_or_b32_e32 v16, 0x100, v48
	v_cmp_gt_u32_e32 vcc, s29, v16
	s_and_saveexec_b64 s[4:5], vcc
	s_cbranch_execz .LBB312_120
; %bb.119:
	s_waitcnt lgkmcnt(2)
	global_store_dwordx2 v[14:15], v[4:5], off offset:2048
.LBB312_120:
	s_or_b64 exec, exec, s[4:5]
	v_or_b32_e32 v16, 0x180, v48
	v_cmp_gt_u32_e32 vcc, s29, v16
	s_and_saveexec_b64 s[4:5], vcc
	s_cbranch_execz .LBB312_122
; %bb.121:
	s_waitcnt lgkmcnt(2)
	global_store_dwordx2 v[14:15], v[6:7], off offset:3072
.LBB312_122:
	s_or_b64 exec, exec, s[4:5]
	v_or_b32_e32 v16, 0x200, v48
	v_cmp_gt_u32_e32 vcc, s29, v16
	s_and_saveexec_b64 s[4:5], vcc
	s_cbranch_execz .LBB312_124
; %bb.123:
	v_add_co_u32_e32 v16, vcc, 0x1000, v14
	v_addc_co_u32_e32 v17, vcc, 0, v15, vcc
	s_waitcnt lgkmcnt(1)
	global_store_dwordx2 v[16:17], v[8:9], off
.LBB312_124:
	s_or_b64 exec, exec, s[4:5]
	v_or_b32_e32 v16, 0x280, v48
	v_cmp_gt_u32_e32 vcc, s29, v16
	s_and_saveexec_b64 s[4:5], vcc
	s_cbranch_execz .LBB312_126
; %bb.125:
	v_add_co_u32_e32 v16, vcc, 0x1000, v14
	v_addc_co_u32_e32 v17, vcc, 0, v15, vcc
	s_waitcnt lgkmcnt(1)
	global_store_dwordx2 v[16:17], v[10:11], off offset:1024
.LBB312_126:
	s_or_b64 exec, exec, s[4:5]
	v_or_b32_e32 v16, 0x300, v48
	v_cmp_gt_u32_e32 vcc, s29, v16
	s_and_saveexec_b64 s[4:5], vcc
	s_cbranch_execz .LBB312_128
; %bb.127:
	v_add_co_u32_e32 v14, vcc, 0x1000, v14
	v_addc_co_u32_e32 v15, vcc, 0, v15, vcc
	s_waitcnt lgkmcnt(0)
	global_store_dwordx2 v[14:15], v[12:13], off offset:2048
.LBB312_128:
	s_or_b64 exec, exec, s[4:5]
	v_cmp_lt_u64_e64 s[4:5], s[50:51], 2
	s_and_b64 vcc, exec, s[4:5]
	s_cbranch_vccnz .LBB312_152
; %bb.129:
	s_add_u32 s4, s29, -1
	s_addc_u32 s5, s33, -1
	s_add_u32 s6, 0, 0x92481000
	s_addc_u32 s7, 0, 0x64
	s_add_i32 s7, s7, 0x249248c0
	s_mul_hi_u32 s11, s6, -7
	s_sub_i32 s11, s11, s6
	s_mul_i32 s12, s7, -7
	s_mul_i32 s8, s6, -7
	s_add_i32 s11, s11, s12
	s_mul_hi_u32 s9, s7, s8
	s_mul_i32 s10, s7, s8
	s_mul_i32 s13, s6, s11
	s_mul_hi_u32 s8, s6, s8
	s_mul_hi_u32 s12, s6, s11
	s_add_u32 s8, s8, s13
	s_addc_u32 s12, 0, s12
	s_add_u32 s8, s8, s10
	s_mul_hi_u32 s13, s7, s11
	s_addc_u32 s8, s12, s9
	s_addc_u32 s9, s13, 0
	s_mul_i32 s10, s7, s11
	s_add_u32 s8, s8, s10
	v_mov_b32_e32 v14, s8
	s_addc_u32 s9, 0, s9
	v_add_co_u32_e32 v14, vcc, s6, v14
	s_cmp_lg_u64 vcc, 0
	s_addc_u32 s6, s7, s9
	v_readfirstlane_b32 s9, v14
	s_mul_i32 s8, s4, s6
	s_mul_hi_u32 s10, s4, s9
	s_mul_hi_u32 s7, s4, s6
	s_add_u32 s8, s10, s8
	s_addc_u32 s7, 0, s7
	s_mul_hi_u32 s11, s5, s9
	s_mul_i32 s9, s5, s9
	s_add_u32 s8, s8, s9
	s_mul_hi_u32 s10, s5, s6
	s_addc_u32 s7, s7, s11
	s_addc_u32 s8, s10, 0
	s_mul_i32 s6, s5, s6
	s_add_u32 s6, s7, s6
	s_addc_u32 s7, 0, s8
	s_add_u32 s8, s6, 1
	s_addc_u32 s9, s7, 0
	s_add_u32 s10, s6, 2
	s_mul_i32 s12, s7, 7
	s_mul_hi_u32 s13, s6, 7
	s_addc_u32 s11, s7, 0
	s_add_i32 s13, s13, s12
	s_mul_i32 s12, s6, 7
	v_mov_b32_e32 v14, s12
	v_sub_co_u32_e32 v14, vcc, s4, v14
	s_cmp_lg_u64 vcc, 0
	s_subb_u32 s12, s5, s13
	v_subrev_co_u32_e32 v15, vcc, 7, v14
	s_cmp_lg_u64 vcc, 0
	s_subb_u32 s13, s12, 0
	v_readfirstlane_b32 s14, v15
	s_cmp_gt_u32 s14, 6
	s_cselect_b32 s14, -1, 0
	s_cmp_eq_u32 s13, 0
	s_cselect_b32 s13, s14, -1
	s_cmp_lg_u32 s13, 0
	s_cselect_b32 s8, s10, s8
	v_readfirstlane_b32 s10, v14
	s_cselect_b32 s9, s11, s9
	s_cmp_gt_u32 s10, 6
	s_cselect_b32 s10, -1, 0
	s_cmp_eq_u32 s12, 0
	s_cselect_b32 s10, s10, -1
	s_cmp_lg_u32 s10, 0
	s_cselect_b32 s7, s9, s7
	s_cselect_b32 s6, s8, s6
	v_cmp_eq_u64_e32 vcc, s[6:7], v[48:49]
	s_and_saveexec_b64 s[6:7], vcc
	s_cbranch_execz .LBB312_152
; %bb.130:
	v_mul_hi_u32_u24_e32 v15, 7, v48
	v_mov_b32_e32 v16, s5
	v_sub_co_u32_e32 v14, vcc, s4, v62
	v_subb_co_u32_e32 v15, vcc, v16, v15, vcc
	v_cmp_lt_i64_e32 vcc, 3, v[14:15]
	s_and_saveexec_b64 s[4:5], vcc
	s_xor_b64 s[4:5], exec, s[4:5]
	s_cbranch_execz .LBB312_140
; %bb.131:
	v_cmp_lt_i64_e32 vcc, 4, v[14:15]
	s_and_saveexec_b64 s[6:7], vcc
	s_xor_b64 s[6:7], exec, s[6:7]
	s_cbranch_execz .LBB312_137
; %bb.132:
	;; [unrolled: 5-line block ×3, first 2 shown]
	s_waitcnt lgkmcnt(3)
	v_mov_b32_e32 v0, 0
	s_waitcnt lgkmcnt(0)
	global_store_dwordx2 v0, v[12:13], s[46:47]
                                        ; implicit-def: $vgpr8_vgpr9_vgpr10_vgpr11
.LBB312_134:
	s_andn2_saveexec_b64 s[8:9], s[8:9]
	s_cbranch_execz .LBB312_136
; %bb.135:
	s_waitcnt lgkmcnt(3)
	v_mov_b32_e32 v0, 0
	s_waitcnt lgkmcnt(1)
	global_store_dwordx2 v0, v[10:11], s[46:47]
.LBB312_136:
	s_or_b64 exec, exec, s[8:9]
                                        ; implicit-def: $vgpr8_vgpr9_vgpr10_vgpr11
.LBB312_137:
	s_andn2_saveexec_b64 s[6:7], s[6:7]
	s_cbranch_execz .LBB312_139
; %bb.138:
	s_waitcnt lgkmcnt(3)
	v_mov_b32_e32 v0, 0
	s_waitcnt lgkmcnt(1)
	global_store_dwordx2 v0, v[8:9], s[46:47]
.LBB312_139:
	s_or_b64 exec, exec, s[6:7]
                                        ; implicit-def: $vgpr14_vgpr15
                                        ; implicit-def: $vgpr0_vgpr1_vgpr2_vgpr3
                                        ; implicit-def: $vgpr4_vgpr5_vgpr6_vgpr7
.LBB312_140:
	s_andn2_saveexec_b64 s[4:5], s[4:5]
	s_cbranch_execz .LBB312_152
; %bb.141:
	v_cmp_lt_i64_e32 vcc, 1, v[14:15]
	s_and_saveexec_b64 s[4:5], vcc
	s_xor_b64 s[4:5], exec, s[4:5]
	s_cbranch_execz .LBB312_147
; %bb.142:
	v_cmp_lt_i64_e32 vcc, 2, v[14:15]
	s_and_saveexec_b64 s[6:7], vcc
	s_xor_b64 s[6:7], exec, s[6:7]
	s_cbranch_execz .LBB312_144
; %bb.143:
	s_waitcnt lgkmcnt(3)
	v_mov_b32_e32 v0, 0
	s_waitcnt lgkmcnt(2)
	global_store_dwordx2 v0, v[6:7], s[46:47]
                                        ; implicit-def: $vgpr4_vgpr5_vgpr6_vgpr7
.LBB312_144:
	s_andn2_saveexec_b64 s[6:7], s[6:7]
	s_cbranch_execz .LBB312_146
; %bb.145:
	s_waitcnt lgkmcnt(3)
	v_mov_b32_e32 v0, 0
	s_waitcnt lgkmcnt(2)
	global_store_dwordx2 v0, v[4:5], s[46:47]
.LBB312_146:
	s_or_b64 exec, exec, s[6:7]
                                        ; implicit-def: $vgpr0_vgpr1_vgpr2_vgpr3
                                        ; implicit-def: $vgpr14_vgpr15
.LBB312_147:
	s_andn2_saveexec_b64 s[4:5], s[4:5]
	s_cbranch_execz .LBB312_152
; %bb.148:
	v_cmp_ne_u64_e32 vcc, 1, v[14:15]
	s_and_saveexec_b64 s[4:5], vcc
	s_xor_b64 s[4:5], exec, s[4:5]
	s_cbranch_execz .LBB312_150
; %bb.149:
	s_waitcnt lgkmcnt(3)
	v_mov_b32_e32 v2, 0
	global_store_dwordx2 v2, v[0:1], s[46:47]
                                        ; implicit-def: $vgpr0_vgpr1_vgpr2_vgpr3
.LBB312_150:
	s_andn2_saveexec_b64 s[4:5], s[4:5]
	s_cbranch_execz .LBB312_152
; %bb.151:
	s_waitcnt lgkmcnt(3)
	v_mov_b32_e32 v0, 0
	global_store_dwordx2 v0, v[2:3], s[46:47]
.LBB312_152:
	s_endpgm
	.section	.rodata,"a",@progbits
	.p2align	6, 0x0
	.amdhsa_kernel _ZN7rocprim17ROCPRIM_400000_NS6detail17trampoline_kernelINS0_14default_configENS1_20scan_config_selectorIN3c107complexIfEEEEZZNS1_9scan_implILNS1_25lookback_scan_determinismE0ELb0ELb0ES3_PKS7_PS7_S7_ZZZN2at6native31launch_logcumsumexp_cuda_kernelERKNSE_10TensorBaseESI_lENKUlvE_clEvENKUlvE2_clEvEUlS7_S7_E_S7_EEDaPvRmT3_T4_T5_mT6_P12ihipStream_tbENKUlT_T0_E_clISt17integral_constantIbLb1EESY_IbLb0EEEEDaSU_SV_EUlSU_E_NS1_11comp_targetILNS1_3genE4ELNS1_11target_archE910ELNS1_3gpuE8ELNS1_3repE0EEENS1_30default_config_static_selectorELNS0_4arch9wavefront6targetE1EEEvT1_
		.amdhsa_group_segment_fixed_size 7168
		.amdhsa_private_segment_fixed_size 0
		.amdhsa_kernarg_size 104
		.amdhsa_user_sgpr_count 8
		.amdhsa_user_sgpr_private_segment_buffer 1
		.amdhsa_user_sgpr_dispatch_ptr 0
		.amdhsa_user_sgpr_queue_ptr 0
		.amdhsa_user_sgpr_kernarg_segment_ptr 1
		.amdhsa_user_sgpr_dispatch_id 0
		.amdhsa_user_sgpr_flat_scratch_init 1
		.amdhsa_user_sgpr_kernarg_preload_length 0
		.amdhsa_user_sgpr_kernarg_preload_offset 0
		.amdhsa_user_sgpr_private_segment_size 0
		.amdhsa_uses_dynamic_stack 0
		.amdhsa_system_sgpr_private_segment_wavefront_offset 0
		.amdhsa_system_sgpr_workgroup_id_x 1
		.amdhsa_system_sgpr_workgroup_id_y 0
		.amdhsa_system_sgpr_workgroup_id_z 0
		.amdhsa_system_sgpr_workgroup_info 0
		.amdhsa_system_vgpr_workitem_id 0
		.amdhsa_next_free_vgpr 73
		.amdhsa_next_free_sgpr 57
		.amdhsa_accum_offset 76
		.amdhsa_reserve_vcc 1
		.amdhsa_reserve_flat_scratch 1
		.amdhsa_float_round_mode_32 0
		.amdhsa_float_round_mode_16_64 0
		.amdhsa_float_denorm_mode_32 3
		.amdhsa_float_denorm_mode_16_64 3
		.amdhsa_dx10_clamp 1
		.amdhsa_ieee_mode 1
		.amdhsa_fp16_overflow 0
		.amdhsa_tg_split 0
		.amdhsa_exception_fp_ieee_invalid_op 0
		.amdhsa_exception_fp_denorm_src 0
		.amdhsa_exception_fp_ieee_div_zero 0
		.amdhsa_exception_fp_ieee_overflow 0
		.amdhsa_exception_fp_ieee_underflow 0
		.amdhsa_exception_fp_ieee_inexact 0
		.amdhsa_exception_int_div_zero 0
	.end_amdhsa_kernel
	.section	.text._ZN7rocprim17ROCPRIM_400000_NS6detail17trampoline_kernelINS0_14default_configENS1_20scan_config_selectorIN3c107complexIfEEEEZZNS1_9scan_implILNS1_25lookback_scan_determinismE0ELb0ELb0ES3_PKS7_PS7_S7_ZZZN2at6native31launch_logcumsumexp_cuda_kernelERKNSE_10TensorBaseESI_lENKUlvE_clEvENKUlvE2_clEvEUlS7_S7_E_S7_EEDaPvRmT3_T4_T5_mT6_P12ihipStream_tbENKUlT_T0_E_clISt17integral_constantIbLb1EESY_IbLb0EEEEDaSU_SV_EUlSU_E_NS1_11comp_targetILNS1_3genE4ELNS1_11target_archE910ELNS1_3gpuE8ELNS1_3repE0EEENS1_30default_config_static_selectorELNS0_4arch9wavefront6targetE1EEEvT1_,"axG",@progbits,_ZN7rocprim17ROCPRIM_400000_NS6detail17trampoline_kernelINS0_14default_configENS1_20scan_config_selectorIN3c107complexIfEEEEZZNS1_9scan_implILNS1_25lookback_scan_determinismE0ELb0ELb0ES3_PKS7_PS7_S7_ZZZN2at6native31launch_logcumsumexp_cuda_kernelERKNSE_10TensorBaseESI_lENKUlvE_clEvENKUlvE2_clEvEUlS7_S7_E_S7_EEDaPvRmT3_T4_T5_mT6_P12ihipStream_tbENKUlT_T0_E_clISt17integral_constantIbLb1EESY_IbLb0EEEEDaSU_SV_EUlSU_E_NS1_11comp_targetILNS1_3genE4ELNS1_11target_archE910ELNS1_3gpuE8ELNS1_3repE0EEENS1_30default_config_static_selectorELNS0_4arch9wavefront6targetE1EEEvT1_,comdat
.Lfunc_end312:
	.size	_ZN7rocprim17ROCPRIM_400000_NS6detail17trampoline_kernelINS0_14default_configENS1_20scan_config_selectorIN3c107complexIfEEEEZZNS1_9scan_implILNS1_25lookback_scan_determinismE0ELb0ELb0ES3_PKS7_PS7_S7_ZZZN2at6native31launch_logcumsumexp_cuda_kernelERKNSE_10TensorBaseESI_lENKUlvE_clEvENKUlvE2_clEvEUlS7_S7_E_S7_EEDaPvRmT3_T4_T5_mT6_P12ihipStream_tbENKUlT_T0_E_clISt17integral_constantIbLb1EESY_IbLb0EEEEDaSU_SV_EUlSU_E_NS1_11comp_targetILNS1_3genE4ELNS1_11target_archE910ELNS1_3gpuE8ELNS1_3repE0EEENS1_30default_config_static_selectorELNS0_4arch9wavefront6targetE1EEEvT1_, .Lfunc_end312-_ZN7rocprim17ROCPRIM_400000_NS6detail17trampoline_kernelINS0_14default_configENS1_20scan_config_selectorIN3c107complexIfEEEEZZNS1_9scan_implILNS1_25lookback_scan_determinismE0ELb0ELb0ES3_PKS7_PS7_S7_ZZZN2at6native31launch_logcumsumexp_cuda_kernelERKNSE_10TensorBaseESI_lENKUlvE_clEvENKUlvE2_clEvEUlS7_S7_E_S7_EEDaPvRmT3_T4_T5_mT6_P12ihipStream_tbENKUlT_T0_E_clISt17integral_constantIbLb1EESY_IbLb0EEEEDaSU_SV_EUlSU_E_NS1_11comp_targetILNS1_3genE4ELNS1_11target_archE910ELNS1_3gpuE8ELNS1_3repE0EEENS1_30default_config_static_selectorELNS0_4arch9wavefront6targetE1EEEvT1_
                                        ; -- End function
	.section	.AMDGPU.csdata,"",@progbits
; Kernel info:
; codeLenInByte = 6540
; NumSgprs: 63
; NumVgprs: 73
; NumAgprs: 0
; TotalNumVgprs: 73
; ScratchSize: 0
; MemoryBound: 0
; FloatMode: 240
; IeeeMode: 1
; LDSByteSize: 7168 bytes/workgroup (compile time only)
; SGPRBlocks: 7
; VGPRBlocks: 9
; NumSGPRsForWavesPerEU: 63
; NumVGPRsForWavesPerEU: 73
; AccumOffset: 76
; Occupancy: 5
; WaveLimiterHint : 0
; COMPUTE_PGM_RSRC2:SCRATCH_EN: 0
; COMPUTE_PGM_RSRC2:USER_SGPR: 8
; COMPUTE_PGM_RSRC2:TRAP_HANDLER: 0
; COMPUTE_PGM_RSRC2:TGID_X_EN: 1
; COMPUTE_PGM_RSRC2:TGID_Y_EN: 0
; COMPUTE_PGM_RSRC2:TGID_Z_EN: 0
; COMPUTE_PGM_RSRC2:TIDIG_COMP_CNT: 0
; COMPUTE_PGM_RSRC3_GFX90A:ACCUM_OFFSET: 18
; COMPUTE_PGM_RSRC3_GFX90A:TG_SPLIT: 0
	.section	.text._ZN7rocprim17ROCPRIM_400000_NS6detail17trampoline_kernelINS0_14default_configENS1_20scan_config_selectorIN3c107complexIfEEEEZZNS1_9scan_implILNS1_25lookback_scan_determinismE0ELb0ELb0ES3_PKS7_PS7_S7_ZZZN2at6native31launch_logcumsumexp_cuda_kernelERKNSE_10TensorBaseESI_lENKUlvE_clEvENKUlvE2_clEvEUlS7_S7_E_S7_EEDaPvRmT3_T4_T5_mT6_P12ihipStream_tbENKUlT_T0_E_clISt17integral_constantIbLb1EESY_IbLb0EEEEDaSU_SV_EUlSU_E_NS1_11comp_targetILNS1_3genE3ELNS1_11target_archE908ELNS1_3gpuE7ELNS1_3repE0EEENS1_30default_config_static_selectorELNS0_4arch9wavefront6targetE1EEEvT1_,"axG",@progbits,_ZN7rocprim17ROCPRIM_400000_NS6detail17trampoline_kernelINS0_14default_configENS1_20scan_config_selectorIN3c107complexIfEEEEZZNS1_9scan_implILNS1_25lookback_scan_determinismE0ELb0ELb0ES3_PKS7_PS7_S7_ZZZN2at6native31launch_logcumsumexp_cuda_kernelERKNSE_10TensorBaseESI_lENKUlvE_clEvENKUlvE2_clEvEUlS7_S7_E_S7_EEDaPvRmT3_T4_T5_mT6_P12ihipStream_tbENKUlT_T0_E_clISt17integral_constantIbLb1EESY_IbLb0EEEEDaSU_SV_EUlSU_E_NS1_11comp_targetILNS1_3genE3ELNS1_11target_archE908ELNS1_3gpuE7ELNS1_3repE0EEENS1_30default_config_static_selectorELNS0_4arch9wavefront6targetE1EEEvT1_,comdat
	.globl	_ZN7rocprim17ROCPRIM_400000_NS6detail17trampoline_kernelINS0_14default_configENS1_20scan_config_selectorIN3c107complexIfEEEEZZNS1_9scan_implILNS1_25lookback_scan_determinismE0ELb0ELb0ES3_PKS7_PS7_S7_ZZZN2at6native31launch_logcumsumexp_cuda_kernelERKNSE_10TensorBaseESI_lENKUlvE_clEvENKUlvE2_clEvEUlS7_S7_E_S7_EEDaPvRmT3_T4_T5_mT6_P12ihipStream_tbENKUlT_T0_E_clISt17integral_constantIbLb1EESY_IbLb0EEEEDaSU_SV_EUlSU_E_NS1_11comp_targetILNS1_3genE3ELNS1_11target_archE908ELNS1_3gpuE7ELNS1_3repE0EEENS1_30default_config_static_selectorELNS0_4arch9wavefront6targetE1EEEvT1_ ; -- Begin function _ZN7rocprim17ROCPRIM_400000_NS6detail17trampoline_kernelINS0_14default_configENS1_20scan_config_selectorIN3c107complexIfEEEEZZNS1_9scan_implILNS1_25lookback_scan_determinismE0ELb0ELb0ES3_PKS7_PS7_S7_ZZZN2at6native31launch_logcumsumexp_cuda_kernelERKNSE_10TensorBaseESI_lENKUlvE_clEvENKUlvE2_clEvEUlS7_S7_E_S7_EEDaPvRmT3_T4_T5_mT6_P12ihipStream_tbENKUlT_T0_E_clISt17integral_constantIbLb1EESY_IbLb0EEEEDaSU_SV_EUlSU_E_NS1_11comp_targetILNS1_3genE3ELNS1_11target_archE908ELNS1_3gpuE7ELNS1_3repE0EEENS1_30default_config_static_selectorELNS0_4arch9wavefront6targetE1EEEvT1_
	.p2align	8
	.type	_ZN7rocprim17ROCPRIM_400000_NS6detail17trampoline_kernelINS0_14default_configENS1_20scan_config_selectorIN3c107complexIfEEEEZZNS1_9scan_implILNS1_25lookback_scan_determinismE0ELb0ELb0ES3_PKS7_PS7_S7_ZZZN2at6native31launch_logcumsumexp_cuda_kernelERKNSE_10TensorBaseESI_lENKUlvE_clEvENKUlvE2_clEvEUlS7_S7_E_S7_EEDaPvRmT3_T4_T5_mT6_P12ihipStream_tbENKUlT_T0_E_clISt17integral_constantIbLb1EESY_IbLb0EEEEDaSU_SV_EUlSU_E_NS1_11comp_targetILNS1_3genE3ELNS1_11target_archE908ELNS1_3gpuE7ELNS1_3repE0EEENS1_30default_config_static_selectorELNS0_4arch9wavefront6targetE1EEEvT1_,@function
_ZN7rocprim17ROCPRIM_400000_NS6detail17trampoline_kernelINS0_14default_configENS1_20scan_config_selectorIN3c107complexIfEEEEZZNS1_9scan_implILNS1_25lookback_scan_determinismE0ELb0ELb0ES3_PKS7_PS7_S7_ZZZN2at6native31launch_logcumsumexp_cuda_kernelERKNSE_10TensorBaseESI_lENKUlvE_clEvENKUlvE2_clEvEUlS7_S7_E_S7_EEDaPvRmT3_T4_T5_mT6_P12ihipStream_tbENKUlT_T0_E_clISt17integral_constantIbLb1EESY_IbLb0EEEEDaSU_SV_EUlSU_E_NS1_11comp_targetILNS1_3genE3ELNS1_11target_archE908ELNS1_3gpuE7ELNS1_3repE0EEENS1_30default_config_static_selectorELNS0_4arch9wavefront6targetE1EEEvT1_: ; @_ZN7rocprim17ROCPRIM_400000_NS6detail17trampoline_kernelINS0_14default_configENS1_20scan_config_selectorIN3c107complexIfEEEEZZNS1_9scan_implILNS1_25lookback_scan_determinismE0ELb0ELb0ES3_PKS7_PS7_S7_ZZZN2at6native31launch_logcumsumexp_cuda_kernelERKNSE_10TensorBaseESI_lENKUlvE_clEvENKUlvE2_clEvEUlS7_S7_E_S7_EEDaPvRmT3_T4_T5_mT6_P12ihipStream_tbENKUlT_T0_E_clISt17integral_constantIbLb1EESY_IbLb0EEEEDaSU_SV_EUlSU_E_NS1_11comp_targetILNS1_3genE3ELNS1_11target_archE908ELNS1_3gpuE7ELNS1_3repE0EEENS1_30default_config_static_selectorELNS0_4arch9wavefront6targetE1EEEvT1_
; %bb.0:
	.section	.rodata,"a",@progbits
	.p2align	6, 0x0
	.amdhsa_kernel _ZN7rocprim17ROCPRIM_400000_NS6detail17trampoline_kernelINS0_14default_configENS1_20scan_config_selectorIN3c107complexIfEEEEZZNS1_9scan_implILNS1_25lookback_scan_determinismE0ELb0ELb0ES3_PKS7_PS7_S7_ZZZN2at6native31launch_logcumsumexp_cuda_kernelERKNSE_10TensorBaseESI_lENKUlvE_clEvENKUlvE2_clEvEUlS7_S7_E_S7_EEDaPvRmT3_T4_T5_mT6_P12ihipStream_tbENKUlT_T0_E_clISt17integral_constantIbLb1EESY_IbLb0EEEEDaSU_SV_EUlSU_E_NS1_11comp_targetILNS1_3genE3ELNS1_11target_archE908ELNS1_3gpuE7ELNS1_3repE0EEENS1_30default_config_static_selectorELNS0_4arch9wavefront6targetE1EEEvT1_
		.amdhsa_group_segment_fixed_size 0
		.amdhsa_private_segment_fixed_size 0
		.amdhsa_kernarg_size 104
		.amdhsa_user_sgpr_count 6
		.amdhsa_user_sgpr_private_segment_buffer 1
		.amdhsa_user_sgpr_dispatch_ptr 0
		.amdhsa_user_sgpr_queue_ptr 0
		.amdhsa_user_sgpr_kernarg_segment_ptr 1
		.amdhsa_user_sgpr_dispatch_id 0
		.amdhsa_user_sgpr_flat_scratch_init 0
		.amdhsa_user_sgpr_kernarg_preload_length 0
		.amdhsa_user_sgpr_kernarg_preload_offset 0
		.amdhsa_user_sgpr_private_segment_size 0
		.amdhsa_uses_dynamic_stack 0
		.amdhsa_system_sgpr_private_segment_wavefront_offset 0
		.amdhsa_system_sgpr_workgroup_id_x 1
		.amdhsa_system_sgpr_workgroup_id_y 0
		.amdhsa_system_sgpr_workgroup_id_z 0
		.amdhsa_system_sgpr_workgroup_info 0
		.amdhsa_system_vgpr_workitem_id 0
		.amdhsa_next_free_vgpr 1
		.amdhsa_next_free_sgpr 0
		.amdhsa_accum_offset 4
		.amdhsa_reserve_vcc 0
		.amdhsa_reserve_flat_scratch 0
		.amdhsa_float_round_mode_32 0
		.amdhsa_float_round_mode_16_64 0
		.amdhsa_float_denorm_mode_32 3
		.amdhsa_float_denorm_mode_16_64 3
		.amdhsa_dx10_clamp 1
		.amdhsa_ieee_mode 1
		.amdhsa_fp16_overflow 0
		.amdhsa_tg_split 0
		.amdhsa_exception_fp_ieee_invalid_op 0
		.amdhsa_exception_fp_denorm_src 0
		.amdhsa_exception_fp_ieee_div_zero 0
		.amdhsa_exception_fp_ieee_overflow 0
		.amdhsa_exception_fp_ieee_underflow 0
		.amdhsa_exception_fp_ieee_inexact 0
		.amdhsa_exception_int_div_zero 0
	.end_amdhsa_kernel
	.section	.text._ZN7rocprim17ROCPRIM_400000_NS6detail17trampoline_kernelINS0_14default_configENS1_20scan_config_selectorIN3c107complexIfEEEEZZNS1_9scan_implILNS1_25lookback_scan_determinismE0ELb0ELb0ES3_PKS7_PS7_S7_ZZZN2at6native31launch_logcumsumexp_cuda_kernelERKNSE_10TensorBaseESI_lENKUlvE_clEvENKUlvE2_clEvEUlS7_S7_E_S7_EEDaPvRmT3_T4_T5_mT6_P12ihipStream_tbENKUlT_T0_E_clISt17integral_constantIbLb1EESY_IbLb0EEEEDaSU_SV_EUlSU_E_NS1_11comp_targetILNS1_3genE3ELNS1_11target_archE908ELNS1_3gpuE7ELNS1_3repE0EEENS1_30default_config_static_selectorELNS0_4arch9wavefront6targetE1EEEvT1_,"axG",@progbits,_ZN7rocprim17ROCPRIM_400000_NS6detail17trampoline_kernelINS0_14default_configENS1_20scan_config_selectorIN3c107complexIfEEEEZZNS1_9scan_implILNS1_25lookback_scan_determinismE0ELb0ELb0ES3_PKS7_PS7_S7_ZZZN2at6native31launch_logcumsumexp_cuda_kernelERKNSE_10TensorBaseESI_lENKUlvE_clEvENKUlvE2_clEvEUlS7_S7_E_S7_EEDaPvRmT3_T4_T5_mT6_P12ihipStream_tbENKUlT_T0_E_clISt17integral_constantIbLb1EESY_IbLb0EEEEDaSU_SV_EUlSU_E_NS1_11comp_targetILNS1_3genE3ELNS1_11target_archE908ELNS1_3gpuE7ELNS1_3repE0EEENS1_30default_config_static_selectorELNS0_4arch9wavefront6targetE1EEEvT1_,comdat
.Lfunc_end313:
	.size	_ZN7rocprim17ROCPRIM_400000_NS6detail17trampoline_kernelINS0_14default_configENS1_20scan_config_selectorIN3c107complexIfEEEEZZNS1_9scan_implILNS1_25lookback_scan_determinismE0ELb0ELb0ES3_PKS7_PS7_S7_ZZZN2at6native31launch_logcumsumexp_cuda_kernelERKNSE_10TensorBaseESI_lENKUlvE_clEvENKUlvE2_clEvEUlS7_S7_E_S7_EEDaPvRmT3_T4_T5_mT6_P12ihipStream_tbENKUlT_T0_E_clISt17integral_constantIbLb1EESY_IbLb0EEEEDaSU_SV_EUlSU_E_NS1_11comp_targetILNS1_3genE3ELNS1_11target_archE908ELNS1_3gpuE7ELNS1_3repE0EEENS1_30default_config_static_selectorELNS0_4arch9wavefront6targetE1EEEvT1_, .Lfunc_end313-_ZN7rocprim17ROCPRIM_400000_NS6detail17trampoline_kernelINS0_14default_configENS1_20scan_config_selectorIN3c107complexIfEEEEZZNS1_9scan_implILNS1_25lookback_scan_determinismE0ELb0ELb0ES3_PKS7_PS7_S7_ZZZN2at6native31launch_logcumsumexp_cuda_kernelERKNSE_10TensorBaseESI_lENKUlvE_clEvENKUlvE2_clEvEUlS7_S7_E_S7_EEDaPvRmT3_T4_T5_mT6_P12ihipStream_tbENKUlT_T0_E_clISt17integral_constantIbLb1EESY_IbLb0EEEEDaSU_SV_EUlSU_E_NS1_11comp_targetILNS1_3genE3ELNS1_11target_archE908ELNS1_3gpuE7ELNS1_3repE0EEENS1_30default_config_static_selectorELNS0_4arch9wavefront6targetE1EEEvT1_
                                        ; -- End function
	.section	.AMDGPU.csdata,"",@progbits
; Kernel info:
; codeLenInByte = 0
; NumSgprs: 4
; NumVgprs: 0
; NumAgprs: 0
; TotalNumVgprs: 0
; ScratchSize: 0
; MemoryBound: 0
; FloatMode: 240
; IeeeMode: 1
; LDSByteSize: 0 bytes/workgroup (compile time only)
; SGPRBlocks: 0
; VGPRBlocks: 0
; NumSGPRsForWavesPerEU: 4
; NumVGPRsForWavesPerEU: 1
; AccumOffset: 4
; Occupancy: 8
; WaveLimiterHint : 0
; COMPUTE_PGM_RSRC2:SCRATCH_EN: 0
; COMPUTE_PGM_RSRC2:USER_SGPR: 6
; COMPUTE_PGM_RSRC2:TRAP_HANDLER: 0
; COMPUTE_PGM_RSRC2:TGID_X_EN: 1
; COMPUTE_PGM_RSRC2:TGID_Y_EN: 0
; COMPUTE_PGM_RSRC2:TGID_Z_EN: 0
; COMPUTE_PGM_RSRC2:TIDIG_COMP_CNT: 0
; COMPUTE_PGM_RSRC3_GFX90A:ACCUM_OFFSET: 0
; COMPUTE_PGM_RSRC3_GFX90A:TG_SPLIT: 0
	.section	.text._ZN7rocprim17ROCPRIM_400000_NS6detail17trampoline_kernelINS0_14default_configENS1_20scan_config_selectorIN3c107complexIfEEEEZZNS1_9scan_implILNS1_25lookback_scan_determinismE0ELb0ELb0ES3_PKS7_PS7_S7_ZZZN2at6native31launch_logcumsumexp_cuda_kernelERKNSE_10TensorBaseESI_lENKUlvE_clEvENKUlvE2_clEvEUlS7_S7_E_S7_EEDaPvRmT3_T4_T5_mT6_P12ihipStream_tbENKUlT_T0_E_clISt17integral_constantIbLb1EESY_IbLb0EEEEDaSU_SV_EUlSU_E_NS1_11comp_targetILNS1_3genE2ELNS1_11target_archE906ELNS1_3gpuE6ELNS1_3repE0EEENS1_30default_config_static_selectorELNS0_4arch9wavefront6targetE1EEEvT1_,"axG",@progbits,_ZN7rocprim17ROCPRIM_400000_NS6detail17trampoline_kernelINS0_14default_configENS1_20scan_config_selectorIN3c107complexIfEEEEZZNS1_9scan_implILNS1_25lookback_scan_determinismE0ELb0ELb0ES3_PKS7_PS7_S7_ZZZN2at6native31launch_logcumsumexp_cuda_kernelERKNSE_10TensorBaseESI_lENKUlvE_clEvENKUlvE2_clEvEUlS7_S7_E_S7_EEDaPvRmT3_T4_T5_mT6_P12ihipStream_tbENKUlT_T0_E_clISt17integral_constantIbLb1EESY_IbLb0EEEEDaSU_SV_EUlSU_E_NS1_11comp_targetILNS1_3genE2ELNS1_11target_archE906ELNS1_3gpuE6ELNS1_3repE0EEENS1_30default_config_static_selectorELNS0_4arch9wavefront6targetE1EEEvT1_,comdat
	.globl	_ZN7rocprim17ROCPRIM_400000_NS6detail17trampoline_kernelINS0_14default_configENS1_20scan_config_selectorIN3c107complexIfEEEEZZNS1_9scan_implILNS1_25lookback_scan_determinismE0ELb0ELb0ES3_PKS7_PS7_S7_ZZZN2at6native31launch_logcumsumexp_cuda_kernelERKNSE_10TensorBaseESI_lENKUlvE_clEvENKUlvE2_clEvEUlS7_S7_E_S7_EEDaPvRmT3_T4_T5_mT6_P12ihipStream_tbENKUlT_T0_E_clISt17integral_constantIbLb1EESY_IbLb0EEEEDaSU_SV_EUlSU_E_NS1_11comp_targetILNS1_3genE2ELNS1_11target_archE906ELNS1_3gpuE6ELNS1_3repE0EEENS1_30default_config_static_selectorELNS0_4arch9wavefront6targetE1EEEvT1_ ; -- Begin function _ZN7rocprim17ROCPRIM_400000_NS6detail17trampoline_kernelINS0_14default_configENS1_20scan_config_selectorIN3c107complexIfEEEEZZNS1_9scan_implILNS1_25lookback_scan_determinismE0ELb0ELb0ES3_PKS7_PS7_S7_ZZZN2at6native31launch_logcumsumexp_cuda_kernelERKNSE_10TensorBaseESI_lENKUlvE_clEvENKUlvE2_clEvEUlS7_S7_E_S7_EEDaPvRmT3_T4_T5_mT6_P12ihipStream_tbENKUlT_T0_E_clISt17integral_constantIbLb1EESY_IbLb0EEEEDaSU_SV_EUlSU_E_NS1_11comp_targetILNS1_3genE2ELNS1_11target_archE906ELNS1_3gpuE6ELNS1_3repE0EEENS1_30default_config_static_selectorELNS0_4arch9wavefront6targetE1EEEvT1_
	.p2align	8
	.type	_ZN7rocprim17ROCPRIM_400000_NS6detail17trampoline_kernelINS0_14default_configENS1_20scan_config_selectorIN3c107complexIfEEEEZZNS1_9scan_implILNS1_25lookback_scan_determinismE0ELb0ELb0ES3_PKS7_PS7_S7_ZZZN2at6native31launch_logcumsumexp_cuda_kernelERKNSE_10TensorBaseESI_lENKUlvE_clEvENKUlvE2_clEvEUlS7_S7_E_S7_EEDaPvRmT3_T4_T5_mT6_P12ihipStream_tbENKUlT_T0_E_clISt17integral_constantIbLb1EESY_IbLb0EEEEDaSU_SV_EUlSU_E_NS1_11comp_targetILNS1_3genE2ELNS1_11target_archE906ELNS1_3gpuE6ELNS1_3repE0EEENS1_30default_config_static_selectorELNS0_4arch9wavefront6targetE1EEEvT1_,@function
_ZN7rocprim17ROCPRIM_400000_NS6detail17trampoline_kernelINS0_14default_configENS1_20scan_config_selectorIN3c107complexIfEEEEZZNS1_9scan_implILNS1_25lookback_scan_determinismE0ELb0ELb0ES3_PKS7_PS7_S7_ZZZN2at6native31launch_logcumsumexp_cuda_kernelERKNSE_10TensorBaseESI_lENKUlvE_clEvENKUlvE2_clEvEUlS7_S7_E_S7_EEDaPvRmT3_T4_T5_mT6_P12ihipStream_tbENKUlT_T0_E_clISt17integral_constantIbLb1EESY_IbLb0EEEEDaSU_SV_EUlSU_E_NS1_11comp_targetILNS1_3genE2ELNS1_11target_archE906ELNS1_3gpuE6ELNS1_3repE0EEENS1_30default_config_static_selectorELNS0_4arch9wavefront6targetE1EEEvT1_: ; @_ZN7rocprim17ROCPRIM_400000_NS6detail17trampoline_kernelINS0_14default_configENS1_20scan_config_selectorIN3c107complexIfEEEEZZNS1_9scan_implILNS1_25lookback_scan_determinismE0ELb0ELb0ES3_PKS7_PS7_S7_ZZZN2at6native31launch_logcumsumexp_cuda_kernelERKNSE_10TensorBaseESI_lENKUlvE_clEvENKUlvE2_clEvEUlS7_S7_E_S7_EEDaPvRmT3_T4_T5_mT6_P12ihipStream_tbENKUlT_T0_E_clISt17integral_constantIbLb1EESY_IbLb0EEEEDaSU_SV_EUlSU_E_NS1_11comp_targetILNS1_3genE2ELNS1_11target_archE906ELNS1_3gpuE6ELNS1_3repE0EEENS1_30default_config_static_selectorELNS0_4arch9wavefront6targetE1EEEvT1_
; %bb.0:
	.section	.rodata,"a",@progbits
	.p2align	6, 0x0
	.amdhsa_kernel _ZN7rocprim17ROCPRIM_400000_NS6detail17trampoline_kernelINS0_14default_configENS1_20scan_config_selectorIN3c107complexIfEEEEZZNS1_9scan_implILNS1_25lookback_scan_determinismE0ELb0ELb0ES3_PKS7_PS7_S7_ZZZN2at6native31launch_logcumsumexp_cuda_kernelERKNSE_10TensorBaseESI_lENKUlvE_clEvENKUlvE2_clEvEUlS7_S7_E_S7_EEDaPvRmT3_T4_T5_mT6_P12ihipStream_tbENKUlT_T0_E_clISt17integral_constantIbLb1EESY_IbLb0EEEEDaSU_SV_EUlSU_E_NS1_11comp_targetILNS1_3genE2ELNS1_11target_archE906ELNS1_3gpuE6ELNS1_3repE0EEENS1_30default_config_static_selectorELNS0_4arch9wavefront6targetE1EEEvT1_
		.amdhsa_group_segment_fixed_size 0
		.amdhsa_private_segment_fixed_size 0
		.amdhsa_kernarg_size 104
		.amdhsa_user_sgpr_count 6
		.amdhsa_user_sgpr_private_segment_buffer 1
		.amdhsa_user_sgpr_dispatch_ptr 0
		.amdhsa_user_sgpr_queue_ptr 0
		.amdhsa_user_sgpr_kernarg_segment_ptr 1
		.amdhsa_user_sgpr_dispatch_id 0
		.amdhsa_user_sgpr_flat_scratch_init 0
		.amdhsa_user_sgpr_kernarg_preload_length 0
		.amdhsa_user_sgpr_kernarg_preload_offset 0
		.amdhsa_user_sgpr_private_segment_size 0
		.amdhsa_uses_dynamic_stack 0
		.amdhsa_system_sgpr_private_segment_wavefront_offset 0
		.amdhsa_system_sgpr_workgroup_id_x 1
		.amdhsa_system_sgpr_workgroup_id_y 0
		.amdhsa_system_sgpr_workgroup_id_z 0
		.amdhsa_system_sgpr_workgroup_info 0
		.amdhsa_system_vgpr_workitem_id 0
		.amdhsa_next_free_vgpr 1
		.amdhsa_next_free_sgpr 0
		.amdhsa_accum_offset 4
		.amdhsa_reserve_vcc 0
		.amdhsa_reserve_flat_scratch 0
		.amdhsa_float_round_mode_32 0
		.amdhsa_float_round_mode_16_64 0
		.amdhsa_float_denorm_mode_32 3
		.amdhsa_float_denorm_mode_16_64 3
		.amdhsa_dx10_clamp 1
		.amdhsa_ieee_mode 1
		.amdhsa_fp16_overflow 0
		.amdhsa_tg_split 0
		.amdhsa_exception_fp_ieee_invalid_op 0
		.amdhsa_exception_fp_denorm_src 0
		.amdhsa_exception_fp_ieee_div_zero 0
		.amdhsa_exception_fp_ieee_overflow 0
		.amdhsa_exception_fp_ieee_underflow 0
		.amdhsa_exception_fp_ieee_inexact 0
		.amdhsa_exception_int_div_zero 0
	.end_amdhsa_kernel
	.section	.text._ZN7rocprim17ROCPRIM_400000_NS6detail17trampoline_kernelINS0_14default_configENS1_20scan_config_selectorIN3c107complexIfEEEEZZNS1_9scan_implILNS1_25lookback_scan_determinismE0ELb0ELb0ES3_PKS7_PS7_S7_ZZZN2at6native31launch_logcumsumexp_cuda_kernelERKNSE_10TensorBaseESI_lENKUlvE_clEvENKUlvE2_clEvEUlS7_S7_E_S7_EEDaPvRmT3_T4_T5_mT6_P12ihipStream_tbENKUlT_T0_E_clISt17integral_constantIbLb1EESY_IbLb0EEEEDaSU_SV_EUlSU_E_NS1_11comp_targetILNS1_3genE2ELNS1_11target_archE906ELNS1_3gpuE6ELNS1_3repE0EEENS1_30default_config_static_selectorELNS0_4arch9wavefront6targetE1EEEvT1_,"axG",@progbits,_ZN7rocprim17ROCPRIM_400000_NS6detail17trampoline_kernelINS0_14default_configENS1_20scan_config_selectorIN3c107complexIfEEEEZZNS1_9scan_implILNS1_25lookback_scan_determinismE0ELb0ELb0ES3_PKS7_PS7_S7_ZZZN2at6native31launch_logcumsumexp_cuda_kernelERKNSE_10TensorBaseESI_lENKUlvE_clEvENKUlvE2_clEvEUlS7_S7_E_S7_EEDaPvRmT3_T4_T5_mT6_P12ihipStream_tbENKUlT_T0_E_clISt17integral_constantIbLb1EESY_IbLb0EEEEDaSU_SV_EUlSU_E_NS1_11comp_targetILNS1_3genE2ELNS1_11target_archE906ELNS1_3gpuE6ELNS1_3repE0EEENS1_30default_config_static_selectorELNS0_4arch9wavefront6targetE1EEEvT1_,comdat
.Lfunc_end314:
	.size	_ZN7rocprim17ROCPRIM_400000_NS6detail17trampoline_kernelINS0_14default_configENS1_20scan_config_selectorIN3c107complexIfEEEEZZNS1_9scan_implILNS1_25lookback_scan_determinismE0ELb0ELb0ES3_PKS7_PS7_S7_ZZZN2at6native31launch_logcumsumexp_cuda_kernelERKNSE_10TensorBaseESI_lENKUlvE_clEvENKUlvE2_clEvEUlS7_S7_E_S7_EEDaPvRmT3_T4_T5_mT6_P12ihipStream_tbENKUlT_T0_E_clISt17integral_constantIbLb1EESY_IbLb0EEEEDaSU_SV_EUlSU_E_NS1_11comp_targetILNS1_3genE2ELNS1_11target_archE906ELNS1_3gpuE6ELNS1_3repE0EEENS1_30default_config_static_selectorELNS0_4arch9wavefront6targetE1EEEvT1_, .Lfunc_end314-_ZN7rocprim17ROCPRIM_400000_NS6detail17trampoline_kernelINS0_14default_configENS1_20scan_config_selectorIN3c107complexIfEEEEZZNS1_9scan_implILNS1_25lookback_scan_determinismE0ELb0ELb0ES3_PKS7_PS7_S7_ZZZN2at6native31launch_logcumsumexp_cuda_kernelERKNSE_10TensorBaseESI_lENKUlvE_clEvENKUlvE2_clEvEUlS7_S7_E_S7_EEDaPvRmT3_T4_T5_mT6_P12ihipStream_tbENKUlT_T0_E_clISt17integral_constantIbLb1EESY_IbLb0EEEEDaSU_SV_EUlSU_E_NS1_11comp_targetILNS1_3genE2ELNS1_11target_archE906ELNS1_3gpuE6ELNS1_3repE0EEENS1_30default_config_static_selectorELNS0_4arch9wavefront6targetE1EEEvT1_
                                        ; -- End function
	.section	.AMDGPU.csdata,"",@progbits
; Kernel info:
; codeLenInByte = 0
; NumSgprs: 4
; NumVgprs: 0
; NumAgprs: 0
; TotalNumVgprs: 0
; ScratchSize: 0
; MemoryBound: 0
; FloatMode: 240
; IeeeMode: 1
; LDSByteSize: 0 bytes/workgroup (compile time only)
; SGPRBlocks: 0
; VGPRBlocks: 0
; NumSGPRsForWavesPerEU: 4
; NumVGPRsForWavesPerEU: 1
; AccumOffset: 4
; Occupancy: 8
; WaveLimiterHint : 0
; COMPUTE_PGM_RSRC2:SCRATCH_EN: 0
; COMPUTE_PGM_RSRC2:USER_SGPR: 6
; COMPUTE_PGM_RSRC2:TRAP_HANDLER: 0
; COMPUTE_PGM_RSRC2:TGID_X_EN: 1
; COMPUTE_PGM_RSRC2:TGID_Y_EN: 0
; COMPUTE_PGM_RSRC2:TGID_Z_EN: 0
; COMPUTE_PGM_RSRC2:TIDIG_COMP_CNT: 0
; COMPUTE_PGM_RSRC3_GFX90A:ACCUM_OFFSET: 0
; COMPUTE_PGM_RSRC3_GFX90A:TG_SPLIT: 0
	.section	.text._ZN7rocprim17ROCPRIM_400000_NS6detail17trampoline_kernelINS0_14default_configENS1_20scan_config_selectorIN3c107complexIfEEEEZZNS1_9scan_implILNS1_25lookback_scan_determinismE0ELb0ELb0ES3_PKS7_PS7_S7_ZZZN2at6native31launch_logcumsumexp_cuda_kernelERKNSE_10TensorBaseESI_lENKUlvE_clEvENKUlvE2_clEvEUlS7_S7_E_S7_EEDaPvRmT3_T4_T5_mT6_P12ihipStream_tbENKUlT_T0_E_clISt17integral_constantIbLb1EESY_IbLb0EEEEDaSU_SV_EUlSU_E_NS1_11comp_targetILNS1_3genE10ELNS1_11target_archE1201ELNS1_3gpuE5ELNS1_3repE0EEENS1_30default_config_static_selectorELNS0_4arch9wavefront6targetE1EEEvT1_,"axG",@progbits,_ZN7rocprim17ROCPRIM_400000_NS6detail17trampoline_kernelINS0_14default_configENS1_20scan_config_selectorIN3c107complexIfEEEEZZNS1_9scan_implILNS1_25lookback_scan_determinismE0ELb0ELb0ES3_PKS7_PS7_S7_ZZZN2at6native31launch_logcumsumexp_cuda_kernelERKNSE_10TensorBaseESI_lENKUlvE_clEvENKUlvE2_clEvEUlS7_S7_E_S7_EEDaPvRmT3_T4_T5_mT6_P12ihipStream_tbENKUlT_T0_E_clISt17integral_constantIbLb1EESY_IbLb0EEEEDaSU_SV_EUlSU_E_NS1_11comp_targetILNS1_3genE10ELNS1_11target_archE1201ELNS1_3gpuE5ELNS1_3repE0EEENS1_30default_config_static_selectorELNS0_4arch9wavefront6targetE1EEEvT1_,comdat
	.globl	_ZN7rocprim17ROCPRIM_400000_NS6detail17trampoline_kernelINS0_14default_configENS1_20scan_config_selectorIN3c107complexIfEEEEZZNS1_9scan_implILNS1_25lookback_scan_determinismE0ELb0ELb0ES3_PKS7_PS7_S7_ZZZN2at6native31launch_logcumsumexp_cuda_kernelERKNSE_10TensorBaseESI_lENKUlvE_clEvENKUlvE2_clEvEUlS7_S7_E_S7_EEDaPvRmT3_T4_T5_mT6_P12ihipStream_tbENKUlT_T0_E_clISt17integral_constantIbLb1EESY_IbLb0EEEEDaSU_SV_EUlSU_E_NS1_11comp_targetILNS1_3genE10ELNS1_11target_archE1201ELNS1_3gpuE5ELNS1_3repE0EEENS1_30default_config_static_selectorELNS0_4arch9wavefront6targetE1EEEvT1_ ; -- Begin function _ZN7rocprim17ROCPRIM_400000_NS6detail17trampoline_kernelINS0_14default_configENS1_20scan_config_selectorIN3c107complexIfEEEEZZNS1_9scan_implILNS1_25lookback_scan_determinismE0ELb0ELb0ES3_PKS7_PS7_S7_ZZZN2at6native31launch_logcumsumexp_cuda_kernelERKNSE_10TensorBaseESI_lENKUlvE_clEvENKUlvE2_clEvEUlS7_S7_E_S7_EEDaPvRmT3_T4_T5_mT6_P12ihipStream_tbENKUlT_T0_E_clISt17integral_constantIbLb1EESY_IbLb0EEEEDaSU_SV_EUlSU_E_NS1_11comp_targetILNS1_3genE10ELNS1_11target_archE1201ELNS1_3gpuE5ELNS1_3repE0EEENS1_30default_config_static_selectorELNS0_4arch9wavefront6targetE1EEEvT1_
	.p2align	8
	.type	_ZN7rocprim17ROCPRIM_400000_NS6detail17trampoline_kernelINS0_14default_configENS1_20scan_config_selectorIN3c107complexIfEEEEZZNS1_9scan_implILNS1_25lookback_scan_determinismE0ELb0ELb0ES3_PKS7_PS7_S7_ZZZN2at6native31launch_logcumsumexp_cuda_kernelERKNSE_10TensorBaseESI_lENKUlvE_clEvENKUlvE2_clEvEUlS7_S7_E_S7_EEDaPvRmT3_T4_T5_mT6_P12ihipStream_tbENKUlT_T0_E_clISt17integral_constantIbLb1EESY_IbLb0EEEEDaSU_SV_EUlSU_E_NS1_11comp_targetILNS1_3genE10ELNS1_11target_archE1201ELNS1_3gpuE5ELNS1_3repE0EEENS1_30default_config_static_selectorELNS0_4arch9wavefront6targetE1EEEvT1_,@function
_ZN7rocprim17ROCPRIM_400000_NS6detail17trampoline_kernelINS0_14default_configENS1_20scan_config_selectorIN3c107complexIfEEEEZZNS1_9scan_implILNS1_25lookback_scan_determinismE0ELb0ELb0ES3_PKS7_PS7_S7_ZZZN2at6native31launch_logcumsumexp_cuda_kernelERKNSE_10TensorBaseESI_lENKUlvE_clEvENKUlvE2_clEvEUlS7_S7_E_S7_EEDaPvRmT3_T4_T5_mT6_P12ihipStream_tbENKUlT_T0_E_clISt17integral_constantIbLb1EESY_IbLb0EEEEDaSU_SV_EUlSU_E_NS1_11comp_targetILNS1_3genE10ELNS1_11target_archE1201ELNS1_3gpuE5ELNS1_3repE0EEENS1_30default_config_static_selectorELNS0_4arch9wavefront6targetE1EEEvT1_: ; @_ZN7rocprim17ROCPRIM_400000_NS6detail17trampoline_kernelINS0_14default_configENS1_20scan_config_selectorIN3c107complexIfEEEEZZNS1_9scan_implILNS1_25lookback_scan_determinismE0ELb0ELb0ES3_PKS7_PS7_S7_ZZZN2at6native31launch_logcumsumexp_cuda_kernelERKNSE_10TensorBaseESI_lENKUlvE_clEvENKUlvE2_clEvEUlS7_S7_E_S7_EEDaPvRmT3_T4_T5_mT6_P12ihipStream_tbENKUlT_T0_E_clISt17integral_constantIbLb1EESY_IbLb0EEEEDaSU_SV_EUlSU_E_NS1_11comp_targetILNS1_3genE10ELNS1_11target_archE1201ELNS1_3gpuE5ELNS1_3repE0EEENS1_30default_config_static_selectorELNS0_4arch9wavefront6targetE1EEEvT1_
; %bb.0:
	.section	.rodata,"a",@progbits
	.p2align	6, 0x0
	.amdhsa_kernel _ZN7rocprim17ROCPRIM_400000_NS6detail17trampoline_kernelINS0_14default_configENS1_20scan_config_selectorIN3c107complexIfEEEEZZNS1_9scan_implILNS1_25lookback_scan_determinismE0ELb0ELb0ES3_PKS7_PS7_S7_ZZZN2at6native31launch_logcumsumexp_cuda_kernelERKNSE_10TensorBaseESI_lENKUlvE_clEvENKUlvE2_clEvEUlS7_S7_E_S7_EEDaPvRmT3_T4_T5_mT6_P12ihipStream_tbENKUlT_T0_E_clISt17integral_constantIbLb1EESY_IbLb0EEEEDaSU_SV_EUlSU_E_NS1_11comp_targetILNS1_3genE10ELNS1_11target_archE1201ELNS1_3gpuE5ELNS1_3repE0EEENS1_30default_config_static_selectorELNS0_4arch9wavefront6targetE1EEEvT1_
		.amdhsa_group_segment_fixed_size 0
		.amdhsa_private_segment_fixed_size 0
		.amdhsa_kernarg_size 104
		.amdhsa_user_sgpr_count 6
		.amdhsa_user_sgpr_private_segment_buffer 1
		.amdhsa_user_sgpr_dispatch_ptr 0
		.amdhsa_user_sgpr_queue_ptr 0
		.amdhsa_user_sgpr_kernarg_segment_ptr 1
		.amdhsa_user_sgpr_dispatch_id 0
		.amdhsa_user_sgpr_flat_scratch_init 0
		.amdhsa_user_sgpr_kernarg_preload_length 0
		.amdhsa_user_sgpr_kernarg_preload_offset 0
		.amdhsa_user_sgpr_private_segment_size 0
		.amdhsa_uses_dynamic_stack 0
		.amdhsa_system_sgpr_private_segment_wavefront_offset 0
		.amdhsa_system_sgpr_workgroup_id_x 1
		.amdhsa_system_sgpr_workgroup_id_y 0
		.amdhsa_system_sgpr_workgroup_id_z 0
		.amdhsa_system_sgpr_workgroup_info 0
		.amdhsa_system_vgpr_workitem_id 0
		.amdhsa_next_free_vgpr 1
		.amdhsa_next_free_sgpr 0
		.amdhsa_accum_offset 4
		.amdhsa_reserve_vcc 0
		.amdhsa_reserve_flat_scratch 0
		.amdhsa_float_round_mode_32 0
		.amdhsa_float_round_mode_16_64 0
		.amdhsa_float_denorm_mode_32 3
		.amdhsa_float_denorm_mode_16_64 3
		.amdhsa_dx10_clamp 1
		.amdhsa_ieee_mode 1
		.amdhsa_fp16_overflow 0
		.amdhsa_tg_split 0
		.amdhsa_exception_fp_ieee_invalid_op 0
		.amdhsa_exception_fp_denorm_src 0
		.amdhsa_exception_fp_ieee_div_zero 0
		.amdhsa_exception_fp_ieee_overflow 0
		.amdhsa_exception_fp_ieee_underflow 0
		.amdhsa_exception_fp_ieee_inexact 0
		.amdhsa_exception_int_div_zero 0
	.end_amdhsa_kernel
	.section	.text._ZN7rocprim17ROCPRIM_400000_NS6detail17trampoline_kernelINS0_14default_configENS1_20scan_config_selectorIN3c107complexIfEEEEZZNS1_9scan_implILNS1_25lookback_scan_determinismE0ELb0ELb0ES3_PKS7_PS7_S7_ZZZN2at6native31launch_logcumsumexp_cuda_kernelERKNSE_10TensorBaseESI_lENKUlvE_clEvENKUlvE2_clEvEUlS7_S7_E_S7_EEDaPvRmT3_T4_T5_mT6_P12ihipStream_tbENKUlT_T0_E_clISt17integral_constantIbLb1EESY_IbLb0EEEEDaSU_SV_EUlSU_E_NS1_11comp_targetILNS1_3genE10ELNS1_11target_archE1201ELNS1_3gpuE5ELNS1_3repE0EEENS1_30default_config_static_selectorELNS0_4arch9wavefront6targetE1EEEvT1_,"axG",@progbits,_ZN7rocprim17ROCPRIM_400000_NS6detail17trampoline_kernelINS0_14default_configENS1_20scan_config_selectorIN3c107complexIfEEEEZZNS1_9scan_implILNS1_25lookback_scan_determinismE0ELb0ELb0ES3_PKS7_PS7_S7_ZZZN2at6native31launch_logcumsumexp_cuda_kernelERKNSE_10TensorBaseESI_lENKUlvE_clEvENKUlvE2_clEvEUlS7_S7_E_S7_EEDaPvRmT3_T4_T5_mT6_P12ihipStream_tbENKUlT_T0_E_clISt17integral_constantIbLb1EESY_IbLb0EEEEDaSU_SV_EUlSU_E_NS1_11comp_targetILNS1_3genE10ELNS1_11target_archE1201ELNS1_3gpuE5ELNS1_3repE0EEENS1_30default_config_static_selectorELNS0_4arch9wavefront6targetE1EEEvT1_,comdat
.Lfunc_end315:
	.size	_ZN7rocprim17ROCPRIM_400000_NS6detail17trampoline_kernelINS0_14default_configENS1_20scan_config_selectorIN3c107complexIfEEEEZZNS1_9scan_implILNS1_25lookback_scan_determinismE0ELb0ELb0ES3_PKS7_PS7_S7_ZZZN2at6native31launch_logcumsumexp_cuda_kernelERKNSE_10TensorBaseESI_lENKUlvE_clEvENKUlvE2_clEvEUlS7_S7_E_S7_EEDaPvRmT3_T4_T5_mT6_P12ihipStream_tbENKUlT_T0_E_clISt17integral_constantIbLb1EESY_IbLb0EEEEDaSU_SV_EUlSU_E_NS1_11comp_targetILNS1_3genE10ELNS1_11target_archE1201ELNS1_3gpuE5ELNS1_3repE0EEENS1_30default_config_static_selectorELNS0_4arch9wavefront6targetE1EEEvT1_, .Lfunc_end315-_ZN7rocprim17ROCPRIM_400000_NS6detail17trampoline_kernelINS0_14default_configENS1_20scan_config_selectorIN3c107complexIfEEEEZZNS1_9scan_implILNS1_25lookback_scan_determinismE0ELb0ELb0ES3_PKS7_PS7_S7_ZZZN2at6native31launch_logcumsumexp_cuda_kernelERKNSE_10TensorBaseESI_lENKUlvE_clEvENKUlvE2_clEvEUlS7_S7_E_S7_EEDaPvRmT3_T4_T5_mT6_P12ihipStream_tbENKUlT_T0_E_clISt17integral_constantIbLb1EESY_IbLb0EEEEDaSU_SV_EUlSU_E_NS1_11comp_targetILNS1_3genE10ELNS1_11target_archE1201ELNS1_3gpuE5ELNS1_3repE0EEENS1_30default_config_static_selectorELNS0_4arch9wavefront6targetE1EEEvT1_
                                        ; -- End function
	.section	.AMDGPU.csdata,"",@progbits
; Kernel info:
; codeLenInByte = 0
; NumSgprs: 4
; NumVgprs: 0
; NumAgprs: 0
; TotalNumVgprs: 0
; ScratchSize: 0
; MemoryBound: 0
; FloatMode: 240
; IeeeMode: 1
; LDSByteSize: 0 bytes/workgroup (compile time only)
; SGPRBlocks: 0
; VGPRBlocks: 0
; NumSGPRsForWavesPerEU: 4
; NumVGPRsForWavesPerEU: 1
; AccumOffset: 4
; Occupancy: 8
; WaveLimiterHint : 0
; COMPUTE_PGM_RSRC2:SCRATCH_EN: 0
; COMPUTE_PGM_RSRC2:USER_SGPR: 6
; COMPUTE_PGM_RSRC2:TRAP_HANDLER: 0
; COMPUTE_PGM_RSRC2:TGID_X_EN: 1
; COMPUTE_PGM_RSRC2:TGID_Y_EN: 0
; COMPUTE_PGM_RSRC2:TGID_Z_EN: 0
; COMPUTE_PGM_RSRC2:TIDIG_COMP_CNT: 0
; COMPUTE_PGM_RSRC3_GFX90A:ACCUM_OFFSET: 0
; COMPUTE_PGM_RSRC3_GFX90A:TG_SPLIT: 0
	.section	.text._ZN7rocprim17ROCPRIM_400000_NS6detail17trampoline_kernelINS0_14default_configENS1_20scan_config_selectorIN3c107complexIfEEEEZZNS1_9scan_implILNS1_25lookback_scan_determinismE0ELb0ELb0ES3_PKS7_PS7_S7_ZZZN2at6native31launch_logcumsumexp_cuda_kernelERKNSE_10TensorBaseESI_lENKUlvE_clEvENKUlvE2_clEvEUlS7_S7_E_S7_EEDaPvRmT3_T4_T5_mT6_P12ihipStream_tbENKUlT_T0_E_clISt17integral_constantIbLb1EESY_IbLb0EEEEDaSU_SV_EUlSU_E_NS1_11comp_targetILNS1_3genE10ELNS1_11target_archE1200ELNS1_3gpuE4ELNS1_3repE0EEENS1_30default_config_static_selectorELNS0_4arch9wavefront6targetE1EEEvT1_,"axG",@progbits,_ZN7rocprim17ROCPRIM_400000_NS6detail17trampoline_kernelINS0_14default_configENS1_20scan_config_selectorIN3c107complexIfEEEEZZNS1_9scan_implILNS1_25lookback_scan_determinismE0ELb0ELb0ES3_PKS7_PS7_S7_ZZZN2at6native31launch_logcumsumexp_cuda_kernelERKNSE_10TensorBaseESI_lENKUlvE_clEvENKUlvE2_clEvEUlS7_S7_E_S7_EEDaPvRmT3_T4_T5_mT6_P12ihipStream_tbENKUlT_T0_E_clISt17integral_constantIbLb1EESY_IbLb0EEEEDaSU_SV_EUlSU_E_NS1_11comp_targetILNS1_3genE10ELNS1_11target_archE1200ELNS1_3gpuE4ELNS1_3repE0EEENS1_30default_config_static_selectorELNS0_4arch9wavefront6targetE1EEEvT1_,comdat
	.globl	_ZN7rocprim17ROCPRIM_400000_NS6detail17trampoline_kernelINS0_14default_configENS1_20scan_config_selectorIN3c107complexIfEEEEZZNS1_9scan_implILNS1_25lookback_scan_determinismE0ELb0ELb0ES3_PKS7_PS7_S7_ZZZN2at6native31launch_logcumsumexp_cuda_kernelERKNSE_10TensorBaseESI_lENKUlvE_clEvENKUlvE2_clEvEUlS7_S7_E_S7_EEDaPvRmT3_T4_T5_mT6_P12ihipStream_tbENKUlT_T0_E_clISt17integral_constantIbLb1EESY_IbLb0EEEEDaSU_SV_EUlSU_E_NS1_11comp_targetILNS1_3genE10ELNS1_11target_archE1200ELNS1_3gpuE4ELNS1_3repE0EEENS1_30default_config_static_selectorELNS0_4arch9wavefront6targetE1EEEvT1_ ; -- Begin function _ZN7rocprim17ROCPRIM_400000_NS6detail17trampoline_kernelINS0_14default_configENS1_20scan_config_selectorIN3c107complexIfEEEEZZNS1_9scan_implILNS1_25lookback_scan_determinismE0ELb0ELb0ES3_PKS7_PS7_S7_ZZZN2at6native31launch_logcumsumexp_cuda_kernelERKNSE_10TensorBaseESI_lENKUlvE_clEvENKUlvE2_clEvEUlS7_S7_E_S7_EEDaPvRmT3_T4_T5_mT6_P12ihipStream_tbENKUlT_T0_E_clISt17integral_constantIbLb1EESY_IbLb0EEEEDaSU_SV_EUlSU_E_NS1_11comp_targetILNS1_3genE10ELNS1_11target_archE1200ELNS1_3gpuE4ELNS1_3repE0EEENS1_30default_config_static_selectorELNS0_4arch9wavefront6targetE1EEEvT1_
	.p2align	8
	.type	_ZN7rocprim17ROCPRIM_400000_NS6detail17trampoline_kernelINS0_14default_configENS1_20scan_config_selectorIN3c107complexIfEEEEZZNS1_9scan_implILNS1_25lookback_scan_determinismE0ELb0ELb0ES3_PKS7_PS7_S7_ZZZN2at6native31launch_logcumsumexp_cuda_kernelERKNSE_10TensorBaseESI_lENKUlvE_clEvENKUlvE2_clEvEUlS7_S7_E_S7_EEDaPvRmT3_T4_T5_mT6_P12ihipStream_tbENKUlT_T0_E_clISt17integral_constantIbLb1EESY_IbLb0EEEEDaSU_SV_EUlSU_E_NS1_11comp_targetILNS1_3genE10ELNS1_11target_archE1200ELNS1_3gpuE4ELNS1_3repE0EEENS1_30default_config_static_selectorELNS0_4arch9wavefront6targetE1EEEvT1_,@function
_ZN7rocprim17ROCPRIM_400000_NS6detail17trampoline_kernelINS0_14default_configENS1_20scan_config_selectorIN3c107complexIfEEEEZZNS1_9scan_implILNS1_25lookback_scan_determinismE0ELb0ELb0ES3_PKS7_PS7_S7_ZZZN2at6native31launch_logcumsumexp_cuda_kernelERKNSE_10TensorBaseESI_lENKUlvE_clEvENKUlvE2_clEvEUlS7_S7_E_S7_EEDaPvRmT3_T4_T5_mT6_P12ihipStream_tbENKUlT_T0_E_clISt17integral_constantIbLb1EESY_IbLb0EEEEDaSU_SV_EUlSU_E_NS1_11comp_targetILNS1_3genE10ELNS1_11target_archE1200ELNS1_3gpuE4ELNS1_3repE0EEENS1_30default_config_static_selectorELNS0_4arch9wavefront6targetE1EEEvT1_: ; @_ZN7rocprim17ROCPRIM_400000_NS6detail17trampoline_kernelINS0_14default_configENS1_20scan_config_selectorIN3c107complexIfEEEEZZNS1_9scan_implILNS1_25lookback_scan_determinismE0ELb0ELb0ES3_PKS7_PS7_S7_ZZZN2at6native31launch_logcumsumexp_cuda_kernelERKNSE_10TensorBaseESI_lENKUlvE_clEvENKUlvE2_clEvEUlS7_S7_E_S7_EEDaPvRmT3_T4_T5_mT6_P12ihipStream_tbENKUlT_T0_E_clISt17integral_constantIbLb1EESY_IbLb0EEEEDaSU_SV_EUlSU_E_NS1_11comp_targetILNS1_3genE10ELNS1_11target_archE1200ELNS1_3gpuE4ELNS1_3repE0EEENS1_30default_config_static_selectorELNS0_4arch9wavefront6targetE1EEEvT1_
; %bb.0:
	.section	.rodata,"a",@progbits
	.p2align	6, 0x0
	.amdhsa_kernel _ZN7rocprim17ROCPRIM_400000_NS6detail17trampoline_kernelINS0_14default_configENS1_20scan_config_selectorIN3c107complexIfEEEEZZNS1_9scan_implILNS1_25lookback_scan_determinismE0ELb0ELb0ES3_PKS7_PS7_S7_ZZZN2at6native31launch_logcumsumexp_cuda_kernelERKNSE_10TensorBaseESI_lENKUlvE_clEvENKUlvE2_clEvEUlS7_S7_E_S7_EEDaPvRmT3_T4_T5_mT6_P12ihipStream_tbENKUlT_T0_E_clISt17integral_constantIbLb1EESY_IbLb0EEEEDaSU_SV_EUlSU_E_NS1_11comp_targetILNS1_3genE10ELNS1_11target_archE1200ELNS1_3gpuE4ELNS1_3repE0EEENS1_30default_config_static_selectorELNS0_4arch9wavefront6targetE1EEEvT1_
		.amdhsa_group_segment_fixed_size 0
		.amdhsa_private_segment_fixed_size 0
		.amdhsa_kernarg_size 104
		.amdhsa_user_sgpr_count 6
		.amdhsa_user_sgpr_private_segment_buffer 1
		.amdhsa_user_sgpr_dispatch_ptr 0
		.amdhsa_user_sgpr_queue_ptr 0
		.amdhsa_user_sgpr_kernarg_segment_ptr 1
		.amdhsa_user_sgpr_dispatch_id 0
		.amdhsa_user_sgpr_flat_scratch_init 0
		.amdhsa_user_sgpr_kernarg_preload_length 0
		.amdhsa_user_sgpr_kernarg_preload_offset 0
		.amdhsa_user_sgpr_private_segment_size 0
		.amdhsa_uses_dynamic_stack 0
		.amdhsa_system_sgpr_private_segment_wavefront_offset 0
		.amdhsa_system_sgpr_workgroup_id_x 1
		.amdhsa_system_sgpr_workgroup_id_y 0
		.amdhsa_system_sgpr_workgroup_id_z 0
		.amdhsa_system_sgpr_workgroup_info 0
		.amdhsa_system_vgpr_workitem_id 0
		.amdhsa_next_free_vgpr 1
		.amdhsa_next_free_sgpr 0
		.amdhsa_accum_offset 4
		.amdhsa_reserve_vcc 0
		.amdhsa_reserve_flat_scratch 0
		.amdhsa_float_round_mode_32 0
		.amdhsa_float_round_mode_16_64 0
		.amdhsa_float_denorm_mode_32 3
		.amdhsa_float_denorm_mode_16_64 3
		.amdhsa_dx10_clamp 1
		.amdhsa_ieee_mode 1
		.amdhsa_fp16_overflow 0
		.amdhsa_tg_split 0
		.amdhsa_exception_fp_ieee_invalid_op 0
		.amdhsa_exception_fp_denorm_src 0
		.amdhsa_exception_fp_ieee_div_zero 0
		.amdhsa_exception_fp_ieee_overflow 0
		.amdhsa_exception_fp_ieee_underflow 0
		.amdhsa_exception_fp_ieee_inexact 0
		.amdhsa_exception_int_div_zero 0
	.end_amdhsa_kernel
	.section	.text._ZN7rocprim17ROCPRIM_400000_NS6detail17trampoline_kernelINS0_14default_configENS1_20scan_config_selectorIN3c107complexIfEEEEZZNS1_9scan_implILNS1_25lookback_scan_determinismE0ELb0ELb0ES3_PKS7_PS7_S7_ZZZN2at6native31launch_logcumsumexp_cuda_kernelERKNSE_10TensorBaseESI_lENKUlvE_clEvENKUlvE2_clEvEUlS7_S7_E_S7_EEDaPvRmT3_T4_T5_mT6_P12ihipStream_tbENKUlT_T0_E_clISt17integral_constantIbLb1EESY_IbLb0EEEEDaSU_SV_EUlSU_E_NS1_11comp_targetILNS1_3genE10ELNS1_11target_archE1200ELNS1_3gpuE4ELNS1_3repE0EEENS1_30default_config_static_selectorELNS0_4arch9wavefront6targetE1EEEvT1_,"axG",@progbits,_ZN7rocprim17ROCPRIM_400000_NS6detail17trampoline_kernelINS0_14default_configENS1_20scan_config_selectorIN3c107complexIfEEEEZZNS1_9scan_implILNS1_25lookback_scan_determinismE0ELb0ELb0ES3_PKS7_PS7_S7_ZZZN2at6native31launch_logcumsumexp_cuda_kernelERKNSE_10TensorBaseESI_lENKUlvE_clEvENKUlvE2_clEvEUlS7_S7_E_S7_EEDaPvRmT3_T4_T5_mT6_P12ihipStream_tbENKUlT_T0_E_clISt17integral_constantIbLb1EESY_IbLb0EEEEDaSU_SV_EUlSU_E_NS1_11comp_targetILNS1_3genE10ELNS1_11target_archE1200ELNS1_3gpuE4ELNS1_3repE0EEENS1_30default_config_static_selectorELNS0_4arch9wavefront6targetE1EEEvT1_,comdat
.Lfunc_end316:
	.size	_ZN7rocprim17ROCPRIM_400000_NS6detail17trampoline_kernelINS0_14default_configENS1_20scan_config_selectorIN3c107complexIfEEEEZZNS1_9scan_implILNS1_25lookback_scan_determinismE0ELb0ELb0ES3_PKS7_PS7_S7_ZZZN2at6native31launch_logcumsumexp_cuda_kernelERKNSE_10TensorBaseESI_lENKUlvE_clEvENKUlvE2_clEvEUlS7_S7_E_S7_EEDaPvRmT3_T4_T5_mT6_P12ihipStream_tbENKUlT_T0_E_clISt17integral_constantIbLb1EESY_IbLb0EEEEDaSU_SV_EUlSU_E_NS1_11comp_targetILNS1_3genE10ELNS1_11target_archE1200ELNS1_3gpuE4ELNS1_3repE0EEENS1_30default_config_static_selectorELNS0_4arch9wavefront6targetE1EEEvT1_, .Lfunc_end316-_ZN7rocprim17ROCPRIM_400000_NS6detail17trampoline_kernelINS0_14default_configENS1_20scan_config_selectorIN3c107complexIfEEEEZZNS1_9scan_implILNS1_25lookback_scan_determinismE0ELb0ELb0ES3_PKS7_PS7_S7_ZZZN2at6native31launch_logcumsumexp_cuda_kernelERKNSE_10TensorBaseESI_lENKUlvE_clEvENKUlvE2_clEvEUlS7_S7_E_S7_EEDaPvRmT3_T4_T5_mT6_P12ihipStream_tbENKUlT_T0_E_clISt17integral_constantIbLb1EESY_IbLb0EEEEDaSU_SV_EUlSU_E_NS1_11comp_targetILNS1_3genE10ELNS1_11target_archE1200ELNS1_3gpuE4ELNS1_3repE0EEENS1_30default_config_static_selectorELNS0_4arch9wavefront6targetE1EEEvT1_
                                        ; -- End function
	.section	.AMDGPU.csdata,"",@progbits
; Kernel info:
; codeLenInByte = 0
; NumSgprs: 4
; NumVgprs: 0
; NumAgprs: 0
; TotalNumVgprs: 0
; ScratchSize: 0
; MemoryBound: 0
; FloatMode: 240
; IeeeMode: 1
; LDSByteSize: 0 bytes/workgroup (compile time only)
; SGPRBlocks: 0
; VGPRBlocks: 0
; NumSGPRsForWavesPerEU: 4
; NumVGPRsForWavesPerEU: 1
; AccumOffset: 4
; Occupancy: 8
; WaveLimiterHint : 0
; COMPUTE_PGM_RSRC2:SCRATCH_EN: 0
; COMPUTE_PGM_RSRC2:USER_SGPR: 6
; COMPUTE_PGM_RSRC2:TRAP_HANDLER: 0
; COMPUTE_PGM_RSRC2:TGID_X_EN: 1
; COMPUTE_PGM_RSRC2:TGID_Y_EN: 0
; COMPUTE_PGM_RSRC2:TGID_Z_EN: 0
; COMPUTE_PGM_RSRC2:TIDIG_COMP_CNT: 0
; COMPUTE_PGM_RSRC3_GFX90A:ACCUM_OFFSET: 0
; COMPUTE_PGM_RSRC3_GFX90A:TG_SPLIT: 0
	.section	.text._ZN7rocprim17ROCPRIM_400000_NS6detail17trampoline_kernelINS0_14default_configENS1_20scan_config_selectorIN3c107complexIfEEEEZZNS1_9scan_implILNS1_25lookback_scan_determinismE0ELb0ELb0ES3_PKS7_PS7_S7_ZZZN2at6native31launch_logcumsumexp_cuda_kernelERKNSE_10TensorBaseESI_lENKUlvE_clEvENKUlvE2_clEvEUlS7_S7_E_S7_EEDaPvRmT3_T4_T5_mT6_P12ihipStream_tbENKUlT_T0_E_clISt17integral_constantIbLb1EESY_IbLb0EEEEDaSU_SV_EUlSU_E_NS1_11comp_targetILNS1_3genE9ELNS1_11target_archE1100ELNS1_3gpuE3ELNS1_3repE0EEENS1_30default_config_static_selectorELNS0_4arch9wavefront6targetE1EEEvT1_,"axG",@progbits,_ZN7rocprim17ROCPRIM_400000_NS6detail17trampoline_kernelINS0_14default_configENS1_20scan_config_selectorIN3c107complexIfEEEEZZNS1_9scan_implILNS1_25lookback_scan_determinismE0ELb0ELb0ES3_PKS7_PS7_S7_ZZZN2at6native31launch_logcumsumexp_cuda_kernelERKNSE_10TensorBaseESI_lENKUlvE_clEvENKUlvE2_clEvEUlS7_S7_E_S7_EEDaPvRmT3_T4_T5_mT6_P12ihipStream_tbENKUlT_T0_E_clISt17integral_constantIbLb1EESY_IbLb0EEEEDaSU_SV_EUlSU_E_NS1_11comp_targetILNS1_3genE9ELNS1_11target_archE1100ELNS1_3gpuE3ELNS1_3repE0EEENS1_30default_config_static_selectorELNS0_4arch9wavefront6targetE1EEEvT1_,comdat
	.globl	_ZN7rocprim17ROCPRIM_400000_NS6detail17trampoline_kernelINS0_14default_configENS1_20scan_config_selectorIN3c107complexIfEEEEZZNS1_9scan_implILNS1_25lookback_scan_determinismE0ELb0ELb0ES3_PKS7_PS7_S7_ZZZN2at6native31launch_logcumsumexp_cuda_kernelERKNSE_10TensorBaseESI_lENKUlvE_clEvENKUlvE2_clEvEUlS7_S7_E_S7_EEDaPvRmT3_T4_T5_mT6_P12ihipStream_tbENKUlT_T0_E_clISt17integral_constantIbLb1EESY_IbLb0EEEEDaSU_SV_EUlSU_E_NS1_11comp_targetILNS1_3genE9ELNS1_11target_archE1100ELNS1_3gpuE3ELNS1_3repE0EEENS1_30default_config_static_selectorELNS0_4arch9wavefront6targetE1EEEvT1_ ; -- Begin function _ZN7rocprim17ROCPRIM_400000_NS6detail17trampoline_kernelINS0_14default_configENS1_20scan_config_selectorIN3c107complexIfEEEEZZNS1_9scan_implILNS1_25lookback_scan_determinismE0ELb0ELb0ES3_PKS7_PS7_S7_ZZZN2at6native31launch_logcumsumexp_cuda_kernelERKNSE_10TensorBaseESI_lENKUlvE_clEvENKUlvE2_clEvEUlS7_S7_E_S7_EEDaPvRmT3_T4_T5_mT6_P12ihipStream_tbENKUlT_T0_E_clISt17integral_constantIbLb1EESY_IbLb0EEEEDaSU_SV_EUlSU_E_NS1_11comp_targetILNS1_3genE9ELNS1_11target_archE1100ELNS1_3gpuE3ELNS1_3repE0EEENS1_30default_config_static_selectorELNS0_4arch9wavefront6targetE1EEEvT1_
	.p2align	8
	.type	_ZN7rocprim17ROCPRIM_400000_NS6detail17trampoline_kernelINS0_14default_configENS1_20scan_config_selectorIN3c107complexIfEEEEZZNS1_9scan_implILNS1_25lookback_scan_determinismE0ELb0ELb0ES3_PKS7_PS7_S7_ZZZN2at6native31launch_logcumsumexp_cuda_kernelERKNSE_10TensorBaseESI_lENKUlvE_clEvENKUlvE2_clEvEUlS7_S7_E_S7_EEDaPvRmT3_T4_T5_mT6_P12ihipStream_tbENKUlT_T0_E_clISt17integral_constantIbLb1EESY_IbLb0EEEEDaSU_SV_EUlSU_E_NS1_11comp_targetILNS1_3genE9ELNS1_11target_archE1100ELNS1_3gpuE3ELNS1_3repE0EEENS1_30default_config_static_selectorELNS0_4arch9wavefront6targetE1EEEvT1_,@function
_ZN7rocprim17ROCPRIM_400000_NS6detail17trampoline_kernelINS0_14default_configENS1_20scan_config_selectorIN3c107complexIfEEEEZZNS1_9scan_implILNS1_25lookback_scan_determinismE0ELb0ELb0ES3_PKS7_PS7_S7_ZZZN2at6native31launch_logcumsumexp_cuda_kernelERKNSE_10TensorBaseESI_lENKUlvE_clEvENKUlvE2_clEvEUlS7_S7_E_S7_EEDaPvRmT3_T4_T5_mT6_P12ihipStream_tbENKUlT_T0_E_clISt17integral_constantIbLb1EESY_IbLb0EEEEDaSU_SV_EUlSU_E_NS1_11comp_targetILNS1_3genE9ELNS1_11target_archE1100ELNS1_3gpuE3ELNS1_3repE0EEENS1_30default_config_static_selectorELNS0_4arch9wavefront6targetE1EEEvT1_: ; @_ZN7rocprim17ROCPRIM_400000_NS6detail17trampoline_kernelINS0_14default_configENS1_20scan_config_selectorIN3c107complexIfEEEEZZNS1_9scan_implILNS1_25lookback_scan_determinismE0ELb0ELb0ES3_PKS7_PS7_S7_ZZZN2at6native31launch_logcumsumexp_cuda_kernelERKNSE_10TensorBaseESI_lENKUlvE_clEvENKUlvE2_clEvEUlS7_S7_E_S7_EEDaPvRmT3_T4_T5_mT6_P12ihipStream_tbENKUlT_T0_E_clISt17integral_constantIbLb1EESY_IbLb0EEEEDaSU_SV_EUlSU_E_NS1_11comp_targetILNS1_3genE9ELNS1_11target_archE1100ELNS1_3gpuE3ELNS1_3repE0EEENS1_30default_config_static_selectorELNS0_4arch9wavefront6targetE1EEEvT1_
; %bb.0:
	.section	.rodata,"a",@progbits
	.p2align	6, 0x0
	.amdhsa_kernel _ZN7rocprim17ROCPRIM_400000_NS6detail17trampoline_kernelINS0_14default_configENS1_20scan_config_selectorIN3c107complexIfEEEEZZNS1_9scan_implILNS1_25lookback_scan_determinismE0ELb0ELb0ES3_PKS7_PS7_S7_ZZZN2at6native31launch_logcumsumexp_cuda_kernelERKNSE_10TensorBaseESI_lENKUlvE_clEvENKUlvE2_clEvEUlS7_S7_E_S7_EEDaPvRmT3_T4_T5_mT6_P12ihipStream_tbENKUlT_T0_E_clISt17integral_constantIbLb1EESY_IbLb0EEEEDaSU_SV_EUlSU_E_NS1_11comp_targetILNS1_3genE9ELNS1_11target_archE1100ELNS1_3gpuE3ELNS1_3repE0EEENS1_30default_config_static_selectorELNS0_4arch9wavefront6targetE1EEEvT1_
		.amdhsa_group_segment_fixed_size 0
		.amdhsa_private_segment_fixed_size 0
		.amdhsa_kernarg_size 104
		.amdhsa_user_sgpr_count 6
		.amdhsa_user_sgpr_private_segment_buffer 1
		.amdhsa_user_sgpr_dispatch_ptr 0
		.amdhsa_user_sgpr_queue_ptr 0
		.amdhsa_user_sgpr_kernarg_segment_ptr 1
		.amdhsa_user_sgpr_dispatch_id 0
		.amdhsa_user_sgpr_flat_scratch_init 0
		.amdhsa_user_sgpr_kernarg_preload_length 0
		.amdhsa_user_sgpr_kernarg_preload_offset 0
		.amdhsa_user_sgpr_private_segment_size 0
		.amdhsa_uses_dynamic_stack 0
		.amdhsa_system_sgpr_private_segment_wavefront_offset 0
		.amdhsa_system_sgpr_workgroup_id_x 1
		.amdhsa_system_sgpr_workgroup_id_y 0
		.amdhsa_system_sgpr_workgroup_id_z 0
		.amdhsa_system_sgpr_workgroup_info 0
		.amdhsa_system_vgpr_workitem_id 0
		.amdhsa_next_free_vgpr 1
		.amdhsa_next_free_sgpr 0
		.amdhsa_accum_offset 4
		.amdhsa_reserve_vcc 0
		.amdhsa_reserve_flat_scratch 0
		.amdhsa_float_round_mode_32 0
		.amdhsa_float_round_mode_16_64 0
		.amdhsa_float_denorm_mode_32 3
		.amdhsa_float_denorm_mode_16_64 3
		.amdhsa_dx10_clamp 1
		.amdhsa_ieee_mode 1
		.amdhsa_fp16_overflow 0
		.amdhsa_tg_split 0
		.amdhsa_exception_fp_ieee_invalid_op 0
		.amdhsa_exception_fp_denorm_src 0
		.amdhsa_exception_fp_ieee_div_zero 0
		.amdhsa_exception_fp_ieee_overflow 0
		.amdhsa_exception_fp_ieee_underflow 0
		.amdhsa_exception_fp_ieee_inexact 0
		.amdhsa_exception_int_div_zero 0
	.end_amdhsa_kernel
	.section	.text._ZN7rocprim17ROCPRIM_400000_NS6detail17trampoline_kernelINS0_14default_configENS1_20scan_config_selectorIN3c107complexIfEEEEZZNS1_9scan_implILNS1_25lookback_scan_determinismE0ELb0ELb0ES3_PKS7_PS7_S7_ZZZN2at6native31launch_logcumsumexp_cuda_kernelERKNSE_10TensorBaseESI_lENKUlvE_clEvENKUlvE2_clEvEUlS7_S7_E_S7_EEDaPvRmT3_T4_T5_mT6_P12ihipStream_tbENKUlT_T0_E_clISt17integral_constantIbLb1EESY_IbLb0EEEEDaSU_SV_EUlSU_E_NS1_11comp_targetILNS1_3genE9ELNS1_11target_archE1100ELNS1_3gpuE3ELNS1_3repE0EEENS1_30default_config_static_selectorELNS0_4arch9wavefront6targetE1EEEvT1_,"axG",@progbits,_ZN7rocprim17ROCPRIM_400000_NS6detail17trampoline_kernelINS0_14default_configENS1_20scan_config_selectorIN3c107complexIfEEEEZZNS1_9scan_implILNS1_25lookback_scan_determinismE0ELb0ELb0ES3_PKS7_PS7_S7_ZZZN2at6native31launch_logcumsumexp_cuda_kernelERKNSE_10TensorBaseESI_lENKUlvE_clEvENKUlvE2_clEvEUlS7_S7_E_S7_EEDaPvRmT3_T4_T5_mT6_P12ihipStream_tbENKUlT_T0_E_clISt17integral_constantIbLb1EESY_IbLb0EEEEDaSU_SV_EUlSU_E_NS1_11comp_targetILNS1_3genE9ELNS1_11target_archE1100ELNS1_3gpuE3ELNS1_3repE0EEENS1_30default_config_static_selectorELNS0_4arch9wavefront6targetE1EEEvT1_,comdat
.Lfunc_end317:
	.size	_ZN7rocprim17ROCPRIM_400000_NS6detail17trampoline_kernelINS0_14default_configENS1_20scan_config_selectorIN3c107complexIfEEEEZZNS1_9scan_implILNS1_25lookback_scan_determinismE0ELb0ELb0ES3_PKS7_PS7_S7_ZZZN2at6native31launch_logcumsumexp_cuda_kernelERKNSE_10TensorBaseESI_lENKUlvE_clEvENKUlvE2_clEvEUlS7_S7_E_S7_EEDaPvRmT3_T4_T5_mT6_P12ihipStream_tbENKUlT_T0_E_clISt17integral_constantIbLb1EESY_IbLb0EEEEDaSU_SV_EUlSU_E_NS1_11comp_targetILNS1_3genE9ELNS1_11target_archE1100ELNS1_3gpuE3ELNS1_3repE0EEENS1_30default_config_static_selectorELNS0_4arch9wavefront6targetE1EEEvT1_, .Lfunc_end317-_ZN7rocprim17ROCPRIM_400000_NS6detail17trampoline_kernelINS0_14default_configENS1_20scan_config_selectorIN3c107complexIfEEEEZZNS1_9scan_implILNS1_25lookback_scan_determinismE0ELb0ELb0ES3_PKS7_PS7_S7_ZZZN2at6native31launch_logcumsumexp_cuda_kernelERKNSE_10TensorBaseESI_lENKUlvE_clEvENKUlvE2_clEvEUlS7_S7_E_S7_EEDaPvRmT3_T4_T5_mT6_P12ihipStream_tbENKUlT_T0_E_clISt17integral_constantIbLb1EESY_IbLb0EEEEDaSU_SV_EUlSU_E_NS1_11comp_targetILNS1_3genE9ELNS1_11target_archE1100ELNS1_3gpuE3ELNS1_3repE0EEENS1_30default_config_static_selectorELNS0_4arch9wavefront6targetE1EEEvT1_
                                        ; -- End function
	.section	.AMDGPU.csdata,"",@progbits
; Kernel info:
; codeLenInByte = 0
; NumSgprs: 4
; NumVgprs: 0
; NumAgprs: 0
; TotalNumVgprs: 0
; ScratchSize: 0
; MemoryBound: 0
; FloatMode: 240
; IeeeMode: 1
; LDSByteSize: 0 bytes/workgroup (compile time only)
; SGPRBlocks: 0
; VGPRBlocks: 0
; NumSGPRsForWavesPerEU: 4
; NumVGPRsForWavesPerEU: 1
; AccumOffset: 4
; Occupancy: 8
; WaveLimiterHint : 0
; COMPUTE_PGM_RSRC2:SCRATCH_EN: 0
; COMPUTE_PGM_RSRC2:USER_SGPR: 6
; COMPUTE_PGM_RSRC2:TRAP_HANDLER: 0
; COMPUTE_PGM_RSRC2:TGID_X_EN: 1
; COMPUTE_PGM_RSRC2:TGID_Y_EN: 0
; COMPUTE_PGM_RSRC2:TGID_Z_EN: 0
; COMPUTE_PGM_RSRC2:TIDIG_COMP_CNT: 0
; COMPUTE_PGM_RSRC3_GFX90A:ACCUM_OFFSET: 0
; COMPUTE_PGM_RSRC3_GFX90A:TG_SPLIT: 0
	.section	.text._ZN7rocprim17ROCPRIM_400000_NS6detail17trampoline_kernelINS0_14default_configENS1_20scan_config_selectorIN3c107complexIfEEEEZZNS1_9scan_implILNS1_25lookback_scan_determinismE0ELb0ELb0ES3_PKS7_PS7_S7_ZZZN2at6native31launch_logcumsumexp_cuda_kernelERKNSE_10TensorBaseESI_lENKUlvE_clEvENKUlvE2_clEvEUlS7_S7_E_S7_EEDaPvRmT3_T4_T5_mT6_P12ihipStream_tbENKUlT_T0_E_clISt17integral_constantIbLb1EESY_IbLb0EEEEDaSU_SV_EUlSU_E_NS1_11comp_targetILNS1_3genE8ELNS1_11target_archE1030ELNS1_3gpuE2ELNS1_3repE0EEENS1_30default_config_static_selectorELNS0_4arch9wavefront6targetE1EEEvT1_,"axG",@progbits,_ZN7rocprim17ROCPRIM_400000_NS6detail17trampoline_kernelINS0_14default_configENS1_20scan_config_selectorIN3c107complexIfEEEEZZNS1_9scan_implILNS1_25lookback_scan_determinismE0ELb0ELb0ES3_PKS7_PS7_S7_ZZZN2at6native31launch_logcumsumexp_cuda_kernelERKNSE_10TensorBaseESI_lENKUlvE_clEvENKUlvE2_clEvEUlS7_S7_E_S7_EEDaPvRmT3_T4_T5_mT6_P12ihipStream_tbENKUlT_T0_E_clISt17integral_constantIbLb1EESY_IbLb0EEEEDaSU_SV_EUlSU_E_NS1_11comp_targetILNS1_3genE8ELNS1_11target_archE1030ELNS1_3gpuE2ELNS1_3repE0EEENS1_30default_config_static_selectorELNS0_4arch9wavefront6targetE1EEEvT1_,comdat
	.globl	_ZN7rocprim17ROCPRIM_400000_NS6detail17trampoline_kernelINS0_14default_configENS1_20scan_config_selectorIN3c107complexIfEEEEZZNS1_9scan_implILNS1_25lookback_scan_determinismE0ELb0ELb0ES3_PKS7_PS7_S7_ZZZN2at6native31launch_logcumsumexp_cuda_kernelERKNSE_10TensorBaseESI_lENKUlvE_clEvENKUlvE2_clEvEUlS7_S7_E_S7_EEDaPvRmT3_T4_T5_mT6_P12ihipStream_tbENKUlT_T0_E_clISt17integral_constantIbLb1EESY_IbLb0EEEEDaSU_SV_EUlSU_E_NS1_11comp_targetILNS1_3genE8ELNS1_11target_archE1030ELNS1_3gpuE2ELNS1_3repE0EEENS1_30default_config_static_selectorELNS0_4arch9wavefront6targetE1EEEvT1_ ; -- Begin function _ZN7rocprim17ROCPRIM_400000_NS6detail17trampoline_kernelINS0_14default_configENS1_20scan_config_selectorIN3c107complexIfEEEEZZNS1_9scan_implILNS1_25lookback_scan_determinismE0ELb0ELb0ES3_PKS7_PS7_S7_ZZZN2at6native31launch_logcumsumexp_cuda_kernelERKNSE_10TensorBaseESI_lENKUlvE_clEvENKUlvE2_clEvEUlS7_S7_E_S7_EEDaPvRmT3_T4_T5_mT6_P12ihipStream_tbENKUlT_T0_E_clISt17integral_constantIbLb1EESY_IbLb0EEEEDaSU_SV_EUlSU_E_NS1_11comp_targetILNS1_3genE8ELNS1_11target_archE1030ELNS1_3gpuE2ELNS1_3repE0EEENS1_30default_config_static_selectorELNS0_4arch9wavefront6targetE1EEEvT1_
	.p2align	8
	.type	_ZN7rocprim17ROCPRIM_400000_NS6detail17trampoline_kernelINS0_14default_configENS1_20scan_config_selectorIN3c107complexIfEEEEZZNS1_9scan_implILNS1_25lookback_scan_determinismE0ELb0ELb0ES3_PKS7_PS7_S7_ZZZN2at6native31launch_logcumsumexp_cuda_kernelERKNSE_10TensorBaseESI_lENKUlvE_clEvENKUlvE2_clEvEUlS7_S7_E_S7_EEDaPvRmT3_T4_T5_mT6_P12ihipStream_tbENKUlT_T0_E_clISt17integral_constantIbLb1EESY_IbLb0EEEEDaSU_SV_EUlSU_E_NS1_11comp_targetILNS1_3genE8ELNS1_11target_archE1030ELNS1_3gpuE2ELNS1_3repE0EEENS1_30default_config_static_selectorELNS0_4arch9wavefront6targetE1EEEvT1_,@function
_ZN7rocprim17ROCPRIM_400000_NS6detail17trampoline_kernelINS0_14default_configENS1_20scan_config_selectorIN3c107complexIfEEEEZZNS1_9scan_implILNS1_25lookback_scan_determinismE0ELb0ELb0ES3_PKS7_PS7_S7_ZZZN2at6native31launch_logcumsumexp_cuda_kernelERKNSE_10TensorBaseESI_lENKUlvE_clEvENKUlvE2_clEvEUlS7_S7_E_S7_EEDaPvRmT3_T4_T5_mT6_P12ihipStream_tbENKUlT_T0_E_clISt17integral_constantIbLb1EESY_IbLb0EEEEDaSU_SV_EUlSU_E_NS1_11comp_targetILNS1_3genE8ELNS1_11target_archE1030ELNS1_3gpuE2ELNS1_3repE0EEENS1_30default_config_static_selectorELNS0_4arch9wavefront6targetE1EEEvT1_: ; @_ZN7rocprim17ROCPRIM_400000_NS6detail17trampoline_kernelINS0_14default_configENS1_20scan_config_selectorIN3c107complexIfEEEEZZNS1_9scan_implILNS1_25lookback_scan_determinismE0ELb0ELb0ES3_PKS7_PS7_S7_ZZZN2at6native31launch_logcumsumexp_cuda_kernelERKNSE_10TensorBaseESI_lENKUlvE_clEvENKUlvE2_clEvEUlS7_S7_E_S7_EEDaPvRmT3_T4_T5_mT6_P12ihipStream_tbENKUlT_T0_E_clISt17integral_constantIbLb1EESY_IbLb0EEEEDaSU_SV_EUlSU_E_NS1_11comp_targetILNS1_3genE8ELNS1_11target_archE1030ELNS1_3gpuE2ELNS1_3repE0EEENS1_30default_config_static_selectorELNS0_4arch9wavefront6targetE1EEEvT1_
; %bb.0:
	.section	.rodata,"a",@progbits
	.p2align	6, 0x0
	.amdhsa_kernel _ZN7rocprim17ROCPRIM_400000_NS6detail17trampoline_kernelINS0_14default_configENS1_20scan_config_selectorIN3c107complexIfEEEEZZNS1_9scan_implILNS1_25lookback_scan_determinismE0ELb0ELb0ES3_PKS7_PS7_S7_ZZZN2at6native31launch_logcumsumexp_cuda_kernelERKNSE_10TensorBaseESI_lENKUlvE_clEvENKUlvE2_clEvEUlS7_S7_E_S7_EEDaPvRmT3_T4_T5_mT6_P12ihipStream_tbENKUlT_T0_E_clISt17integral_constantIbLb1EESY_IbLb0EEEEDaSU_SV_EUlSU_E_NS1_11comp_targetILNS1_3genE8ELNS1_11target_archE1030ELNS1_3gpuE2ELNS1_3repE0EEENS1_30default_config_static_selectorELNS0_4arch9wavefront6targetE1EEEvT1_
		.amdhsa_group_segment_fixed_size 0
		.amdhsa_private_segment_fixed_size 0
		.amdhsa_kernarg_size 104
		.amdhsa_user_sgpr_count 6
		.amdhsa_user_sgpr_private_segment_buffer 1
		.amdhsa_user_sgpr_dispatch_ptr 0
		.amdhsa_user_sgpr_queue_ptr 0
		.amdhsa_user_sgpr_kernarg_segment_ptr 1
		.amdhsa_user_sgpr_dispatch_id 0
		.amdhsa_user_sgpr_flat_scratch_init 0
		.amdhsa_user_sgpr_kernarg_preload_length 0
		.amdhsa_user_sgpr_kernarg_preload_offset 0
		.amdhsa_user_sgpr_private_segment_size 0
		.amdhsa_uses_dynamic_stack 0
		.amdhsa_system_sgpr_private_segment_wavefront_offset 0
		.amdhsa_system_sgpr_workgroup_id_x 1
		.amdhsa_system_sgpr_workgroup_id_y 0
		.amdhsa_system_sgpr_workgroup_id_z 0
		.amdhsa_system_sgpr_workgroup_info 0
		.amdhsa_system_vgpr_workitem_id 0
		.amdhsa_next_free_vgpr 1
		.amdhsa_next_free_sgpr 0
		.amdhsa_accum_offset 4
		.amdhsa_reserve_vcc 0
		.amdhsa_reserve_flat_scratch 0
		.amdhsa_float_round_mode_32 0
		.amdhsa_float_round_mode_16_64 0
		.amdhsa_float_denorm_mode_32 3
		.amdhsa_float_denorm_mode_16_64 3
		.amdhsa_dx10_clamp 1
		.amdhsa_ieee_mode 1
		.amdhsa_fp16_overflow 0
		.amdhsa_tg_split 0
		.amdhsa_exception_fp_ieee_invalid_op 0
		.amdhsa_exception_fp_denorm_src 0
		.amdhsa_exception_fp_ieee_div_zero 0
		.amdhsa_exception_fp_ieee_overflow 0
		.amdhsa_exception_fp_ieee_underflow 0
		.amdhsa_exception_fp_ieee_inexact 0
		.amdhsa_exception_int_div_zero 0
	.end_amdhsa_kernel
	.section	.text._ZN7rocprim17ROCPRIM_400000_NS6detail17trampoline_kernelINS0_14default_configENS1_20scan_config_selectorIN3c107complexIfEEEEZZNS1_9scan_implILNS1_25lookback_scan_determinismE0ELb0ELb0ES3_PKS7_PS7_S7_ZZZN2at6native31launch_logcumsumexp_cuda_kernelERKNSE_10TensorBaseESI_lENKUlvE_clEvENKUlvE2_clEvEUlS7_S7_E_S7_EEDaPvRmT3_T4_T5_mT6_P12ihipStream_tbENKUlT_T0_E_clISt17integral_constantIbLb1EESY_IbLb0EEEEDaSU_SV_EUlSU_E_NS1_11comp_targetILNS1_3genE8ELNS1_11target_archE1030ELNS1_3gpuE2ELNS1_3repE0EEENS1_30default_config_static_selectorELNS0_4arch9wavefront6targetE1EEEvT1_,"axG",@progbits,_ZN7rocprim17ROCPRIM_400000_NS6detail17trampoline_kernelINS0_14default_configENS1_20scan_config_selectorIN3c107complexIfEEEEZZNS1_9scan_implILNS1_25lookback_scan_determinismE0ELb0ELb0ES3_PKS7_PS7_S7_ZZZN2at6native31launch_logcumsumexp_cuda_kernelERKNSE_10TensorBaseESI_lENKUlvE_clEvENKUlvE2_clEvEUlS7_S7_E_S7_EEDaPvRmT3_T4_T5_mT6_P12ihipStream_tbENKUlT_T0_E_clISt17integral_constantIbLb1EESY_IbLb0EEEEDaSU_SV_EUlSU_E_NS1_11comp_targetILNS1_3genE8ELNS1_11target_archE1030ELNS1_3gpuE2ELNS1_3repE0EEENS1_30default_config_static_selectorELNS0_4arch9wavefront6targetE1EEEvT1_,comdat
.Lfunc_end318:
	.size	_ZN7rocprim17ROCPRIM_400000_NS6detail17trampoline_kernelINS0_14default_configENS1_20scan_config_selectorIN3c107complexIfEEEEZZNS1_9scan_implILNS1_25lookback_scan_determinismE0ELb0ELb0ES3_PKS7_PS7_S7_ZZZN2at6native31launch_logcumsumexp_cuda_kernelERKNSE_10TensorBaseESI_lENKUlvE_clEvENKUlvE2_clEvEUlS7_S7_E_S7_EEDaPvRmT3_T4_T5_mT6_P12ihipStream_tbENKUlT_T0_E_clISt17integral_constantIbLb1EESY_IbLb0EEEEDaSU_SV_EUlSU_E_NS1_11comp_targetILNS1_3genE8ELNS1_11target_archE1030ELNS1_3gpuE2ELNS1_3repE0EEENS1_30default_config_static_selectorELNS0_4arch9wavefront6targetE1EEEvT1_, .Lfunc_end318-_ZN7rocprim17ROCPRIM_400000_NS6detail17trampoline_kernelINS0_14default_configENS1_20scan_config_selectorIN3c107complexIfEEEEZZNS1_9scan_implILNS1_25lookback_scan_determinismE0ELb0ELb0ES3_PKS7_PS7_S7_ZZZN2at6native31launch_logcumsumexp_cuda_kernelERKNSE_10TensorBaseESI_lENKUlvE_clEvENKUlvE2_clEvEUlS7_S7_E_S7_EEDaPvRmT3_T4_T5_mT6_P12ihipStream_tbENKUlT_T0_E_clISt17integral_constantIbLb1EESY_IbLb0EEEEDaSU_SV_EUlSU_E_NS1_11comp_targetILNS1_3genE8ELNS1_11target_archE1030ELNS1_3gpuE2ELNS1_3repE0EEENS1_30default_config_static_selectorELNS0_4arch9wavefront6targetE1EEEvT1_
                                        ; -- End function
	.section	.AMDGPU.csdata,"",@progbits
; Kernel info:
; codeLenInByte = 0
; NumSgprs: 4
; NumVgprs: 0
; NumAgprs: 0
; TotalNumVgprs: 0
; ScratchSize: 0
; MemoryBound: 0
; FloatMode: 240
; IeeeMode: 1
; LDSByteSize: 0 bytes/workgroup (compile time only)
; SGPRBlocks: 0
; VGPRBlocks: 0
; NumSGPRsForWavesPerEU: 4
; NumVGPRsForWavesPerEU: 1
; AccumOffset: 4
; Occupancy: 8
; WaveLimiterHint : 0
; COMPUTE_PGM_RSRC2:SCRATCH_EN: 0
; COMPUTE_PGM_RSRC2:USER_SGPR: 6
; COMPUTE_PGM_RSRC2:TRAP_HANDLER: 0
; COMPUTE_PGM_RSRC2:TGID_X_EN: 1
; COMPUTE_PGM_RSRC2:TGID_Y_EN: 0
; COMPUTE_PGM_RSRC2:TGID_Z_EN: 0
; COMPUTE_PGM_RSRC2:TIDIG_COMP_CNT: 0
; COMPUTE_PGM_RSRC3_GFX90A:ACCUM_OFFSET: 0
; COMPUTE_PGM_RSRC3_GFX90A:TG_SPLIT: 0
	.section	.text._ZN7rocprim17ROCPRIM_400000_NS6detail17trampoline_kernelINS0_14default_configENS1_20scan_config_selectorIN3c107complexIfEEEEZZNS1_9scan_implILNS1_25lookback_scan_determinismE0ELb0ELb0ES3_PKS7_PS7_S7_ZZZN2at6native31launch_logcumsumexp_cuda_kernelERKNSE_10TensorBaseESI_lENKUlvE_clEvENKUlvE2_clEvEUlS7_S7_E_S7_EEDaPvRmT3_T4_T5_mT6_P12ihipStream_tbENKUlT_T0_E_clISt17integral_constantIbLb1EESY_IbLb0EEEEDaSU_SV_EUlSU_E0_NS1_11comp_targetILNS1_3genE0ELNS1_11target_archE4294967295ELNS1_3gpuE0ELNS1_3repE0EEENS1_30default_config_static_selectorELNS0_4arch9wavefront6targetE1EEEvT1_,"axG",@progbits,_ZN7rocprim17ROCPRIM_400000_NS6detail17trampoline_kernelINS0_14default_configENS1_20scan_config_selectorIN3c107complexIfEEEEZZNS1_9scan_implILNS1_25lookback_scan_determinismE0ELb0ELb0ES3_PKS7_PS7_S7_ZZZN2at6native31launch_logcumsumexp_cuda_kernelERKNSE_10TensorBaseESI_lENKUlvE_clEvENKUlvE2_clEvEUlS7_S7_E_S7_EEDaPvRmT3_T4_T5_mT6_P12ihipStream_tbENKUlT_T0_E_clISt17integral_constantIbLb1EESY_IbLb0EEEEDaSU_SV_EUlSU_E0_NS1_11comp_targetILNS1_3genE0ELNS1_11target_archE4294967295ELNS1_3gpuE0ELNS1_3repE0EEENS1_30default_config_static_selectorELNS0_4arch9wavefront6targetE1EEEvT1_,comdat
	.globl	_ZN7rocprim17ROCPRIM_400000_NS6detail17trampoline_kernelINS0_14default_configENS1_20scan_config_selectorIN3c107complexIfEEEEZZNS1_9scan_implILNS1_25lookback_scan_determinismE0ELb0ELb0ES3_PKS7_PS7_S7_ZZZN2at6native31launch_logcumsumexp_cuda_kernelERKNSE_10TensorBaseESI_lENKUlvE_clEvENKUlvE2_clEvEUlS7_S7_E_S7_EEDaPvRmT3_T4_T5_mT6_P12ihipStream_tbENKUlT_T0_E_clISt17integral_constantIbLb1EESY_IbLb0EEEEDaSU_SV_EUlSU_E0_NS1_11comp_targetILNS1_3genE0ELNS1_11target_archE4294967295ELNS1_3gpuE0ELNS1_3repE0EEENS1_30default_config_static_selectorELNS0_4arch9wavefront6targetE1EEEvT1_ ; -- Begin function _ZN7rocprim17ROCPRIM_400000_NS6detail17trampoline_kernelINS0_14default_configENS1_20scan_config_selectorIN3c107complexIfEEEEZZNS1_9scan_implILNS1_25lookback_scan_determinismE0ELb0ELb0ES3_PKS7_PS7_S7_ZZZN2at6native31launch_logcumsumexp_cuda_kernelERKNSE_10TensorBaseESI_lENKUlvE_clEvENKUlvE2_clEvEUlS7_S7_E_S7_EEDaPvRmT3_T4_T5_mT6_P12ihipStream_tbENKUlT_T0_E_clISt17integral_constantIbLb1EESY_IbLb0EEEEDaSU_SV_EUlSU_E0_NS1_11comp_targetILNS1_3genE0ELNS1_11target_archE4294967295ELNS1_3gpuE0ELNS1_3repE0EEENS1_30default_config_static_selectorELNS0_4arch9wavefront6targetE1EEEvT1_
	.p2align	8
	.type	_ZN7rocprim17ROCPRIM_400000_NS6detail17trampoline_kernelINS0_14default_configENS1_20scan_config_selectorIN3c107complexIfEEEEZZNS1_9scan_implILNS1_25lookback_scan_determinismE0ELb0ELb0ES3_PKS7_PS7_S7_ZZZN2at6native31launch_logcumsumexp_cuda_kernelERKNSE_10TensorBaseESI_lENKUlvE_clEvENKUlvE2_clEvEUlS7_S7_E_S7_EEDaPvRmT3_T4_T5_mT6_P12ihipStream_tbENKUlT_T0_E_clISt17integral_constantIbLb1EESY_IbLb0EEEEDaSU_SV_EUlSU_E0_NS1_11comp_targetILNS1_3genE0ELNS1_11target_archE4294967295ELNS1_3gpuE0ELNS1_3repE0EEENS1_30default_config_static_selectorELNS0_4arch9wavefront6targetE1EEEvT1_,@function
_ZN7rocprim17ROCPRIM_400000_NS6detail17trampoline_kernelINS0_14default_configENS1_20scan_config_selectorIN3c107complexIfEEEEZZNS1_9scan_implILNS1_25lookback_scan_determinismE0ELb0ELb0ES3_PKS7_PS7_S7_ZZZN2at6native31launch_logcumsumexp_cuda_kernelERKNSE_10TensorBaseESI_lENKUlvE_clEvENKUlvE2_clEvEUlS7_S7_E_S7_EEDaPvRmT3_T4_T5_mT6_P12ihipStream_tbENKUlT_T0_E_clISt17integral_constantIbLb1EESY_IbLb0EEEEDaSU_SV_EUlSU_E0_NS1_11comp_targetILNS1_3genE0ELNS1_11target_archE4294967295ELNS1_3gpuE0ELNS1_3repE0EEENS1_30default_config_static_selectorELNS0_4arch9wavefront6targetE1EEEvT1_: ; @_ZN7rocprim17ROCPRIM_400000_NS6detail17trampoline_kernelINS0_14default_configENS1_20scan_config_selectorIN3c107complexIfEEEEZZNS1_9scan_implILNS1_25lookback_scan_determinismE0ELb0ELb0ES3_PKS7_PS7_S7_ZZZN2at6native31launch_logcumsumexp_cuda_kernelERKNSE_10TensorBaseESI_lENKUlvE_clEvENKUlvE2_clEvEUlS7_S7_E_S7_EEDaPvRmT3_T4_T5_mT6_P12ihipStream_tbENKUlT_T0_E_clISt17integral_constantIbLb1EESY_IbLb0EEEEDaSU_SV_EUlSU_E0_NS1_11comp_targetILNS1_3genE0ELNS1_11target_archE4294967295ELNS1_3gpuE0ELNS1_3repE0EEENS1_30default_config_static_selectorELNS0_4arch9wavefront6targetE1EEEvT1_
; %bb.0:
	.section	.rodata,"a",@progbits
	.p2align	6, 0x0
	.amdhsa_kernel _ZN7rocprim17ROCPRIM_400000_NS6detail17trampoline_kernelINS0_14default_configENS1_20scan_config_selectorIN3c107complexIfEEEEZZNS1_9scan_implILNS1_25lookback_scan_determinismE0ELb0ELb0ES3_PKS7_PS7_S7_ZZZN2at6native31launch_logcumsumexp_cuda_kernelERKNSE_10TensorBaseESI_lENKUlvE_clEvENKUlvE2_clEvEUlS7_S7_E_S7_EEDaPvRmT3_T4_T5_mT6_P12ihipStream_tbENKUlT_T0_E_clISt17integral_constantIbLb1EESY_IbLb0EEEEDaSU_SV_EUlSU_E0_NS1_11comp_targetILNS1_3genE0ELNS1_11target_archE4294967295ELNS1_3gpuE0ELNS1_3repE0EEENS1_30default_config_static_selectorELNS0_4arch9wavefront6targetE1EEEvT1_
		.amdhsa_group_segment_fixed_size 0
		.amdhsa_private_segment_fixed_size 0
		.amdhsa_kernarg_size 40
		.amdhsa_user_sgpr_count 6
		.amdhsa_user_sgpr_private_segment_buffer 1
		.amdhsa_user_sgpr_dispatch_ptr 0
		.amdhsa_user_sgpr_queue_ptr 0
		.amdhsa_user_sgpr_kernarg_segment_ptr 1
		.amdhsa_user_sgpr_dispatch_id 0
		.amdhsa_user_sgpr_flat_scratch_init 0
		.amdhsa_user_sgpr_kernarg_preload_length 0
		.amdhsa_user_sgpr_kernarg_preload_offset 0
		.amdhsa_user_sgpr_private_segment_size 0
		.amdhsa_uses_dynamic_stack 0
		.amdhsa_system_sgpr_private_segment_wavefront_offset 0
		.amdhsa_system_sgpr_workgroup_id_x 1
		.amdhsa_system_sgpr_workgroup_id_y 0
		.amdhsa_system_sgpr_workgroup_id_z 0
		.amdhsa_system_sgpr_workgroup_info 0
		.amdhsa_system_vgpr_workitem_id 0
		.amdhsa_next_free_vgpr 1
		.amdhsa_next_free_sgpr 0
		.amdhsa_accum_offset 4
		.amdhsa_reserve_vcc 0
		.amdhsa_reserve_flat_scratch 0
		.amdhsa_float_round_mode_32 0
		.amdhsa_float_round_mode_16_64 0
		.amdhsa_float_denorm_mode_32 3
		.amdhsa_float_denorm_mode_16_64 3
		.amdhsa_dx10_clamp 1
		.amdhsa_ieee_mode 1
		.amdhsa_fp16_overflow 0
		.amdhsa_tg_split 0
		.amdhsa_exception_fp_ieee_invalid_op 0
		.amdhsa_exception_fp_denorm_src 0
		.amdhsa_exception_fp_ieee_div_zero 0
		.amdhsa_exception_fp_ieee_overflow 0
		.amdhsa_exception_fp_ieee_underflow 0
		.amdhsa_exception_fp_ieee_inexact 0
		.amdhsa_exception_int_div_zero 0
	.end_amdhsa_kernel
	.section	.text._ZN7rocprim17ROCPRIM_400000_NS6detail17trampoline_kernelINS0_14default_configENS1_20scan_config_selectorIN3c107complexIfEEEEZZNS1_9scan_implILNS1_25lookback_scan_determinismE0ELb0ELb0ES3_PKS7_PS7_S7_ZZZN2at6native31launch_logcumsumexp_cuda_kernelERKNSE_10TensorBaseESI_lENKUlvE_clEvENKUlvE2_clEvEUlS7_S7_E_S7_EEDaPvRmT3_T4_T5_mT6_P12ihipStream_tbENKUlT_T0_E_clISt17integral_constantIbLb1EESY_IbLb0EEEEDaSU_SV_EUlSU_E0_NS1_11comp_targetILNS1_3genE0ELNS1_11target_archE4294967295ELNS1_3gpuE0ELNS1_3repE0EEENS1_30default_config_static_selectorELNS0_4arch9wavefront6targetE1EEEvT1_,"axG",@progbits,_ZN7rocprim17ROCPRIM_400000_NS6detail17trampoline_kernelINS0_14default_configENS1_20scan_config_selectorIN3c107complexIfEEEEZZNS1_9scan_implILNS1_25lookback_scan_determinismE0ELb0ELb0ES3_PKS7_PS7_S7_ZZZN2at6native31launch_logcumsumexp_cuda_kernelERKNSE_10TensorBaseESI_lENKUlvE_clEvENKUlvE2_clEvEUlS7_S7_E_S7_EEDaPvRmT3_T4_T5_mT6_P12ihipStream_tbENKUlT_T0_E_clISt17integral_constantIbLb1EESY_IbLb0EEEEDaSU_SV_EUlSU_E0_NS1_11comp_targetILNS1_3genE0ELNS1_11target_archE4294967295ELNS1_3gpuE0ELNS1_3repE0EEENS1_30default_config_static_selectorELNS0_4arch9wavefront6targetE1EEEvT1_,comdat
.Lfunc_end319:
	.size	_ZN7rocprim17ROCPRIM_400000_NS6detail17trampoline_kernelINS0_14default_configENS1_20scan_config_selectorIN3c107complexIfEEEEZZNS1_9scan_implILNS1_25lookback_scan_determinismE0ELb0ELb0ES3_PKS7_PS7_S7_ZZZN2at6native31launch_logcumsumexp_cuda_kernelERKNSE_10TensorBaseESI_lENKUlvE_clEvENKUlvE2_clEvEUlS7_S7_E_S7_EEDaPvRmT3_T4_T5_mT6_P12ihipStream_tbENKUlT_T0_E_clISt17integral_constantIbLb1EESY_IbLb0EEEEDaSU_SV_EUlSU_E0_NS1_11comp_targetILNS1_3genE0ELNS1_11target_archE4294967295ELNS1_3gpuE0ELNS1_3repE0EEENS1_30default_config_static_selectorELNS0_4arch9wavefront6targetE1EEEvT1_, .Lfunc_end319-_ZN7rocprim17ROCPRIM_400000_NS6detail17trampoline_kernelINS0_14default_configENS1_20scan_config_selectorIN3c107complexIfEEEEZZNS1_9scan_implILNS1_25lookback_scan_determinismE0ELb0ELb0ES3_PKS7_PS7_S7_ZZZN2at6native31launch_logcumsumexp_cuda_kernelERKNSE_10TensorBaseESI_lENKUlvE_clEvENKUlvE2_clEvEUlS7_S7_E_S7_EEDaPvRmT3_T4_T5_mT6_P12ihipStream_tbENKUlT_T0_E_clISt17integral_constantIbLb1EESY_IbLb0EEEEDaSU_SV_EUlSU_E0_NS1_11comp_targetILNS1_3genE0ELNS1_11target_archE4294967295ELNS1_3gpuE0ELNS1_3repE0EEENS1_30default_config_static_selectorELNS0_4arch9wavefront6targetE1EEEvT1_
                                        ; -- End function
	.section	.AMDGPU.csdata,"",@progbits
; Kernel info:
; codeLenInByte = 0
; NumSgprs: 4
; NumVgprs: 0
; NumAgprs: 0
; TotalNumVgprs: 0
; ScratchSize: 0
; MemoryBound: 0
; FloatMode: 240
; IeeeMode: 1
; LDSByteSize: 0 bytes/workgroup (compile time only)
; SGPRBlocks: 0
; VGPRBlocks: 0
; NumSGPRsForWavesPerEU: 4
; NumVGPRsForWavesPerEU: 1
; AccumOffset: 4
; Occupancy: 8
; WaveLimiterHint : 0
; COMPUTE_PGM_RSRC2:SCRATCH_EN: 0
; COMPUTE_PGM_RSRC2:USER_SGPR: 6
; COMPUTE_PGM_RSRC2:TRAP_HANDLER: 0
; COMPUTE_PGM_RSRC2:TGID_X_EN: 1
; COMPUTE_PGM_RSRC2:TGID_Y_EN: 0
; COMPUTE_PGM_RSRC2:TGID_Z_EN: 0
; COMPUTE_PGM_RSRC2:TIDIG_COMP_CNT: 0
; COMPUTE_PGM_RSRC3_GFX90A:ACCUM_OFFSET: 0
; COMPUTE_PGM_RSRC3_GFX90A:TG_SPLIT: 0
	.section	.text._ZN7rocprim17ROCPRIM_400000_NS6detail17trampoline_kernelINS0_14default_configENS1_20scan_config_selectorIN3c107complexIfEEEEZZNS1_9scan_implILNS1_25lookback_scan_determinismE0ELb0ELb0ES3_PKS7_PS7_S7_ZZZN2at6native31launch_logcumsumexp_cuda_kernelERKNSE_10TensorBaseESI_lENKUlvE_clEvENKUlvE2_clEvEUlS7_S7_E_S7_EEDaPvRmT3_T4_T5_mT6_P12ihipStream_tbENKUlT_T0_E_clISt17integral_constantIbLb1EESY_IbLb0EEEEDaSU_SV_EUlSU_E0_NS1_11comp_targetILNS1_3genE5ELNS1_11target_archE942ELNS1_3gpuE9ELNS1_3repE0EEENS1_30default_config_static_selectorELNS0_4arch9wavefront6targetE1EEEvT1_,"axG",@progbits,_ZN7rocprim17ROCPRIM_400000_NS6detail17trampoline_kernelINS0_14default_configENS1_20scan_config_selectorIN3c107complexIfEEEEZZNS1_9scan_implILNS1_25lookback_scan_determinismE0ELb0ELb0ES3_PKS7_PS7_S7_ZZZN2at6native31launch_logcumsumexp_cuda_kernelERKNSE_10TensorBaseESI_lENKUlvE_clEvENKUlvE2_clEvEUlS7_S7_E_S7_EEDaPvRmT3_T4_T5_mT6_P12ihipStream_tbENKUlT_T0_E_clISt17integral_constantIbLb1EESY_IbLb0EEEEDaSU_SV_EUlSU_E0_NS1_11comp_targetILNS1_3genE5ELNS1_11target_archE942ELNS1_3gpuE9ELNS1_3repE0EEENS1_30default_config_static_selectorELNS0_4arch9wavefront6targetE1EEEvT1_,comdat
	.globl	_ZN7rocprim17ROCPRIM_400000_NS6detail17trampoline_kernelINS0_14default_configENS1_20scan_config_selectorIN3c107complexIfEEEEZZNS1_9scan_implILNS1_25lookback_scan_determinismE0ELb0ELb0ES3_PKS7_PS7_S7_ZZZN2at6native31launch_logcumsumexp_cuda_kernelERKNSE_10TensorBaseESI_lENKUlvE_clEvENKUlvE2_clEvEUlS7_S7_E_S7_EEDaPvRmT3_T4_T5_mT6_P12ihipStream_tbENKUlT_T0_E_clISt17integral_constantIbLb1EESY_IbLb0EEEEDaSU_SV_EUlSU_E0_NS1_11comp_targetILNS1_3genE5ELNS1_11target_archE942ELNS1_3gpuE9ELNS1_3repE0EEENS1_30default_config_static_selectorELNS0_4arch9wavefront6targetE1EEEvT1_ ; -- Begin function _ZN7rocprim17ROCPRIM_400000_NS6detail17trampoline_kernelINS0_14default_configENS1_20scan_config_selectorIN3c107complexIfEEEEZZNS1_9scan_implILNS1_25lookback_scan_determinismE0ELb0ELb0ES3_PKS7_PS7_S7_ZZZN2at6native31launch_logcumsumexp_cuda_kernelERKNSE_10TensorBaseESI_lENKUlvE_clEvENKUlvE2_clEvEUlS7_S7_E_S7_EEDaPvRmT3_T4_T5_mT6_P12ihipStream_tbENKUlT_T0_E_clISt17integral_constantIbLb1EESY_IbLb0EEEEDaSU_SV_EUlSU_E0_NS1_11comp_targetILNS1_3genE5ELNS1_11target_archE942ELNS1_3gpuE9ELNS1_3repE0EEENS1_30default_config_static_selectorELNS0_4arch9wavefront6targetE1EEEvT1_
	.p2align	8
	.type	_ZN7rocprim17ROCPRIM_400000_NS6detail17trampoline_kernelINS0_14default_configENS1_20scan_config_selectorIN3c107complexIfEEEEZZNS1_9scan_implILNS1_25lookback_scan_determinismE0ELb0ELb0ES3_PKS7_PS7_S7_ZZZN2at6native31launch_logcumsumexp_cuda_kernelERKNSE_10TensorBaseESI_lENKUlvE_clEvENKUlvE2_clEvEUlS7_S7_E_S7_EEDaPvRmT3_T4_T5_mT6_P12ihipStream_tbENKUlT_T0_E_clISt17integral_constantIbLb1EESY_IbLb0EEEEDaSU_SV_EUlSU_E0_NS1_11comp_targetILNS1_3genE5ELNS1_11target_archE942ELNS1_3gpuE9ELNS1_3repE0EEENS1_30default_config_static_selectorELNS0_4arch9wavefront6targetE1EEEvT1_,@function
_ZN7rocprim17ROCPRIM_400000_NS6detail17trampoline_kernelINS0_14default_configENS1_20scan_config_selectorIN3c107complexIfEEEEZZNS1_9scan_implILNS1_25lookback_scan_determinismE0ELb0ELb0ES3_PKS7_PS7_S7_ZZZN2at6native31launch_logcumsumexp_cuda_kernelERKNSE_10TensorBaseESI_lENKUlvE_clEvENKUlvE2_clEvEUlS7_S7_E_S7_EEDaPvRmT3_T4_T5_mT6_P12ihipStream_tbENKUlT_T0_E_clISt17integral_constantIbLb1EESY_IbLb0EEEEDaSU_SV_EUlSU_E0_NS1_11comp_targetILNS1_3genE5ELNS1_11target_archE942ELNS1_3gpuE9ELNS1_3repE0EEENS1_30default_config_static_selectorELNS0_4arch9wavefront6targetE1EEEvT1_: ; @_ZN7rocprim17ROCPRIM_400000_NS6detail17trampoline_kernelINS0_14default_configENS1_20scan_config_selectorIN3c107complexIfEEEEZZNS1_9scan_implILNS1_25lookback_scan_determinismE0ELb0ELb0ES3_PKS7_PS7_S7_ZZZN2at6native31launch_logcumsumexp_cuda_kernelERKNSE_10TensorBaseESI_lENKUlvE_clEvENKUlvE2_clEvEUlS7_S7_E_S7_EEDaPvRmT3_T4_T5_mT6_P12ihipStream_tbENKUlT_T0_E_clISt17integral_constantIbLb1EESY_IbLb0EEEEDaSU_SV_EUlSU_E0_NS1_11comp_targetILNS1_3genE5ELNS1_11target_archE942ELNS1_3gpuE9ELNS1_3repE0EEENS1_30default_config_static_selectorELNS0_4arch9wavefront6targetE1EEEvT1_
; %bb.0:
	.section	.rodata,"a",@progbits
	.p2align	6, 0x0
	.amdhsa_kernel _ZN7rocprim17ROCPRIM_400000_NS6detail17trampoline_kernelINS0_14default_configENS1_20scan_config_selectorIN3c107complexIfEEEEZZNS1_9scan_implILNS1_25lookback_scan_determinismE0ELb0ELb0ES3_PKS7_PS7_S7_ZZZN2at6native31launch_logcumsumexp_cuda_kernelERKNSE_10TensorBaseESI_lENKUlvE_clEvENKUlvE2_clEvEUlS7_S7_E_S7_EEDaPvRmT3_T4_T5_mT6_P12ihipStream_tbENKUlT_T0_E_clISt17integral_constantIbLb1EESY_IbLb0EEEEDaSU_SV_EUlSU_E0_NS1_11comp_targetILNS1_3genE5ELNS1_11target_archE942ELNS1_3gpuE9ELNS1_3repE0EEENS1_30default_config_static_selectorELNS0_4arch9wavefront6targetE1EEEvT1_
		.amdhsa_group_segment_fixed_size 0
		.amdhsa_private_segment_fixed_size 0
		.amdhsa_kernarg_size 40
		.amdhsa_user_sgpr_count 6
		.amdhsa_user_sgpr_private_segment_buffer 1
		.amdhsa_user_sgpr_dispatch_ptr 0
		.amdhsa_user_sgpr_queue_ptr 0
		.amdhsa_user_sgpr_kernarg_segment_ptr 1
		.amdhsa_user_sgpr_dispatch_id 0
		.amdhsa_user_sgpr_flat_scratch_init 0
		.amdhsa_user_sgpr_kernarg_preload_length 0
		.amdhsa_user_sgpr_kernarg_preload_offset 0
		.amdhsa_user_sgpr_private_segment_size 0
		.amdhsa_uses_dynamic_stack 0
		.amdhsa_system_sgpr_private_segment_wavefront_offset 0
		.amdhsa_system_sgpr_workgroup_id_x 1
		.amdhsa_system_sgpr_workgroup_id_y 0
		.amdhsa_system_sgpr_workgroup_id_z 0
		.amdhsa_system_sgpr_workgroup_info 0
		.amdhsa_system_vgpr_workitem_id 0
		.amdhsa_next_free_vgpr 1
		.amdhsa_next_free_sgpr 0
		.amdhsa_accum_offset 4
		.amdhsa_reserve_vcc 0
		.amdhsa_reserve_flat_scratch 0
		.amdhsa_float_round_mode_32 0
		.amdhsa_float_round_mode_16_64 0
		.amdhsa_float_denorm_mode_32 3
		.amdhsa_float_denorm_mode_16_64 3
		.amdhsa_dx10_clamp 1
		.amdhsa_ieee_mode 1
		.amdhsa_fp16_overflow 0
		.amdhsa_tg_split 0
		.amdhsa_exception_fp_ieee_invalid_op 0
		.amdhsa_exception_fp_denorm_src 0
		.amdhsa_exception_fp_ieee_div_zero 0
		.amdhsa_exception_fp_ieee_overflow 0
		.amdhsa_exception_fp_ieee_underflow 0
		.amdhsa_exception_fp_ieee_inexact 0
		.amdhsa_exception_int_div_zero 0
	.end_amdhsa_kernel
	.section	.text._ZN7rocprim17ROCPRIM_400000_NS6detail17trampoline_kernelINS0_14default_configENS1_20scan_config_selectorIN3c107complexIfEEEEZZNS1_9scan_implILNS1_25lookback_scan_determinismE0ELb0ELb0ES3_PKS7_PS7_S7_ZZZN2at6native31launch_logcumsumexp_cuda_kernelERKNSE_10TensorBaseESI_lENKUlvE_clEvENKUlvE2_clEvEUlS7_S7_E_S7_EEDaPvRmT3_T4_T5_mT6_P12ihipStream_tbENKUlT_T0_E_clISt17integral_constantIbLb1EESY_IbLb0EEEEDaSU_SV_EUlSU_E0_NS1_11comp_targetILNS1_3genE5ELNS1_11target_archE942ELNS1_3gpuE9ELNS1_3repE0EEENS1_30default_config_static_selectorELNS0_4arch9wavefront6targetE1EEEvT1_,"axG",@progbits,_ZN7rocprim17ROCPRIM_400000_NS6detail17trampoline_kernelINS0_14default_configENS1_20scan_config_selectorIN3c107complexIfEEEEZZNS1_9scan_implILNS1_25lookback_scan_determinismE0ELb0ELb0ES3_PKS7_PS7_S7_ZZZN2at6native31launch_logcumsumexp_cuda_kernelERKNSE_10TensorBaseESI_lENKUlvE_clEvENKUlvE2_clEvEUlS7_S7_E_S7_EEDaPvRmT3_T4_T5_mT6_P12ihipStream_tbENKUlT_T0_E_clISt17integral_constantIbLb1EESY_IbLb0EEEEDaSU_SV_EUlSU_E0_NS1_11comp_targetILNS1_3genE5ELNS1_11target_archE942ELNS1_3gpuE9ELNS1_3repE0EEENS1_30default_config_static_selectorELNS0_4arch9wavefront6targetE1EEEvT1_,comdat
.Lfunc_end320:
	.size	_ZN7rocprim17ROCPRIM_400000_NS6detail17trampoline_kernelINS0_14default_configENS1_20scan_config_selectorIN3c107complexIfEEEEZZNS1_9scan_implILNS1_25lookback_scan_determinismE0ELb0ELb0ES3_PKS7_PS7_S7_ZZZN2at6native31launch_logcumsumexp_cuda_kernelERKNSE_10TensorBaseESI_lENKUlvE_clEvENKUlvE2_clEvEUlS7_S7_E_S7_EEDaPvRmT3_T4_T5_mT6_P12ihipStream_tbENKUlT_T0_E_clISt17integral_constantIbLb1EESY_IbLb0EEEEDaSU_SV_EUlSU_E0_NS1_11comp_targetILNS1_3genE5ELNS1_11target_archE942ELNS1_3gpuE9ELNS1_3repE0EEENS1_30default_config_static_selectorELNS0_4arch9wavefront6targetE1EEEvT1_, .Lfunc_end320-_ZN7rocprim17ROCPRIM_400000_NS6detail17trampoline_kernelINS0_14default_configENS1_20scan_config_selectorIN3c107complexIfEEEEZZNS1_9scan_implILNS1_25lookback_scan_determinismE0ELb0ELb0ES3_PKS7_PS7_S7_ZZZN2at6native31launch_logcumsumexp_cuda_kernelERKNSE_10TensorBaseESI_lENKUlvE_clEvENKUlvE2_clEvEUlS7_S7_E_S7_EEDaPvRmT3_T4_T5_mT6_P12ihipStream_tbENKUlT_T0_E_clISt17integral_constantIbLb1EESY_IbLb0EEEEDaSU_SV_EUlSU_E0_NS1_11comp_targetILNS1_3genE5ELNS1_11target_archE942ELNS1_3gpuE9ELNS1_3repE0EEENS1_30default_config_static_selectorELNS0_4arch9wavefront6targetE1EEEvT1_
                                        ; -- End function
	.section	.AMDGPU.csdata,"",@progbits
; Kernel info:
; codeLenInByte = 0
; NumSgprs: 4
; NumVgprs: 0
; NumAgprs: 0
; TotalNumVgprs: 0
; ScratchSize: 0
; MemoryBound: 0
; FloatMode: 240
; IeeeMode: 1
; LDSByteSize: 0 bytes/workgroup (compile time only)
; SGPRBlocks: 0
; VGPRBlocks: 0
; NumSGPRsForWavesPerEU: 4
; NumVGPRsForWavesPerEU: 1
; AccumOffset: 4
; Occupancy: 8
; WaveLimiterHint : 0
; COMPUTE_PGM_RSRC2:SCRATCH_EN: 0
; COMPUTE_PGM_RSRC2:USER_SGPR: 6
; COMPUTE_PGM_RSRC2:TRAP_HANDLER: 0
; COMPUTE_PGM_RSRC2:TGID_X_EN: 1
; COMPUTE_PGM_RSRC2:TGID_Y_EN: 0
; COMPUTE_PGM_RSRC2:TGID_Z_EN: 0
; COMPUTE_PGM_RSRC2:TIDIG_COMP_CNT: 0
; COMPUTE_PGM_RSRC3_GFX90A:ACCUM_OFFSET: 0
; COMPUTE_PGM_RSRC3_GFX90A:TG_SPLIT: 0
	.section	.text._ZN7rocprim17ROCPRIM_400000_NS6detail17trampoline_kernelINS0_14default_configENS1_20scan_config_selectorIN3c107complexIfEEEEZZNS1_9scan_implILNS1_25lookback_scan_determinismE0ELb0ELb0ES3_PKS7_PS7_S7_ZZZN2at6native31launch_logcumsumexp_cuda_kernelERKNSE_10TensorBaseESI_lENKUlvE_clEvENKUlvE2_clEvEUlS7_S7_E_S7_EEDaPvRmT3_T4_T5_mT6_P12ihipStream_tbENKUlT_T0_E_clISt17integral_constantIbLb1EESY_IbLb0EEEEDaSU_SV_EUlSU_E0_NS1_11comp_targetILNS1_3genE4ELNS1_11target_archE910ELNS1_3gpuE8ELNS1_3repE0EEENS1_30default_config_static_selectorELNS0_4arch9wavefront6targetE1EEEvT1_,"axG",@progbits,_ZN7rocprim17ROCPRIM_400000_NS6detail17trampoline_kernelINS0_14default_configENS1_20scan_config_selectorIN3c107complexIfEEEEZZNS1_9scan_implILNS1_25lookback_scan_determinismE0ELb0ELb0ES3_PKS7_PS7_S7_ZZZN2at6native31launch_logcumsumexp_cuda_kernelERKNSE_10TensorBaseESI_lENKUlvE_clEvENKUlvE2_clEvEUlS7_S7_E_S7_EEDaPvRmT3_T4_T5_mT6_P12ihipStream_tbENKUlT_T0_E_clISt17integral_constantIbLb1EESY_IbLb0EEEEDaSU_SV_EUlSU_E0_NS1_11comp_targetILNS1_3genE4ELNS1_11target_archE910ELNS1_3gpuE8ELNS1_3repE0EEENS1_30default_config_static_selectorELNS0_4arch9wavefront6targetE1EEEvT1_,comdat
	.globl	_ZN7rocprim17ROCPRIM_400000_NS6detail17trampoline_kernelINS0_14default_configENS1_20scan_config_selectorIN3c107complexIfEEEEZZNS1_9scan_implILNS1_25lookback_scan_determinismE0ELb0ELb0ES3_PKS7_PS7_S7_ZZZN2at6native31launch_logcumsumexp_cuda_kernelERKNSE_10TensorBaseESI_lENKUlvE_clEvENKUlvE2_clEvEUlS7_S7_E_S7_EEDaPvRmT3_T4_T5_mT6_P12ihipStream_tbENKUlT_T0_E_clISt17integral_constantIbLb1EESY_IbLb0EEEEDaSU_SV_EUlSU_E0_NS1_11comp_targetILNS1_3genE4ELNS1_11target_archE910ELNS1_3gpuE8ELNS1_3repE0EEENS1_30default_config_static_selectorELNS0_4arch9wavefront6targetE1EEEvT1_ ; -- Begin function _ZN7rocprim17ROCPRIM_400000_NS6detail17trampoline_kernelINS0_14default_configENS1_20scan_config_selectorIN3c107complexIfEEEEZZNS1_9scan_implILNS1_25lookback_scan_determinismE0ELb0ELb0ES3_PKS7_PS7_S7_ZZZN2at6native31launch_logcumsumexp_cuda_kernelERKNSE_10TensorBaseESI_lENKUlvE_clEvENKUlvE2_clEvEUlS7_S7_E_S7_EEDaPvRmT3_T4_T5_mT6_P12ihipStream_tbENKUlT_T0_E_clISt17integral_constantIbLb1EESY_IbLb0EEEEDaSU_SV_EUlSU_E0_NS1_11comp_targetILNS1_3genE4ELNS1_11target_archE910ELNS1_3gpuE8ELNS1_3repE0EEENS1_30default_config_static_selectorELNS0_4arch9wavefront6targetE1EEEvT1_
	.p2align	8
	.type	_ZN7rocprim17ROCPRIM_400000_NS6detail17trampoline_kernelINS0_14default_configENS1_20scan_config_selectorIN3c107complexIfEEEEZZNS1_9scan_implILNS1_25lookback_scan_determinismE0ELb0ELb0ES3_PKS7_PS7_S7_ZZZN2at6native31launch_logcumsumexp_cuda_kernelERKNSE_10TensorBaseESI_lENKUlvE_clEvENKUlvE2_clEvEUlS7_S7_E_S7_EEDaPvRmT3_T4_T5_mT6_P12ihipStream_tbENKUlT_T0_E_clISt17integral_constantIbLb1EESY_IbLb0EEEEDaSU_SV_EUlSU_E0_NS1_11comp_targetILNS1_3genE4ELNS1_11target_archE910ELNS1_3gpuE8ELNS1_3repE0EEENS1_30default_config_static_selectorELNS0_4arch9wavefront6targetE1EEEvT1_,@function
_ZN7rocprim17ROCPRIM_400000_NS6detail17trampoline_kernelINS0_14default_configENS1_20scan_config_selectorIN3c107complexIfEEEEZZNS1_9scan_implILNS1_25lookback_scan_determinismE0ELb0ELb0ES3_PKS7_PS7_S7_ZZZN2at6native31launch_logcumsumexp_cuda_kernelERKNSE_10TensorBaseESI_lENKUlvE_clEvENKUlvE2_clEvEUlS7_S7_E_S7_EEDaPvRmT3_T4_T5_mT6_P12ihipStream_tbENKUlT_T0_E_clISt17integral_constantIbLb1EESY_IbLb0EEEEDaSU_SV_EUlSU_E0_NS1_11comp_targetILNS1_3genE4ELNS1_11target_archE910ELNS1_3gpuE8ELNS1_3repE0EEENS1_30default_config_static_selectorELNS0_4arch9wavefront6targetE1EEEvT1_: ; @_ZN7rocprim17ROCPRIM_400000_NS6detail17trampoline_kernelINS0_14default_configENS1_20scan_config_selectorIN3c107complexIfEEEEZZNS1_9scan_implILNS1_25lookback_scan_determinismE0ELb0ELb0ES3_PKS7_PS7_S7_ZZZN2at6native31launch_logcumsumexp_cuda_kernelERKNSE_10TensorBaseESI_lENKUlvE_clEvENKUlvE2_clEvEUlS7_S7_E_S7_EEDaPvRmT3_T4_T5_mT6_P12ihipStream_tbENKUlT_T0_E_clISt17integral_constantIbLb1EESY_IbLb0EEEEDaSU_SV_EUlSU_E0_NS1_11comp_targetILNS1_3genE4ELNS1_11target_archE910ELNS1_3gpuE8ELNS1_3repE0EEENS1_30default_config_static_selectorELNS0_4arch9wavefront6targetE1EEEvT1_
; %bb.0:
	s_add_u32 flat_scratch_lo, s6, s9
	s_addc_u32 flat_scratch_hi, s7, 0
	s_add_u32 s0, s0, s9
	s_load_dwordx4 s[8:11], s[4:5], 0x0
	v_mov_b32_e32 v27, v0
	s_addc_u32 s1, s1, 0
	v_lshlrev_b32_e32 v58, 3, v27
	s_mov_b32 s32, 0
	s_waitcnt lgkmcnt(0)
	s_load_dwordx2 s[6:7], s[8:9], 0x0
	v_cmp_gt_u32_e64 s[20:21], s10, v27
	s_waitcnt lgkmcnt(0)
	v_pk_mov_b32 v[0:1], s[6:7], s[6:7] op_sel:[0,1]
	s_and_saveexec_b64 s[12:13], s[20:21]
	s_cbranch_execz .LBB321_2
; %bb.1:
	global_load_dwordx2 v[0:1], v58, s[8:9]
.LBB321_2:
	s_or_b64 exec, exec, s[12:13]
	v_or_b32_e32 v2, 0x80, v27
	v_cmp_gt_u32_e64 s[22:23], s10, v2
	v_pk_mov_b32 v[2:3], s[6:7], s[6:7] op_sel:[0,1]
	s_and_saveexec_b64 s[12:13], s[22:23]
	s_cbranch_execz .LBB321_4
; %bb.3:
	global_load_dwordx2 v[2:3], v58, s[8:9] offset:1024
.LBB321_4:
	s_or_b64 exec, exec, s[12:13]
	v_or_b32_e32 v4, 0x100, v27
	v_cmp_gt_u32_e64 s[24:25], s10, v4
	v_pk_mov_b32 v[4:5], s[6:7], s[6:7] op_sel:[0,1]
	s_and_saveexec_b64 s[12:13], s[24:25]
	s_cbranch_execz .LBB321_6
; %bb.5:
	global_load_dwordx2 v[4:5], v58, s[8:9] offset:2048
.LBB321_6:
	;; [unrolled: 9-line block ×3, first 2 shown]
	s_or_b64 exec, exec, s[12:13]
	v_or_b32_e32 v10, 0x200, v27
	v_cmp_gt_u32_e64 s[28:29], s10, v10
	v_pk_mov_b32 v[8:9], s[6:7], s[6:7] op_sel:[0,1]
	s_and_saveexec_b64 s[12:13], s[28:29]
	s_cbranch_execz .LBB321_10
; %bb.9:
	v_lshlrev_b32_e32 v8, 3, v10
	global_load_dwordx2 v[8:9], v8, s[8:9]
.LBB321_10:
	s_or_b64 exec, exec, s[12:13]
	v_or_b32_e32 v12, 0x280, v27
	v_cmp_gt_u32_e64 s[34:35], s10, v12
	v_pk_mov_b32 v[10:11], s[6:7], s[6:7] op_sel:[0,1]
	s_and_saveexec_b64 s[12:13], s[34:35]
	s_cbranch_execz .LBB321_12
; %bb.11:
	v_lshlrev_b32_e32 v10, 3, v12
	global_load_dwordx2 v[10:11], v10, s[8:9]
.LBB321_12:
	s_or_b64 exec, exec, s[12:13]
	v_or_b32_e32 v14, 0x300, v27
	v_cmp_gt_u32_e64 s[36:37], s10, v14
	v_pk_mov_b32 v[12:13], s[6:7], s[6:7] op_sel:[0,1]
	s_and_saveexec_b64 s[6:7], s[36:37]
	s_cbranch_execz .LBB321_14
; %bb.13:
	v_lshlrev_b32_e32 v12, 3, v14
	global_load_dwordx2 v[12:13], v12, s[8:9]
.LBB321_14:
	s_or_b64 exec, exec, s[6:7]
	s_load_dwordx2 s[38:39], s[4:5], 0x20
	v_mad_u32_u24 v59, v27, 48, v58
	s_waitcnt vmcnt(0)
	ds_write2st64_b64 v58, v[0:1], v[2:3] offset1:2
	ds_write2st64_b64 v58, v[4:5], v[6:7] offset0:4 offset1:6
	ds_write2st64_b64 v58, v[8:9], v[10:11] offset0:8 offset1:10
	ds_write_b64 v58, v[12:13] offset:6144
	s_waitcnt lgkmcnt(0)
	s_barrier
	ds_read2_b64 v[28:31], v59 offset1:1
	ds_read2_b64 v[36:39], v59 offset0:2 offset1:3
	ds_read2_b64 v[32:35], v59 offset0:4 offset1:5
	ds_read_b64 v[52:53], v59 offset:48
	s_waitcnt lgkmcnt(0)
	v_mov_b32_e32 v0, v28
	v_mov_b32_e32 v1, v29
	v_mov_b32_e32 v2, v30
	v_mov_b32_e32 v3, v31
	s_barrier
	s_getpc_b64 s[42:43]
	s_add_u32 s42, s42, _ZZZZN2at6native31launch_logcumsumexp_cuda_kernelERKNS_10TensorBaseES3_lENKUlvE_clEvENKUlvE2_clEvENKUlN3c107complexIfEES8_E_clES8_S8_@rel32@lo+4
	s_addc_u32 s43, s43, _ZZZZN2at6native31launch_logcumsumexp_cuda_kernelERKNS_10TensorBaseES3_lENKUlvE_clEvENKUlvE2_clEvENKUlN3c107complexIfEES8_E_clES8_S8_@rel32@hi+12
	s_swappc_b64 s[30:31], s[42:43]
	v_mov_b32_e32 v2, v36
	v_mov_b32_e32 v3, v37
	v_mov_b32_e32 v56, v0
	v_mov_b32_e32 v57, v1
	s_swappc_b64 s[30:31], s[42:43]
	v_mov_b32_e32 v2, v38
	v_mov_b32_e32 v3, v39
	v_mov_b32_e32 v44, v0
	v_mov_b32_e32 v45, v1
	;; [unrolled: 5-line block ×5, first 2 shown]
	s_swappc_b64 s[30:31], s[42:43]
	v_mov_b32_e32 v54, v0
	v_lshrrev_b32_e32 v0, 2, v27
	v_and_b32_e32 v0, 24, v0
	v_mov_b32_e32 v55, v1
	v_add_u32_e32 v0, v58, v0
	v_cmp_gt_u32_e32 vcc, 64, v27
	ds_write_b64 v0, v[54:55]
	s_waitcnt lgkmcnt(0)
	s_barrier
	s_and_saveexec_b64 s[40:41], vcc
	s_cbranch_execz .LBB321_28
; %bb.15:
	v_lshlrev_b32_e32 v0, 1, v27
	v_lshrrev_b32_e32 v1, 4, v27
	v_add_lshl_u32 v60, v1, v0, 3
	ds_read2_b64 v[40:43], v60 offset1:1
	s_waitcnt lgkmcnt(0)
	v_mov_b32_e32 v0, v40
	v_mov_b32_e32 v1, v41
	;; [unrolled: 1-line block ×4, first 2 shown]
	s_swappc_b64 s[30:31], s[42:43]
	v_mov_b32_e32 v2, v0
	v_mbcnt_lo_u32_b32 v0, -1, 0
	v_mbcnt_hi_u32_b32 v42, -1, v0
	v_mov_b32_e32 v3, v1
	v_and_b32_e32 v43, 15, v42
	v_mov_b32_dpp v0, v2 row_shr:1 row_mask:0xf bank_mask:0xf
	v_mov_b32_dpp v1, v3 row_shr:1 row_mask:0xf bank_mask:0xf
	v_cmp_ne_u32_e32 vcc, 0, v43
	s_and_saveexec_b64 s[42:43], vcc
	s_cbranch_execz .LBB321_17
; %bb.16:
	s_getpc_b64 s[4:5]
	s_add_u32 s4, s4, _ZZZZN2at6native31launch_logcumsumexp_cuda_kernelERKNS_10TensorBaseES3_lENKUlvE_clEvENKUlvE2_clEvENKUlN3c107complexIfEES8_E_clES8_S8_@rel32@lo+4
	s_addc_u32 s5, s5, _ZZZZN2at6native31launch_logcumsumexp_cuda_kernelERKNS_10TensorBaseES3_lENKUlvE_clEvENKUlvE2_clEvENKUlN3c107complexIfEES8_E_clES8_S8_@rel32@hi+12
	s_swappc_b64 s[30:31], s[4:5]
	v_mov_b32_e32 v2, v0
	v_mov_b32_e32 v3, v1
.LBB321_17:
	s_or_b64 exec, exec, s[42:43]
	v_mov_b32_dpp v0, v2 row_shr:2 row_mask:0xf bank_mask:0xf
	v_mov_b32_dpp v1, v3 row_shr:2 row_mask:0xf bank_mask:0xf
	v_cmp_lt_u32_e32 vcc, 1, v43
	s_and_saveexec_b64 s[42:43], vcc
	s_cbranch_execz .LBB321_19
; %bb.18:
	s_getpc_b64 s[4:5]
	s_add_u32 s4, s4, _ZZZZN2at6native31launch_logcumsumexp_cuda_kernelERKNS_10TensorBaseES3_lENKUlvE_clEvENKUlvE2_clEvENKUlN3c107complexIfEES8_E_clES8_S8_@rel32@lo+4
	s_addc_u32 s5, s5, _ZZZZN2at6native31launch_logcumsumexp_cuda_kernelERKNS_10TensorBaseES3_lENKUlvE_clEvENKUlvE2_clEvENKUlN3c107complexIfEES8_E_clES8_S8_@rel32@hi+12
	s_swappc_b64 s[30:31], s[4:5]
	v_mov_b32_e32 v2, v0
	v_mov_b32_e32 v3, v1
.LBB321_19:
	s_or_b64 exec, exec, s[42:43]
	v_mov_b32_dpp v0, v2 row_shr:4 row_mask:0xf bank_mask:0xf
	v_mov_b32_dpp v1, v3 row_shr:4 row_mask:0xf bank_mask:0xf
	v_cmp_lt_u32_e32 vcc, 3, v43
	;; [unrolled: 14-line block ×3, first 2 shown]
	s_and_saveexec_b64 s[42:43], vcc
	s_cbranch_execz .LBB321_23
; %bb.22:
	s_getpc_b64 s[4:5]
	s_add_u32 s4, s4, _ZZZZN2at6native31launch_logcumsumexp_cuda_kernelERKNS_10TensorBaseES3_lENKUlvE_clEvENKUlvE2_clEvENKUlN3c107complexIfEES8_E_clES8_S8_@rel32@lo+4
	s_addc_u32 s5, s5, _ZZZZN2at6native31launch_logcumsumexp_cuda_kernelERKNS_10TensorBaseES3_lENKUlvE_clEvENKUlvE2_clEvENKUlN3c107complexIfEES8_E_clES8_S8_@rel32@hi+12
	s_swappc_b64 s[30:31], s[4:5]
	v_mov_b32_e32 v2, v0
	v_mov_b32_e32 v3, v1
.LBB321_23:
	s_or_b64 exec, exec, s[42:43]
	v_and_b32_e32 v4, 16, v42
	v_mov_b32_dpp v0, v2 row_bcast:15 row_mask:0xf bank_mask:0xf
	v_mov_b32_dpp v1, v3 row_bcast:15 row_mask:0xf bank_mask:0xf
	v_cmp_ne_u32_e32 vcc, 0, v4
	s_and_saveexec_b64 s[42:43], vcc
	s_cbranch_execz .LBB321_25
; %bb.24:
	s_getpc_b64 s[4:5]
	s_add_u32 s4, s4, _ZZZZN2at6native31launch_logcumsumexp_cuda_kernelERKNS_10TensorBaseES3_lENKUlvE_clEvENKUlvE2_clEvENKUlN3c107complexIfEES8_E_clES8_S8_@rel32@lo+4
	s_addc_u32 s5, s5, _ZZZZN2at6native31launch_logcumsumexp_cuda_kernelERKNS_10TensorBaseES3_lENKUlvE_clEvENKUlvE2_clEvENKUlN3c107complexIfEES8_E_clES8_S8_@rel32@hi+12
	s_swappc_b64 s[30:31], s[4:5]
	v_mov_b32_e32 v2, v0
	v_mov_b32_e32 v3, v1
.LBB321_25:
	s_or_b64 exec, exec, s[42:43]
	v_mov_b32_dpp v0, v2 row_bcast:31 row_mask:0xf bank_mask:0xf
	v_mov_b32_dpp v1, v3 row_bcast:31 row_mask:0xf bank_mask:0xf
	v_cmp_lt_u32_e32 vcc, 31, v42
	s_and_saveexec_b64 s[42:43], vcc
	s_cbranch_execz .LBB321_27
; %bb.26:
	s_getpc_b64 s[4:5]
	s_add_u32 s4, s4, _ZZZZN2at6native31launch_logcumsumexp_cuda_kernelERKNS_10TensorBaseES3_lENKUlvE_clEvENKUlvE2_clEvENKUlN3c107complexIfEES8_E_clES8_S8_@rel32@lo+4
	s_addc_u32 s5, s5, _ZZZZN2at6native31launch_logcumsumexp_cuda_kernelERKNS_10TensorBaseES3_lENKUlvE_clEvENKUlvE2_clEvENKUlN3c107complexIfEES8_E_clES8_S8_@rel32@hi+12
	s_swappc_b64 s[30:31], s[4:5]
	v_mov_b32_e32 v2, v0
	v_mov_b32_e32 v3, v1
.LBB321_27:
	s_or_b64 exec, exec, s[42:43]
	v_add_u32_e32 v0, -1, v42
	v_and_b32_e32 v1, 64, v42
	v_cmp_lt_i32_e32 vcc, v0, v1
	v_cndmask_b32_e32 v0, v0, v42, vcc
	v_lshlrev_b32_e32 v1, 2, v0
	ds_bpermute_b32 v0, v1, v2
	ds_bpermute_b32 v1, v1, v3
	v_mov_b32_e32 v2, v40
	v_mov_b32_e32 v3, v41
	s_getpc_b64 s[42:43]
	s_add_u32 s42, s42, _ZZZZN2at6native31launch_logcumsumexp_cuda_kernelERKNS_10TensorBaseES3_lENKUlvE_clEvENKUlvE2_clEvENKUlN3c107complexIfEES8_E_clES8_S8_@rel32@lo+4
	s_addc_u32 s43, s43, _ZZZZN2at6native31launch_logcumsumexp_cuda_kernelERKNS_10TensorBaseES3_lENKUlvE_clEvENKUlvE2_clEvENKUlN3c107complexIfEES8_E_clES8_S8_@rel32@hi+12
	s_swappc_b64 s[30:31], s[42:43]
	v_cmp_eq_u32_e32 vcc, 0, v27
	v_cndmask_b32_e32 v0, v0, v54, vcc
	v_cndmask_b32_e32 v1, v1, v55, vcc
	; wave barrier
	ds_write_b64 v60, v[0:1]
	; wave barrier
	ds_read_b64 v[2:3], v60 offset:8
	s_swappc_b64 s[30:31], s[42:43]
	ds_write_b64 v60, v[0:1] offset:8
.LBB321_28:
	s_or_b64 exec, exec, s[40:41]
	v_cmp_ne_u32_e32 vcc, 0, v27
	v_mov_b32_e32 v1, v55
	v_mov_b32_e32 v0, v54
	s_waitcnt lgkmcnt(0)
	s_barrier
	s_and_saveexec_b64 s[4:5], vcc
	s_cbranch_execnz .LBB321_40
; %bb.29:
	s_or_b64 exec, exec, s[4:5]
	s_and_saveexec_b64 s[4:5], vcc
	s_xor_b64 s[40:41], exec, s[4:5]
	s_cbranch_execnz .LBB321_41
.LBB321_30:
	s_andn2_saveexec_b64 s[4:5], s[40:41]
.LBB321_31:
	v_mov_b32_e32 v30, v56
	v_mov_b32_e32 v31, v57
.LBB321_32:
	s_or_b64 exec, exec, s[4:5]
	s_movk_i32 s4, 0xffd0
	s_waitcnt lgkmcnt(0)
	v_mad_i32_i24 v0, v27, s4, v59
	s_barrier
	ds_write2_b64 v59, v[28:29], v[30:31] offset1:1
	ds_write2_b64 v59, v[44:45], v[46:47] offset0:2 offset1:3
	ds_write2_b64 v59, v[48:49], v[50:51] offset0:4 offset1:5
	ds_write_b64 v59, v[54:55] offset:48
	s_waitcnt lgkmcnt(0)
	s_barrier
	ds_read2st64_b64 v[8:11], v0 offset0:2 offset1:4
	ds_read2st64_b64 v[4:7], v0 offset0:6 offset1:8
	;; [unrolled: 1-line block ×3, first 2 shown]
	v_mov_b32_e32 v13, s39
	v_add_co_u32_e32 v12, vcc, s38, v58
	v_addc_co_u32_e32 v13, vcc, 0, v13, vcc
	s_and_saveexec_b64 s[4:5], s[20:21]
	s_cbranch_execnz .LBB321_42
; %bb.33:
	s_or_b64 exec, exec, s[4:5]
	s_and_saveexec_b64 s[4:5], s[22:23]
	s_cbranch_execnz .LBB321_43
.LBB321_34:
	s_or_b64 exec, exec, s[4:5]
	s_and_saveexec_b64 s[4:5], s[24:25]
	s_cbranch_execnz .LBB321_44
.LBB321_35:
	s_or_b64 exec, exec, s[4:5]
	s_and_saveexec_b64 s[4:5], s[26:27]
	s_cbranch_execnz .LBB321_45
.LBB321_36:
	s_or_b64 exec, exec, s[4:5]
	s_and_saveexec_b64 s[4:5], s[28:29]
	s_cbranch_execnz .LBB321_46
.LBB321_37:
	s_or_b64 exec, exec, s[4:5]
	s_and_saveexec_b64 s[4:5], s[34:35]
	s_cbranch_execnz .LBB321_47
.LBB321_38:
	s_or_b64 exec, exec, s[4:5]
	s_and_saveexec_b64 s[4:5], s[36:37]
	s_cbranch_execnz .LBB321_48
.LBB321_39:
	s_endpgm
.LBB321_40:
	v_add_u32_e32 v0, -1, v27
	v_lshrrev_b32_e32 v1, 5, v0
	v_add_lshl_u32 v0, v1, v0, 3
	ds_read_b64 v[0:1], v0
	s_or_b64 exec, exec, s[4:5]
	s_and_saveexec_b64 s[4:5], vcc
	s_xor_b64 s[40:41], exec, s[4:5]
	s_cbranch_execz .LBB321_30
.LBB321_41:
	v_mov_b32_e32 v2, v28
	v_mov_b32_e32 v3, v29
	s_getpc_b64 s[42:43]
	s_add_u32 s42, s42, _ZZZZN2at6native31launch_logcumsumexp_cuda_kernelERKNS_10TensorBaseES3_lENKUlvE_clEvENKUlvE2_clEvENKUlN3c107complexIfEES8_E_clES8_S8_@rel32@lo+4
	s_addc_u32 s43, s43, _ZZZZN2at6native31launch_logcumsumexp_cuda_kernelERKNS_10TensorBaseES3_lENKUlvE_clEvENKUlvE2_clEvENKUlN3c107complexIfEES8_E_clES8_S8_@rel32@hi+12
	s_swappc_b64 s[30:31], s[42:43]
	v_mov_b32_e32 v2, v30
	v_mov_b32_e32 v3, v31
	;; [unrolled: 1-line block ×4, first 2 shown]
	;;#ASMSTART
	;;#ASMEND
	s_swappc_b64 s[30:31], s[42:43]
	v_mov_b32_e32 v2, v36
	v_mov_b32_e32 v3, v37
	v_mov_b32_e32 v30, v0
	v_mov_b32_e32 v31, v1
	s_swappc_b64 s[30:31], s[42:43]
	v_mov_b32_e32 v2, v38
	v_mov_b32_e32 v3, v39
	v_mov_b32_e32 v44, v0
	v_mov_b32_e32 v45, v1
	;; [unrolled: 5-line block ×5, first 2 shown]
	s_swappc_b64 s[30:31], s[42:43]
	v_mov_b32_e32 v54, v0
	v_mov_b32_e32 v55, v1
                                        ; implicit-def: $vgpr56
                                        ; implicit-def: $vgpr57
	s_andn2_saveexec_b64 s[4:5], s[40:41]
	s_cbranch_execnz .LBB321_31
	s_branch .LBB321_32
.LBB321_42:
	ds_read_b64 v[14:15], v58
	s_waitcnt lgkmcnt(0)
	global_store_dwordx2 v[12:13], v[14:15], off
	s_or_b64 exec, exec, s[4:5]
	s_and_saveexec_b64 s[4:5], s[22:23]
	s_cbranch_execz .LBB321_34
.LBB321_43:
	s_waitcnt lgkmcnt(2)
	global_store_dwordx2 v[12:13], v[8:9], off offset:1024
	s_or_b64 exec, exec, s[4:5]
	s_and_saveexec_b64 s[4:5], s[24:25]
	s_cbranch_execz .LBB321_35
.LBB321_44:
	s_waitcnt lgkmcnt(2)
	global_store_dwordx2 v[12:13], v[10:11], off offset:2048
	s_or_b64 exec, exec, s[4:5]
	s_and_saveexec_b64 s[4:5], s[26:27]
	s_cbranch_execz .LBB321_36
.LBB321_45:
	s_waitcnt lgkmcnt(1)
	global_store_dwordx2 v[12:13], v[4:5], off offset:3072
	s_or_b64 exec, exec, s[4:5]
	s_and_saveexec_b64 s[4:5], s[28:29]
	s_cbranch_execz .LBB321_37
.LBB321_46:
	s_waitcnt lgkmcnt(1)
	v_add_co_u32_e32 v4, vcc, 0x1000, v12
	v_addc_co_u32_e32 v5, vcc, 0, v13, vcc
	global_store_dwordx2 v[4:5], v[6:7], off
	s_or_b64 exec, exec, s[4:5]
	s_and_saveexec_b64 s[4:5], s[34:35]
	s_cbranch_execz .LBB321_38
.LBB321_47:
	s_waitcnt lgkmcnt(1)
	v_add_co_u32_e32 v4, vcc, 0x1000, v12
	v_addc_co_u32_e32 v5, vcc, 0, v13, vcc
	s_waitcnt lgkmcnt(0)
	global_store_dwordx2 v[4:5], v[0:1], off offset:1024
	s_or_b64 exec, exec, s[4:5]
	s_and_saveexec_b64 s[4:5], s[36:37]
	s_cbranch_execz .LBB321_39
.LBB321_48:
	s_waitcnt lgkmcnt(0)
	v_add_co_u32_e32 v0, vcc, 0x1000, v12
	v_addc_co_u32_e32 v1, vcc, 0, v13, vcc
	global_store_dwordx2 v[0:1], v[2:3], off offset:2048
	s_endpgm
	.section	.rodata,"a",@progbits
	.p2align	6, 0x0
	.amdhsa_kernel _ZN7rocprim17ROCPRIM_400000_NS6detail17trampoline_kernelINS0_14default_configENS1_20scan_config_selectorIN3c107complexIfEEEEZZNS1_9scan_implILNS1_25lookback_scan_determinismE0ELb0ELb0ES3_PKS7_PS7_S7_ZZZN2at6native31launch_logcumsumexp_cuda_kernelERKNSE_10TensorBaseESI_lENKUlvE_clEvENKUlvE2_clEvEUlS7_S7_E_S7_EEDaPvRmT3_T4_T5_mT6_P12ihipStream_tbENKUlT_T0_E_clISt17integral_constantIbLb1EESY_IbLb0EEEEDaSU_SV_EUlSU_E0_NS1_11comp_targetILNS1_3genE4ELNS1_11target_archE910ELNS1_3gpuE8ELNS1_3repE0EEENS1_30default_config_static_selectorELNS0_4arch9wavefront6targetE1EEEvT1_
		.amdhsa_group_segment_fixed_size 7168
		.amdhsa_private_segment_fixed_size 0
		.amdhsa_kernarg_size 40
		.amdhsa_user_sgpr_count 8
		.amdhsa_user_sgpr_private_segment_buffer 1
		.amdhsa_user_sgpr_dispatch_ptr 0
		.amdhsa_user_sgpr_queue_ptr 0
		.amdhsa_user_sgpr_kernarg_segment_ptr 1
		.amdhsa_user_sgpr_dispatch_id 0
		.amdhsa_user_sgpr_flat_scratch_init 1
		.amdhsa_user_sgpr_kernarg_preload_length 0
		.amdhsa_user_sgpr_kernarg_preload_offset 0
		.amdhsa_user_sgpr_private_segment_size 0
		.amdhsa_uses_dynamic_stack 0
		.amdhsa_system_sgpr_private_segment_wavefront_offset 0
		.amdhsa_system_sgpr_workgroup_id_x 1
		.amdhsa_system_sgpr_workgroup_id_y 0
		.amdhsa_system_sgpr_workgroup_id_z 0
		.amdhsa_system_sgpr_workgroup_info 0
		.amdhsa_system_vgpr_workitem_id 0
		.amdhsa_next_free_vgpr 61
		.amdhsa_next_free_sgpr 44
		.amdhsa_accum_offset 64
		.amdhsa_reserve_vcc 1
		.amdhsa_reserve_flat_scratch 1
		.amdhsa_float_round_mode_32 0
		.amdhsa_float_round_mode_16_64 0
		.amdhsa_float_denorm_mode_32 3
		.amdhsa_float_denorm_mode_16_64 3
		.amdhsa_dx10_clamp 1
		.amdhsa_ieee_mode 1
		.amdhsa_fp16_overflow 0
		.amdhsa_tg_split 0
		.amdhsa_exception_fp_ieee_invalid_op 0
		.amdhsa_exception_fp_denorm_src 0
		.amdhsa_exception_fp_ieee_div_zero 0
		.amdhsa_exception_fp_ieee_overflow 0
		.amdhsa_exception_fp_ieee_underflow 0
		.amdhsa_exception_fp_ieee_inexact 0
		.amdhsa_exception_int_div_zero 0
	.end_amdhsa_kernel
	.section	.text._ZN7rocprim17ROCPRIM_400000_NS6detail17trampoline_kernelINS0_14default_configENS1_20scan_config_selectorIN3c107complexIfEEEEZZNS1_9scan_implILNS1_25lookback_scan_determinismE0ELb0ELb0ES3_PKS7_PS7_S7_ZZZN2at6native31launch_logcumsumexp_cuda_kernelERKNSE_10TensorBaseESI_lENKUlvE_clEvENKUlvE2_clEvEUlS7_S7_E_S7_EEDaPvRmT3_T4_T5_mT6_P12ihipStream_tbENKUlT_T0_E_clISt17integral_constantIbLb1EESY_IbLb0EEEEDaSU_SV_EUlSU_E0_NS1_11comp_targetILNS1_3genE4ELNS1_11target_archE910ELNS1_3gpuE8ELNS1_3repE0EEENS1_30default_config_static_selectorELNS0_4arch9wavefront6targetE1EEEvT1_,"axG",@progbits,_ZN7rocprim17ROCPRIM_400000_NS6detail17trampoline_kernelINS0_14default_configENS1_20scan_config_selectorIN3c107complexIfEEEEZZNS1_9scan_implILNS1_25lookback_scan_determinismE0ELb0ELb0ES3_PKS7_PS7_S7_ZZZN2at6native31launch_logcumsumexp_cuda_kernelERKNSE_10TensorBaseESI_lENKUlvE_clEvENKUlvE2_clEvEUlS7_S7_E_S7_EEDaPvRmT3_T4_T5_mT6_P12ihipStream_tbENKUlT_T0_E_clISt17integral_constantIbLb1EESY_IbLb0EEEEDaSU_SV_EUlSU_E0_NS1_11comp_targetILNS1_3genE4ELNS1_11target_archE910ELNS1_3gpuE8ELNS1_3repE0EEENS1_30default_config_static_selectorELNS0_4arch9wavefront6targetE1EEEvT1_,comdat
.Lfunc_end321:
	.size	_ZN7rocprim17ROCPRIM_400000_NS6detail17trampoline_kernelINS0_14default_configENS1_20scan_config_selectorIN3c107complexIfEEEEZZNS1_9scan_implILNS1_25lookback_scan_determinismE0ELb0ELb0ES3_PKS7_PS7_S7_ZZZN2at6native31launch_logcumsumexp_cuda_kernelERKNSE_10TensorBaseESI_lENKUlvE_clEvENKUlvE2_clEvEUlS7_S7_E_S7_EEDaPvRmT3_T4_T5_mT6_P12ihipStream_tbENKUlT_T0_E_clISt17integral_constantIbLb1EESY_IbLb0EEEEDaSU_SV_EUlSU_E0_NS1_11comp_targetILNS1_3genE4ELNS1_11target_archE910ELNS1_3gpuE8ELNS1_3repE0EEENS1_30default_config_static_selectorELNS0_4arch9wavefront6targetE1EEEvT1_, .Lfunc_end321-_ZN7rocprim17ROCPRIM_400000_NS6detail17trampoline_kernelINS0_14default_configENS1_20scan_config_selectorIN3c107complexIfEEEEZZNS1_9scan_implILNS1_25lookback_scan_determinismE0ELb0ELb0ES3_PKS7_PS7_S7_ZZZN2at6native31launch_logcumsumexp_cuda_kernelERKNSE_10TensorBaseESI_lENKUlvE_clEvENKUlvE2_clEvEUlS7_S7_E_S7_EEDaPvRmT3_T4_T5_mT6_P12ihipStream_tbENKUlT_T0_E_clISt17integral_constantIbLb1EESY_IbLb0EEEEDaSU_SV_EUlSU_E0_NS1_11comp_targetILNS1_3genE4ELNS1_11target_archE910ELNS1_3gpuE8ELNS1_3repE0EEENS1_30default_config_static_selectorELNS0_4arch9wavefront6targetE1EEEvT1_
                                        ; -- End function
	.section	.AMDGPU.csdata,"",@progbits
; Kernel info:
; codeLenInByte = 1888
; NumSgprs: 50
; NumVgprs: 61
; NumAgprs: 0
; TotalNumVgprs: 61
; ScratchSize: 0
; MemoryBound: 0
; FloatMode: 240
; IeeeMode: 1
; LDSByteSize: 7168 bytes/workgroup (compile time only)
; SGPRBlocks: 6
; VGPRBlocks: 7
; NumSGPRsForWavesPerEU: 50
; NumVGPRsForWavesPerEU: 61
; AccumOffset: 64
; Occupancy: 5
; WaveLimiterHint : 0
; COMPUTE_PGM_RSRC2:SCRATCH_EN: 0
; COMPUTE_PGM_RSRC2:USER_SGPR: 8
; COMPUTE_PGM_RSRC2:TRAP_HANDLER: 0
; COMPUTE_PGM_RSRC2:TGID_X_EN: 1
; COMPUTE_PGM_RSRC2:TGID_Y_EN: 0
; COMPUTE_PGM_RSRC2:TGID_Z_EN: 0
; COMPUTE_PGM_RSRC2:TIDIG_COMP_CNT: 0
; COMPUTE_PGM_RSRC3_GFX90A:ACCUM_OFFSET: 15
; COMPUTE_PGM_RSRC3_GFX90A:TG_SPLIT: 0
	.section	.text._ZN7rocprim17ROCPRIM_400000_NS6detail17trampoline_kernelINS0_14default_configENS1_20scan_config_selectorIN3c107complexIfEEEEZZNS1_9scan_implILNS1_25lookback_scan_determinismE0ELb0ELb0ES3_PKS7_PS7_S7_ZZZN2at6native31launch_logcumsumexp_cuda_kernelERKNSE_10TensorBaseESI_lENKUlvE_clEvENKUlvE2_clEvEUlS7_S7_E_S7_EEDaPvRmT3_T4_T5_mT6_P12ihipStream_tbENKUlT_T0_E_clISt17integral_constantIbLb1EESY_IbLb0EEEEDaSU_SV_EUlSU_E0_NS1_11comp_targetILNS1_3genE3ELNS1_11target_archE908ELNS1_3gpuE7ELNS1_3repE0EEENS1_30default_config_static_selectorELNS0_4arch9wavefront6targetE1EEEvT1_,"axG",@progbits,_ZN7rocprim17ROCPRIM_400000_NS6detail17trampoline_kernelINS0_14default_configENS1_20scan_config_selectorIN3c107complexIfEEEEZZNS1_9scan_implILNS1_25lookback_scan_determinismE0ELb0ELb0ES3_PKS7_PS7_S7_ZZZN2at6native31launch_logcumsumexp_cuda_kernelERKNSE_10TensorBaseESI_lENKUlvE_clEvENKUlvE2_clEvEUlS7_S7_E_S7_EEDaPvRmT3_T4_T5_mT6_P12ihipStream_tbENKUlT_T0_E_clISt17integral_constantIbLb1EESY_IbLb0EEEEDaSU_SV_EUlSU_E0_NS1_11comp_targetILNS1_3genE3ELNS1_11target_archE908ELNS1_3gpuE7ELNS1_3repE0EEENS1_30default_config_static_selectorELNS0_4arch9wavefront6targetE1EEEvT1_,comdat
	.globl	_ZN7rocprim17ROCPRIM_400000_NS6detail17trampoline_kernelINS0_14default_configENS1_20scan_config_selectorIN3c107complexIfEEEEZZNS1_9scan_implILNS1_25lookback_scan_determinismE0ELb0ELb0ES3_PKS7_PS7_S7_ZZZN2at6native31launch_logcumsumexp_cuda_kernelERKNSE_10TensorBaseESI_lENKUlvE_clEvENKUlvE2_clEvEUlS7_S7_E_S7_EEDaPvRmT3_T4_T5_mT6_P12ihipStream_tbENKUlT_T0_E_clISt17integral_constantIbLb1EESY_IbLb0EEEEDaSU_SV_EUlSU_E0_NS1_11comp_targetILNS1_3genE3ELNS1_11target_archE908ELNS1_3gpuE7ELNS1_3repE0EEENS1_30default_config_static_selectorELNS0_4arch9wavefront6targetE1EEEvT1_ ; -- Begin function _ZN7rocprim17ROCPRIM_400000_NS6detail17trampoline_kernelINS0_14default_configENS1_20scan_config_selectorIN3c107complexIfEEEEZZNS1_9scan_implILNS1_25lookback_scan_determinismE0ELb0ELb0ES3_PKS7_PS7_S7_ZZZN2at6native31launch_logcumsumexp_cuda_kernelERKNSE_10TensorBaseESI_lENKUlvE_clEvENKUlvE2_clEvEUlS7_S7_E_S7_EEDaPvRmT3_T4_T5_mT6_P12ihipStream_tbENKUlT_T0_E_clISt17integral_constantIbLb1EESY_IbLb0EEEEDaSU_SV_EUlSU_E0_NS1_11comp_targetILNS1_3genE3ELNS1_11target_archE908ELNS1_3gpuE7ELNS1_3repE0EEENS1_30default_config_static_selectorELNS0_4arch9wavefront6targetE1EEEvT1_
	.p2align	8
	.type	_ZN7rocprim17ROCPRIM_400000_NS6detail17trampoline_kernelINS0_14default_configENS1_20scan_config_selectorIN3c107complexIfEEEEZZNS1_9scan_implILNS1_25lookback_scan_determinismE0ELb0ELb0ES3_PKS7_PS7_S7_ZZZN2at6native31launch_logcumsumexp_cuda_kernelERKNSE_10TensorBaseESI_lENKUlvE_clEvENKUlvE2_clEvEUlS7_S7_E_S7_EEDaPvRmT3_T4_T5_mT6_P12ihipStream_tbENKUlT_T0_E_clISt17integral_constantIbLb1EESY_IbLb0EEEEDaSU_SV_EUlSU_E0_NS1_11comp_targetILNS1_3genE3ELNS1_11target_archE908ELNS1_3gpuE7ELNS1_3repE0EEENS1_30default_config_static_selectorELNS0_4arch9wavefront6targetE1EEEvT1_,@function
_ZN7rocprim17ROCPRIM_400000_NS6detail17trampoline_kernelINS0_14default_configENS1_20scan_config_selectorIN3c107complexIfEEEEZZNS1_9scan_implILNS1_25lookback_scan_determinismE0ELb0ELb0ES3_PKS7_PS7_S7_ZZZN2at6native31launch_logcumsumexp_cuda_kernelERKNSE_10TensorBaseESI_lENKUlvE_clEvENKUlvE2_clEvEUlS7_S7_E_S7_EEDaPvRmT3_T4_T5_mT6_P12ihipStream_tbENKUlT_T0_E_clISt17integral_constantIbLb1EESY_IbLb0EEEEDaSU_SV_EUlSU_E0_NS1_11comp_targetILNS1_3genE3ELNS1_11target_archE908ELNS1_3gpuE7ELNS1_3repE0EEENS1_30default_config_static_selectorELNS0_4arch9wavefront6targetE1EEEvT1_: ; @_ZN7rocprim17ROCPRIM_400000_NS6detail17trampoline_kernelINS0_14default_configENS1_20scan_config_selectorIN3c107complexIfEEEEZZNS1_9scan_implILNS1_25lookback_scan_determinismE0ELb0ELb0ES3_PKS7_PS7_S7_ZZZN2at6native31launch_logcumsumexp_cuda_kernelERKNSE_10TensorBaseESI_lENKUlvE_clEvENKUlvE2_clEvEUlS7_S7_E_S7_EEDaPvRmT3_T4_T5_mT6_P12ihipStream_tbENKUlT_T0_E_clISt17integral_constantIbLb1EESY_IbLb0EEEEDaSU_SV_EUlSU_E0_NS1_11comp_targetILNS1_3genE3ELNS1_11target_archE908ELNS1_3gpuE7ELNS1_3repE0EEENS1_30default_config_static_selectorELNS0_4arch9wavefront6targetE1EEEvT1_
; %bb.0:
	.section	.rodata,"a",@progbits
	.p2align	6, 0x0
	.amdhsa_kernel _ZN7rocprim17ROCPRIM_400000_NS6detail17trampoline_kernelINS0_14default_configENS1_20scan_config_selectorIN3c107complexIfEEEEZZNS1_9scan_implILNS1_25lookback_scan_determinismE0ELb0ELb0ES3_PKS7_PS7_S7_ZZZN2at6native31launch_logcumsumexp_cuda_kernelERKNSE_10TensorBaseESI_lENKUlvE_clEvENKUlvE2_clEvEUlS7_S7_E_S7_EEDaPvRmT3_T4_T5_mT6_P12ihipStream_tbENKUlT_T0_E_clISt17integral_constantIbLb1EESY_IbLb0EEEEDaSU_SV_EUlSU_E0_NS1_11comp_targetILNS1_3genE3ELNS1_11target_archE908ELNS1_3gpuE7ELNS1_3repE0EEENS1_30default_config_static_selectorELNS0_4arch9wavefront6targetE1EEEvT1_
		.amdhsa_group_segment_fixed_size 0
		.amdhsa_private_segment_fixed_size 0
		.amdhsa_kernarg_size 40
		.amdhsa_user_sgpr_count 6
		.amdhsa_user_sgpr_private_segment_buffer 1
		.amdhsa_user_sgpr_dispatch_ptr 0
		.amdhsa_user_sgpr_queue_ptr 0
		.amdhsa_user_sgpr_kernarg_segment_ptr 1
		.amdhsa_user_sgpr_dispatch_id 0
		.amdhsa_user_sgpr_flat_scratch_init 0
		.amdhsa_user_sgpr_kernarg_preload_length 0
		.amdhsa_user_sgpr_kernarg_preload_offset 0
		.amdhsa_user_sgpr_private_segment_size 0
		.amdhsa_uses_dynamic_stack 0
		.amdhsa_system_sgpr_private_segment_wavefront_offset 0
		.amdhsa_system_sgpr_workgroup_id_x 1
		.amdhsa_system_sgpr_workgroup_id_y 0
		.amdhsa_system_sgpr_workgroup_id_z 0
		.amdhsa_system_sgpr_workgroup_info 0
		.amdhsa_system_vgpr_workitem_id 0
		.amdhsa_next_free_vgpr 1
		.amdhsa_next_free_sgpr 0
		.amdhsa_accum_offset 4
		.amdhsa_reserve_vcc 0
		.amdhsa_reserve_flat_scratch 0
		.amdhsa_float_round_mode_32 0
		.amdhsa_float_round_mode_16_64 0
		.amdhsa_float_denorm_mode_32 3
		.amdhsa_float_denorm_mode_16_64 3
		.amdhsa_dx10_clamp 1
		.amdhsa_ieee_mode 1
		.amdhsa_fp16_overflow 0
		.amdhsa_tg_split 0
		.amdhsa_exception_fp_ieee_invalid_op 0
		.amdhsa_exception_fp_denorm_src 0
		.amdhsa_exception_fp_ieee_div_zero 0
		.amdhsa_exception_fp_ieee_overflow 0
		.amdhsa_exception_fp_ieee_underflow 0
		.amdhsa_exception_fp_ieee_inexact 0
		.amdhsa_exception_int_div_zero 0
	.end_amdhsa_kernel
	.section	.text._ZN7rocprim17ROCPRIM_400000_NS6detail17trampoline_kernelINS0_14default_configENS1_20scan_config_selectorIN3c107complexIfEEEEZZNS1_9scan_implILNS1_25lookback_scan_determinismE0ELb0ELb0ES3_PKS7_PS7_S7_ZZZN2at6native31launch_logcumsumexp_cuda_kernelERKNSE_10TensorBaseESI_lENKUlvE_clEvENKUlvE2_clEvEUlS7_S7_E_S7_EEDaPvRmT3_T4_T5_mT6_P12ihipStream_tbENKUlT_T0_E_clISt17integral_constantIbLb1EESY_IbLb0EEEEDaSU_SV_EUlSU_E0_NS1_11comp_targetILNS1_3genE3ELNS1_11target_archE908ELNS1_3gpuE7ELNS1_3repE0EEENS1_30default_config_static_selectorELNS0_4arch9wavefront6targetE1EEEvT1_,"axG",@progbits,_ZN7rocprim17ROCPRIM_400000_NS6detail17trampoline_kernelINS0_14default_configENS1_20scan_config_selectorIN3c107complexIfEEEEZZNS1_9scan_implILNS1_25lookback_scan_determinismE0ELb0ELb0ES3_PKS7_PS7_S7_ZZZN2at6native31launch_logcumsumexp_cuda_kernelERKNSE_10TensorBaseESI_lENKUlvE_clEvENKUlvE2_clEvEUlS7_S7_E_S7_EEDaPvRmT3_T4_T5_mT6_P12ihipStream_tbENKUlT_T0_E_clISt17integral_constantIbLb1EESY_IbLb0EEEEDaSU_SV_EUlSU_E0_NS1_11comp_targetILNS1_3genE3ELNS1_11target_archE908ELNS1_3gpuE7ELNS1_3repE0EEENS1_30default_config_static_selectorELNS0_4arch9wavefront6targetE1EEEvT1_,comdat
.Lfunc_end322:
	.size	_ZN7rocprim17ROCPRIM_400000_NS6detail17trampoline_kernelINS0_14default_configENS1_20scan_config_selectorIN3c107complexIfEEEEZZNS1_9scan_implILNS1_25lookback_scan_determinismE0ELb0ELb0ES3_PKS7_PS7_S7_ZZZN2at6native31launch_logcumsumexp_cuda_kernelERKNSE_10TensorBaseESI_lENKUlvE_clEvENKUlvE2_clEvEUlS7_S7_E_S7_EEDaPvRmT3_T4_T5_mT6_P12ihipStream_tbENKUlT_T0_E_clISt17integral_constantIbLb1EESY_IbLb0EEEEDaSU_SV_EUlSU_E0_NS1_11comp_targetILNS1_3genE3ELNS1_11target_archE908ELNS1_3gpuE7ELNS1_3repE0EEENS1_30default_config_static_selectorELNS0_4arch9wavefront6targetE1EEEvT1_, .Lfunc_end322-_ZN7rocprim17ROCPRIM_400000_NS6detail17trampoline_kernelINS0_14default_configENS1_20scan_config_selectorIN3c107complexIfEEEEZZNS1_9scan_implILNS1_25lookback_scan_determinismE0ELb0ELb0ES3_PKS7_PS7_S7_ZZZN2at6native31launch_logcumsumexp_cuda_kernelERKNSE_10TensorBaseESI_lENKUlvE_clEvENKUlvE2_clEvEUlS7_S7_E_S7_EEDaPvRmT3_T4_T5_mT6_P12ihipStream_tbENKUlT_T0_E_clISt17integral_constantIbLb1EESY_IbLb0EEEEDaSU_SV_EUlSU_E0_NS1_11comp_targetILNS1_3genE3ELNS1_11target_archE908ELNS1_3gpuE7ELNS1_3repE0EEENS1_30default_config_static_selectorELNS0_4arch9wavefront6targetE1EEEvT1_
                                        ; -- End function
	.section	.AMDGPU.csdata,"",@progbits
; Kernel info:
; codeLenInByte = 0
; NumSgprs: 4
; NumVgprs: 0
; NumAgprs: 0
; TotalNumVgprs: 0
; ScratchSize: 0
; MemoryBound: 0
; FloatMode: 240
; IeeeMode: 1
; LDSByteSize: 0 bytes/workgroup (compile time only)
; SGPRBlocks: 0
; VGPRBlocks: 0
; NumSGPRsForWavesPerEU: 4
; NumVGPRsForWavesPerEU: 1
; AccumOffset: 4
; Occupancy: 8
; WaveLimiterHint : 0
; COMPUTE_PGM_RSRC2:SCRATCH_EN: 0
; COMPUTE_PGM_RSRC2:USER_SGPR: 6
; COMPUTE_PGM_RSRC2:TRAP_HANDLER: 0
; COMPUTE_PGM_RSRC2:TGID_X_EN: 1
; COMPUTE_PGM_RSRC2:TGID_Y_EN: 0
; COMPUTE_PGM_RSRC2:TGID_Z_EN: 0
; COMPUTE_PGM_RSRC2:TIDIG_COMP_CNT: 0
; COMPUTE_PGM_RSRC3_GFX90A:ACCUM_OFFSET: 0
; COMPUTE_PGM_RSRC3_GFX90A:TG_SPLIT: 0
	.section	.text._ZN7rocprim17ROCPRIM_400000_NS6detail17trampoline_kernelINS0_14default_configENS1_20scan_config_selectorIN3c107complexIfEEEEZZNS1_9scan_implILNS1_25lookback_scan_determinismE0ELb0ELb0ES3_PKS7_PS7_S7_ZZZN2at6native31launch_logcumsumexp_cuda_kernelERKNSE_10TensorBaseESI_lENKUlvE_clEvENKUlvE2_clEvEUlS7_S7_E_S7_EEDaPvRmT3_T4_T5_mT6_P12ihipStream_tbENKUlT_T0_E_clISt17integral_constantIbLb1EESY_IbLb0EEEEDaSU_SV_EUlSU_E0_NS1_11comp_targetILNS1_3genE2ELNS1_11target_archE906ELNS1_3gpuE6ELNS1_3repE0EEENS1_30default_config_static_selectorELNS0_4arch9wavefront6targetE1EEEvT1_,"axG",@progbits,_ZN7rocprim17ROCPRIM_400000_NS6detail17trampoline_kernelINS0_14default_configENS1_20scan_config_selectorIN3c107complexIfEEEEZZNS1_9scan_implILNS1_25lookback_scan_determinismE0ELb0ELb0ES3_PKS7_PS7_S7_ZZZN2at6native31launch_logcumsumexp_cuda_kernelERKNSE_10TensorBaseESI_lENKUlvE_clEvENKUlvE2_clEvEUlS7_S7_E_S7_EEDaPvRmT3_T4_T5_mT6_P12ihipStream_tbENKUlT_T0_E_clISt17integral_constantIbLb1EESY_IbLb0EEEEDaSU_SV_EUlSU_E0_NS1_11comp_targetILNS1_3genE2ELNS1_11target_archE906ELNS1_3gpuE6ELNS1_3repE0EEENS1_30default_config_static_selectorELNS0_4arch9wavefront6targetE1EEEvT1_,comdat
	.globl	_ZN7rocprim17ROCPRIM_400000_NS6detail17trampoline_kernelINS0_14default_configENS1_20scan_config_selectorIN3c107complexIfEEEEZZNS1_9scan_implILNS1_25lookback_scan_determinismE0ELb0ELb0ES3_PKS7_PS7_S7_ZZZN2at6native31launch_logcumsumexp_cuda_kernelERKNSE_10TensorBaseESI_lENKUlvE_clEvENKUlvE2_clEvEUlS7_S7_E_S7_EEDaPvRmT3_T4_T5_mT6_P12ihipStream_tbENKUlT_T0_E_clISt17integral_constantIbLb1EESY_IbLb0EEEEDaSU_SV_EUlSU_E0_NS1_11comp_targetILNS1_3genE2ELNS1_11target_archE906ELNS1_3gpuE6ELNS1_3repE0EEENS1_30default_config_static_selectorELNS0_4arch9wavefront6targetE1EEEvT1_ ; -- Begin function _ZN7rocprim17ROCPRIM_400000_NS6detail17trampoline_kernelINS0_14default_configENS1_20scan_config_selectorIN3c107complexIfEEEEZZNS1_9scan_implILNS1_25lookback_scan_determinismE0ELb0ELb0ES3_PKS7_PS7_S7_ZZZN2at6native31launch_logcumsumexp_cuda_kernelERKNSE_10TensorBaseESI_lENKUlvE_clEvENKUlvE2_clEvEUlS7_S7_E_S7_EEDaPvRmT3_T4_T5_mT6_P12ihipStream_tbENKUlT_T0_E_clISt17integral_constantIbLb1EESY_IbLb0EEEEDaSU_SV_EUlSU_E0_NS1_11comp_targetILNS1_3genE2ELNS1_11target_archE906ELNS1_3gpuE6ELNS1_3repE0EEENS1_30default_config_static_selectorELNS0_4arch9wavefront6targetE1EEEvT1_
	.p2align	8
	.type	_ZN7rocprim17ROCPRIM_400000_NS6detail17trampoline_kernelINS0_14default_configENS1_20scan_config_selectorIN3c107complexIfEEEEZZNS1_9scan_implILNS1_25lookback_scan_determinismE0ELb0ELb0ES3_PKS7_PS7_S7_ZZZN2at6native31launch_logcumsumexp_cuda_kernelERKNSE_10TensorBaseESI_lENKUlvE_clEvENKUlvE2_clEvEUlS7_S7_E_S7_EEDaPvRmT3_T4_T5_mT6_P12ihipStream_tbENKUlT_T0_E_clISt17integral_constantIbLb1EESY_IbLb0EEEEDaSU_SV_EUlSU_E0_NS1_11comp_targetILNS1_3genE2ELNS1_11target_archE906ELNS1_3gpuE6ELNS1_3repE0EEENS1_30default_config_static_selectorELNS0_4arch9wavefront6targetE1EEEvT1_,@function
_ZN7rocprim17ROCPRIM_400000_NS6detail17trampoline_kernelINS0_14default_configENS1_20scan_config_selectorIN3c107complexIfEEEEZZNS1_9scan_implILNS1_25lookback_scan_determinismE0ELb0ELb0ES3_PKS7_PS7_S7_ZZZN2at6native31launch_logcumsumexp_cuda_kernelERKNSE_10TensorBaseESI_lENKUlvE_clEvENKUlvE2_clEvEUlS7_S7_E_S7_EEDaPvRmT3_T4_T5_mT6_P12ihipStream_tbENKUlT_T0_E_clISt17integral_constantIbLb1EESY_IbLb0EEEEDaSU_SV_EUlSU_E0_NS1_11comp_targetILNS1_3genE2ELNS1_11target_archE906ELNS1_3gpuE6ELNS1_3repE0EEENS1_30default_config_static_selectorELNS0_4arch9wavefront6targetE1EEEvT1_: ; @_ZN7rocprim17ROCPRIM_400000_NS6detail17trampoline_kernelINS0_14default_configENS1_20scan_config_selectorIN3c107complexIfEEEEZZNS1_9scan_implILNS1_25lookback_scan_determinismE0ELb0ELb0ES3_PKS7_PS7_S7_ZZZN2at6native31launch_logcumsumexp_cuda_kernelERKNSE_10TensorBaseESI_lENKUlvE_clEvENKUlvE2_clEvEUlS7_S7_E_S7_EEDaPvRmT3_T4_T5_mT6_P12ihipStream_tbENKUlT_T0_E_clISt17integral_constantIbLb1EESY_IbLb0EEEEDaSU_SV_EUlSU_E0_NS1_11comp_targetILNS1_3genE2ELNS1_11target_archE906ELNS1_3gpuE6ELNS1_3repE0EEENS1_30default_config_static_selectorELNS0_4arch9wavefront6targetE1EEEvT1_
; %bb.0:
	.section	.rodata,"a",@progbits
	.p2align	6, 0x0
	.amdhsa_kernel _ZN7rocprim17ROCPRIM_400000_NS6detail17trampoline_kernelINS0_14default_configENS1_20scan_config_selectorIN3c107complexIfEEEEZZNS1_9scan_implILNS1_25lookback_scan_determinismE0ELb0ELb0ES3_PKS7_PS7_S7_ZZZN2at6native31launch_logcumsumexp_cuda_kernelERKNSE_10TensorBaseESI_lENKUlvE_clEvENKUlvE2_clEvEUlS7_S7_E_S7_EEDaPvRmT3_T4_T5_mT6_P12ihipStream_tbENKUlT_T0_E_clISt17integral_constantIbLb1EESY_IbLb0EEEEDaSU_SV_EUlSU_E0_NS1_11comp_targetILNS1_3genE2ELNS1_11target_archE906ELNS1_3gpuE6ELNS1_3repE0EEENS1_30default_config_static_selectorELNS0_4arch9wavefront6targetE1EEEvT1_
		.amdhsa_group_segment_fixed_size 0
		.amdhsa_private_segment_fixed_size 0
		.amdhsa_kernarg_size 40
		.amdhsa_user_sgpr_count 6
		.amdhsa_user_sgpr_private_segment_buffer 1
		.amdhsa_user_sgpr_dispatch_ptr 0
		.amdhsa_user_sgpr_queue_ptr 0
		.amdhsa_user_sgpr_kernarg_segment_ptr 1
		.amdhsa_user_sgpr_dispatch_id 0
		.amdhsa_user_sgpr_flat_scratch_init 0
		.amdhsa_user_sgpr_kernarg_preload_length 0
		.amdhsa_user_sgpr_kernarg_preload_offset 0
		.amdhsa_user_sgpr_private_segment_size 0
		.amdhsa_uses_dynamic_stack 0
		.amdhsa_system_sgpr_private_segment_wavefront_offset 0
		.amdhsa_system_sgpr_workgroup_id_x 1
		.amdhsa_system_sgpr_workgroup_id_y 0
		.amdhsa_system_sgpr_workgroup_id_z 0
		.amdhsa_system_sgpr_workgroup_info 0
		.amdhsa_system_vgpr_workitem_id 0
		.amdhsa_next_free_vgpr 1
		.amdhsa_next_free_sgpr 0
		.amdhsa_accum_offset 4
		.amdhsa_reserve_vcc 0
		.amdhsa_reserve_flat_scratch 0
		.amdhsa_float_round_mode_32 0
		.amdhsa_float_round_mode_16_64 0
		.amdhsa_float_denorm_mode_32 3
		.amdhsa_float_denorm_mode_16_64 3
		.amdhsa_dx10_clamp 1
		.amdhsa_ieee_mode 1
		.amdhsa_fp16_overflow 0
		.amdhsa_tg_split 0
		.amdhsa_exception_fp_ieee_invalid_op 0
		.amdhsa_exception_fp_denorm_src 0
		.amdhsa_exception_fp_ieee_div_zero 0
		.amdhsa_exception_fp_ieee_overflow 0
		.amdhsa_exception_fp_ieee_underflow 0
		.amdhsa_exception_fp_ieee_inexact 0
		.amdhsa_exception_int_div_zero 0
	.end_amdhsa_kernel
	.section	.text._ZN7rocprim17ROCPRIM_400000_NS6detail17trampoline_kernelINS0_14default_configENS1_20scan_config_selectorIN3c107complexIfEEEEZZNS1_9scan_implILNS1_25lookback_scan_determinismE0ELb0ELb0ES3_PKS7_PS7_S7_ZZZN2at6native31launch_logcumsumexp_cuda_kernelERKNSE_10TensorBaseESI_lENKUlvE_clEvENKUlvE2_clEvEUlS7_S7_E_S7_EEDaPvRmT3_T4_T5_mT6_P12ihipStream_tbENKUlT_T0_E_clISt17integral_constantIbLb1EESY_IbLb0EEEEDaSU_SV_EUlSU_E0_NS1_11comp_targetILNS1_3genE2ELNS1_11target_archE906ELNS1_3gpuE6ELNS1_3repE0EEENS1_30default_config_static_selectorELNS0_4arch9wavefront6targetE1EEEvT1_,"axG",@progbits,_ZN7rocprim17ROCPRIM_400000_NS6detail17trampoline_kernelINS0_14default_configENS1_20scan_config_selectorIN3c107complexIfEEEEZZNS1_9scan_implILNS1_25lookback_scan_determinismE0ELb0ELb0ES3_PKS7_PS7_S7_ZZZN2at6native31launch_logcumsumexp_cuda_kernelERKNSE_10TensorBaseESI_lENKUlvE_clEvENKUlvE2_clEvEUlS7_S7_E_S7_EEDaPvRmT3_T4_T5_mT6_P12ihipStream_tbENKUlT_T0_E_clISt17integral_constantIbLb1EESY_IbLb0EEEEDaSU_SV_EUlSU_E0_NS1_11comp_targetILNS1_3genE2ELNS1_11target_archE906ELNS1_3gpuE6ELNS1_3repE0EEENS1_30default_config_static_selectorELNS0_4arch9wavefront6targetE1EEEvT1_,comdat
.Lfunc_end323:
	.size	_ZN7rocprim17ROCPRIM_400000_NS6detail17trampoline_kernelINS0_14default_configENS1_20scan_config_selectorIN3c107complexIfEEEEZZNS1_9scan_implILNS1_25lookback_scan_determinismE0ELb0ELb0ES3_PKS7_PS7_S7_ZZZN2at6native31launch_logcumsumexp_cuda_kernelERKNSE_10TensorBaseESI_lENKUlvE_clEvENKUlvE2_clEvEUlS7_S7_E_S7_EEDaPvRmT3_T4_T5_mT6_P12ihipStream_tbENKUlT_T0_E_clISt17integral_constantIbLb1EESY_IbLb0EEEEDaSU_SV_EUlSU_E0_NS1_11comp_targetILNS1_3genE2ELNS1_11target_archE906ELNS1_3gpuE6ELNS1_3repE0EEENS1_30default_config_static_selectorELNS0_4arch9wavefront6targetE1EEEvT1_, .Lfunc_end323-_ZN7rocprim17ROCPRIM_400000_NS6detail17trampoline_kernelINS0_14default_configENS1_20scan_config_selectorIN3c107complexIfEEEEZZNS1_9scan_implILNS1_25lookback_scan_determinismE0ELb0ELb0ES3_PKS7_PS7_S7_ZZZN2at6native31launch_logcumsumexp_cuda_kernelERKNSE_10TensorBaseESI_lENKUlvE_clEvENKUlvE2_clEvEUlS7_S7_E_S7_EEDaPvRmT3_T4_T5_mT6_P12ihipStream_tbENKUlT_T0_E_clISt17integral_constantIbLb1EESY_IbLb0EEEEDaSU_SV_EUlSU_E0_NS1_11comp_targetILNS1_3genE2ELNS1_11target_archE906ELNS1_3gpuE6ELNS1_3repE0EEENS1_30default_config_static_selectorELNS0_4arch9wavefront6targetE1EEEvT1_
                                        ; -- End function
	.section	.AMDGPU.csdata,"",@progbits
; Kernel info:
; codeLenInByte = 0
; NumSgprs: 4
; NumVgprs: 0
; NumAgprs: 0
; TotalNumVgprs: 0
; ScratchSize: 0
; MemoryBound: 0
; FloatMode: 240
; IeeeMode: 1
; LDSByteSize: 0 bytes/workgroup (compile time only)
; SGPRBlocks: 0
; VGPRBlocks: 0
; NumSGPRsForWavesPerEU: 4
; NumVGPRsForWavesPerEU: 1
; AccumOffset: 4
; Occupancy: 8
; WaveLimiterHint : 0
; COMPUTE_PGM_RSRC2:SCRATCH_EN: 0
; COMPUTE_PGM_RSRC2:USER_SGPR: 6
; COMPUTE_PGM_RSRC2:TRAP_HANDLER: 0
; COMPUTE_PGM_RSRC2:TGID_X_EN: 1
; COMPUTE_PGM_RSRC2:TGID_Y_EN: 0
; COMPUTE_PGM_RSRC2:TGID_Z_EN: 0
; COMPUTE_PGM_RSRC2:TIDIG_COMP_CNT: 0
; COMPUTE_PGM_RSRC3_GFX90A:ACCUM_OFFSET: 0
; COMPUTE_PGM_RSRC3_GFX90A:TG_SPLIT: 0
	.section	.text._ZN7rocprim17ROCPRIM_400000_NS6detail17trampoline_kernelINS0_14default_configENS1_20scan_config_selectorIN3c107complexIfEEEEZZNS1_9scan_implILNS1_25lookback_scan_determinismE0ELb0ELb0ES3_PKS7_PS7_S7_ZZZN2at6native31launch_logcumsumexp_cuda_kernelERKNSE_10TensorBaseESI_lENKUlvE_clEvENKUlvE2_clEvEUlS7_S7_E_S7_EEDaPvRmT3_T4_T5_mT6_P12ihipStream_tbENKUlT_T0_E_clISt17integral_constantIbLb1EESY_IbLb0EEEEDaSU_SV_EUlSU_E0_NS1_11comp_targetILNS1_3genE10ELNS1_11target_archE1201ELNS1_3gpuE5ELNS1_3repE0EEENS1_30default_config_static_selectorELNS0_4arch9wavefront6targetE1EEEvT1_,"axG",@progbits,_ZN7rocprim17ROCPRIM_400000_NS6detail17trampoline_kernelINS0_14default_configENS1_20scan_config_selectorIN3c107complexIfEEEEZZNS1_9scan_implILNS1_25lookback_scan_determinismE0ELb0ELb0ES3_PKS7_PS7_S7_ZZZN2at6native31launch_logcumsumexp_cuda_kernelERKNSE_10TensorBaseESI_lENKUlvE_clEvENKUlvE2_clEvEUlS7_S7_E_S7_EEDaPvRmT3_T4_T5_mT6_P12ihipStream_tbENKUlT_T0_E_clISt17integral_constantIbLb1EESY_IbLb0EEEEDaSU_SV_EUlSU_E0_NS1_11comp_targetILNS1_3genE10ELNS1_11target_archE1201ELNS1_3gpuE5ELNS1_3repE0EEENS1_30default_config_static_selectorELNS0_4arch9wavefront6targetE1EEEvT1_,comdat
	.globl	_ZN7rocprim17ROCPRIM_400000_NS6detail17trampoline_kernelINS0_14default_configENS1_20scan_config_selectorIN3c107complexIfEEEEZZNS1_9scan_implILNS1_25lookback_scan_determinismE0ELb0ELb0ES3_PKS7_PS7_S7_ZZZN2at6native31launch_logcumsumexp_cuda_kernelERKNSE_10TensorBaseESI_lENKUlvE_clEvENKUlvE2_clEvEUlS7_S7_E_S7_EEDaPvRmT3_T4_T5_mT6_P12ihipStream_tbENKUlT_T0_E_clISt17integral_constantIbLb1EESY_IbLb0EEEEDaSU_SV_EUlSU_E0_NS1_11comp_targetILNS1_3genE10ELNS1_11target_archE1201ELNS1_3gpuE5ELNS1_3repE0EEENS1_30default_config_static_selectorELNS0_4arch9wavefront6targetE1EEEvT1_ ; -- Begin function _ZN7rocprim17ROCPRIM_400000_NS6detail17trampoline_kernelINS0_14default_configENS1_20scan_config_selectorIN3c107complexIfEEEEZZNS1_9scan_implILNS1_25lookback_scan_determinismE0ELb0ELb0ES3_PKS7_PS7_S7_ZZZN2at6native31launch_logcumsumexp_cuda_kernelERKNSE_10TensorBaseESI_lENKUlvE_clEvENKUlvE2_clEvEUlS7_S7_E_S7_EEDaPvRmT3_T4_T5_mT6_P12ihipStream_tbENKUlT_T0_E_clISt17integral_constantIbLb1EESY_IbLb0EEEEDaSU_SV_EUlSU_E0_NS1_11comp_targetILNS1_3genE10ELNS1_11target_archE1201ELNS1_3gpuE5ELNS1_3repE0EEENS1_30default_config_static_selectorELNS0_4arch9wavefront6targetE1EEEvT1_
	.p2align	8
	.type	_ZN7rocprim17ROCPRIM_400000_NS6detail17trampoline_kernelINS0_14default_configENS1_20scan_config_selectorIN3c107complexIfEEEEZZNS1_9scan_implILNS1_25lookback_scan_determinismE0ELb0ELb0ES3_PKS7_PS7_S7_ZZZN2at6native31launch_logcumsumexp_cuda_kernelERKNSE_10TensorBaseESI_lENKUlvE_clEvENKUlvE2_clEvEUlS7_S7_E_S7_EEDaPvRmT3_T4_T5_mT6_P12ihipStream_tbENKUlT_T0_E_clISt17integral_constantIbLb1EESY_IbLb0EEEEDaSU_SV_EUlSU_E0_NS1_11comp_targetILNS1_3genE10ELNS1_11target_archE1201ELNS1_3gpuE5ELNS1_3repE0EEENS1_30default_config_static_selectorELNS0_4arch9wavefront6targetE1EEEvT1_,@function
_ZN7rocprim17ROCPRIM_400000_NS6detail17trampoline_kernelINS0_14default_configENS1_20scan_config_selectorIN3c107complexIfEEEEZZNS1_9scan_implILNS1_25lookback_scan_determinismE0ELb0ELb0ES3_PKS7_PS7_S7_ZZZN2at6native31launch_logcumsumexp_cuda_kernelERKNSE_10TensorBaseESI_lENKUlvE_clEvENKUlvE2_clEvEUlS7_S7_E_S7_EEDaPvRmT3_T4_T5_mT6_P12ihipStream_tbENKUlT_T0_E_clISt17integral_constantIbLb1EESY_IbLb0EEEEDaSU_SV_EUlSU_E0_NS1_11comp_targetILNS1_3genE10ELNS1_11target_archE1201ELNS1_3gpuE5ELNS1_3repE0EEENS1_30default_config_static_selectorELNS0_4arch9wavefront6targetE1EEEvT1_: ; @_ZN7rocprim17ROCPRIM_400000_NS6detail17trampoline_kernelINS0_14default_configENS1_20scan_config_selectorIN3c107complexIfEEEEZZNS1_9scan_implILNS1_25lookback_scan_determinismE0ELb0ELb0ES3_PKS7_PS7_S7_ZZZN2at6native31launch_logcumsumexp_cuda_kernelERKNSE_10TensorBaseESI_lENKUlvE_clEvENKUlvE2_clEvEUlS7_S7_E_S7_EEDaPvRmT3_T4_T5_mT6_P12ihipStream_tbENKUlT_T0_E_clISt17integral_constantIbLb1EESY_IbLb0EEEEDaSU_SV_EUlSU_E0_NS1_11comp_targetILNS1_3genE10ELNS1_11target_archE1201ELNS1_3gpuE5ELNS1_3repE0EEENS1_30default_config_static_selectorELNS0_4arch9wavefront6targetE1EEEvT1_
; %bb.0:
	.section	.rodata,"a",@progbits
	.p2align	6, 0x0
	.amdhsa_kernel _ZN7rocprim17ROCPRIM_400000_NS6detail17trampoline_kernelINS0_14default_configENS1_20scan_config_selectorIN3c107complexIfEEEEZZNS1_9scan_implILNS1_25lookback_scan_determinismE0ELb0ELb0ES3_PKS7_PS7_S7_ZZZN2at6native31launch_logcumsumexp_cuda_kernelERKNSE_10TensorBaseESI_lENKUlvE_clEvENKUlvE2_clEvEUlS7_S7_E_S7_EEDaPvRmT3_T4_T5_mT6_P12ihipStream_tbENKUlT_T0_E_clISt17integral_constantIbLb1EESY_IbLb0EEEEDaSU_SV_EUlSU_E0_NS1_11comp_targetILNS1_3genE10ELNS1_11target_archE1201ELNS1_3gpuE5ELNS1_3repE0EEENS1_30default_config_static_selectorELNS0_4arch9wavefront6targetE1EEEvT1_
		.amdhsa_group_segment_fixed_size 0
		.amdhsa_private_segment_fixed_size 0
		.amdhsa_kernarg_size 40
		.amdhsa_user_sgpr_count 6
		.amdhsa_user_sgpr_private_segment_buffer 1
		.amdhsa_user_sgpr_dispatch_ptr 0
		.amdhsa_user_sgpr_queue_ptr 0
		.amdhsa_user_sgpr_kernarg_segment_ptr 1
		.amdhsa_user_sgpr_dispatch_id 0
		.amdhsa_user_sgpr_flat_scratch_init 0
		.amdhsa_user_sgpr_kernarg_preload_length 0
		.amdhsa_user_sgpr_kernarg_preload_offset 0
		.amdhsa_user_sgpr_private_segment_size 0
		.amdhsa_uses_dynamic_stack 0
		.amdhsa_system_sgpr_private_segment_wavefront_offset 0
		.amdhsa_system_sgpr_workgroup_id_x 1
		.amdhsa_system_sgpr_workgroup_id_y 0
		.amdhsa_system_sgpr_workgroup_id_z 0
		.amdhsa_system_sgpr_workgroup_info 0
		.amdhsa_system_vgpr_workitem_id 0
		.amdhsa_next_free_vgpr 1
		.amdhsa_next_free_sgpr 0
		.amdhsa_accum_offset 4
		.amdhsa_reserve_vcc 0
		.amdhsa_reserve_flat_scratch 0
		.amdhsa_float_round_mode_32 0
		.amdhsa_float_round_mode_16_64 0
		.amdhsa_float_denorm_mode_32 3
		.amdhsa_float_denorm_mode_16_64 3
		.amdhsa_dx10_clamp 1
		.amdhsa_ieee_mode 1
		.amdhsa_fp16_overflow 0
		.amdhsa_tg_split 0
		.amdhsa_exception_fp_ieee_invalid_op 0
		.amdhsa_exception_fp_denorm_src 0
		.amdhsa_exception_fp_ieee_div_zero 0
		.amdhsa_exception_fp_ieee_overflow 0
		.amdhsa_exception_fp_ieee_underflow 0
		.amdhsa_exception_fp_ieee_inexact 0
		.amdhsa_exception_int_div_zero 0
	.end_amdhsa_kernel
	.section	.text._ZN7rocprim17ROCPRIM_400000_NS6detail17trampoline_kernelINS0_14default_configENS1_20scan_config_selectorIN3c107complexIfEEEEZZNS1_9scan_implILNS1_25lookback_scan_determinismE0ELb0ELb0ES3_PKS7_PS7_S7_ZZZN2at6native31launch_logcumsumexp_cuda_kernelERKNSE_10TensorBaseESI_lENKUlvE_clEvENKUlvE2_clEvEUlS7_S7_E_S7_EEDaPvRmT3_T4_T5_mT6_P12ihipStream_tbENKUlT_T0_E_clISt17integral_constantIbLb1EESY_IbLb0EEEEDaSU_SV_EUlSU_E0_NS1_11comp_targetILNS1_3genE10ELNS1_11target_archE1201ELNS1_3gpuE5ELNS1_3repE0EEENS1_30default_config_static_selectorELNS0_4arch9wavefront6targetE1EEEvT1_,"axG",@progbits,_ZN7rocprim17ROCPRIM_400000_NS6detail17trampoline_kernelINS0_14default_configENS1_20scan_config_selectorIN3c107complexIfEEEEZZNS1_9scan_implILNS1_25lookback_scan_determinismE0ELb0ELb0ES3_PKS7_PS7_S7_ZZZN2at6native31launch_logcumsumexp_cuda_kernelERKNSE_10TensorBaseESI_lENKUlvE_clEvENKUlvE2_clEvEUlS7_S7_E_S7_EEDaPvRmT3_T4_T5_mT6_P12ihipStream_tbENKUlT_T0_E_clISt17integral_constantIbLb1EESY_IbLb0EEEEDaSU_SV_EUlSU_E0_NS1_11comp_targetILNS1_3genE10ELNS1_11target_archE1201ELNS1_3gpuE5ELNS1_3repE0EEENS1_30default_config_static_selectorELNS0_4arch9wavefront6targetE1EEEvT1_,comdat
.Lfunc_end324:
	.size	_ZN7rocprim17ROCPRIM_400000_NS6detail17trampoline_kernelINS0_14default_configENS1_20scan_config_selectorIN3c107complexIfEEEEZZNS1_9scan_implILNS1_25lookback_scan_determinismE0ELb0ELb0ES3_PKS7_PS7_S7_ZZZN2at6native31launch_logcumsumexp_cuda_kernelERKNSE_10TensorBaseESI_lENKUlvE_clEvENKUlvE2_clEvEUlS7_S7_E_S7_EEDaPvRmT3_T4_T5_mT6_P12ihipStream_tbENKUlT_T0_E_clISt17integral_constantIbLb1EESY_IbLb0EEEEDaSU_SV_EUlSU_E0_NS1_11comp_targetILNS1_3genE10ELNS1_11target_archE1201ELNS1_3gpuE5ELNS1_3repE0EEENS1_30default_config_static_selectorELNS0_4arch9wavefront6targetE1EEEvT1_, .Lfunc_end324-_ZN7rocprim17ROCPRIM_400000_NS6detail17trampoline_kernelINS0_14default_configENS1_20scan_config_selectorIN3c107complexIfEEEEZZNS1_9scan_implILNS1_25lookback_scan_determinismE0ELb0ELb0ES3_PKS7_PS7_S7_ZZZN2at6native31launch_logcumsumexp_cuda_kernelERKNSE_10TensorBaseESI_lENKUlvE_clEvENKUlvE2_clEvEUlS7_S7_E_S7_EEDaPvRmT3_T4_T5_mT6_P12ihipStream_tbENKUlT_T0_E_clISt17integral_constantIbLb1EESY_IbLb0EEEEDaSU_SV_EUlSU_E0_NS1_11comp_targetILNS1_3genE10ELNS1_11target_archE1201ELNS1_3gpuE5ELNS1_3repE0EEENS1_30default_config_static_selectorELNS0_4arch9wavefront6targetE1EEEvT1_
                                        ; -- End function
	.section	.AMDGPU.csdata,"",@progbits
; Kernel info:
; codeLenInByte = 0
; NumSgprs: 4
; NumVgprs: 0
; NumAgprs: 0
; TotalNumVgprs: 0
; ScratchSize: 0
; MemoryBound: 0
; FloatMode: 240
; IeeeMode: 1
; LDSByteSize: 0 bytes/workgroup (compile time only)
; SGPRBlocks: 0
; VGPRBlocks: 0
; NumSGPRsForWavesPerEU: 4
; NumVGPRsForWavesPerEU: 1
; AccumOffset: 4
; Occupancy: 8
; WaveLimiterHint : 0
; COMPUTE_PGM_RSRC2:SCRATCH_EN: 0
; COMPUTE_PGM_RSRC2:USER_SGPR: 6
; COMPUTE_PGM_RSRC2:TRAP_HANDLER: 0
; COMPUTE_PGM_RSRC2:TGID_X_EN: 1
; COMPUTE_PGM_RSRC2:TGID_Y_EN: 0
; COMPUTE_PGM_RSRC2:TGID_Z_EN: 0
; COMPUTE_PGM_RSRC2:TIDIG_COMP_CNT: 0
; COMPUTE_PGM_RSRC3_GFX90A:ACCUM_OFFSET: 0
; COMPUTE_PGM_RSRC3_GFX90A:TG_SPLIT: 0
	.section	.text._ZN7rocprim17ROCPRIM_400000_NS6detail17trampoline_kernelINS0_14default_configENS1_20scan_config_selectorIN3c107complexIfEEEEZZNS1_9scan_implILNS1_25lookback_scan_determinismE0ELb0ELb0ES3_PKS7_PS7_S7_ZZZN2at6native31launch_logcumsumexp_cuda_kernelERKNSE_10TensorBaseESI_lENKUlvE_clEvENKUlvE2_clEvEUlS7_S7_E_S7_EEDaPvRmT3_T4_T5_mT6_P12ihipStream_tbENKUlT_T0_E_clISt17integral_constantIbLb1EESY_IbLb0EEEEDaSU_SV_EUlSU_E0_NS1_11comp_targetILNS1_3genE10ELNS1_11target_archE1200ELNS1_3gpuE4ELNS1_3repE0EEENS1_30default_config_static_selectorELNS0_4arch9wavefront6targetE1EEEvT1_,"axG",@progbits,_ZN7rocprim17ROCPRIM_400000_NS6detail17trampoline_kernelINS0_14default_configENS1_20scan_config_selectorIN3c107complexIfEEEEZZNS1_9scan_implILNS1_25lookback_scan_determinismE0ELb0ELb0ES3_PKS7_PS7_S7_ZZZN2at6native31launch_logcumsumexp_cuda_kernelERKNSE_10TensorBaseESI_lENKUlvE_clEvENKUlvE2_clEvEUlS7_S7_E_S7_EEDaPvRmT3_T4_T5_mT6_P12ihipStream_tbENKUlT_T0_E_clISt17integral_constantIbLb1EESY_IbLb0EEEEDaSU_SV_EUlSU_E0_NS1_11comp_targetILNS1_3genE10ELNS1_11target_archE1200ELNS1_3gpuE4ELNS1_3repE0EEENS1_30default_config_static_selectorELNS0_4arch9wavefront6targetE1EEEvT1_,comdat
	.globl	_ZN7rocprim17ROCPRIM_400000_NS6detail17trampoline_kernelINS0_14default_configENS1_20scan_config_selectorIN3c107complexIfEEEEZZNS1_9scan_implILNS1_25lookback_scan_determinismE0ELb0ELb0ES3_PKS7_PS7_S7_ZZZN2at6native31launch_logcumsumexp_cuda_kernelERKNSE_10TensorBaseESI_lENKUlvE_clEvENKUlvE2_clEvEUlS7_S7_E_S7_EEDaPvRmT3_T4_T5_mT6_P12ihipStream_tbENKUlT_T0_E_clISt17integral_constantIbLb1EESY_IbLb0EEEEDaSU_SV_EUlSU_E0_NS1_11comp_targetILNS1_3genE10ELNS1_11target_archE1200ELNS1_3gpuE4ELNS1_3repE0EEENS1_30default_config_static_selectorELNS0_4arch9wavefront6targetE1EEEvT1_ ; -- Begin function _ZN7rocprim17ROCPRIM_400000_NS6detail17trampoline_kernelINS0_14default_configENS1_20scan_config_selectorIN3c107complexIfEEEEZZNS1_9scan_implILNS1_25lookback_scan_determinismE0ELb0ELb0ES3_PKS7_PS7_S7_ZZZN2at6native31launch_logcumsumexp_cuda_kernelERKNSE_10TensorBaseESI_lENKUlvE_clEvENKUlvE2_clEvEUlS7_S7_E_S7_EEDaPvRmT3_T4_T5_mT6_P12ihipStream_tbENKUlT_T0_E_clISt17integral_constantIbLb1EESY_IbLb0EEEEDaSU_SV_EUlSU_E0_NS1_11comp_targetILNS1_3genE10ELNS1_11target_archE1200ELNS1_3gpuE4ELNS1_3repE0EEENS1_30default_config_static_selectorELNS0_4arch9wavefront6targetE1EEEvT1_
	.p2align	8
	.type	_ZN7rocprim17ROCPRIM_400000_NS6detail17trampoline_kernelINS0_14default_configENS1_20scan_config_selectorIN3c107complexIfEEEEZZNS1_9scan_implILNS1_25lookback_scan_determinismE0ELb0ELb0ES3_PKS7_PS7_S7_ZZZN2at6native31launch_logcumsumexp_cuda_kernelERKNSE_10TensorBaseESI_lENKUlvE_clEvENKUlvE2_clEvEUlS7_S7_E_S7_EEDaPvRmT3_T4_T5_mT6_P12ihipStream_tbENKUlT_T0_E_clISt17integral_constantIbLb1EESY_IbLb0EEEEDaSU_SV_EUlSU_E0_NS1_11comp_targetILNS1_3genE10ELNS1_11target_archE1200ELNS1_3gpuE4ELNS1_3repE0EEENS1_30default_config_static_selectorELNS0_4arch9wavefront6targetE1EEEvT1_,@function
_ZN7rocprim17ROCPRIM_400000_NS6detail17trampoline_kernelINS0_14default_configENS1_20scan_config_selectorIN3c107complexIfEEEEZZNS1_9scan_implILNS1_25lookback_scan_determinismE0ELb0ELb0ES3_PKS7_PS7_S7_ZZZN2at6native31launch_logcumsumexp_cuda_kernelERKNSE_10TensorBaseESI_lENKUlvE_clEvENKUlvE2_clEvEUlS7_S7_E_S7_EEDaPvRmT3_T4_T5_mT6_P12ihipStream_tbENKUlT_T0_E_clISt17integral_constantIbLb1EESY_IbLb0EEEEDaSU_SV_EUlSU_E0_NS1_11comp_targetILNS1_3genE10ELNS1_11target_archE1200ELNS1_3gpuE4ELNS1_3repE0EEENS1_30default_config_static_selectorELNS0_4arch9wavefront6targetE1EEEvT1_: ; @_ZN7rocprim17ROCPRIM_400000_NS6detail17trampoline_kernelINS0_14default_configENS1_20scan_config_selectorIN3c107complexIfEEEEZZNS1_9scan_implILNS1_25lookback_scan_determinismE0ELb0ELb0ES3_PKS7_PS7_S7_ZZZN2at6native31launch_logcumsumexp_cuda_kernelERKNSE_10TensorBaseESI_lENKUlvE_clEvENKUlvE2_clEvEUlS7_S7_E_S7_EEDaPvRmT3_T4_T5_mT6_P12ihipStream_tbENKUlT_T0_E_clISt17integral_constantIbLb1EESY_IbLb0EEEEDaSU_SV_EUlSU_E0_NS1_11comp_targetILNS1_3genE10ELNS1_11target_archE1200ELNS1_3gpuE4ELNS1_3repE0EEENS1_30default_config_static_selectorELNS0_4arch9wavefront6targetE1EEEvT1_
; %bb.0:
	.section	.rodata,"a",@progbits
	.p2align	6, 0x0
	.amdhsa_kernel _ZN7rocprim17ROCPRIM_400000_NS6detail17trampoline_kernelINS0_14default_configENS1_20scan_config_selectorIN3c107complexIfEEEEZZNS1_9scan_implILNS1_25lookback_scan_determinismE0ELb0ELb0ES3_PKS7_PS7_S7_ZZZN2at6native31launch_logcumsumexp_cuda_kernelERKNSE_10TensorBaseESI_lENKUlvE_clEvENKUlvE2_clEvEUlS7_S7_E_S7_EEDaPvRmT3_T4_T5_mT6_P12ihipStream_tbENKUlT_T0_E_clISt17integral_constantIbLb1EESY_IbLb0EEEEDaSU_SV_EUlSU_E0_NS1_11comp_targetILNS1_3genE10ELNS1_11target_archE1200ELNS1_3gpuE4ELNS1_3repE0EEENS1_30default_config_static_selectorELNS0_4arch9wavefront6targetE1EEEvT1_
		.amdhsa_group_segment_fixed_size 0
		.amdhsa_private_segment_fixed_size 0
		.amdhsa_kernarg_size 40
		.amdhsa_user_sgpr_count 6
		.amdhsa_user_sgpr_private_segment_buffer 1
		.amdhsa_user_sgpr_dispatch_ptr 0
		.amdhsa_user_sgpr_queue_ptr 0
		.amdhsa_user_sgpr_kernarg_segment_ptr 1
		.amdhsa_user_sgpr_dispatch_id 0
		.amdhsa_user_sgpr_flat_scratch_init 0
		.amdhsa_user_sgpr_kernarg_preload_length 0
		.amdhsa_user_sgpr_kernarg_preload_offset 0
		.amdhsa_user_sgpr_private_segment_size 0
		.amdhsa_uses_dynamic_stack 0
		.amdhsa_system_sgpr_private_segment_wavefront_offset 0
		.amdhsa_system_sgpr_workgroup_id_x 1
		.amdhsa_system_sgpr_workgroup_id_y 0
		.amdhsa_system_sgpr_workgroup_id_z 0
		.amdhsa_system_sgpr_workgroup_info 0
		.amdhsa_system_vgpr_workitem_id 0
		.amdhsa_next_free_vgpr 1
		.amdhsa_next_free_sgpr 0
		.amdhsa_accum_offset 4
		.amdhsa_reserve_vcc 0
		.amdhsa_reserve_flat_scratch 0
		.amdhsa_float_round_mode_32 0
		.amdhsa_float_round_mode_16_64 0
		.amdhsa_float_denorm_mode_32 3
		.amdhsa_float_denorm_mode_16_64 3
		.amdhsa_dx10_clamp 1
		.amdhsa_ieee_mode 1
		.amdhsa_fp16_overflow 0
		.amdhsa_tg_split 0
		.amdhsa_exception_fp_ieee_invalid_op 0
		.amdhsa_exception_fp_denorm_src 0
		.amdhsa_exception_fp_ieee_div_zero 0
		.amdhsa_exception_fp_ieee_overflow 0
		.amdhsa_exception_fp_ieee_underflow 0
		.amdhsa_exception_fp_ieee_inexact 0
		.amdhsa_exception_int_div_zero 0
	.end_amdhsa_kernel
	.section	.text._ZN7rocprim17ROCPRIM_400000_NS6detail17trampoline_kernelINS0_14default_configENS1_20scan_config_selectorIN3c107complexIfEEEEZZNS1_9scan_implILNS1_25lookback_scan_determinismE0ELb0ELb0ES3_PKS7_PS7_S7_ZZZN2at6native31launch_logcumsumexp_cuda_kernelERKNSE_10TensorBaseESI_lENKUlvE_clEvENKUlvE2_clEvEUlS7_S7_E_S7_EEDaPvRmT3_T4_T5_mT6_P12ihipStream_tbENKUlT_T0_E_clISt17integral_constantIbLb1EESY_IbLb0EEEEDaSU_SV_EUlSU_E0_NS1_11comp_targetILNS1_3genE10ELNS1_11target_archE1200ELNS1_3gpuE4ELNS1_3repE0EEENS1_30default_config_static_selectorELNS0_4arch9wavefront6targetE1EEEvT1_,"axG",@progbits,_ZN7rocprim17ROCPRIM_400000_NS6detail17trampoline_kernelINS0_14default_configENS1_20scan_config_selectorIN3c107complexIfEEEEZZNS1_9scan_implILNS1_25lookback_scan_determinismE0ELb0ELb0ES3_PKS7_PS7_S7_ZZZN2at6native31launch_logcumsumexp_cuda_kernelERKNSE_10TensorBaseESI_lENKUlvE_clEvENKUlvE2_clEvEUlS7_S7_E_S7_EEDaPvRmT3_T4_T5_mT6_P12ihipStream_tbENKUlT_T0_E_clISt17integral_constantIbLb1EESY_IbLb0EEEEDaSU_SV_EUlSU_E0_NS1_11comp_targetILNS1_3genE10ELNS1_11target_archE1200ELNS1_3gpuE4ELNS1_3repE0EEENS1_30default_config_static_selectorELNS0_4arch9wavefront6targetE1EEEvT1_,comdat
.Lfunc_end325:
	.size	_ZN7rocprim17ROCPRIM_400000_NS6detail17trampoline_kernelINS0_14default_configENS1_20scan_config_selectorIN3c107complexIfEEEEZZNS1_9scan_implILNS1_25lookback_scan_determinismE0ELb0ELb0ES3_PKS7_PS7_S7_ZZZN2at6native31launch_logcumsumexp_cuda_kernelERKNSE_10TensorBaseESI_lENKUlvE_clEvENKUlvE2_clEvEUlS7_S7_E_S7_EEDaPvRmT3_T4_T5_mT6_P12ihipStream_tbENKUlT_T0_E_clISt17integral_constantIbLb1EESY_IbLb0EEEEDaSU_SV_EUlSU_E0_NS1_11comp_targetILNS1_3genE10ELNS1_11target_archE1200ELNS1_3gpuE4ELNS1_3repE0EEENS1_30default_config_static_selectorELNS0_4arch9wavefront6targetE1EEEvT1_, .Lfunc_end325-_ZN7rocprim17ROCPRIM_400000_NS6detail17trampoline_kernelINS0_14default_configENS1_20scan_config_selectorIN3c107complexIfEEEEZZNS1_9scan_implILNS1_25lookback_scan_determinismE0ELb0ELb0ES3_PKS7_PS7_S7_ZZZN2at6native31launch_logcumsumexp_cuda_kernelERKNSE_10TensorBaseESI_lENKUlvE_clEvENKUlvE2_clEvEUlS7_S7_E_S7_EEDaPvRmT3_T4_T5_mT6_P12ihipStream_tbENKUlT_T0_E_clISt17integral_constantIbLb1EESY_IbLb0EEEEDaSU_SV_EUlSU_E0_NS1_11comp_targetILNS1_3genE10ELNS1_11target_archE1200ELNS1_3gpuE4ELNS1_3repE0EEENS1_30default_config_static_selectorELNS0_4arch9wavefront6targetE1EEEvT1_
                                        ; -- End function
	.section	.AMDGPU.csdata,"",@progbits
; Kernel info:
; codeLenInByte = 0
; NumSgprs: 4
; NumVgprs: 0
; NumAgprs: 0
; TotalNumVgprs: 0
; ScratchSize: 0
; MemoryBound: 0
; FloatMode: 240
; IeeeMode: 1
; LDSByteSize: 0 bytes/workgroup (compile time only)
; SGPRBlocks: 0
; VGPRBlocks: 0
; NumSGPRsForWavesPerEU: 4
; NumVGPRsForWavesPerEU: 1
; AccumOffset: 4
; Occupancy: 8
; WaveLimiterHint : 0
; COMPUTE_PGM_RSRC2:SCRATCH_EN: 0
; COMPUTE_PGM_RSRC2:USER_SGPR: 6
; COMPUTE_PGM_RSRC2:TRAP_HANDLER: 0
; COMPUTE_PGM_RSRC2:TGID_X_EN: 1
; COMPUTE_PGM_RSRC2:TGID_Y_EN: 0
; COMPUTE_PGM_RSRC2:TGID_Z_EN: 0
; COMPUTE_PGM_RSRC2:TIDIG_COMP_CNT: 0
; COMPUTE_PGM_RSRC3_GFX90A:ACCUM_OFFSET: 0
; COMPUTE_PGM_RSRC3_GFX90A:TG_SPLIT: 0
	.section	.text._ZN7rocprim17ROCPRIM_400000_NS6detail17trampoline_kernelINS0_14default_configENS1_20scan_config_selectorIN3c107complexIfEEEEZZNS1_9scan_implILNS1_25lookback_scan_determinismE0ELb0ELb0ES3_PKS7_PS7_S7_ZZZN2at6native31launch_logcumsumexp_cuda_kernelERKNSE_10TensorBaseESI_lENKUlvE_clEvENKUlvE2_clEvEUlS7_S7_E_S7_EEDaPvRmT3_T4_T5_mT6_P12ihipStream_tbENKUlT_T0_E_clISt17integral_constantIbLb1EESY_IbLb0EEEEDaSU_SV_EUlSU_E0_NS1_11comp_targetILNS1_3genE9ELNS1_11target_archE1100ELNS1_3gpuE3ELNS1_3repE0EEENS1_30default_config_static_selectorELNS0_4arch9wavefront6targetE1EEEvT1_,"axG",@progbits,_ZN7rocprim17ROCPRIM_400000_NS6detail17trampoline_kernelINS0_14default_configENS1_20scan_config_selectorIN3c107complexIfEEEEZZNS1_9scan_implILNS1_25lookback_scan_determinismE0ELb0ELb0ES3_PKS7_PS7_S7_ZZZN2at6native31launch_logcumsumexp_cuda_kernelERKNSE_10TensorBaseESI_lENKUlvE_clEvENKUlvE2_clEvEUlS7_S7_E_S7_EEDaPvRmT3_T4_T5_mT6_P12ihipStream_tbENKUlT_T0_E_clISt17integral_constantIbLb1EESY_IbLb0EEEEDaSU_SV_EUlSU_E0_NS1_11comp_targetILNS1_3genE9ELNS1_11target_archE1100ELNS1_3gpuE3ELNS1_3repE0EEENS1_30default_config_static_selectorELNS0_4arch9wavefront6targetE1EEEvT1_,comdat
	.globl	_ZN7rocprim17ROCPRIM_400000_NS6detail17trampoline_kernelINS0_14default_configENS1_20scan_config_selectorIN3c107complexIfEEEEZZNS1_9scan_implILNS1_25lookback_scan_determinismE0ELb0ELb0ES3_PKS7_PS7_S7_ZZZN2at6native31launch_logcumsumexp_cuda_kernelERKNSE_10TensorBaseESI_lENKUlvE_clEvENKUlvE2_clEvEUlS7_S7_E_S7_EEDaPvRmT3_T4_T5_mT6_P12ihipStream_tbENKUlT_T0_E_clISt17integral_constantIbLb1EESY_IbLb0EEEEDaSU_SV_EUlSU_E0_NS1_11comp_targetILNS1_3genE9ELNS1_11target_archE1100ELNS1_3gpuE3ELNS1_3repE0EEENS1_30default_config_static_selectorELNS0_4arch9wavefront6targetE1EEEvT1_ ; -- Begin function _ZN7rocprim17ROCPRIM_400000_NS6detail17trampoline_kernelINS0_14default_configENS1_20scan_config_selectorIN3c107complexIfEEEEZZNS1_9scan_implILNS1_25lookback_scan_determinismE0ELb0ELb0ES3_PKS7_PS7_S7_ZZZN2at6native31launch_logcumsumexp_cuda_kernelERKNSE_10TensorBaseESI_lENKUlvE_clEvENKUlvE2_clEvEUlS7_S7_E_S7_EEDaPvRmT3_T4_T5_mT6_P12ihipStream_tbENKUlT_T0_E_clISt17integral_constantIbLb1EESY_IbLb0EEEEDaSU_SV_EUlSU_E0_NS1_11comp_targetILNS1_3genE9ELNS1_11target_archE1100ELNS1_3gpuE3ELNS1_3repE0EEENS1_30default_config_static_selectorELNS0_4arch9wavefront6targetE1EEEvT1_
	.p2align	8
	.type	_ZN7rocprim17ROCPRIM_400000_NS6detail17trampoline_kernelINS0_14default_configENS1_20scan_config_selectorIN3c107complexIfEEEEZZNS1_9scan_implILNS1_25lookback_scan_determinismE0ELb0ELb0ES3_PKS7_PS7_S7_ZZZN2at6native31launch_logcumsumexp_cuda_kernelERKNSE_10TensorBaseESI_lENKUlvE_clEvENKUlvE2_clEvEUlS7_S7_E_S7_EEDaPvRmT3_T4_T5_mT6_P12ihipStream_tbENKUlT_T0_E_clISt17integral_constantIbLb1EESY_IbLb0EEEEDaSU_SV_EUlSU_E0_NS1_11comp_targetILNS1_3genE9ELNS1_11target_archE1100ELNS1_3gpuE3ELNS1_3repE0EEENS1_30default_config_static_selectorELNS0_4arch9wavefront6targetE1EEEvT1_,@function
_ZN7rocprim17ROCPRIM_400000_NS6detail17trampoline_kernelINS0_14default_configENS1_20scan_config_selectorIN3c107complexIfEEEEZZNS1_9scan_implILNS1_25lookback_scan_determinismE0ELb0ELb0ES3_PKS7_PS7_S7_ZZZN2at6native31launch_logcumsumexp_cuda_kernelERKNSE_10TensorBaseESI_lENKUlvE_clEvENKUlvE2_clEvEUlS7_S7_E_S7_EEDaPvRmT3_T4_T5_mT6_P12ihipStream_tbENKUlT_T0_E_clISt17integral_constantIbLb1EESY_IbLb0EEEEDaSU_SV_EUlSU_E0_NS1_11comp_targetILNS1_3genE9ELNS1_11target_archE1100ELNS1_3gpuE3ELNS1_3repE0EEENS1_30default_config_static_selectorELNS0_4arch9wavefront6targetE1EEEvT1_: ; @_ZN7rocprim17ROCPRIM_400000_NS6detail17trampoline_kernelINS0_14default_configENS1_20scan_config_selectorIN3c107complexIfEEEEZZNS1_9scan_implILNS1_25lookback_scan_determinismE0ELb0ELb0ES3_PKS7_PS7_S7_ZZZN2at6native31launch_logcumsumexp_cuda_kernelERKNSE_10TensorBaseESI_lENKUlvE_clEvENKUlvE2_clEvEUlS7_S7_E_S7_EEDaPvRmT3_T4_T5_mT6_P12ihipStream_tbENKUlT_T0_E_clISt17integral_constantIbLb1EESY_IbLb0EEEEDaSU_SV_EUlSU_E0_NS1_11comp_targetILNS1_3genE9ELNS1_11target_archE1100ELNS1_3gpuE3ELNS1_3repE0EEENS1_30default_config_static_selectorELNS0_4arch9wavefront6targetE1EEEvT1_
; %bb.0:
	.section	.rodata,"a",@progbits
	.p2align	6, 0x0
	.amdhsa_kernel _ZN7rocprim17ROCPRIM_400000_NS6detail17trampoline_kernelINS0_14default_configENS1_20scan_config_selectorIN3c107complexIfEEEEZZNS1_9scan_implILNS1_25lookback_scan_determinismE0ELb0ELb0ES3_PKS7_PS7_S7_ZZZN2at6native31launch_logcumsumexp_cuda_kernelERKNSE_10TensorBaseESI_lENKUlvE_clEvENKUlvE2_clEvEUlS7_S7_E_S7_EEDaPvRmT3_T4_T5_mT6_P12ihipStream_tbENKUlT_T0_E_clISt17integral_constantIbLb1EESY_IbLb0EEEEDaSU_SV_EUlSU_E0_NS1_11comp_targetILNS1_3genE9ELNS1_11target_archE1100ELNS1_3gpuE3ELNS1_3repE0EEENS1_30default_config_static_selectorELNS0_4arch9wavefront6targetE1EEEvT1_
		.amdhsa_group_segment_fixed_size 0
		.amdhsa_private_segment_fixed_size 0
		.amdhsa_kernarg_size 40
		.amdhsa_user_sgpr_count 6
		.amdhsa_user_sgpr_private_segment_buffer 1
		.amdhsa_user_sgpr_dispatch_ptr 0
		.amdhsa_user_sgpr_queue_ptr 0
		.amdhsa_user_sgpr_kernarg_segment_ptr 1
		.amdhsa_user_sgpr_dispatch_id 0
		.amdhsa_user_sgpr_flat_scratch_init 0
		.amdhsa_user_sgpr_kernarg_preload_length 0
		.amdhsa_user_sgpr_kernarg_preload_offset 0
		.amdhsa_user_sgpr_private_segment_size 0
		.amdhsa_uses_dynamic_stack 0
		.amdhsa_system_sgpr_private_segment_wavefront_offset 0
		.amdhsa_system_sgpr_workgroup_id_x 1
		.amdhsa_system_sgpr_workgroup_id_y 0
		.amdhsa_system_sgpr_workgroup_id_z 0
		.amdhsa_system_sgpr_workgroup_info 0
		.amdhsa_system_vgpr_workitem_id 0
		.amdhsa_next_free_vgpr 1
		.amdhsa_next_free_sgpr 0
		.amdhsa_accum_offset 4
		.amdhsa_reserve_vcc 0
		.amdhsa_reserve_flat_scratch 0
		.amdhsa_float_round_mode_32 0
		.amdhsa_float_round_mode_16_64 0
		.amdhsa_float_denorm_mode_32 3
		.amdhsa_float_denorm_mode_16_64 3
		.amdhsa_dx10_clamp 1
		.amdhsa_ieee_mode 1
		.amdhsa_fp16_overflow 0
		.amdhsa_tg_split 0
		.amdhsa_exception_fp_ieee_invalid_op 0
		.amdhsa_exception_fp_denorm_src 0
		.amdhsa_exception_fp_ieee_div_zero 0
		.amdhsa_exception_fp_ieee_overflow 0
		.amdhsa_exception_fp_ieee_underflow 0
		.amdhsa_exception_fp_ieee_inexact 0
		.amdhsa_exception_int_div_zero 0
	.end_amdhsa_kernel
	.section	.text._ZN7rocprim17ROCPRIM_400000_NS6detail17trampoline_kernelINS0_14default_configENS1_20scan_config_selectorIN3c107complexIfEEEEZZNS1_9scan_implILNS1_25lookback_scan_determinismE0ELb0ELb0ES3_PKS7_PS7_S7_ZZZN2at6native31launch_logcumsumexp_cuda_kernelERKNSE_10TensorBaseESI_lENKUlvE_clEvENKUlvE2_clEvEUlS7_S7_E_S7_EEDaPvRmT3_T4_T5_mT6_P12ihipStream_tbENKUlT_T0_E_clISt17integral_constantIbLb1EESY_IbLb0EEEEDaSU_SV_EUlSU_E0_NS1_11comp_targetILNS1_3genE9ELNS1_11target_archE1100ELNS1_3gpuE3ELNS1_3repE0EEENS1_30default_config_static_selectorELNS0_4arch9wavefront6targetE1EEEvT1_,"axG",@progbits,_ZN7rocprim17ROCPRIM_400000_NS6detail17trampoline_kernelINS0_14default_configENS1_20scan_config_selectorIN3c107complexIfEEEEZZNS1_9scan_implILNS1_25lookback_scan_determinismE0ELb0ELb0ES3_PKS7_PS7_S7_ZZZN2at6native31launch_logcumsumexp_cuda_kernelERKNSE_10TensorBaseESI_lENKUlvE_clEvENKUlvE2_clEvEUlS7_S7_E_S7_EEDaPvRmT3_T4_T5_mT6_P12ihipStream_tbENKUlT_T0_E_clISt17integral_constantIbLb1EESY_IbLb0EEEEDaSU_SV_EUlSU_E0_NS1_11comp_targetILNS1_3genE9ELNS1_11target_archE1100ELNS1_3gpuE3ELNS1_3repE0EEENS1_30default_config_static_selectorELNS0_4arch9wavefront6targetE1EEEvT1_,comdat
.Lfunc_end326:
	.size	_ZN7rocprim17ROCPRIM_400000_NS6detail17trampoline_kernelINS0_14default_configENS1_20scan_config_selectorIN3c107complexIfEEEEZZNS1_9scan_implILNS1_25lookback_scan_determinismE0ELb0ELb0ES3_PKS7_PS7_S7_ZZZN2at6native31launch_logcumsumexp_cuda_kernelERKNSE_10TensorBaseESI_lENKUlvE_clEvENKUlvE2_clEvEUlS7_S7_E_S7_EEDaPvRmT3_T4_T5_mT6_P12ihipStream_tbENKUlT_T0_E_clISt17integral_constantIbLb1EESY_IbLb0EEEEDaSU_SV_EUlSU_E0_NS1_11comp_targetILNS1_3genE9ELNS1_11target_archE1100ELNS1_3gpuE3ELNS1_3repE0EEENS1_30default_config_static_selectorELNS0_4arch9wavefront6targetE1EEEvT1_, .Lfunc_end326-_ZN7rocprim17ROCPRIM_400000_NS6detail17trampoline_kernelINS0_14default_configENS1_20scan_config_selectorIN3c107complexIfEEEEZZNS1_9scan_implILNS1_25lookback_scan_determinismE0ELb0ELb0ES3_PKS7_PS7_S7_ZZZN2at6native31launch_logcumsumexp_cuda_kernelERKNSE_10TensorBaseESI_lENKUlvE_clEvENKUlvE2_clEvEUlS7_S7_E_S7_EEDaPvRmT3_T4_T5_mT6_P12ihipStream_tbENKUlT_T0_E_clISt17integral_constantIbLb1EESY_IbLb0EEEEDaSU_SV_EUlSU_E0_NS1_11comp_targetILNS1_3genE9ELNS1_11target_archE1100ELNS1_3gpuE3ELNS1_3repE0EEENS1_30default_config_static_selectorELNS0_4arch9wavefront6targetE1EEEvT1_
                                        ; -- End function
	.section	.AMDGPU.csdata,"",@progbits
; Kernel info:
; codeLenInByte = 0
; NumSgprs: 4
; NumVgprs: 0
; NumAgprs: 0
; TotalNumVgprs: 0
; ScratchSize: 0
; MemoryBound: 0
; FloatMode: 240
; IeeeMode: 1
; LDSByteSize: 0 bytes/workgroup (compile time only)
; SGPRBlocks: 0
; VGPRBlocks: 0
; NumSGPRsForWavesPerEU: 4
; NumVGPRsForWavesPerEU: 1
; AccumOffset: 4
; Occupancy: 8
; WaveLimiterHint : 0
; COMPUTE_PGM_RSRC2:SCRATCH_EN: 0
; COMPUTE_PGM_RSRC2:USER_SGPR: 6
; COMPUTE_PGM_RSRC2:TRAP_HANDLER: 0
; COMPUTE_PGM_RSRC2:TGID_X_EN: 1
; COMPUTE_PGM_RSRC2:TGID_Y_EN: 0
; COMPUTE_PGM_RSRC2:TGID_Z_EN: 0
; COMPUTE_PGM_RSRC2:TIDIG_COMP_CNT: 0
; COMPUTE_PGM_RSRC3_GFX90A:ACCUM_OFFSET: 0
; COMPUTE_PGM_RSRC3_GFX90A:TG_SPLIT: 0
	.section	.text._ZN7rocprim17ROCPRIM_400000_NS6detail17trampoline_kernelINS0_14default_configENS1_20scan_config_selectorIN3c107complexIfEEEEZZNS1_9scan_implILNS1_25lookback_scan_determinismE0ELb0ELb0ES3_PKS7_PS7_S7_ZZZN2at6native31launch_logcumsumexp_cuda_kernelERKNSE_10TensorBaseESI_lENKUlvE_clEvENKUlvE2_clEvEUlS7_S7_E_S7_EEDaPvRmT3_T4_T5_mT6_P12ihipStream_tbENKUlT_T0_E_clISt17integral_constantIbLb1EESY_IbLb0EEEEDaSU_SV_EUlSU_E0_NS1_11comp_targetILNS1_3genE8ELNS1_11target_archE1030ELNS1_3gpuE2ELNS1_3repE0EEENS1_30default_config_static_selectorELNS0_4arch9wavefront6targetE1EEEvT1_,"axG",@progbits,_ZN7rocprim17ROCPRIM_400000_NS6detail17trampoline_kernelINS0_14default_configENS1_20scan_config_selectorIN3c107complexIfEEEEZZNS1_9scan_implILNS1_25lookback_scan_determinismE0ELb0ELb0ES3_PKS7_PS7_S7_ZZZN2at6native31launch_logcumsumexp_cuda_kernelERKNSE_10TensorBaseESI_lENKUlvE_clEvENKUlvE2_clEvEUlS7_S7_E_S7_EEDaPvRmT3_T4_T5_mT6_P12ihipStream_tbENKUlT_T0_E_clISt17integral_constantIbLb1EESY_IbLb0EEEEDaSU_SV_EUlSU_E0_NS1_11comp_targetILNS1_3genE8ELNS1_11target_archE1030ELNS1_3gpuE2ELNS1_3repE0EEENS1_30default_config_static_selectorELNS0_4arch9wavefront6targetE1EEEvT1_,comdat
	.globl	_ZN7rocprim17ROCPRIM_400000_NS6detail17trampoline_kernelINS0_14default_configENS1_20scan_config_selectorIN3c107complexIfEEEEZZNS1_9scan_implILNS1_25lookback_scan_determinismE0ELb0ELb0ES3_PKS7_PS7_S7_ZZZN2at6native31launch_logcumsumexp_cuda_kernelERKNSE_10TensorBaseESI_lENKUlvE_clEvENKUlvE2_clEvEUlS7_S7_E_S7_EEDaPvRmT3_T4_T5_mT6_P12ihipStream_tbENKUlT_T0_E_clISt17integral_constantIbLb1EESY_IbLb0EEEEDaSU_SV_EUlSU_E0_NS1_11comp_targetILNS1_3genE8ELNS1_11target_archE1030ELNS1_3gpuE2ELNS1_3repE0EEENS1_30default_config_static_selectorELNS0_4arch9wavefront6targetE1EEEvT1_ ; -- Begin function _ZN7rocprim17ROCPRIM_400000_NS6detail17trampoline_kernelINS0_14default_configENS1_20scan_config_selectorIN3c107complexIfEEEEZZNS1_9scan_implILNS1_25lookback_scan_determinismE0ELb0ELb0ES3_PKS7_PS7_S7_ZZZN2at6native31launch_logcumsumexp_cuda_kernelERKNSE_10TensorBaseESI_lENKUlvE_clEvENKUlvE2_clEvEUlS7_S7_E_S7_EEDaPvRmT3_T4_T5_mT6_P12ihipStream_tbENKUlT_T0_E_clISt17integral_constantIbLb1EESY_IbLb0EEEEDaSU_SV_EUlSU_E0_NS1_11comp_targetILNS1_3genE8ELNS1_11target_archE1030ELNS1_3gpuE2ELNS1_3repE0EEENS1_30default_config_static_selectorELNS0_4arch9wavefront6targetE1EEEvT1_
	.p2align	8
	.type	_ZN7rocprim17ROCPRIM_400000_NS6detail17trampoline_kernelINS0_14default_configENS1_20scan_config_selectorIN3c107complexIfEEEEZZNS1_9scan_implILNS1_25lookback_scan_determinismE0ELb0ELb0ES3_PKS7_PS7_S7_ZZZN2at6native31launch_logcumsumexp_cuda_kernelERKNSE_10TensorBaseESI_lENKUlvE_clEvENKUlvE2_clEvEUlS7_S7_E_S7_EEDaPvRmT3_T4_T5_mT6_P12ihipStream_tbENKUlT_T0_E_clISt17integral_constantIbLb1EESY_IbLb0EEEEDaSU_SV_EUlSU_E0_NS1_11comp_targetILNS1_3genE8ELNS1_11target_archE1030ELNS1_3gpuE2ELNS1_3repE0EEENS1_30default_config_static_selectorELNS0_4arch9wavefront6targetE1EEEvT1_,@function
_ZN7rocprim17ROCPRIM_400000_NS6detail17trampoline_kernelINS0_14default_configENS1_20scan_config_selectorIN3c107complexIfEEEEZZNS1_9scan_implILNS1_25lookback_scan_determinismE0ELb0ELb0ES3_PKS7_PS7_S7_ZZZN2at6native31launch_logcumsumexp_cuda_kernelERKNSE_10TensorBaseESI_lENKUlvE_clEvENKUlvE2_clEvEUlS7_S7_E_S7_EEDaPvRmT3_T4_T5_mT6_P12ihipStream_tbENKUlT_T0_E_clISt17integral_constantIbLb1EESY_IbLb0EEEEDaSU_SV_EUlSU_E0_NS1_11comp_targetILNS1_3genE8ELNS1_11target_archE1030ELNS1_3gpuE2ELNS1_3repE0EEENS1_30default_config_static_selectorELNS0_4arch9wavefront6targetE1EEEvT1_: ; @_ZN7rocprim17ROCPRIM_400000_NS6detail17trampoline_kernelINS0_14default_configENS1_20scan_config_selectorIN3c107complexIfEEEEZZNS1_9scan_implILNS1_25lookback_scan_determinismE0ELb0ELb0ES3_PKS7_PS7_S7_ZZZN2at6native31launch_logcumsumexp_cuda_kernelERKNSE_10TensorBaseESI_lENKUlvE_clEvENKUlvE2_clEvEUlS7_S7_E_S7_EEDaPvRmT3_T4_T5_mT6_P12ihipStream_tbENKUlT_T0_E_clISt17integral_constantIbLb1EESY_IbLb0EEEEDaSU_SV_EUlSU_E0_NS1_11comp_targetILNS1_3genE8ELNS1_11target_archE1030ELNS1_3gpuE2ELNS1_3repE0EEENS1_30default_config_static_selectorELNS0_4arch9wavefront6targetE1EEEvT1_
; %bb.0:
	.section	.rodata,"a",@progbits
	.p2align	6, 0x0
	.amdhsa_kernel _ZN7rocprim17ROCPRIM_400000_NS6detail17trampoline_kernelINS0_14default_configENS1_20scan_config_selectorIN3c107complexIfEEEEZZNS1_9scan_implILNS1_25lookback_scan_determinismE0ELb0ELb0ES3_PKS7_PS7_S7_ZZZN2at6native31launch_logcumsumexp_cuda_kernelERKNSE_10TensorBaseESI_lENKUlvE_clEvENKUlvE2_clEvEUlS7_S7_E_S7_EEDaPvRmT3_T4_T5_mT6_P12ihipStream_tbENKUlT_T0_E_clISt17integral_constantIbLb1EESY_IbLb0EEEEDaSU_SV_EUlSU_E0_NS1_11comp_targetILNS1_3genE8ELNS1_11target_archE1030ELNS1_3gpuE2ELNS1_3repE0EEENS1_30default_config_static_selectorELNS0_4arch9wavefront6targetE1EEEvT1_
		.amdhsa_group_segment_fixed_size 0
		.amdhsa_private_segment_fixed_size 0
		.amdhsa_kernarg_size 40
		.amdhsa_user_sgpr_count 6
		.amdhsa_user_sgpr_private_segment_buffer 1
		.amdhsa_user_sgpr_dispatch_ptr 0
		.amdhsa_user_sgpr_queue_ptr 0
		.amdhsa_user_sgpr_kernarg_segment_ptr 1
		.amdhsa_user_sgpr_dispatch_id 0
		.amdhsa_user_sgpr_flat_scratch_init 0
		.amdhsa_user_sgpr_kernarg_preload_length 0
		.amdhsa_user_sgpr_kernarg_preload_offset 0
		.amdhsa_user_sgpr_private_segment_size 0
		.amdhsa_uses_dynamic_stack 0
		.amdhsa_system_sgpr_private_segment_wavefront_offset 0
		.amdhsa_system_sgpr_workgroup_id_x 1
		.amdhsa_system_sgpr_workgroup_id_y 0
		.amdhsa_system_sgpr_workgroup_id_z 0
		.amdhsa_system_sgpr_workgroup_info 0
		.amdhsa_system_vgpr_workitem_id 0
		.amdhsa_next_free_vgpr 1
		.amdhsa_next_free_sgpr 0
		.amdhsa_accum_offset 4
		.amdhsa_reserve_vcc 0
		.amdhsa_reserve_flat_scratch 0
		.amdhsa_float_round_mode_32 0
		.amdhsa_float_round_mode_16_64 0
		.amdhsa_float_denorm_mode_32 3
		.amdhsa_float_denorm_mode_16_64 3
		.amdhsa_dx10_clamp 1
		.amdhsa_ieee_mode 1
		.amdhsa_fp16_overflow 0
		.amdhsa_tg_split 0
		.amdhsa_exception_fp_ieee_invalid_op 0
		.amdhsa_exception_fp_denorm_src 0
		.amdhsa_exception_fp_ieee_div_zero 0
		.amdhsa_exception_fp_ieee_overflow 0
		.amdhsa_exception_fp_ieee_underflow 0
		.amdhsa_exception_fp_ieee_inexact 0
		.amdhsa_exception_int_div_zero 0
	.end_amdhsa_kernel
	.section	.text._ZN7rocprim17ROCPRIM_400000_NS6detail17trampoline_kernelINS0_14default_configENS1_20scan_config_selectorIN3c107complexIfEEEEZZNS1_9scan_implILNS1_25lookback_scan_determinismE0ELb0ELb0ES3_PKS7_PS7_S7_ZZZN2at6native31launch_logcumsumexp_cuda_kernelERKNSE_10TensorBaseESI_lENKUlvE_clEvENKUlvE2_clEvEUlS7_S7_E_S7_EEDaPvRmT3_T4_T5_mT6_P12ihipStream_tbENKUlT_T0_E_clISt17integral_constantIbLb1EESY_IbLb0EEEEDaSU_SV_EUlSU_E0_NS1_11comp_targetILNS1_3genE8ELNS1_11target_archE1030ELNS1_3gpuE2ELNS1_3repE0EEENS1_30default_config_static_selectorELNS0_4arch9wavefront6targetE1EEEvT1_,"axG",@progbits,_ZN7rocprim17ROCPRIM_400000_NS6detail17trampoline_kernelINS0_14default_configENS1_20scan_config_selectorIN3c107complexIfEEEEZZNS1_9scan_implILNS1_25lookback_scan_determinismE0ELb0ELb0ES3_PKS7_PS7_S7_ZZZN2at6native31launch_logcumsumexp_cuda_kernelERKNSE_10TensorBaseESI_lENKUlvE_clEvENKUlvE2_clEvEUlS7_S7_E_S7_EEDaPvRmT3_T4_T5_mT6_P12ihipStream_tbENKUlT_T0_E_clISt17integral_constantIbLb1EESY_IbLb0EEEEDaSU_SV_EUlSU_E0_NS1_11comp_targetILNS1_3genE8ELNS1_11target_archE1030ELNS1_3gpuE2ELNS1_3repE0EEENS1_30default_config_static_selectorELNS0_4arch9wavefront6targetE1EEEvT1_,comdat
.Lfunc_end327:
	.size	_ZN7rocprim17ROCPRIM_400000_NS6detail17trampoline_kernelINS0_14default_configENS1_20scan_config_selectorIN3c107complexIfEEEEZZNS1_9scan_implILNS1_25lookback_scan_determinismE0ELb0ELb0ES3_PKS7_PS7_S7_ZZZN2at6native31launch_logcumsumexp_cuda_kernelERKNSE_10TensorBaseESI_lENKUlvE_clEvENKUlvE2_clEvEUlS7_S7_E_S7_EEDaPvRmT3_T4_T5_mT6_P12ihipStream_tbENKUlT_T0_E_clISt17integral_constantIbLb1EESY_IbLb0EEEEDaSU_SV_EUlSU_E0_NS1_11comp_targetILNS1_3genE8ELNS1_11target_archE1030ELNS1_3gpuE2ELNS1_3repE0EEENS1_30default_config_static_selectorELNS0_4arch9wavefront6targetE1EEEvT1_, .Lfunc_end327-_ZN7rocprim17ROCPRIM_400000_NS6detail17trampoline_kernelINS0_14default_configENS1_20scan_config_selectorIN3c107complexIfEEEEZZNS1_9scan_implILNS1_25lookback_scan_determinismE0ELb0ELb0ES3_PKS7_PS7_S7_ZZZN2at6native31launch_logcumsumexp_cuda_kernelERKNSE_10TensorBaseESI_lENKUlvE_clEvENKUlvE2_clEvEUlS7_S7_E_S7_EEDaPvRmT3_T4_T5_mT6_P12ihipStream_tbENKUlT_T0_E_clISt17integral_constantIbLb1EESY_IbLb0EEEEDaSU_SV_EUlSU_E0_NS1_11comp_targetILNS1_3genE8ELNS1_11target_archE1030ELNS1_3gpuE2ELNS1_3repE0EEENS1_30default_config_static_selectorELNS0_4arch9wavefront6targetE1EEEvT1_
                                        ; -- End function
	.section	.AMDGPU.csdata,"",@progbits
; Kernel info:
; codeLenInByte = 0
; NumSgprs: 4
; NumVgprs: 0
; NumAgprs: 0
; TotalNumVgprs: 0
; ScratchSize: 0
; MemoryBound: 0
; FloatMode: 240
; IeeeMode: 1
; LDSByteSize: 0 bytes/workgroup (compile time only)
; SGPRBlocks: 0
; VGPRBlocks: 0
; NumSGPRsForWavesPerEU: 4
; NumVGPRsForWavesPerEU: 1
; AccumOffset: 4
; Occupancy: 8
; WaveLimiterHint : 0
; COMPUTE_PGM_RSRC2:SCRATCH_EN: 0
; COMPUTE_PGM_RSRC2:USER_SGPR: 6
; COMPUTE_PGM_RSRC2:TRAP_HANDLER: 0
; COMPUTE_PGM_RSRC2:TGID_X_EN: 1
; COMPUTE_PGM_RSRC2:TGID_Y_EN: 0
; COMPUTE_PGM_RSRC2:TGID_Z_EN: 0
; COMPUTE_PGM_RSRC2:TIDIG_COMP_CNT: 0
; COMPUTE_PGM_RSRC3_GFX90A:ACCUM_OFFSET: 0
; COMPUTE_PGM_RSRC3_GFX90A:TG_SPLIT: 0
	.section	.text._ZN7rocprim17ROCPRIM_400000_NS6detail31init_lookback_scan_state_kernelINS1_19lookback_scan_stateIN3c107complexIfEELb0ELb1EEENS1_16block_id_wrapperIjLb1EEEEEvT_jT0_jPNSA_10value_typeE,"axG",@progbits,_ZN7rocprim17ROCPRIM_400000_NS6detail31init_lookback_scan_state_kernelINS1_19lookback_scan_stateIN3c107complexIfEELb0ELb1EEENS1_16block_id_wrapperIjLb1EEEEEvT_jT0_jPNSA_10value_typeE,comdat
	.protected	_ZN7rocprim17ROCPRIM_400000_NS6detail31init_lookback_scan_state_kernelINS1_19lookback_scan_stateIN3c107complexIfEELb0ELb1EEENS1_16block_id_wrapperIjLb1EEEEEvT_jT0_jPNSA_10value_typeE ; -- Begin function _ZN7rocprim17ROCPRIM_400000_NS6detail31init_lookback_scan_state_kernelINS1_19lookback_scan_stateIN3c107complexIfEELb0ELb1EEENS1_16block_id_wrapperIjLb1EEEEEvT_jT0_jPNSA_10value_typeE
	.globl	_ZN7rocprim17ROCPRIM_400000_NS6detail31init_lookback_scan_state_kernelINS1_19lookback_scan_stateIN3c107complexIfEELb0ELb1EEENS1_16block_id_wrapperIjLb1EEEEEvT_jT0_jPNSA_10value_typeE
	.p2align	8
	.type	_ZN7rocprim17ROCPRIM_400000_NS6detail31init_lookback_scan_state_kernelINS1_19lookback_scan_stateIN3c107complexIfEELb0ELb1EEENS1_16block_id_wrapperIjLb1EEEEEvT_jT0_jPNSA_10value_typeE,@function
_ZN7rocprim17ROCPRIM_400000_NS6detail31init_lookback_scan_state_kernelINS1_19lookback_scan_stateIN3c107complexIfEELb0ELb1EEENS1_16block_id_wrapperIjLb1EEEEEvT_jT0_jPNSA_10value_typeE: ; @_ZN7rocprim17ROCPRIM_400000_NS6detail31init_lookback_scan_state_kernelINS1_19lookback_scan_stateIN3c107complexIfEELb0ELb1EEENS1_16block_id_wrapperIjLb1EEEEEvT_jT0_jPNSA_10value_typeE
; %bb.0:
	s_load_dword s7, s[4:5], 0x34
	s_load_dwordx2 s[2:3], s[4:5], 0x20
	s_load_dwordx2 s[0:1], s[4:5], 0x0
	s_load_dword s14, s[4:5], 0x8
	s_waitcnt lgkmcnt(0)
	s_and_b32 s7, s7, 0xffff
	s_mul_i32 s6, s6, s7
	s_cmp_eq_u64 s[2:3], 0
	v_add_u32_e32 v0, s6, v0
	s_cbranch_scc1 .LBB328_8
; %bb.1:
	s_load_dword s8, s[4:5], 0x18
	s_mov_b32 s9, 0
	s_waitcnt lgkmcnt(0)
	s_cmp_lt_u32 s8, s14
	s_cselect_b32 s6, s8, 0
	v_cmp_eq_u32_e32 vcc, s6, v0
	s_and_saveexec_b64 s[6:7], vcc
	s_cbranch_execz .LBB328_7
; %bb.2:
	s_add_i32 s8, s8, 64
	s_lshl_b64 s[8:9], s[8:9], 4
	s_add_u32 s12, s0, s8
	s_addc_u32 s13, s1, s9
	v_pk_mov_b32 v[2:3], s[12:13], s[12:13] op_sel:[0,1]
	;;#ASMSTART
	global_load_dwordx4 v[2:5], v[2:3] off glc	
s_waitcnt vmcnt(0)
	;;#ASMEND
	v_mov_b32_e32 v7, 0
	v_and_b32_e32 v6, 0xff, v4
	v_mov_b32_e32 v8, v3
	s_mov_b64 s[10:11], 0
	v_cmp_eq_u64_e32 vcc, 0, v[6:7]
	s_and_saveexec_b64 s[8:9], vcc
	s_cbranch_execz .LBB328_6
; %bb.3:
	v_pk_mov_b32 v[8:9], s[12:13], s[12:13] op_sel:[0,1]
.LBB328_4:                              ; =>This Inner Loop Header: Depth=1
	;;#ASMSTART
	global_load_dwordx4 v[2:5], v[8:9] off glc	
s_waitcnt vmcnt(0)
	;;#ASMEND
	v_and_b32_e32 v6, 0xff, v4
	v_cmp_ne_u64_e32 vcc, 0, v[6:7]
	s_or_b64 s[10:11], vcc, s[10:11]
	s_andn2_b64 exec, exec, s[10:11]
	s_cbranch_execnz .LBB328_4
; %bb.5:
	s_or_b64 exec, exec, s[10:11]
	v_mov_b32_e32 v8, v3
.LBB328_6:
	s_or_b64 exec, exec, s[8:9]
	v_mov_b32_e32 v3, v8
	v_mov_b32_e32 v1, 0
	global_store_dwordx2 v1, v[2:3], s[2:3]
.LBB328_7:
	s_or_b64 exec, exec, s[6:7]
.LBB328_8:
	v_cmp_eq_u32_e32 vcc, 0, v0
	s_and_saveexec_b64 s[2:3], vcc
	s_cbranch_execnz .LBB328_12
; %bb.9:
	s_or_b64 exec, exec, s[2:3]
	v_cmp_gt_u32_e32 vcc, s14, v0
	s_and_saveexec_b64 s[2:3], vcc
	s_cbranch_execnz .LBB328_13
.LBB328_10:
	s_or_b64 exec, exec, s[2:3]
	v_cmp_gt_u32_e32 vcc, 64, v0
	s_and_saveexec_b64 s[2:3], vcc
	s_cbranch_execnz .LBB328_14
.LBB328_11:
	s_endpgm
.LBB328_12:
	s_load_dwordx2 s[4:5], s[4:5], 0x10
	v_mov_b32_e32 v1, 0
	s_waitcnt lgkmcnt(0)
	global_store_dword v1, v1, s[4:5]
	s_or_b64 exec, exec, s[2:3]
	v_cmp_gt_u32_e32 vcc, s14, v0
	s_and_saveexec_b64 s[2:3], vcc
	s_cbranch_execz .LBB328_10
.LBB328_13:
	v_add_u32_e32 v2, 64, v0
	v_mov_b32_e32 v3, 0
	v_lshlrev_b64 v[4:5], 4, v[2:3]
	v_mov_b32_e32 v1, s1
	v_add_co_u32_e32 v6, vcc, s0, v4
	v_addc_co_u32_e32 v7, vcc, v1, v5, vcc
	v_mov_b32_e32 v2, v3
	v_mov_b32_e32 v4, v3
	v_mov_b32_e32 v5, v3
	global_store_dwordx4 v[6:7], v[2:5], off
	s_or_b64 exec, exec, s[2:3]
	v_cmp_gt_u32_e32 vcc, 64, v0
	s_and_saveexec_b64 s[2:3], vcc
	s_cbranch_execz .LBB328_11
.LBB328_14:
	v_mov_b32_e32 v1, 0
	v_lshlrev_b64 v[2:3], 4, v[0:1]
	v_mov_b32_e32 v0, s1
	v_add_co_u32_e32 v4, vcc, s0, v2
	v_addc_co_u32_e32 v5, vcc, v0, v3, vcc
	v_mov_b32_e32 v2, 0xff
	v_mov_b32_e32 v0, v1
	;; [unrolled: 1-line block ×3, first 2 shown]
	global_store_dwordx4 v[4:5], v[0:3], off
	s_endpgm
	.section	.rodata,"a",@progbits
	.p2align	6, 0x0
	.amdhsa_kernel _ZN7rocprim17ROCPRIM_400000_NS6detail31init_lookback_scan_state_kernelINS1_19lookback_scan_stateIN3c107complexIfEELb0ELb1EEENS1_16block_id_wrapperIjLb1EEEEEvT_jT0_jPNSA_10value_typeE
		.amdhsa_group_segment_fixed_size 0
		.amdhsa_private_segment_fixed_size 0
		.amdhsa_kernarg_size 296
		.amdhsa_user_sgpr_count 6
		.amdhsa_user_sgpr_private_segment_buffer 1
		.amdhsa_user_sgpr_dispatch_ptr 0
		.amdhsa_user_sgpr_queue_ptr 0
		.amdhsa_user_sgpr_kernarg_segment_ptr 1
		.amdhsa_user_sgpr_dispatch_id 0
		.amdhsa_user_sgpr_flat_scratch_init 0
		.amdhsa_user_sgpr_kernarg_preload_length 0
		.amdhsa_user_sgpr_kernarg_preload_offset 0
		.amdhsa_user_sgpr_private_segment_size 0
		.amdhsa_uses_dynamic_stack 0
		.amdhsa_system_sgpr_private_segment_wavefront_offset 0
		.amdhsa_system_sgpr_workgroup_id_x 1
		.amdhsa_system_sgpr_workgroup_id_y 0
		.amdhsa_system_sgpr_workgroup_id_z 0
		.amdhsa_system_sgpr_workgroup_info 0
		.amdhsa_system_vgpr_workitem_id 0
		.amdhsa_next_free_vgpr 10
		.amdhsa_next_free_sgpr 15
		.amdhsa_accum_offset 12
		.amdhsa_reserve_vcc 1
		.amdhsa_reserve_flat_scratch 0
		.amdhsa_float_round_mode_32 0
		.amdhsa_float_round_mode_16_64 0
		.amdhsa_float_denorm_mode_32 3
		.amdhsa_float_denorm_mode_16_64 3
		.amdhsa_dx10_clamp 1
		.amdhsa_ieee_mode 1
		.amdhsa_fp16_overflow 0
		.amdhsa_tg_split 0
		.amdhsa_exception_fp_ieee_invalid_op 0
		.amdhsa_exception_fp_denorm_src 0
		.amdhsa_exception_fp_ieee_div_zero 0
		.amdhsa_exception_fp_ieee_overflow 0
		.amdhsa_exception_fp_ieee_underflow 0
		.amdhsa_exception_fp_ieee_inexact 0
		.amdhsa_exception_int_div_zero 0
	.end_amdhsa_kernel
	.section	.text._ZN7rocprim17ROCPRIM_400000_NS6detail31init_lookback_scan_state_kernelINS1_19lookback_scan_stateIN3c107complexIfEELb0ELb1EEENS1_16block_id_wrapperIjLb1EEEEEvT_jT0_jPNSA_10value_typeE,"axG",@progbits,_ZN7rocprim17ROCPRIM_400000_NS6detail31init_lookback_scan_state_kernelINS1_19lookback_scan_stateIN3c107complexIfEELb0ELb1EEENS1_16block_id_wrapperIjLb1EEEEEvT_jT0_jPNSA_10value_typeE,comdat
.Lfunc_end328:
	.size	_ZN7rocprim17ROCPRIM_400000_NS6detail31init_lookback_scan_state_kernelINS1_19lookback_scan_stateIN3c107complexIfEELb0ELb1EEENS1_16block_id_wrapperIjLb1EEEEEvT_jT0_jPNSA_10value_typeE, .Lfunc_end328-_ZN7rocprim17ROCPRIM_400000_NS6detail31init_lookback_scan_state_kernelINS1_19lookback_scan_stateIN3c107complexIfEELb0ELb1EEENS1_16block_id_wrapperIjLb1EEEEEvT_jT0_jPNSA_10value_typeE
                                        ; -- End function
	.section	.AMDGPU.csdata,"",@progbits
; Kernel info:
; codeLenInByte = 452
; NumSgprs: 19
; NumVgprs: 10
; NumAgprs: 0
; TotalNumVgprs: 10
; ScratchSize: 0
; MemoryBound: 0
; FloatMode: 240
; IeeeMode: 1
; LDSByteSize: 0 bytes/workgroup (compile time only)
; SGPRBlocks: 2
; VGPRBlocks: 1
; NumSGPRsForWavesPerEU: 19
; NumVGPRsForWavesPerEU: 10
; AccumOffset: 12
; Occupancy: 8
; WaveLimiterHint : 0
; COMPUTE_PGM_RSRC2:SCRATCH_EN: 0
; COMPUTE_PGM_RSRC2:USER_SGPR: 6
; COMPUTE_PGM_RSRC2:TRAP_HANDLER: 0
; COMPUTE_PGM_RSRC2:TGID_X_EN: 1
; COMPUTE_PGM_RSRC2:TGID_Y_EN: 0
; COMPUTE_PGM_RSRC2:TGID_Z_EN: 0
; COMPUTE_PGM_RSRC2:TIDIG_COMP_CNT: 0
; COMPUTE_PGM_RSRC3_GFX90A:ACCUM_OFFSET: 2
; COMPUTE_PGM_RSRC3_GFX90A:TG_SPLIT: 0
	.section	.text._ZN7rocprim17ROCPRIM_400000_NS6detail17trampoline_kernelINS0_14default_configENS1_20scan_config_selectorIN3c107complexIfEEEEZZNS1_9scan_implILNS1_25lookback_scan_determinismE0ELb0ELb0ES3_PKS7_PS7_S7_ZZZN2at6native31launch_logcumsumexp_cuda_kernelERKNSE_10TensorBaseESI_lENKUlvE_clEvENKUlvE2_clEvEUlS7_S7_E_S7_EEDaPvRmT3_T4_T5_mT6_P12ihipStream_tbENKUlT_T0_E_clISt17integral_constantIbLb0EESY_IbLb1EEEEDaSU_SV_EUlSU_E_NS1_11comp_targetILNS1_3genE0ELNS1_11target_archE4294967295ELNS1_3gpuE0ELNS1_3repE0EEENS1_30default_config_static_selectorELNS0_4arch9wavefront6targetE1EEEvT1_,"axG",@progbits,_ZN7rocprim17ROCPRIM_400000_NS6detail17trampoline_kernelINS0_14default_configENS1_20scan_config_selectorIN3c107complexIfEEEEZZNS1_9scan_implILNS1_25lookback_scan_determinismE0ELb0ELb0ES3_PKS7_PS7_S7_ZZZN2at6native31launch_logcumsumexp_cuda_kernelERKNSE_10TensorBaseESI_lENKUlvE_clEvENKUlvE2_clEvEUlS7_S7_E_S7_EEDaPvRmT3_T4_T5_mT6_P12ihipStream_tbENKUlT_T0_E_clISt17integral_constantIbLb0EESY_IbLb1EEEEDaSU_SV_EUlSU_E_NS1_11comp_targetILNS1_3genE0ELNS1_11target_archE4294967295ELNS1_3gpuE0ELNS1_3repE0EEENS1_30default_config_static_selectorELNS0_4arch9wavefront6targetE1EEEvT1_,comdat
	.globl	_ZN7rocprim17ROCPRIM_400000_NS6detail17trampoline_kernelINS0_14default_configENS1_20scan_config_selectorIN3c107complexIfEEEEZZNS1_9scan_implILNS1_25lookback_scan_determinismE0ELb0ELb0ES3_PKS7_PS7_S7_ZZZN2at6native31launch_logcumsumexp_cuda_kernelERKNSE_10TensorBaseESI_lENKUlvE_clEvENKUlvE2_clEvEUlS7_S7_E_S7_EEDaPvRmT3_T4_T5_mT6_P12ihipStream_tbENKUlT_T0_E_clISt17integral_constantIbLb0EESY_IbLb1EEEEDaSU_SV_EUlSU_E_NS1_11comp_targetILNS1_3genE0ELNS1_11target_archE4294967295ELNS1_3gpuE0ELNS1_3repE0EEENS1_30default_config_static_selectorELNS0_4arch9wavefront6targetE1EEEvT1_ ; -- Begin function _ZN7rocprim17ROCPRIM_400000_NS6detail17trampoline_kernelINS0_14default_configENS1_20scan_config_selectorIN3c107complexIfEEEEZZNS1_9scan_implILNS1_25lookback_scan_determinismE0ELb0ELb0ES3_PKS7_PS7_S7_ZZZN2at6native31launch_logcumsumexp_cuda_kernelERKNSE_10TensorBaseESI_lENKUlvE_clEvENKUlvE2_clEvEUlS7_S7_E_S7_EEDaPvRmT3_T4_T5_mT6_P12ihipStream_tbENKUlT_T0_E_clISt17integral_constantIbLb0EESY_IbLb1EEEEDaSU_SV_EUlSU_E_NS1_11comp_targetILNS1_3genE0ELNS1_11target_archE4294967295ELNS1_3gpuE0ELNS1_3repE0EEENS1_30default_config_static_selectorELNS0_4arch9wavefront6targetE1EEEvT1_
	.p2align	8
	.type	_ZN7rocprim17ROCPRIM_400000_NS6detail17trampoline_kernelINS0_14default_configENS1_20scan_config_selectorIN3c107complexIfEEEEZZNS1_9scan_implILNS1_25lookback_scan_determinismE0ELb0ELb0ES3_PKS7_PS7_S7_ZZZN2at6native31launch_logcumsumexp_cuda_kernelERKNSE_10TensorBaseESI_lENKUlvE_clEvENKUlvE2_clEvEUlS7_S7_E_S7_EEDaPvRmT3_T4_T5_mT6_P12ihipStream_tbENKUlT_T0_E_clISt17integral_constantIbLb0EESY_IbLb1EEEEDaSU_SV_EUlSU_E_NS1_11comp_targetILNS1_3genE0ELNS1_11target_archE4294967295ELNS1_3gpuE0ELNS1_3repE0EEENS1_30default_config_static_selectorELNS0_4arch9wavefront6targetE1EEEvT1_,@function
_ZN7rocprim17ROCPRIM_400000_NS6detail17trampoline_kernelINS0_14default_configENS1_20scan_config_selectorIN3c107complexIfEEEEZZNS1_9scan_implILNS1_25lookback_scan_determinismE0ELb0ELb0ES3_PKS7_PS7_S7_ZZZN2at6native31launch_logcumsumexp_cuda_kernelERKNSE_10TensorBaseESI_lENKUlvE_clEvENKUlvE2_clEvEUlS7_S7_E_S7_EEDaPvRmT3_T4_T5_mT6_P12ihipStream_tbENKUlT_T0_E_clISt17integral_constantIbLb0EESY_IbLb1EEEEDaSU_SV_EUlSU_E_NS1_11comp_targetILNS1_3genE0ELNS1_11target_archE4294967295ELNS1_3gpuE0ELNS1_3repE0EEENS1_30default_config_static_selectorELNS0_4arch9wavefront6targetE1EEEvT1_: ; @_ZN7rocprim17ROCPRIM_400000_NS6detail17trampoline_kernelINS0_14default_configENS1_20scan_config_selectorIN3c107complexIfEEEEZZNS1_9scan_implILNS1_25lookback_scan_determinismE0ELb0ELb0ES3_PKS7_PS7_S7_ZZZN2at6native31launch_logcumsumexp_cuda_kernelERKNSE_10TensorBaseESI_lENKUlvE_clEvENKUlvE2_clEvEUlS7_S7_E_S7_EEDaPvRmT3_T4_T5_mT6_P12ihipStream_tbENKUlT_T0_E_clISt17integral_constantIbLb0EESY_IbLb1EEEEDaSU_SV_EUlSU_E_NS1_11comp_targetILNS1_3genE0ELNS1_11target_archE4294967295ELNS1_3gpuE0ELNS1_3repE0EEENS1_30default_config_static_selectorELNS0_4arch9wavefront6targetE1EEEvT1_
; %bb.0:
	.section	.rodata,"a",@progbits
	.p2align	6, 0x0
	.amdhsa_kernel _ZN7rocprim17ROCPRIM_400000_NS6detail17trampoline_kernelINS0_14default_configENS1_20scan_config_selectorIN3c107complexIfEEEEZZNS1_9scan_implILNS1_25lookback_scan_determinismE0ELb0ELb0ES3_PKS7_PS7_S7_ZZZN2at6native31launch_logcumsumexp_cuda_kernelERKNSE_10TensorBaseESI_lENKUlvE_clEvENKUlvE2_clEvEUlS7_S7_E_S7_EEDaPvRmT3_T4_T5_mT6_P12ihipStream_tbENKUlT_T0_E_clISt17integral_constantIbLb0EESY_IbLb1EEEEDaSU_SV_EUlSU_E_NS1_11comp_targetILNS1_3genE0ELNS1_11target_archE4294967295ELNS1_3gpuE0ELNS1_3repE0EEENS1_30default_config_static_selectorELNS0_4arch9wavefront6targetE1EEEvT1_
		.amdhsa_group_segment_fixed_size 0
		.amdhsa_private_segment_fixed_size 0
		.amdhsa_kernarg_size 104
		.amdhsa_user_sgpr_count 6
		.amdhsa_user_sgpr_private_segment_buffer 1
		.amdhsa_user_sgpr_dispatch_ptr 0
		.amdhsa_user_sgpr_queue_ptr 0
		.amdhsa_user_sgpr_kernarg_segment_ptr 1
		.amdhsa_user_sgpr_dispatch_id 0
		.amdhsa_user_sgpr_flat_scratch_init 0
		.amdhsa_user_sgpr_kernarg_preload_length 0
		.amdhsa_user_sgpr_kernarg_preload_offset 0
		.amdhsa_user_sgpr_private_segment_size 0
		.amdhsa_uses_dynamic_stack 0
		.amdhsa_system_sgpr_private_segment_wavefront_offset 0
		.amdhsa_system_sgpr_workgroup_id_x 1
		.amdhsa_system_sgpr_workgroup_id_y 0
		.amdhsa_system_sgpr_workgroup_id_z 0
		.amdhsa_system_sgpr_workgroup_info 0
		.amdhsa_system_vgpr_workitem_id 0
		.amdhsa_next_free_vgpr 1
		.amdhsa_next_free_sgpr 0
		.amdhsa_accum_offset 4
		.amdhsa_reserve_vcc 0
		.amdhsa_reserve_flat_scratch 0
		.amdhsa_float_round_mode_32 0
		.amdhsa_float_round_mode_16_64 0
		.amdhsa_float_denorm_mode_32 3
		.amdhsa_float_denorm_mode_16_64 3
		.amdhsa_dx10_clamp 1
		.amdhsa_ieee_mode 1
		.amdhsa_fp16_overflow 0
		.amdhsa_tg_split 0
		.amdhsa_exception_fp_ieee_invalid_op 0
		.amdhsa_exception_fp_denorm_src 0
		.amdhsa_exception_fp_ieee_div_zero 0
		.amdhsa_exception_fp_ieee_overflow 0
		.amdhsa_exception_fp_ieee_underflow 0
		.amdhsa_exception_fp_ieee_inexact 0
		.amdhsa_exception_int_div_zero 0
	.end_amdhsa_kernel
	.section	.text._ZN7rocprim17ROCPRIM_400000_NS6detail17trampoline_kernelINS0_14default_configENS1_20scan_config_selectorIN3c107complexIfEEEEZZNS1_9scan_implILNS1_25lookback_scan_determinismE0ELb0ELb0ES3_PKS7_PS7_S7_ZZZN2at6native31launch_logcumsumexp_cuda_kernelERKNSE_10TensorBaseESI_lENKUlvE_clEvENKUlvE2_clEvEUlS7_S7_E_S7_EEDaPvRmT3_T4_T5_mT6_P12ihipStream_tbENKUlT_T0_E_clISt17integral_constantIbLb0EESY_IbLb1EEEEDaSU_SV_EUlSU_E_NS1_11comp_targetILNS1_3genE0ELNS1_11target_archE4294967295ELNS1_3gpuE0ELNS1_3repE0EEENS1_30default_config_static_selectorELNS0_4arch9wavefront6targetE1EEEvT1_,"axG",@progbits,_ZN7rocprim17ROCPRIM_400000_NS6detail17trampoline_kernelINS0_14default_configENS1_20scan_config_selectorIN3c107complexIfEEEEZZNS1_9scan_implILNS1_25lookback_scan_determinismE0ELb0ELb0ES3_PKS7_PS7_S7_ZZZN2at6native31launch_logcumsumexp_cuda_kernelERKNSE_10TensorBaseESI_lENKUlvE_clEvENKUlvE2_clEvEUlS7_S7_E_S7_EEDaPvRmT3_T4_T5_mT6_P12ihipStream_tbENKUlT_T0_E_clISt17integral_constantIbLb0EESY_IbLb1EEEEDaSU_SV_EUlSU_E_NS1_11comp_targetILNS1_3genE0ELNS1_11target_archE4294967295ELNS1_3gpuE0ELNS1_3repE0EEENS1_30default_config_static_selectorELNS0_4arch9wavefront6targetE1EEEvT1_,comdat
.Lfunc_end329:
	.size	_ZN7rocprim17ROCPRIM_400000_NS6detail17trampoline_kernelINS0_14default_configENS1_20scan_config_selectorIN3c107complexIfEEEEZZNS1_9scan_implILNS1_25lookback_scan_determinismE0ELb0ELb0ES3_PKS7_PS7_S7_ZZZN2at6native31launch_logcumsumexp_cuda_kernelERKNSE_10TensorBaseESI_lENKUlvE_clEvENKUlvE2_clEvEUlS7_S7_E_S7_EEDaPvRmT3_T4_T5_mT6_P12ihipStream_tbENKUlT_T0_E_clISt17integral_constantIbLb0EESY_IbLb1EEEEDaSU_SV_EUlSU_E_NS1_11comp_targetILNS1_3genE0ELNS1_11target_archE4294967295ELNS1_3gpuE0ELNS1_3repE0EEENS1_30default_config_static_selectorELNS0_4arch9wavefront6targetE1EEEvT1_, .Lfunc_end329-_ZN7rocprim17ROCPRIM_400000_NS6detail17trampoline_kernelINS0_14default_configENS1_20scan_config_selectorIN3c107complexIfEEEEZZNS1_9scan_implILNS1_25lookback_scan_determinismE0ELb0ELb0ES3_PKS7_PS7_S7_ZZZN2at6native31launch_logcumsumexp_cuda_kernelERKNSE_10TensorBaseESI_lENKUlvE_clEvENKUlvE2_clEvEUlS7_S7_E_S7_EEDaPvRmT3_T4_T5_mT6_P12ihipStream_tbENKUlT_T0_E_clISt17integral_constantIbLb0EESY_IbLb1EEEEDaSU_SV_EUlSU_E_NS1_11comp_targetILNS1_3genE0ELNS1_11target_archE4294967295ELNS1_3gpuE0ELNS1_3repE0EEENS1_30default_config_static_selectorELNS0_4arch9wavefront6targetE1EEEvT1_
                                        ; -- End function
	.section	.AMDGPU.csdata,"",@progbits
; Kernel info:
; codeLenInByte = 0
; NumSgprs: 4
; NumVgprs: 0
; NumAgprs: 0
; TotalNumVgprs: 0
; ScratchSize: 0
; MemoryBound: 0
; FloatMode: 240
; IeeeMode: 1
; LDSByteSize: 0 bytes/workgroup (compile time only)
; SGPRBlocks: 0
; VGPRBlocks: 0
; NumSGPRsForWavesPerEU: 4
; NumVGPRsForWavesPerEU: 1
; AccumOffset: 4
; Occupancy: 8
; WaveLimiterHint : 0
; COMPUTE_PGM_RSRC2:SCRATCH_EN: 0
; COMPUTE_PGM_RSRC2:USER_SGPR: 6
; COMPUTE_PGM_RSRC2:TRAP_HANDLER: 0
; COMPUTE_PGM_RSRC2:TGID_X_EN: 1
; COMPUTE_PGM_RSRC2:TGID_Y_EN: 0
; COMPUTE_PGM_RSRC2:TGID_Z_EN: 0
; COMPUTE_PGM_RSRC2:TIDIG_COMP_CNT: 0
; COMPUTE_PGM_RSRC3_GFX90A:ACCUM_OFFSET: 0
; COMPUTE_PGM_RSRC3_GFX90A:TG_SPLIT: 0
	.section	.text._ZN7rocprim17ROCPRIM_400000_NS6detail17trampoline_kernelINS0_14default_configENS1_20scan_config_selectorIN3c107complexIfEEEEZZNS1_9scan_implILNS1_25lookback_scan_determinismE0ELb0ELb0ES3_PKS7_PS7_S7_ZZZN2at6native31launch_logcumsumexp_cuda_kernelERKNSE_10TensorBaseESI_lENKUlvE_clEvENKUlvE2_clEvEUlS7_S7_E_S7_EEDaPvRmT3_T4_T5_mT6_P12ihipStream_tbENKUlT_T0_E_clISt17integral_constantIbLb0EESY_IbLb1EEEEDaSU_SV_EUlSU_E_NS1_11comp_targetILNS1_3genE5ELNS1_11target_archE942ELNS1_3gpuE9ELNS1_3repE0EEENS1_30default_config_static_selectorELNS0_4arch9wavefront6targetE1EEEvT1_,"axG",@progbits,_ZN7rocprim17ROCPRIM_400000_NS6detail17trampoline_kernelINS0_14default_configENS1_20scan_config_selectorIN3c107complexIfEEEEZZNS1_9scan_implILNS1_25lookback_scan_determinismE0ELb0ELb0ES3_PKS7_PS7_S7_ZZZN2at6native31launch_logcumsumexp_cuda_kernelERKNSE_10TensorBaseESI_lENKUlvE_clEvENKUlvE2_clEvEUlS7_S7_E_S7_EEDaPvRmT3_T4_T5_mT6_P12ihipStream_tbENKUlT_T0_E_clISt17integral_constantIbLb0EESY_IbLb1EEEEDaSU_SV_EUlSU_E_NS1_11comp_targetILNS1_3genE5ELNS1_11target_archE942ELNS1_3gpuE9ELNS1_3repE0EEENS1_30default_config_static_selectorELNS0_4arch9wavefront6targetE1EEEvT1_,comdat
	.globl	_ZN7rocprim17ROCPRIM_400000_NS6detail17trampoline_kernelINS0_14default_configENS1_20scan_config_selectorIN3c107complexIfEEEEZZNS1_9scan_implILNS1_25lookback_scan_determinismE0ELb0ELb0ES3_PKS7_PS7_S7_ZZZN2at6native31launch_logcumsumexp_cuda_kernelERKNSE_10TensorBaseESI_lENKUlvE_clEvENKUlvE2_clEvEUlS7_S7_E_S7_EEDaPvRmT3_T4_T5_mT6_P12ihipStream_tbENKUlT_T0_E_clISt17integral_constantIbLb0EESY_IbLb1EEEEDaSU_SV_EUlSU_E_NS1_11comp_targetILNS1_3genE5ELNS1_11target_archE942ELNS1_3gpuE9ELNS1_3repE0EEENS1_30default_config_static_selectorELNS0_4arch9wavefront6targetE1EEEvT1_ ; -- Begin function _ZN7rocprim17ROCPRIM_400000_NS6detail17trampoline_kernelINS0_14default_configENS1_20scan_config_selectorIN3c107complexIfEEEEZZNS1_9scan_implILNS1_25lookback_scan_determinismE0ELb0ELb0ES3_PKS7_PS7_S7_ZZZN2at6native31launch_logcumsumexp_cuda_kernelERKNSE_10TensorBaseESI_lENKUlvE_clEvENKUlvE2_clEvEUlS7_S7_E_S7_EEDaPvRmT3_T4_T5_mT6_P12ihipStream_tbENKUlT_T0_E_clISt17integral_constantIbLb0EESY_IbLb1EEEEDaSU_SV_EUlSU_E_NS1_11comp_targetILNS1_3genE5ELNS1_11target_archE942ELNS1_3gpuE9ELNS1_3repE0EEENS1_30default_config_static_selectorELNS0_4arch9wavefront6targetE1EEEvT1_
	.p2align	8
	.type	_ZN7rocprim17ROCPRIM_400000_NS6detail17trampoline_kernelINS0_14default_configENS1_20scan_config_selectorIN3c107complexIfEEEEZZNS1_9scan_implILNS1_25lookback_scan_determinismE0ELb0ELb0ES3_PKS7_PS7_S7_ZZZN2at6native31launch_logcumsumexp_cuda_kernelERKNSE_10TensorBaseESI_lENKUlvE_clEvENKUlvE2_clEvEUlS7_S7_E_S7_EEDaPvRmT3_T4_T5_mT6_P12ihipStream_tbENKUlT_T0_E_clISt17integral_constantIbLb0EESY_IbLb1EEEEDaSU_SV_EUlSU_E_NS1_11comp_targetILNS1_3genE5ELNS1_11target_archE942ELNS1_3gpuE9ELNS1_3repE0EEENS1_30default_config_static_selectorELNS0_4arch9wavefront6targetE1EEEvT1_,@function
_ZN7rocprim17ROCPRIM_400000_NS6detail17trampoline_kernelINS0_14default_configENS1_20scan_config_selectorIN3c107complexIfEEEEZZNS1_9scan_implILNS1_25lookback_scan_determinismE0ELb0ELb0ES3_PKS7_PS7_S7_ZZZN2at6native31launch_logcumsumexp_cuda_kernelERKNSE_10TensorBaseESI_lENKUlvE_clEvENKUlvE2_clEvEUlS7_S7_E_S7_EEDaPvRmT3_T4_T5_mT6_P12ihipStream_tbENKUlT_T0_E_clISt17integral_constantIbLb0EESY_IbLb1EEEEDaSU_SV_EUlSU_E_NS1_11comp_targetILNS1_3genE5ELNS1_11target_archE942ELNS1_3gpuE9ELNS1_3repE0EEENS1_30default_config_static_selectorELNS0_4arch9wavefront6targetE1EEEvT1_: ; @_ZN7rocprim17ROCPRIM_400000_NS6detail17trampoline_kernelINS0_14default_configENS1_20scan_config_selectorIN3c107complexIfEEEEZZNS1_9scan_implILNS1_25lookback_scan_determinismE0ELb0ELb0ES3_PKS7_PS7_S7_ZZZN2at6native31launch_logcumsumexp_cuda_kernelERKNSE_10TensorBaseESI_lENKUlvE_clEvENKUlvE2_clEvEUlS7_S7_E_S7_EEDaPvRmT3_T4_T5_mT6_P12ihipStream_tbENKUlT_T0_E_clISt17integral_constantIbLb0EESY_IbLb1EEEEDaSU_SV_EUlSU_E_NS1_11comp_targetILNS1_3genE5ELNS1_11target_archE942ELNS1_3gpuE9ELNS1_3repE0EEENS1_30default_config_static_selectorELNS0_4arch9wavefront6targetE1EEEvT1_
; %bb.0:
	.section	.rodata,"a",@progbits
	.p2align	6, 0x0
	.amdhsa_kernel _ZN7rocprim17ROCPRIM_400000_NS6detail17trampoline_kernelINS0_14default_configENS1_20scan_config_selectorIN3c107complexIfEEEEZZNS1_9scan_implILNS1_25lookback_scan_determinismE0ELb0ELb0ES3_PKS7_PS7_S7_ZZZN2at6native31launch_logcumsumexp_cuda_kernelERKNSE_10TensorBaseESI_lENKUlvE_clEvENKUlvE2_clEvEUlS7_S7_E_S7_EEDaPvRmT3_T4_T5_mT6_P12ihipStream_tbENKUlT_T0_E_clISt17integral_constantIbLb0EESY_IbLb1EEEEDaSU_SV_EUlSU_E_NS1_11comp_targetILNS1_3genE5ELNS1_11target_archE942ELNS1_3gpuE9ELNS1_3repE0EEENS1_30default_config_static_selectorELNS0_4arch9wavefront6targetE1EEEvT1_
		.amdhsa_group_segment_fixed_size 0
		.amdhsa_private_segment_fixed_size 0
		.amdhsa_kernarg_size 104
		.amdhsa_user_sgpr_count 6
		.amdhsa_user_sgpr_private_segment_buffer 1
		.amdhsa_user_sgpr_dispatch_ptr 0
		.amdhsa_user_sgpr_queue_ptr 0
		.amdhsa_user_sgpr_kernarg_segment_ptr 1
		.amdhsa_user_sgpr_dispatch_id 0
		.amdhsa_user_sgpr_flat_scratch_init 0
		.amdhsa_user_sgpr_kernarg_preload_length 0
		.amdhsa_user_sgpr_kernarg_preload_offset 0
		.amdhsa_user_sgpr_private_segment_size 0
		.amdhsa_uses_dynamic_stack 0
		.amdhsa_system_sgpr_private_segment_wavefront_offset 0
		.amdhsa_system_sgpr_workgroup_id_x 1
		.amdhsa_system_sgpr_workgroup_id_y 0
		.amdhsa_system_sgpr_workgroup_id_z 0
		.amdhsa_system_sgpr_workgroup_info 0
		.amdhsa_system_vgpr_workitem_id 0
		.amdhsa_next_free_vgpr 1
		.amdhsa_next_free_sgpr 0
		.amdhsa_accum_offset 4
		.amdhsa_reserve_vcc 0
		.amdhsa_reserve_flat_scratch 0
		.amdhsa_float_round_mode_32 0
		.amdhsa_float_round_mode_16_64 0
		.amdhsa_float_denorm_mode_32 3
		.amdhsa_float_denorm_mode_16_64 3
		.amdhsa_dx10_clamp 1
		.amdhsa_ieee_mode 1
		.amdhsa_fp16_overflow 0
		.amdhsa_tg_split 0
		.amdhsa_exception_fp_ieee_invalid_op 0
		.amdhsa_exception_fp_denorm_src 0
		.amdhsa_exception_fp_ieee_div_zero 0
		.amdhsa_exception_fp_ieee_overflow 0
		.amdhsa_exception_fp_ieee_underflow 0
		.amdhsa_exception_fp_ieee_inexact 0
		.amdhsa_exception_int_div_zero 0
	.end_amdhsa_kernel
	.section	.text._ZN7rocprim17ROCPRIM_400000_NS6detail17trampoline_kernelINS0_14default_configENS1_20scan_config_selectorIN3c107complexIfEEEEZZNS1_9scan_implILNS1_25lookback_scan_determinismE0ELb0ELb0ES3_PKS7_PS7_S7_ZZZN2at6native31launch_logcumsumexp_cuda_kernelERKNSE_10TensorBaseESI_lENKUlvE_clEvENKUlvE2_clEvEUlS7_S7_E_S7_EEDaPvRmT3_T4_T5_mT6_P12ihipStream_tbENKUlT_T0_E_clISt17integral_constantIbLb0EESY_IbLb1EEEEDaSU_SV_EUlSU_E_NS1_11comp_targetILNS1_3genE5ELNS1_11target_archE942ELNS1_3gpuE9ELNS1_3repE0EEENS1_30default_config_static_selectorELNS0_4arch9wavefront6targetE1EEEvT1_,"axG",@progbits,_ZN7rocprim17ROCPRIM_400000_NS6detail17trampoline_kernelINS0_14default_configENS1_20scan_config_selectorIN3c107complexIfEEEEZZNS1_9scan_implILNS1_25lookback_scan_determinismE0ELb0ELb0ES3_PKS7_PS7_S7_ZZZN2at6native31launch_logcumsumexp_cuda_kernelERKNSE_10TensorBaseESI_lENKUlvE_clEvENKUlvE2_clEvEUlS7_S7_E_S7_EEDaPvRmT3_T4_T5_mT6_P12ihipStream_tbENKUlT_T0_E_clISt17integral_constantIbLb0EESY_IbLb1EEEEDaSU_SV_EUlSU_E_NS1_11comp_targetILNS1_3genE5ELNS1_11target_archE942ELNS1_3gpuE9ELNS1_3repE0EEENS1_30default_config_static_selectorELNS0_4arch9wavefront6targetE1EEEvT1_,comdat
.Lfunc_end330:
	.size	_ZN7rocprim17ROCPRIM_400000_NS6detail17trampoline_kernelINS0_14default_configENS1_20scan_config_selectorIN3c107complexIfEEEEZZNS1_9scan_implILNS1_25lookback_scan_determinismE0ELb0ELb0ES3_PKS7_PS7_S7_ZZZN2at6native31launch_logcumsumexp_cuda_kernelERKNSE_10TensorBaseESI_lENKUlvE_clEvENKUlvE2_clEvEUlS7_S7_E_S7_EEDaPvRmT3_T4_T5_mT6_P12ihipStream_tbENKUlT_T0_E_clISt17integral_constantIbLb0EESY_IbLb1EEEEDaSU_SV_EUlSU_E_NS1_11comp_targetILNS1_3genE5ELNS1_11target_archE942ELNS1_3gpuE9ELNS1_3repE0EEENS1_30default_config_static_selectorELNS0_4arch9wavefront6targetE1EEEvT1_, .Lfunc_end330-_ZN7rocprim17ROCPRIM_400000_NS6detail17trampoline_kernelINS0_14default_configENS1_20scan_config_selectorIN3c107complexIfEEEEZZNS1_9scan_implILNS1_25lookback_scan_determinismE0ELb0ELb0ES3_PKS7_PS7_S7_ZZZN2at6native31launch_logcumsumexp_cuda_kernelERKNSE_10TensorBaseESI_lENKUlvE_clEvENKUlvE2_clEvEUlS7_S7_E_S7_EEDaPvRmT3_T4_T5_mT6_P12ihipStream_tbENKUlT_T0_E_clISt17integral_constantIbLb0EESY_IbLb1EEEEDaSU_SV_EUlSU_E_NS1_11comp_targetILNS1_3genE5ELNS1_11target_archE942ELNS1_3gpuE9ELNS1_3repE0EEENS1_30default_config_static_selectorELNS0_4arch9wavefront6targetE1EEEvT1_
                                        ; -- End function
	.section	.AMDGPU.csdata,"",@progbits
; Kernel info:
; codeLenInByte = 0
; NumSgprs: 4
; NumVgprs: 0
; NumAgprs: 0
; TotalNumVgprs: 0
; ScratchSize: 0
; MemoryBound: 0
; FloatMode: 240
; IeeeMode: 1
; LDSByteSize: 0 bytes/workgroup (compile time only)
; SGPRBlocks: 0
; VGPRBlocks: 0
; NumSGPRsForWavesPerEU: 4
; NumVGPRsForWavesPerEU: 1
; AccumOffset: 4
; Occupancy: 8
; WaveLimiterHint : 0
; COMPUTE_PGM_RSRC2:SCRATCH_EN: 0
; COMPUTE_PGM_RSRC2:USER_SGPR: 6
; COMPUTE_PGM_RSRC2:TRAP_HANDLER: 0
; COMPUTE_PGM_RSRC2:TGID_X_EN: 1
; COMPUTE_PGM_RSRC2:TGID_Y_EN: 0
; COMPUTE_PGM_RSRC2:TGID_Z_EN: 0
; COMPUTE_PGM_RSRC2:TIDIG_COMP_CNT: 0
; COMPUTE_PGM_RSRC3_GFX90A:ACCUM_OFFSET: 0
; COMPUTE_PGM_RSRC3_GFX90A:TG_SPLIT: 0
	.section	.text._ZN7rocprim17ROCPRIM_400000_NS6detail17trampoline_kernelINS0_14default_configENS1_20scan_config_selectorIN3c107complexIfEEEEZZNS1_9scan_implILNS1_25lookback_scan_determinismE0ELb0ELb0ES3_PKS7_PS7_S7_ZZZN2at6native31launch_logcumsumexp_cuda_kernelERKNSE_10TensorBaseESI_lENKUlvE_clEvENKUlvE2_clEvEUlS7_S7_E_S7_EEDaPvRmT3_T4_T5_mT6_P12ihipStream_tbENKUlT_T0_E_clISt17integral_constantIbLb0EESY_IbLb1EEEEDaSU_SV_EUlSU_E_NS1_11comp_targetILNS1_3genE4ELNS1_11target_archE910ELNS1_3gpuE8ELNS1_3repE0EEENS1_30default_config_static_selectorELNS0_4arch9wavefront6targetE1EEEvT1_,"axG",@progbits,_ZN7rocprim17ROCPRIM_400000_NS6detail17trampoline_kernelINS0_14default_configENS1_20scan_config_selectorIN3c107complexIfEEEEZZNS1_9scan_implILNS1_25lookback_scan_determinismE0ELb0ELb0ES3_PKS7_PS7_S7_ZZZN2at6native31launch_logcumsumexp_cuda_kernelERKNSE_10TensorBaseESI_lENKUlvE_clEvENKUlvE2_clEvEUlS7_S7_E_S7_EEDaPvRmT3_T4_T5_mT6_P12ihipStream_tbENKUlT_T0_E_clISt17integral_constantIbLb0EESY_IbLb1EEEEDaSU_SV_EUlSU_E_NS1_11comp_targetILNS1_3genE4ELNS1_11target_archE910ELNS1_3gpuE8ELNS1_3repE0EEENS1_30default_config_static_selectorELNS0_4arch9wavefront6targetE1EEEvT1_,comdat
	.globl	_ZN7rocprim17ROCPRIM_400000_NS6detail17trampoline_kernelINS0_14default_configENS1_20scan_config_selectorIN3c107complexIfEEEEZZNS1_9scan_implILNS1_25lookback_scan_determinismE0ELb0ELb0ES3_PKS7_PS7_S7_ZZZN2at6native31launch_logcumsumexp_cuda_kernelERKNSE_10TensorBaseESI_lENKUlvE_clEvENKUlvE2_clEvEUlS7_S7_E_S7_EEDaPvRmT3_T4_T5_mT6_P12ihipStream_tbENKUlT_T0_E_clISt17integral_constantIbLb0EESY_IbLb1EEEEDaSU_SV_EUlSU_E_NS1_11comp_targetILNS1_3genE4ELNS1_11target_archE910ELNS1_3gpuE8ELNS1_3repE0EEENS1_30default_config_static_selectorELNS0_4arch9wavefront6targetE1EEEvT1_ ; -- Begin function _ZN7rocprim17ROCPRIM_400000_NS6detail17trampoline_kernelINS0_14default_configENS1_20scan_config_selectorIN3c107complexIfEEEEZZNS1_9scan_implILNS1_25lookback_scan_determinismE0ELb0ELb0ES3_PKS7_PS7_S7_ZZZN2at6native31launch_logcumsumexp_cuda_kernelERKNSE_10TensorBaseESI_lENKUlvE_clEvENKUlvE2_clEvEUlS7_S7_E_S7_EEDaPvRmT3_T4_T5_mT6_P12ihipStream_tbENKUlT_T0_E_clISt17integral_constantIbLb0EESY_IbLb1EEEEDaSU_SV_EUlSU_E_NS1_11comp_targetILNS1_3genE4ELNS1_11target_archE910ELNS1_3gpuE8ELNS1_3repE0EEENS1_30default_config_static_selectorELNS0_4arch9wavefront6targetE1EEEvT1_
	.p2align	8
	.type	_ZN7rocprim17ROCPRIM_400000_NS6detail17trampoline_kernelINS0_14default_configENS1_20scan_config_selectorIN3c107complexIfEEEEZZNS1_9scan_implILNS1_25lookback_scan_determinismE0ELb0ELb0ES3_PKS7_PS7_S7_ZZZN2at6native31launch_logcumsumexp_cuda_kernelERKNSE_10TensorBaseESI_lENKUlvE_clEvENKUlvE2_clEvEUlS7_S7_E_S7_EEDaPvRmT3_T4_T5_mT6_P12ihipStream_tbENKUlT_T0_E_clISt17integral_constantIbLb0EESY_IbLb1EEEEDaSU_SV_EUlSU_E_NS1_11comp_targetILNS1_3genE4ELNS1_11target_archE910ELNS1_3gpuE8ELNS1_3repE0EEENS1_30default_config_static_selectorELNS0_4arch9wavefront6targetE1EEEvT1_,@function
_ZN7rocprim17ROCPRIM_400000_NS6detail17trampoline_kernelINS0_14default_configENS1_20scan_config_selectorIN3c107complexIfEEEEZZNS1_9scan_implILNS1_25lookback_scan_determinismE0ELb0ELb0ES3_PKS7_PS7_S7_ZZZN2at6native31launch_logcumsumexp_cuda_kernelERKNSE_10TensorBaseESI_lENKUlvE_clEvENKUlvE2_clEvEUlS7_S7_E_S7_EEDaPvRmT3_T4_T5_mT6_P12ihipStream_tbENKUlT_T0_E_clISt17integral_constantIbLb0EESY_IbLb1EEEEDaSU_SV_EUlSU_E_NS1_11comp_targetILNS1_3genE4ELNS1_11target_archE910ELNS1_3gpuE8ELNS1_3repE0EEENS1_30default_config_static_selectorELNS0_4arch9wavefront6targetE1EEEvT1_: ; @_ZN7rocprim17ROCPRIM_400000_NS6detail17trampoline_kernelINS0_14default_configENS1_20scan_config_selectorIN3c107complexIfEEEEZZNS1_9scan_implILNS1_25lookback_scan_determinismE0ELb0ELb0ES3_PKS7_PS7_S7_ZZZN2at6native31launch_logcumsumexp_cuda_kernelERKNSE_10TensorBaseESI_lENKUlvE_clEvENKUlvE2_clEvEUlS7_S7_E_S7_EEDaPvRmT3_T4_T5_mT6_P12ihipStream_tbENKUlT_T0_E_clISt17integral_constantIbLb0EESY_IbLb1EEEEDaSU_SV_EUlSU_E_NS1_11comp_targetILNS1_3genE4ELNS1_11target_archE910ELNS1_3gpuE8ELNS1_3repE0EEENS1_30default_config_static_selectorELNS0_4arch9wavefront6targetE1EEEvT1_
; %bb.0:
	s_load_dwordx2 s[34:35], s[4:5], 0x30
	s_add_u32 flat_scratch_lo, s6, s9
	s_addc_u32 flat_scratch_hi, s7, 0
	s_add_u32 s0, s0, s9
	v_mov_b32_e32 v48, v0
	s_addc_u32 s1, s1, 0
	v_cmp_ne_u32_e64 s[20:21], 0, v48
	v_cmp_eq_u32_e64 s[22:23], 0, v48
	s_mov_b32 s32, 0
	s_and_saveexec_b64 s[6:7], s[22:23]
	s_cbranch_execz .LBB331_4
; %bb.1:
	s_mov_b64 s[10:11], exec
	v_mbcnt_lo_u32_b32 v0, s10, 0
	v_mbcnt_hi_u32_b32 v0, s11, v0
	v_cmp_eq_u32_e32 vcc, 0, v0
                                        ; implicit-def: $vgpr1
	s_and_saveexec_b64 s[8:9], vcc
	s_cbranch_execz .LBB331_3
; %bb.2:
	s_load_dwordx2 s[12:13], s[4:5], 0x60
	s_bcnt1_i32_b64 s10, s[10:11]
	v_mov_b32_e32 v1, 0
	v_mov_b32_e32 v2, s10
	s_waitcnt lgkmcnt(0)
	global_atomic_add v1, v1, v2, s[12:13] glc
.LBB331_3:
	s_or_b64 exec, exec, s[8:9]
	s_waitcnt vmcnt(0)
	v_readfirstlane_b32 s8, v1
	v_add_u32_e32 v0, s8, v0
	v_mov_b32_e32 v1, 0
	ds_write_b32 v1, v0
.LBB331_4:
	s_or_b64 exec, exec, s[6:7]
	s_load_dwordx8 s[24:31], s[4:5], 0x0
	s_load_dword s6, s[4:5], 0x38
	s_load_dwordx8 s[36:43], s[4:5], 0x40
	v_mov_b32_e32 v0, 0
	s_waitcnt lgkmcnt(0)
	s_barrier
	ds_read_b32 v0, v0
	s_lshl_b64 s[26:27], s[26:27], 3
	s_add_u32 s7, s24, s26
	s_addc_u32 s8, s25, s27
	s_add_i32 s6, s6, -1
	s_mul_i32 s9, s6, 0x380
	s_sub_u32 s33, s30, s9
	s_waitcnt lgkmcnt(0)
	v_readfirstlane_b32 s57, v0
	s_subb_u32 s56, s31, 0
	s_mov_b32 s5, 0
	s_mul_i32 s4, s57, 0x380
	s_cmp_lg_u32 s57, s6
	s_cselect_b64 s[44:45], -1, 0
	s_lshl_b64 s[46:47], s[4:5], 3
	s_add_u32 s6, s7, s46
	s_addc_u32 s7, s8, s47
	s_mov_b64 s[4:5], -1
	s_and_b64 vcc, exec, s[44:45]
	v_lshlrev_b32_e32 v63, 3, v48
	s_barrier
	s_cbranch_vccz .LBB331_6
; %bb.5:
	v_mov_b32_e32 v0, s7
	v_add_co_u32_e32 v8, vcc, s6, v63
	v_addc_co_u32_e32 v9, vcc, 0, v0, vcc
	v_add_co_u32_e32 v8, vcc, 0x1000, v8
	v_addc_co_u32_e32 v9, vcc, 0, v9, vcc
	global_load_dwordx2 v[0:1], v63, s[6:7]
	global_load_dwordx2 v[2:3], v63, s[6:7] offset:1024
	global_load_dwordx2 v[4:5], v63, s[6:7] offset:2048
	;; [unrolled: 1-line block ×3, first 2 shown]
	global_load_dwordx2 v[10:11], v[8:9], off
	global_load_dwordx2 v[12:13], v[8:9], off offset:1024
	global_load_dwordx2 v[14:15], v[8:9], off offset:2048
	s_mov_b64 s[4:5], 0
	s_waitcnt vmcnt(5)
	ds_write2st64_b64 v63, v[0:1], v[2:3] offset1:2
	s_waitcnt vmcnt(3)
	ds_write2st64_b64 v63, v[4:5], v[6:7] offset0:4 offset1:6
	s_waitcnt vmcnt(1)
	ds_write2st64_b64 v63, v[10:11], v[12:13] offset0:8 offset1:10
	s_waitcnt vmcnt(0)
	ds_write_b64 v63, v[14:15] offset:6144
	s_waitcnt lgkmcnt(0)
	s_barrier
.LBB331_6:
	s_andn2_b64 vcc, exec, s[4:5]
	v_cmp_gt_u32_e64 s[4:5], s33, v48
	s_cbranch_vccnz .LBB331_22
; %bb.7:
	v_mov_b32_e32 v0, 0
	global_load_dwordx2 v[0:1], v0, s[6:7]
	s_waitcnt vmcnt(0)
	v_pk_mov_b32 v[2:3], v[0:1], v[0:1] op_sel:[0,1]
	s_and_saveexec_b64 s[8:9], s[4:5]
	s_cbranch_execz .LBB331_9
; %bb.8:
	global_load_dwordx2 v[2:3], v63, s[6:7]
.LBB331_9:
	s_or_b64 exec, exec, s[8:9]
	v_or_b32_e32 v4, 0x80, v48
	v_cmp_gt_u32_e32 vcc, s33, v4
	v_pk_mov_b32 v[4:5], v[0:1], v[0:1] op_sel:[0,1]
	s_and_saveexec_b64 s[4:5], vcc
	s_cbranch_execz .LBB331_11
; %bb.10:
	global_load_dwordx2 v[4:5], v63, s[6:7] offset:1024
.LBB331_11:
	s_or_b64 exec, exec, s[4:5]
	v_or_b32_e32 v6, 0x100, v48
	v_cmp_gt_u32_e32 vcc, s33, v6
	v_pk_mov_b32 v[6:7], v[0:1], v[0:1] op_sel:[0,1]
	s_and_saveexec_b64 s[4:5], vcc
	s_cbranch_execz .LBB331_13
; %bb.12:
	global_load_dwordx2 v[6:7], v63, s[6:7] offset:2048
.LBB331_13:
	;; [unrolled: 9-line block ×3, first 2 shown]
	s_or_b64 exec, exec, s[4:5]
	v_or_b32_e32 v12, 0x200, v48
	v_cmp_gt_u32_e32 vcc, s33, v12
	v_pk_mov_b32 v[10:11], v[0:1], v[0:1] op_sel:[0,1]
	s_and_saveexec_b64 s[4:5], vcc
	s_cbranch_execz .LBB331_17
; %bb.16:
	v_lshlrev_b32_e32 v10, 3, v12
	global_load_dwordx2 v[10:11], v10, s[6:7]
.LBB331_17:
	s_or_b64 exec, exec, s[4:5]
	v_or_b32_e32 v14, 0x280, v48
	v_cmp_gt_u32_e32 vcc, s33, v14
	v_pk_mov_b32 v[12:13], v[0:1], v[0:1] op_sel:[0,1]
	s_and_saveexec_b64 s[4:5], vcc
	s_cbranch_execz .LBB331_19
; %bb.18:
	v_lshlrev_b32_e32 v12, 3, v14
	global_load_dwordx2 v[12:13], v12, s[6:7]
.LBB331_19:
	s_or_b64 exec, exec, s[4:5]
	v_or_b32_e32 v14, 0x300, v48
	v_cmp_gt_u32_e32 vcc, s33, v14
	s_and_saveexec_b64 s[4:5], vcc
	s_cbranch_execz .LBB331_21
; %bb.20:
	v_lshlrev_b32_e32 v0, 3, v14
	global_load_dwordx2 v[0:1], v0, s[6:7]
.LBB331_21:
	s_or_b64 exec, exec, s[4:5]
	s_waitcnt vmcnt(0)
	ds_write2st64_b64 v63, v[2:3], v[4:5] offset1:2
	ds_write2st64_b64 v63, v[6:7], v[8:9] offset0:4 offset1:6
	ds_write2st64_b64 v63, v[10:11], v[12:13] offset0:8 offset1:10
	ds_write_b64 v63, v[0:1] offset:6144
	s_waitcnt lgkmcnt(0)
	s_barrier
.LBB331_22:
	v_mul_u32_u24_e32 v62, 7, v48
	v_lshlrev_b32_e32 v64, 3, v62
	ds_read2_b64 v[28:31], v64 offset1:1
	ds_read2_b64 v[36:39], v64 offset0:2 offset1:3
	ds_read2_b64 v[32:35], v64 offset0:4 offset1:5
	ds_read_b64 v[50:51], v64 offset:48
	s_cmp_lg_u32 s57, 0
	s_waitcnt lgkmcnt(0)
	s_barrier
	s_cbranch_scc0 .LBB331_80
; %bb.23:
	v_mov_b32_e32 v0, v28
	v_mov_b32_e32 v1, v29
	;; [unrolled: 1-line block ×4, first 2 shown]
	s_getpc_b64 s[50:51]
	s_add_u32 s50, s50, _ZZZZN2at6native31launch_logcumsumexp_cuda_kernelERKNS_10TensorBaseES3_lENKUlvE_clEvENKUlvE2_clEvENKUlN3c107complexIfEES8_E_clES8_S8_@rel32@lo+4
	s_addc_u32 s51, s51, _ZZZZN2at6native31launch_logcumsumexp_cuda_kernelERKNS_10TensorBaseES3_lENKUlvE_clEvENKUlvE2_clEvENKUlN3c107complexIfEES8_E_clES8_S8_@rel32@hi+12
	s_swappc_b64 s[30:31], s[50:51]
	v_mov_b32_e32 v2, v36
	v_mov_b32_e32 v3, v37
	s_swappc_b64 s[30:31], s[50:51]
	v_mov_b32_e32 v2, v38
	v_mov_b32_e32 v3, v39
	s_swappc_b64 s[30:31], s[50:51]
	v_mov_b32_e32 v2, v32
	v_mov_b32_e32 v3, v33
	s_swappc_b64 s[30:31], s[50:51]
	v_mov_b32_e32 v2, v34
	v_mov_b32_e32 v3, v35
	s_swappc_b64 s[30:31], s[50:51]
	v_mov_b32_e32 v2, v50
	v_mov_b32_e32 v3, v51
	s_swappc_b64 s[30:31], s[50:51]
	v_mov_b32_e32 v52, v0
	v_lshrrev_b32_e32 v0, 5, v48
	v_mov_b32_e32 v53, v1
	v_add_lshl_u32 v0, v0, v48, 3
	v_cmp_gt_u32_e64 s[24:25], 64, v48
	ds_write_b64 v0, v[52:53]
	s_waitcnt lgkmcnt(0)
	s_barrier
	s_and_saveexec_b64 s[48:49], s[24:25]
	s_cbranch_execz .LBB331_37
; %bb.24:
	v_lshlrev_b32_e32 v0, 1, v48
	v_lshrrev_b32_e32 v1, 4, v48
	v_add_lshl_u32 v27, v1, v0, 3
	ds_read2_b64 v[40:43], v27 offset1:1
	s_waitcnt lgkmcnt(0)
	v_mov_b32_e32 v0, v40
	v_mov_b32_e32 v1, v41
	;; [unrolled: 1-line block ×4, first 2 shown]
	s_swappc_b64 s[30:31], s[50:51]
	v_mov_b32_e32 v2, v0
	v_mbcnt_lo_u32_b32 v0, -1, 0
	v_mbcnt_hi_u32_b32 v42, -1, v0
	v_mov_b32_e32 v3, v1
	v_and_b32_e32 v43, 15, v42
	v_mov_b32_dpp v0, v2 row_shr:1 row_mask:0xf bank_mask:0xf
	v_mov_b32_dpp v1, v3 row_shr:1 row_mask:0xf bank_mask:0xf
	v_cmp_ne_u32_e32 vcc, 0, v43
	s_and_saveexec_b64 s[50:51], vcc
	s_cbranch_execz .LBB331_26
; %bb.25:
	s_getpc_b64 s[4:5]
	s_add_u32 s4, s4, _ZZZZN2at6native31launch_logcumsumexp_cuda_kernelERKNS_10TensorBaseES3_lENKUlvE_clEvENKUlvE2_clEvENKUlN3c107complexIfEES8_E_clES8_S8_@rel32@lo+4
	s_addc_u32 s5, s5, _ZZZZN2at6native31launch_logcumsumexp_cuda_kernelERKNS_10TensorBaseES3_lENKUlvE_clEvENKUlvE2_clEvENKUlN3c107complexIfEES8_E_clES8_S8_@rel32@hi+12
	s_swappc_b64 s[30:31], s[4:5]
	v_mov_b32_e32 v2, v0
	v_mov_b32_e32 v3, v1
.LBB331_26:
	s_or_b64 exec, exec, s[50:51]
	v_mov_b32_dpp v0, v2 row_shr:2 row_mask:0xf bank_mask:0xf
	v_mov_b32_dpp v1, v3 row_shr:2 row_mask:0xf bank_mask:0xf
	v_cmp_lt_u32_e32 vcc, 1, v43
	s_and_saveexec_b64 s[50:51], vcc
	s_cbranch_execz .LBB331_28
; %bb.27:
	s_getpc_b64 s[4:5]
	s_add_u32 s4, s4, _ZZZZN2at6native31launch_logcumsumexp_cuda_kernelERKNS_10TensorBaseES3_lENKUlvE_clEvENKUlvE2_clEvENKUlN3c107complexIfEES8_E_clES8_S8_@rel32@lo+4
	s_addc_u32 s5, s5, _ZZZZN2at6native31launch_logcumsumexp_cuda_kernelERKNS_10TensorBaseES3_lENKUlvE_clEvENKUlvE2_clEvENKUlN3c107complexIfEES8_E_clES8_S8_@rel32@hi+12
	s_swappc_b64 s[30:31], s[4:5]
	v_mov_b32_e32 v2, v0
	v_mov_b32_e32 v3, v1
.LBB331_28:
	s_or_b64 exec, exec, s[50:51]
	v_mov_b32_dpp v0, v2 row_shr:4 row_mask:0xf bank_mask:0xf
	v_mov_b32_dpp v1, v3 row_shr:4 row_mask:0xf bank_mask:0xf
	v_cmp_lt_u32_e32 vcc, 3, v43
	;; [unrolled: 14-line block ×3, first 2 shown]
	s_and_saveexec_b64 s[50:51], vcc
	s_cbranch_execz .LBB331_32
; %bb.31:
	s_getpc_b64 s[4:5]
	s_add_u32 s4, s4, _ZZZZN2at6native31launch_logcumsumexp_cuda_kernelERKNS_10TensorBaseES3_lENKUlvE_clEvENKUlvE2_clEvENKUlN3c107complexIfEES8_E_clES8_S8_@rel32@lo+4
	s_addc_u32 s5, s5, _ZZZZN2at6native31launch_logcumsumexp_cuda_kernelERKNS_10TensorBaseES3_lENKUlvE_clEvENKUlvE2_clEvENKUlN3c107complexIfEES8_E_clES8_S8_@rel32@hi+12
	s_swappc_b64 s[30:31], s[4:5]
	v_mov_b32_e32 v2, v0
	v_mov_b32_e32 v3, v1
.LBB331_32:
	s_or_b64 exec, exec, s[50:51]
	v_and_b32_e32 v4, 16, v42
	v_mov_b32_dpp v0, v2 row_bcast:15 row_mask:0xf bank_mask:0xf
	v_mov_b32_dpp v1, v3 row_bcast:15 row_mask:0xf bank_mask:0xf
	v_cmp_ne_u32_e32 vcc, 0, v4
	s_and_saveexec_b64 s[50:51], vcc
	s_cbranch_execz .LBB331_34
; %bb.33:
	s_getpc_b64 s[4:5]
	s_add_u32 s4, s4, _ZZZZN2at6native31launch_logcumsumexp_cuda_kernelERKNS_10TensorBaseES3_lENKUlvE_clEvENKUlvE2_clEvENKUlN3c107complexIfEES8_E_clES8_S8_@rel32@lo+4
	s_addc_u32 s5, s5, _ZZZZN2at6native31launch_logcumsumexp_cuda_kernelERKNS_10TensorBaseES3_lENKUlvE_clEvENKUlvE2_clEvENKUlN3c107complexIfEES8_E_clES8_S8_@rel32@hi+12
	s_swappc_b64 s[30:31], s[4:5]
	v_mov_b32_e32 v2, v0
	v_mov_b32_e32 v3, v1
.LBB331_34:
	s_or_b64 exec, exec, s[50:51]
	v_mov_b32_dpp v0, v2 row_bcast:31 row_mask:0xf bank_mask:0xf
	v_mov_b32_dpp v1, v3 row_bcast:31 row_mask:0xf bank_mask:0xf
	v_cmp_lt_u32_e32 vcc, 31, v42
	s_and_saveexec_b64 s[50:51], vcc
	s_cbranch_execz .LBB331_36
; %bb.35:
	s_getpc_b64 s[4:5]
	s_add_u32 s4, s4, _ZZZZN2at6native31launch_logcumsumexp_cuda_kernelERKNS_10TensorBaseES3_lENKUlvE_clEvENKUlvE2_clEvENKUlN3c107complexIfEES8_E_clES8_S8_@rel32@lo+4
	s_addc_u32 s5, s5, _ZZZZN2at6native31launch_logcumsumexp_cuda_kernelERKNS_10TensorBaseES3_lENKUlvE_clEvENKUlvE2_clEvENKUlN3c107complexIfEES8_E_clES8_S8_@rel32@hi+12
	s_swappc_b64 s[30:31], s[4:5]
	v_mov_b32_e32 v2, v0
	v_mov_b32_e32 v3, v1
.LBB331_36:
	s_or_b64 exec, exec, s[50:51]
	v_add_u32_e32 v0, -1, v42
	v_and_b32_e32 v1, 64, v42
	v_cmp_lt_i32_e32 vcc, v0, v1
	v_cndmask_b32_e32 v0, v0, v42, vcc
	v_lshlrev_b32_e32 v1, 2, v0
	ds_bpermute_b32 v0, v1, v2
	ds_bpermute_b32 v1, v1, v3
	v_mov_b32_e32 v2, v40
	v_mov_b32_e32 v3, v41
	s_getpc_b64 s[50:51]
	s_add_u32 s50, s50, _ZZZZN2at6native31launch_logcumsumexp_cuda_kernelERKNS_10TensorBaseES3_lENKUlvE_clEvENKUlvE2_clEvENKUlN3c107complexIfEES8_E_clES8_S8_@rel32@lo+4
	s_addc_u32 s51, s51, _ZZZZN2at6native31launch_logcumsumexp_cuda_kernelERKNS_10TensorBaseES3_lENKUlvE_clEvENKUlvE2_clEvENKUlN3c107complexIfEES8_E_clES8_S8_@rel32@hi+12
	s_swappc_b64 s[30:31], s[50:51]
	v_cndmask_b32_e64 v0, v0, v52, s[22:23]
	v_cndmask_b32_e64 v1, v1, v53, s[22:23]
	; wave barrier
	ds_write_b64 v27, v[0:1]
	; wave barrier
	ds_read_b64 v[2:3], v27 offset:8
	s_swappc_b64 s[30:31], s[50:51]
	ds_write_b64 v27, v[0:1] offset:8
.LBB331_37:
	s_or_b64 exec, exec, s[48:49]
	s_waitcnt lgkmcnt(0)
	s_barrier
	s_and_saveexec_b64 s[4:5], s[20:21]
	s_cbranch_execz .LBB331_39
; %bb.38:
	v_add_u32_e32 v0, -1, v48
	v_lshrrev_b32_e32 v1, 5, v0
	v_add_lshl_u32 v0, v1, v0, 3
	ds_read_b64 v[52:53], v0
.LBB331_39:
	s_or_b64 exec, exec, s[4:5]
	s_and_saveexec_b64 s[48:49], s[24:25]
	s_cbranch_execz .LBB331_85
; %bb.40:
	v_mov_b32_e32 v43, 0
	ds_read_b64 v[40:41], v43 offset:1040
	v_mbcnt_lo_u32_b32 v0, -1, 0
	v_mbcnt_hi_u32_b32 v55, -1, v0
	s_mov_b32 s7, 0
	v_cmp_eq_u32_e64 s[24:25], 0, v55
	s_waitcnt lgkmcnt(0)
	v_readfirstlane_b32 s58, v41
	s_and_saveexec_b64 s[4:5], s[24:25]
	s_cbranch_execz .LBB331_42
; %bb.41:
	s_add_i32 s6, s57, 64
	s_lshl_b64 s[8:9], s[6:7], 4
	s_add_u32 s8, s34, s8
	s_addc_u32 s9, s35, s9
	s_and_b32 s11, s58, 0xff000000
	s_mov_b32 s10, s7
	s_and_b32 s13, s58, 0xff0000
	s_mov_b32 s12, s7
	s_or_b64 s[10:11], s[12:13], s[10:11]
	s_and_b32 s13, s58, 0xff00
	s_or_b64 s[10:11], s[10:11], s[12:13]
	s_and_b32 s13, s58, 0xff
	s_or_b64 s[6:7], s[10:11], s[12:13]
	v_mov_b32_e32 v41, s7
	v_mov_b32_e32 v42, 1
	v_pk_mov_b32 v[0:1], s[8:9], s[8:9] op_sel:[0,1]
	;;#ASMSTART
	global_store_dwordx4 v[0:1], v[40:43] off	
s_waitcnt vmcnt(0)
	;;#ASMEND
.LBB331_42:
	s_or_b64 exec, exec, s[4:5]
	v_xad_u32 v54, v55, -1, s57
	v_add_u32_e32 v42, 64, v54
	v_lshlrev_b64 v[0:1], 4, v[42:43]
	v_mov_b32_e32 v2, s35
	v_add_co_u32_e32 v0, vcc, s34, v0
	s_mov_b32 s4, 0x1000706
	v_addc_co_u32_e32 v1, vcc, v2, v1, vcc
	;;#ASMSTART
	global_load_dwordx4 v[44:47], v[0:1] off glc	
s_waitcnt vmcnt(0)
	;;#ASMEND
	v_perm_b32 v2, v45, v46, s4
	v_lshlrev_b32_e32 v2, 16, v2
	s_mov_b32 s4, 0x7020504
	v_perm_b32 v27, v45, v2, s4
	s_mov_b32 s4, 0x3060504
	v_perm_b32 v45, v44, v44, s4
	v_cmp_eq_u16_sdwa s[6:7], v46, v43 src0_sel:BYTE_0 src1_sel:DWORD
	s_and_saveexec_b64 s[4:5], s[6:7]
	s_cbranch_execz .LBB331_46
; %bb.43:
	s_mov_b64 s[6:7], 0
	v_mov_b32_e32 v2, 0
.LBB331_44:                             ; =>This Inner Loop Header: Depth=1
	;;#ASMSTART
	global_load_dwordx4 v[44:47], v[0:1] off glc	
s_waitcnt vmcnt(0)
	;;#ASMEND
	v_cmp_ne_u16_sdwa s[8:9], v46, v2 src0_sel:BYTE_0 src1_sel:DWORD
	s_or_b64 s[6:7], s[8:9], s[6:7]
	s_andn2_b64 exec, exec, s[6:7]
	s_cbranch_execnz .LBB331_44
; %bb.45:
	s_or_b64 exec, exec, s[6:7]
	s_mov_b32 s6, 0x2010007
	v_perm_b32 v0, v45, v46, s6
	s_mov_b32 s6, 0x1000706
	v_perm_b32 v1, v45, v46, s6
	v_lshlrev_b32_e32 v1, 16, v1
	s_mov_b32 s6, 0xc060100
	v_perm_b32 v1, v1, v45, s6
	s_mov_b32 s6, 0x3020504
	v_lshl_or_b32 v27, v0, 24, v1
	v_perm_b32 v45, v44, v44, s6
.LBB331_46:
	s_or_b64 exec, exec, s[4:5]
	v_mov_b32_e32 v0, 2
	v_cmp_eq_u16_sdwa s[4:5], v46, v0 src0_sel:BYTE_0 src1_sel:DWORD
	v_lshlrev_b64 v[56:57], v55, -1
	v_and_b32_e32 v0, s5, v57
	v_and_b32_e32 v49, 63, v55
	v_or_b32_e32 v0, 0x80000000, v0
	v_cmp_ne_u32_e32 vcc, 63, v49
	v_ffbl_b32_e32 v3, v0
	v_addc_co_u32_e32 v0, vcc, 0, v55, vcc
	v_lshlrev_b32_e32 v58, 2, v0
	ds_bpermute_b32 v0, v58, v45
	ds_bpermute_b32 v1, v58, v27
	v_and_b32_e32 v2, s4, v56
	v_add_u32_e32 v3, 32, v3
	v_ffbl_b32_e32 v2, v2
	v_min_u32_e32 v42, v2, v3
	v_cmp_lt_u32_e32 vcc, v49, v42
	s_and_saveexec_b64 s[50:51], vcc
	s_cbranch_execz .LBB331_48
; %bb.47:
	v_mov_b32_e32 v2, v45
	v_mov_b32_e32 v3, v27
	s_getpc_b64 s[4:5]
	s_add_u32 s4, s4, _ZZZZN2at6native31launch_logcumsumexp_cuda_kernelERKNS_10TensorBaseES3_lENKUlvE_clEvENKUlvE2_clEvENKUlN3c107complexIfEES8_E_clES8_S8_@rel32@lo+4
	s_addc_u32 s5, s5, _ZZZZN2at6native31launch_logcumsumexp_cuda_kernelERKNS_10TensorBaseES3_lENKUlvE_clEvENKUlvE2_clEvENKUlN3c107complexIfEES8_E_clES8_S8_@rel32@hi+12
	s_swappc_b64 s[30:31], s[4:5]
	v_mov_b32_e32 v45, v0
	v_mov_b32_e32 v27, v1
.LBB331_48:
	s_or_b64 exec, exec, s[50:51]
	v_cmp_gt_u32_e32 vcc, 62, v49
	s_waitcnt lgkmcnt(1)
	v_cndmask_b32_e64 v0, 0, 1, vcc
	v_lshlrev_b32_e32 v0, 1, v0
	v_add_lshl_u32 v59, v0, v55, 2
	ds_bpermute_b32 v0, v59, v45
	s_waitcnt lgkmcnt(1)
	ds_bpermute_b32 v1, v59, v27
	v_add_u32_e32 v60, 2, v49
	v_cmp_le_u32_e32 vcc, v60, v42
	s_and_saveexec_b64 s[50:51], vcc
	s_cbranch_execz .LBB331_50
; %bb.49:
	v_mov_b32_e32 v2, v45
	v_mov_b32_e32 v3, v27
	s_getpc_b64 s[4:5]
	s_add_u32 s4, s4, _ZZZZN2at6native31launch_logcumsumexp_cuda_kernelERKNS_10TensorBaseES3_lENKUlvE_clEvENKUlvE2_clEvENKUlN3c107complexIfEES8_E_clES8_S8_@rel32@lo+4
	s_addc_u32 s5, s5, _ZZZZN2at6native31launch_logcumsumexp_cuda_kernelERKNS_10TensorBaseES3_lENKUlvE_clEvENKUlvE2_clEvENKUlN3c107complexIfEES8_E_clES8_S8_@rel32@hi+12
	s_swappc_b64 s[30:31], s[4:5]
	v_mov_b32_e32 v45, v0
	v_mov_b32_e32 v27, v1
.LBB331_50:
	s_or_b64 exec, exec, s[50:51]
	v_cmp_gt_u32_e32 vcc, 60, v49
	s_waitcnt lgkmcnt(1)
	v_cndmask_b32_e64 v0, 0, 1, vcc
	v_lshlrev_b32_e32 v0, 2, v0
	v_add_lshl_u32 v61, v0, v55, 2
	ds_bpermute_b32 v0, v61, v45
	s_waitcnt lgkmcnt(1)
	ds_bpermute_b32 v1, v61, v27
	v_add_u32_e32 v65, 4, v49
	v_cmp_le_u32_e32 vcc, v65, v42
	;; [unrolled: 23-line block ×4, first 2 shown]
	s_and_saveexec_b64 s[50:51], vcc
	s_cbranch_execz .LBB331_56
; %bb.55:
	v_mov_b32_e32 v2, v45
	v_mov_b32_e32 v3, v27
	s_getpc_b64 s[4:5]
	s_add_u32 s4, s4, _ZZZZN2at6native31launch_logcumsumexp_cuda_kernelERKNS_10TensorBaseES3_lENKUlvE_clEvENKUlvE2_clEvENKUlN3c107complexIfEES8_E_clES8_S8_@rel32@lo+4
	s_addc_u32 s5, s5, _ZZZZN2at6native31launch_logcumsumexp_cuda_kernelERKNS_10TensorBaseES3_lENKUlvE_clEvENKUlvE2_clEvENKUlN3c107complexIfEES8_E_clES8_S8_@rel32@hi+12
	s_swappc_b64 s[30:31], s[4:5]
	v_mov_b32_e32 v45, v0
	v_mov_b32_e32 v27, v1
.LBB331_56:
	s_or_b64 exec, exec, s[50:51]
	v_cmp_gt_u32_e32 vcc, 32, v49
	s_waitcnt lgkmcnt(1)
	v_cndmask_b32_e64 v0, 0, 1, vcc
	v_lshlrev_b32_e32 v0, 5, v0
	v_add_lshl_u32 v71, v0, v55, 2
	ds_bpermute_b32 v44, v71, v45
	ds_bpermute_b32 v41, v71, v27
	v_add_u32_e32 v70, 32, v49
	v_cmp_gt_u32_e64 s[4:5], v70, v42
	s_mov_b64 s[50:51], 0
	v_mov_b32_e32 v55, 0
	s_mov_b32 s59, 0x70605
	s_mov_b32 s60, 0x1000706
	;; [unrolled: 1-line block ×4, first 2 shown]
	v_mov_b32_e32 v72, 2
	s_waitcnt lgkmcnt(2)
	v_mov_b32_e32 v1, v27
	v_mov_b32_e32 v0, v45
                                        ; implicit-def: $sgpr52_sgpr53
	s_branch .LBB331_59
.LBB331_57:                             ;   in Loop: Header=BB331_59 Depth=1
	s_or_b64 exec, exec, s[50:51]
	v_subrev_u32_e32 v54, 64, v54
	s_mov_b64 s[4:5], 0
.LBB331_58:                             ;   in Loop: Header=BB331_59 Depth=1
	s_and_b64 vcc, exec, s[4:5]
	s_mov_b64 s[50:51], 0
	v_mov_b32_e32 v27, v43
	v_mov_b32_e32 v45, v42
                                        ; implicit-def: $sgpr52_sgpr53
                                        ; implicit-def: $vgpr1
                                        ; implicit-def: $vgpr0
	s_cbranch_vccnz .LBB331_81
.LBB331_59:                             ; =>This Loop Header: Depth=1
                                        ;     Child Loop BB331_65 Depth 2
	s_waitcnt lgkmcnt(1)
	v_mov_b32_e32 v42, v0
	s_waitcnt lgkmcnt(0)
	v_mov_b32_e32 v43, v1
	s_xor_b64 s[8:9], s[4:5], -1
	s_or_b64 s[52:53], s[52:53], exec
                                        ; implicit-def: $sgpr6_sgpr7
                                        ; implicit-def: $vgpr0
                                        ; implicit-def: $vgpr1
	s_and_saveexec_b64 s[10:11], s[8:9]
	s_xor_b64 s[54:55], exec, s[10:11]
	s_cbranch_execz .LBB331_61
; %bb.60:                               ;   in Loop: Header=BB331_59 Depth=1
	s_waitcnt lgkmcnt(1)
	v_mov_b32_e32 v0, v44
	s_waitcnt lgkmcnt(0)
	v_mov_b32_e32 v1, v41
	v_mov_b32_e32 v2, v45
	;; [unrolled: 1-line block ×3, first 2 shown]
	s_getpc_b64 s[4:5]
	s_add_u32 s4, s4, _ZZZZN2at6native31launch_logcumsumexp_cuda_kernelERKNS_10TensorBaseES3_lENKUlvE_clEvENKUlvE2_clEvENKUlN3c107complexIfEES8_E_clES8_S8_@rel32@lo+4
	s_addc_u32 s5, s5, _ZZZZN2at6native31launch_logcumsumexp_cuda_kernelERKNS_10TensorBaseES3_lENKUlvE_clEvENKUlvE2_clEvENKUlN3c107complexIfEES8_E_clES8_S8_@rel32@hi+12
	s_swappc_b64 s[30:31], s[4:5]
	s_mov_b64 s[6:7], -1
	s_andn2_b64 s[52:53], s[52:53], exec
                                        ; implicit-def: $sgpr4_sgpr5
.LBB331_61:                             ;   in Loop: Header=BB331_59 Depth=1
	s_or_b64 exec, exec, s[54:55]
	s_and_b64 s[8:9], exec, s[52:53]
	s_or_b64 s[50:51], s[8:9], s[50:51]
	s_andn2_b64 s[4:5], s[4:5], exec
	s_and_b64 s[6:7], s[6:7], exec
	s_or_b64 s[4:5], s[4:5], s[6:7]
	s_andn2_b64 exec, exec, s[50:51]
	s_cbranch_execnz .LBB331_59
; %bb.62:                               ;   in Loop: Header=BB331_59 Depth=1
	s_or_b64 exec, exec, s[50:51]
	v_cmp_ne_u16_sdwa s[4:5], v46, v72 src0_sel:BYTE_0 src1_sel:DWORD
	v_cndmask_b32_e64 v0, 0, 1, s[4:5]
	;;#ASMSTART
	;;#ASMEND
	v_cmp_ne_u32_e32 vcc, 0, v0
	s_cmp_lg_u64 vcc, exec
	s_cbranch_scc1 .LBB331_79
; %bb.63:                               ;   in Loop: Header=BB331_59 Depth=1
	v_lshlrev_b64 v[0:1], 4, v[54:55]
	v_mov_b32_e32 v2, s35
	v_add_co_u32_e32 v0, vcc, s34, v0
	v_addc_co_u32_e32 v1, vcc, v2, v1, vcc
	s_waitcnt lgkmcnt(1)
	;;#ASMSTART
	global_load_dwordx4 v[44:47], v[0:1] off glc	
s_waitcnt vmcnt(0)
	;;#ASMEND
	v_perm_b32 v2, v45, v46, s59
	v_perm_b32 v3, v45, v46, s60
	;; [unrolled: 1-line block ×3, first 2 shown]
	v_lshlrev_b32_e32 v2, 8, v2
	v_lshlrev_b32_e32 v3, 16, v3
	v_perm_b32 v2, v2, v45, s62
	v_and_b32_e32 v3, 0xff0000, v3
	v_lshlrev_b32_e32 v4, 24, v4
	s_waitcnt lgkmcnt(0)
	v_or3_b32 v41, v2, v3, v4
	v_cmp_eq_u16_sdwa s[6:7], v46, v55 src0_sel:BYTE_0 src1_sel:DWORD
	s_and_saveexec_b64 s[4:5], s[6:7]
	s_cbranch_execz .LBB331_67
; %bb.64:                               ;   in Loop: Header=BB331_59 Depth=1
	s_mov_b64 s[6:7], 0
.LBB331_65:                             ;   Parent Loop BB331_59 Depth=1
                                        ; =>  This Inner Loop Header: Depth=2
	;;#ASMSTART
	global_load_dwordx4 v[44:47], v[0:1] off glc	
s_waitcnt vmcnt(0)
	;;#ASMEND
	v_cmp_ne_u16_sdwa s[8:9], v46, v55 src0_sel:BYTE_0 src1_sel:DWORD
	s_or_b64 s[6:7], s[8:9], s[6:7]
	s_andn2_b64 exec, exec, s[6:7]
	s_cbranch_execnz .LBB331_65
; %bb.66:                               ;   in Loop: Header=BB331_59 Depth=1
	s_or_b64 exec, exec, s[6:7]
	v_perm_b32 v0, v45, v46, s59
	v_perm_b32 v1, v45, v46, s60
	;; [unrolled: 1-line block ×3, first 2 shown]
	v_lshlrev_b32_e32 v0, 8, v0
	v_lshlrev_b32_e32 v1, 16, v1
	v_perm_b32 v0, v0, v45, s62
	v_and_b32_e32 v1, 0xff0000, v1
	v_lshlrev_b32_e32 v2, 24, v2
	v_or3_b32 v41, v0, v1, v2
.LBB331_67:                             ;   in Loop: Header=BB331_59 Depth=1
	s_or_b64 exec, exec, s[4:5]
	v_cmp_eq_u16_sdwa s[4:5], v46, v72 src0_sel:BYTE_0 src1_sel:DWORD
	v_and_b32_e32 v0, s5, v57
	v_or_b32_e32 v0, 0x80000000, v0
	v_ffbl_b32_e32 v3, v0
	ds_bpermute_b32 v0, v58, v44
	ds_bpermute_b32 v1, v58, v41
	v_and_b32_e32 v2, s4, v56
	v_add_u32_e32 v3, 32, v3
	v_ffbl_b32_e32 v2, v2
	v_min_u32_e32 v27, v2, v3
	v_cmp_lt_u32_e32 vcc, v49, v27
	s_and_saveexec_b64 s[50:51], vcc
	s_cbranch_execz .LBB331_69
; %bb.68:                               ;   in Loop: Header=BB331_59 Depth=1
	v_mov_b32_e32 v2, v44
	v_mov_b32_e32 v3, v41
	s_getpc_b64 s[4:5]
	s_add_u32 s4, s4, _ZZZZN2at6native31launch_logcumsumexp_cuda_kernelERKNS_10TensorBaseES3_lENKUlvE_clEvENKUlvE2_clEvENKUlN3c107complexIfEES8_E_clES8_S8_@rel32@lo+4
	s_addc_u32 s5, s5, _ZZZZN2at6native31launch_logcumsumexp_cuda_kernelERKNS_10TensorBaseES3_lENKUlvE_clEvENKUlvE2_clEvENKUlN3c107complexIfEES8_E_clES8_S8_@rel32@hi+12
	s_swappc_b64 s[30:31], s[4:5]
	v_mov_b32_e32 v44, v0
	v_mov_b32_e32 v41, v1
.LBB331_69:                             ;   in Loop: Header=BB331_59 Depth=1
	s_or_b64 exec, exec, s[50:51]
	s_waitcnt lgkmcnt(1)
	ds_bpermute_b32 v0, v59, v44
	s_waitcnt lgkmcnt(1)
	ds_bpermute_b32 v1, v59, v41
	v_cmp_le_u32_e32 vcc, v60, v27
	s_and_saveexec_b64 s[50:51], vcc
	s_cbranch_execz .LBB331_71
; %bb.70:                               ;   in Loop: Header=BB331_59 Depth=1
	v_mov_b32_e32 v2, v44
	v_mov_b32_e32 v3, v41
	s_getpc_b64 s[4:5]
	s_add_u32 s4, s4, _ZZZZN2at6native31launch_logcumsumexp_cuda_kernelERKNS_10TensorBaseES3_lENKUlvE_clEvENKUlvE2_clEvENKUlN3c107complexIfEES8_E_clES8_S8_@rel32@lo+4
	s_addc_u32 s5, s5, _ZZZZN2at6native31launch_logcumsumexp_cuda_kernelERKNS_10TensorBaseES3_lENKUlvE_clEvENKUlvE2_clEvENKUlN3c107complexIfEES8_E_clES8_S8_@rel32@hi+12
	s_swappc_b64 s[30:31], s[4:5]
	v_mov_b32_e32 v44, v0
	v_mov_b32_e32 v41, v1
.LBB331_71:                             ;   in Loop: Header=BB331_59 Depth=1
	s_or_b64 exec, exec, s[50:51]
	s_waitcnt lgkmcnt(1)
	ds_bpermute_b32 v0, v61, v44
	s_waitcnt lgkmcnt(1)
	ds_bpermute_b32 v1, v61, v41
	v_cmp_le_u32_e32 vcc, v65, v27
	;; [unrolled: 18-line block ×5, first 2 shown]
	s_and_saveexec_b64 s[50:51], vcc
	s_cbranch_execz .LBB331_57
; %bb.78:                               ;   in Loop: Header=BB331_59 Depth=1
	v_mov_b32_e32 v2, v44
	v_mov_b32_e32 v3, v41
	s_getpc_b64 s[4:5]
	s_add_u32 s4, s4, _ZZZZN2at6native31launch_logcumsumexp_cuda_kernelERKNS_10TensorBaseES3_lENKUlvE_clEvENKUlvE2_clEvENKUlN3c107complexIfEES8_E_clES8_S8_@rel32@lo+4
	s_addc_u32 s5, s5, _ZZZZN2at6native31launch_logcumsumexp_cuda_kernelERKNS_10TensorBaseES3_lENKUlvE_clEvENKUlvE2_clEvENKUlN3c107complexIfEES8_E_clES8_S8_@rel32@hi+12
	s_swappc_b64 s[30:31], s[4:5]
	v_mov_b32_e32 v44, v0
	v_mov_b32_e32 v41, v1
	s_branch .LBB331_57
.LBB331_79:                             ;   in Loop: Header=BB331_59 Depth=1
	s_mov_b64 s[4:5], -1
                                        ; implicit-def: $vgpr44
                                        ; implicit-def: $vgpr41
	s_branch .LBB331_58
.LBB331_80:
                                        ; implicit-def: $vgpr58_vgpr59_vgpr60_vgpr61
                                        ; implicit-def: $vgpr56_vgpr57_vgpr58_vgpr59
                                        ; implicit-def: $vgpr53
                                        ; implicit-def: $vgpr41
                                        ; implicit-def: $vgpr44
                                        ; implicit-def: $vgpr46
                                        ; implicit-def: $vgpr54_vgpr55_vgpr56_vgpr57
	s_cbranch_execnz .LBB331_88
	s_branch .LBB331_111
.LBB331_81:
	s_and_saveexec_b64 s[50:51], s[24:25]
	s_cbranch_execz .LBB331_83
; %bb.82:
	s_waitcnt lgkmcnt(1)
	v_mov_b32_e32 v0, v42
	s_waitcnt lgkmcnt(0)
	v_mov_b32_e32 v1, v43
	v_mov_b32_e32 v2, v40
	;; [unrolled: 1-line block ×3, first 2 shown]
	s_getpc_b64 s[4:5]
	s_add_u32 s4, s4, _ZZZZN2at6native31launch_logcumsumexp_cuda_kernelERKNS_10TensorBaseES3_lENKUlvE_clEvENKUlvE2_clEvENKUlN3c107complexIfEES8_E_clES8_S8_@rel32@lo+4
	s_addc_u32 s5, s5, _ZZZZN2at6native31launch_logcumsumexp_cuda_kernelERKNS_10TensorBaseES3_lENKUlvE_clEvENKUlvE2_clEvENKUlN3c107complexIfEES8_E_clES8_S8_@rel32@hi+12
	s_swappc_b64 s[30:31], s[4:5]
	s_add_i32 s4, s57, 64
	s_mov_b32 s5, 0
	s_lshl_b64 s[4:5], s[4:5], 4
	s_add_u32 s4, s34, s4
	v_and_b32_e32 v2, 0xff000000, v1
	v_and_b32_e32 v4, 0xff0000, v1
	s_addc_u32 s5, s35, s5
	v_or_b32_e32 v2, v4, v2
	v_and_b32_e32 v4, 0xff00, v1
	v_and_b32_e32 v1, 0xff, v1
	v_mov_b32_e32 v3, 0
	v_or3_b32 v1, v2, v4, v1
	v_mov_b32_e32 v2, 2
	v_pk_mov_b32 v[4:5], s[4:5], s[4:5] op_sel:[0,1]
	;;#ASMSTART
	global_store_dwordx4 v[4:5], v[0:3] off	
s_waitcnt vmcnt(0)
	;;#ASMEND
.LBB331_83:
	s_or_b64 exec, exec, s[50:51]
	s_and_b64 exec, exec, s[22:23]
	s_cbranch_execz .LBB331_85
; %bb.84:
	s_waitcnt lgkmcnt(1)
	v_mov_b32_e32 v0, 0
	ds_write_b64 v0, v[42:43]
.LBB331_85:
	s_or_b64 exec, exec, s[48:49]
	s_waitcnt lgkmcnt(1)
	v_mov_b32_e32 v0, 0
	s_waitcnt lgkmcnt(0)
	s_barrier
	ds_read_b64 v[40:41], v0
	v_mov_b32_e32 v2, v28
	v_mov_b32_e32 v3, v29
	s_and_saveexec_b64 s[24:25], s[20:21]
	s_cbranch_execz .LBB331_87
; %bb.86:
	v_mov_b32_e32 v0, v52
	v_mov_b32_e32 v1, v53
	;; [unrolled: 1-line block ×4, first 2 shown]
	s_getpc_b64 s[4:5]
	s_add_u32 s4, s4, _ZZZZN2at6native31launch_logcumsumexp_cuda_kernelERKNS_10TensorBaseES3_lENKUlvE_clEvENKUlvE2_clEvENKUlN3c107complexIfEES8_E_clES8_S8_@rel32@lo+4
	s_addc_u32 s5, s5, _ZZZZN2at6native31launch_logcumsumexp_cuda_kernelERKNS_10TensorBaseES3_lENKUlvE_clEvENKUlvE2_clEvENKUlN3c107complexIfEES8_E_clES8_S8_@rel32@hi+12
	s_swappc_b64 s[30:31], s[4:5]
	v_mov_b32_e32 v2, v0
	v_mov_b32_e32 v3, v1
.LBB331_87:
	s_or_b64 exec, exec, s[24:25]
	s_waitcnt lgkmcnt(0)
	v_mov_b32_e32 v0, v40
	v_mov_b32_e32 v1, v41
	s_getpc_b64 s[24:25]
	s_add_u32 s24, s24, _ZZZZN2at6native31launch_logcumsumexp_cuda_kernelERKNS_10TensorBaseES3_lENKUlvE_clEvENKUlvE2_clEvENKUlN3c107complexIfEES8_E_clES8_S8_@rel32@lo+4
	s_addc_u32 s25, s25, _ZZZZN2at6native31launch_logcumsumexp_cuda_kernelERKNS_10TensorBaseES3_lENKUlvE_clEvENKUlvE2_clEvENKUlN3c107complexIfEES8_E_clES8_S8_@rel32@hi+12
	s_swappc_b64 s[30:31], s[24:25]
	v_mov_b32_e32 v2, v30
	v_mov_b32_e32 v3, v31
	v_mov_b32_e32 v40, v0
	v_mov_b32_e32 v41, v1
	s_swappc_b64 s[30:31], s[24:25]
	v_mov_b32_e32 v2, v36
	v_mov_b32_e32 v3, v37
	v_mov_b32_e32 v56, v0
	v_mov_b32_e32 v57, v1
	;; [unrolled: 5-line block ×6, first 2 shown]
	s_swappc_b64 s[30:31], s[24:25]
	v_mov_b32_e32 v52, v0
	v_mov_b32_e32 v53, v1
	s_branch .LBB331_111
.LBB331_88:
	s_cmp_lg_u64 s[40:41], 0
	s_cselect_b64 s[4:5], -1, 0
	s_and_b64 s[4:5], s[22:23], s[4:5]
	s_and_saveexec_b64 s[24:25], s[4:5]
	s_cbranch_execz .LBB331_90
; %bb.89:
	v_mov_b32_e32 v0, 0
	global_load_dwordx2 v[0:1], v0, s[36:37]
	v_mov_b32_e32 v2, v28
	v_mov_b32_e32 v3, v29
	s_getpc_b64 s[4:5]
	s_add_u32 s4, s4, _ZZZZN2at6native31launch_logcumsumexp_cuda_kernelERKNS_10TensorBaseES3_lENKUlvE_clEvENKUlvE2_clEvENKUlN3c107complexIfEES8_E_clES8_S8_@rel32@lo+4
	s_addc_u32 s5, s5, _ZZZZN2at6native31launch_logcumsumexp_cuda_kernelERKNS_10TensorBaseES3_lENKUlvE_clEvENKUlvE2_clEvENKUlN3c107complexIfEES8_E_clES8_S8_@rel32@hi+12
	s_swappc_b64 s[30:31], s[4:5]
	v_mov_b32_e32 v28, v0
	v_mov_b32_e32 v29, v1
.LBB331_90:
	s_or_b64 exec, exec, s[24:25]
	v_mov_b32_e32 v0, v28
	v_mov_b32_e32 v1, v29
	v_mov_b32_e32 v2, v30
	v_mov_b32_e32 v3, v31
	s_getpc_b64 s[36:37]
	s_add_u32 s36, s36, _ZZZZN2at6native31launch_logcumsumexp_cuda_kernelERKNS_10TensorBaseES3_lENKUlvE_clEvENKUlvE2_clEvENKUlN3c107complexIfEES8_E_clES8_S8_@rel32@lo+4
	s_addc_u32 s37, s37, _ZZZZN2at6native31launch_logcumsumexp_cuda_kernelERKNS_10TensorBaseES3_lENKUlvE_clEvENKUlvE2_clEvENKUlN3c107complexIfEES8_E_clES8_S8_@rel32@hi+12
	s_swappc_b64 s[30:31], s[36:37]
	v_mov_b32_e32 v2, v36
	v_mov_b32_e32 v3, v37
	v_mov_b32_e32 v56, v0
	v_mov_b32_e32 v57, v1
	s_swappc_b64 s[30:31], s[36:37]
	v_mov_b32_e32 v2, v38
	v_mov_b32_e32 v3, v39
	v_mov_b32_e32 v44, v0
	v_mov_b32_e32 v45, v1
	;; [unrolled: 5-line block ×5, first 2 shown]
	s_swappc_b64 s[30:31], s[36:37]
	v_mov_b32_e32 v52, v0
	v_lshrrev_b32_e32 v0, 5, v48
	v_mov_b32_e32 v53, v1
	v_add_lshl_u32 v0, v0, v48, 3
	v_cmp_gt_u32_e32 vcc, 64, v48
	ds_write_b64 v0, v[52:53]
	s_waitcnt lgkmcnt(0)
	s_barrier
	s_and_saveexec_b64 s[24:25], vcc
	s_cbranch_execz .LBB331_104
; %bb.91:
	v_lshlrev_b32_e32 v0, 1, v48
	v_lshrrev_b32_e32 v1, 4, v48
	v_add_lshl_u32 v27, v1, v0, 3
	ds_read2_b64 v[40:43], v27 offset1:1
	s_waitcnt lgkmcnt(0)
	v_mov_b32_e32 v0, v40
	v_mov_b32_e32 v1, v41
	v_mov_b32_e32 v2, v42
	v_mov_b32_e32 v3, v43
	s_swappc_b64 s[30:31], s[36:37]
	v_mov_b32_e32 v2, v0
	v_mbcnt_lo_u32_b32 v0, -1, 0
	v_mbcnt_hi_u32_b32 v42, -1, v0
	v_mov_b32_e32 v3, v1
	v_and_b32_e32 v43, 15, v42
	v_mov_b32_dpp v0, v2 row_shr:1 row_mask:0xf bank_mask:0xf
	v_mov_b32_dpp v1, v3 row_shr:1 row_mask:0xf bank_mask:0xf
	v_cmp_ne_u32_e32 vcc, 0, v43
	s_and_saveexec_b64 s[36:37], vcc
	s_cbranch_execz .LBB331_93
; %bb.92:
	s_getpc_b64 s[4:5]
	s_add_u32 s4, s4, _ZZZZN2at6native31launch_logcumsumexp_cuda_kernelERKNS_10TensorBaseES3_lENKUlvE_clEvENKUlvE2_clEvENKUlN3c107complexIfEES8_E_clES8_S8_@rel32@lo+4
	s_addc_u32 s5, s5, _ZZZZN2at6native31launch_logcumsumexp_cuda_kernelERKNS_10TensorBaseES3_lENKUlvE_clEvENKUlvE2_clEvENKUlN3c107complexIfEES8_E_clES8_S8_@rel32@hi+12
	s_swappc_b64 s[30:31], s[4:5]
	v_mov_b32_e32 v2, v0
	v_mov_b32_e32 v3, v1
.LBB331_93:
	s_or_b64 exec, exec, s[36:37]
	v_mov_b32_dpp v0, v2 row_shr:2 row_mask:0xf bank_mask:0xf
	v_mov_b32_dpp v1, v3 row_shr:2 row_mask:0xf bank_mask:0xf
	v_cmp_lt_u32_e32 vcc, 1, v43
	s_and_saveexec_b64 s[36:37], vcc
	s_cbranch_execz .LBB331_95
; %bb.94:
	s_getpc_b64 s[4:5]
	s_add_u32 s4, s4, _ZZZZN2at6native31launch_logcumsumexp_cuda_kernelERKNS_10TensorBaseES3_lENKUlvE_clEvENKUlvE2_clEvENKUlN3c107complexIfEES8_E_clES8_S8_@rel32@lo+4
	s_addc_u32 s5, s5, _ZZZZN2at6native31launch_logcumsumexp_cuda_kernelERKNS_10TensorBaseES3_lENKUlvE_clEvENKUlvE2_clEvENKUlN3c107complexIfEES8_E_clES8_S8_@rel32@hi+12
	s_swappc_b64 s[30:31], s[4:5]
	v_mov_b32_e32 v2, v0
	v_mov_b32_e32 v3, v1
.LBB331_95:
	s_or_b64 exec, exec, s[36:37]
	v_mov_b32_dpp v0, v2 row_shr:4 row_mask:0xf bank_mask:0xf
	v_mov_b32_dpp v1, v3 row_shr:4 row_mask:0xf bank_mask:0xf
	v_cmp_lt_u32_e32 vcc, 3, v43
	;; [unrolled: 14-line block ×3, first 2 shown]
	s_and_saveexec_b64 s[36:37], vcc
	s_cbranch_execz .LBB331_99
; %bb.98:
	s_getpc_b64 s[4:5]
	s_add_u32 s4, s4, _ZZZZN2at6native31launch_logcumsumexp_cuda_kernelERKNS_10TensorBaseES3_lENKUlvE_clEvENKUlvE2_clEvENKUlN3c107complexIfEES8_E_clES8_S8_@rel32@lo+4
	s_addc_u32 s5, s5, _ZZZZN2at6native31launch_logcumsumexp_cuda_kernelERKNS_10TensorBaseES3_lENKUlvE_clEvENKUlvE2_clEvENKUlN3c107complexIfEES8_E_clES8_S8_@rel32@hi+12
	s_swappc_b64 s[30:31], s[4:5]
	v_mov_b32_e32 v2, v0
	v_mov_b32_e32 v3, v1
.LBB331_99:
	s_or_b64 exec, exec, s[36:37]
	v_and_b32_e32 v4, 16, v42
	v_mov_b32_dpp v0, v2 row_bcast:15 row_mask:0xf bank_mask:0xf
	v_mov_b32_dpp v1, v3 row_bcast:15 row_mask:0xf bank_mask:0xf
	v_cmp_ne_u32_e32 vcc, 0, v4
	s_and_saveexec_b64 s[36:37], vcc
	s_cbranch_execz .LBB331_101
; %bb.100:
	s_getpc_b64 s[4:5]
	s_add_u32 s4, s4, _ZZZZN2at6native31launch_logcumsumexp_cuda_kernelERKNS_10TensorBaseES3_lENKUlvE_clEvENKUlvE2_clEvENKUlN3c107complexIfEES8_E_clES8_S8_@rel32@lo+4
	s_addc_u32 s5, s5, _ZZZZN2at6native31launch_logcumsumexp_cuda_kernelERKNS_10TensorBaseES3_lENKUlvE_clEvENKUlvE2_clEvENKUlN3c107complexIfEES8_E_clES8_S8_@rel32@hi+12
	s_swappc_b64 s[30:31], s[4:5]
	v_mov_b32_e32 v2, v0
	v_mov_b32_e32 v3, v1
.LBB331_101:
	s_or_b64 exec, exec, s[36:37]
	v_mov_b32_dpp v0, v2 row_bcast:31 row_mask:0xf bank_mask:0xf
	v_mov_b32_dpp v1, v3 row_bcast:31 row_mask:0xf bank_mask:0xf
	v_cmp_lt_u32_e32 vcc, 31, v42
	s_and_saveexec_b64 s[36:37], vcc
	s_cbranch_execz .LBB331_103
; %bb.102:
	s_getpc_b64 s[4:5]
	s_add_u32 s4, s4, _ZZZZN2at6native31launch_logcumsumexp_cuda_kernelERKNS_10TensorBaseES3_lENKUlvE_clEvENKUlvE2_clEvENKUlN3c107complexIfEES8_E_clES8_S8_@rel32@lo+4
	s_addc_u32 s5, s5, _ZZZZN2at6native31launch_logcumsumexp_cuda_kernelERKNS_10TensorBaseES3_lENKUlvE_clEvENKUlvE2_clEvENKUlN3c107complexIfEES8_E_clES8_S8_@rel32@hi+12
	s_swappc_b64 s[30:31], s[4:5]
	v_mov_b32_e32 v2, v0
	v_mov_b32_e32 v3, v1
.LBB331_103:
	s_or_b64 exec, exec, s[36:37]
	v_add_u32_e32 v0, -1, v42
	v_and_b32_e32 v1, 64, v42
	v_cmp_lt_i32_e32 vcc, v0, v1
	v_cndmask_b32_e32 v0, v0, v42, vcc
	v_lshlrev_b32_e32 v1, 2, v0
	ds_bpermute_b32 v0, v1, v2
	ds_bpermute_b32 v1, v1, v3
	v_mov_b32_e32 v2, v40
	v_mov_b32_e32 v3, v41
	s_getpc_b64 s[36:37]
	s_add_u32 s36, s36, _ZZZZN2at6native31launch_logcumsumexp_cuda_kernelERKNS_10TensorBaseES3_lENKUlvE_clEvENKUlvE2_clEvENKUlN3c107complexIfEES8_E_clES8_S8_@rel32@lo+4
	s_addc_u32 s37, s37, _ZZZZN2at6native31launch_logcumsumexp_cuda_kernelERKNS_10TensorBaseES3_lENKUlvE_clEvENKUlvE2_clEvENKUlN3c107complexIfEES8_E_clES8_S8_@rel32@hi+12
	s_swappc_b64 s[30:31], s[36:37]
	v_cndmask_b32_e64 v0, v0, v52, s[22:23]
	v_cndmask_b32_e64 v1, v1, v53, s[22:23]
	; wave barrier
	ds_write_b64 v27, v[0:1]
	; wave barrier
	ds_read_b64 v[2:3], v27 offset:8
	s_swappc_b64 s[30:31], s[36:37]
	ds_write_b64 v27, v[0:1] offset:8
.LBB331_104:
	s_or_b64 exec, exec, s[24:25]
	v_mov_b32_e32 v1, v53
	v_mov_b32_e32 v0, v52
	s_waitcnt lgkmcnt(0)
	s_barrier
	s_and_saveexec_b64 s[4:5], s[20:21]
	s_cbranch_execz .LBB331_106
; %bb.105:
	v_add_u32_e32 v0, -1, v48
	v_lshrrev_b32_e32 v1, 5, v0
	v_add_lshl_u32 v0, v1, v0, 3
	ds_read_b64 v[0:1], v0
.LBB331_106:
	s_or_b64 exec, exec, s[4:5]
	s_and_saveexec_b64 s[22:23], s[20:21]
	s_cbranch_execz .LBB331_108
; %bb.107:
	v_mov_b32_e32 v2, v28
	v_mov_b32_e32 v3, v29
	s_getpc_b64 s[20:21]
	s_add_u32 s20, s20, _ZZZZN2at6native31launch_logcumsumexp_cuda_kernelERKNS_10TensorBaseES3_lENKUlvE_clEvENKUlvE2_clEvENKUlN3c107complexIfEES8_E_clES8_S8_@rel32@lo+4
	s_addc_u32 s21, s21, _ZZZZN2at6native31launch_logcumsumexp_cuda_kernelERKNS_10TensorBaseES3_lENKUlvE_clEvENKUlvE2_clEvENKUlN3c107complexIfEES8_E_clES8_S8_@rel32@hi+12
	s_swappc_b64 s[30:31], s[20:21]
	v_mov_b32_e32 v2, v30
	v_mov_b32_e32 v3, v31
	;; [unrolled: 1-line block ×4, first 2 shown]
	;;#ASMSTART
	;;#ASMEND
	s_swappc_b64 s[30:31], s[20:21]
	v_mov_b32_e32 v2, v36
	v_mov_b32_e32 v3, v37
	v_mov_b32_e32 v56, v0
	v_mov_b32_e32 v57, v1
	s_swappc_b64 s[30:31], s[20:21]
	v_mov_b32_e32 v2, v38
	v_mov_b32_e32 v3, v39
	v_mov_b32_e32 v44, v0
	v_mov_b32_e32 v45, v1
	s_swappc_b64 s[30:31], s[20:21]
	v_mov_b32_e32 v2, v32
	v_mov_b32_e32 v3, v33
	v_mov_b32_e32 v58, v0
	v_mov_b32_e32 v59, v1
	s_swappc_b64 s[30:31], s[20:21]
	v_mov_b32_e32 v2, v34
	v_mov_b32_e32 v3, v35
	v_mov_b32_e32 v46, v0
	v_mov_b32_e32 v47, v1
	s_swappc_b64 s[30:31], s[20:21]
	v_mov_b32_e32 v2, v50
	v_mov_b32_e32 v3, v51
	v_mov_b32_e32 v60, v0
	v_mov_b32_e32 v61, v1
	s_swappc_b64 s[30:31], s[20:21]
	v_mov_b32_e32 v52, v0
	v_mov_b32_e32 v53, v1
.LBB331_108:
	s_or_b64 exec, exec, s[22:23]
	s_movk_i32 s4, 0x7f
	v_cmp_eq_u32_e32 vcc, s4, v48
	s_and_saveexec_b64 s[4:5], vcc
	s_cbranch_execz .LBB331_110
; %bb.109:
	s_add_u32 s6, s34, 0x400
	s_waitcnt lgkmcnt(0)
	v_and_b32_e32 v0, 0xff000000, v53
	v_and_b32_e32 v1, 0xff0000, v53
	s_addc_u32 s7, s35, 0
	v_or_b32_e32 v0, v1, v0
	v_and_b32_e32 v1, 0xff00, v53
	v_and_b32_e32 v2, 0xff, v53
	v_mov_b32_e32 v3, 0
	v_or3_b32 v1, v0, v1, v2
	v_mov_b32_e32 v2, 2
	v_mov_b32_e32 v0, v52
	v_pk_mov_b32 v[4:5], s[6:7], s[6:7] op_sel:[0,1]
	;;#ASMSTART
	global_store_dwordx4 v[4:5], v[0:3] off	
s_waitcnt vmcnt(0)
	;;#ASMEND
.LBB331_110:
	s_or_b64 exec, exec, s[4:5]
	v_mov_b32_e32 v41, v29
	v_mov_b32_e32 v40, v28
.LBB331_111:
	s_add_u32 s4, s28, s26
	s_addc_u32 s5, s29, s27
	s_add_u32 s4, s4, s46
	s_addc_u32 s5, s5, s47
	s_mov_b64 s[6:7], -1
	s_and_b64 vcc, exec, s[44:45]
	s_waitcnt lgkmcnt(0)
	s_barrier
	s_cbranch_vccz .LBB331_113
; %bb.112:
	v_mul_u32_u24_e32 v0, 56, v48
	ds_write2_b64 v0, v[40:41], v[56:57] offset1:1
	ds_write2_b64 v0, v[44:45], v[58:59] offset0:2 offset1:3
	ds_write2_b64 v0, v[46:47], v[60:61] offset0:4 offset1:5
	ds_write_b64 v0, v[52:53] offset:48
	v_mul_i32_i24_e32 v0, 0xffffffd0, v48
	v_mad_u32_u24 v12, v48, 56, v0
	s_waitcnt lgkmcnt(0)
	s_barrier
	ds_read2st64_b64 v[0:3], v12 offset1:2
	ds_read2st64_b64 v[4:7], v12 offset0:4 offset1:6
	ds_read2st64_b64 v[8:11], v12 offset0:8 offset1:10
	ds_read_b64 v[12:13], v12 offset:6144
	v_mov_b32_e32 v14, s5
	v_add_co_u32_e32 v15, vcc, s4, v63
	v_addc_co_u32_e32 v14, vcc, 0, v14, vcc
	s_waitcnt lgkmcnt(3)
	global_store_dwordx2 v63, v[0:1], s[4:5]
	global_store_dwordx2 v63, v[2:3], s[4:5] offset:1024
	s_waitcnt lgkmcnt(2)
	global_store_dwordx2 v63, v[4:5], s[4:5] offset:2048
	global_store_dwordx2 v63, v[6:7], s[4:5] offset:3072
	v_add_co_u32_e32 v0, vcc, 0x1000, v15
	v_addc_co_u32_e32 v1, vcc, 0, v14, vcc
	s_waitcnt lgkmcnt(1)
	global_store_dwordx2 v[0:1], v[8:9], off
	global_store_dwordx2 v[0:1], v[10:11], off offset:1024
	s_waitcnt lgkmcnt(0)
	global_store_dwordx2 v[0:1], v[12:13], off offset:2048
	s_mov_b64 s[6:7], 0
.LBB331_113:
	s_andn2_b64 vcc, exec, s[6:7]
	s_cbranch_vccnz .LBB331_152
; %bb.114:
	s_movk_i32 s6, 0xffd0
	v_mad_i32_i24 v12, v48, s6, v64
	ds_write2_b64 v64, v[40:41], v[56:57] offset1:1
	ds_write2_b64 v64, v[44:45], v[58:59] offset0:2 offset1:3
	ds_write2_b64 v64, v[46:47], v[60:61] offset0:4 offset1:5
	ds_write_b64 v64, v[52:53] offset:48
	s_waitcnt lgkmcnt(0)
	s_barrier
	ds_read2st64_b64 v[0:3], v12 offset1:2
	ds_read2st64_b64 v[4:7], v12 offset0:4 offset1:6
	ds_read2st64_b64 v[8:11], v12 offset0:8 offset1:10
	ds_read_b64 v[12:13], v12 offset:6144
	v_mov_b32_e32 v15, s5
	v_add_co_u32_e32 v14, vcc, s4, v63
	v_addc_co_u32_e32 v15, vcc, 0, v15, vcc
	v_mov_b32_e32 v49, 0
	v_cmp_gt_u32_e32 vcc, s33, v48
	s_and_saveexec_b64 s[4:5], vcc
	s_cbranch_execz .LBB331_116
; %bb.115:
	s_waitcnt lgkmcnt(3)
	global_store_dwordx2 v[14:15], v[0:1], off
.LBB331_116:
	s_or_b64 exec, exec, s[4:5]
	v_or_b32_e32 v16, 0x80, v48
	v_cmp_gt_u32_e32 vcc, s33, v16
	s_and_saveexec_b64 s[4:5], vcc
	s_cbranch_execz .LBB331_118
; %bb.117:
	s_waitcnt lgkmcnt(3)
	global_store_dwordx2 v[14:15], v[2:3], off offset:1024
.LBB331_118:
	s_or_b64 exec, exec, s[4:5]
	v_or_b32_e32 v16, 0x100, v48
	v_cmp_gt_u32_e32 vcc, s33, v16
	s_and_saveexec_b64 s[4:5], vcc
	s_cbranch_execz .LBB331_120
; %bb.119:
	s_waitcnt lgkmcnt(2)
	global_store_dwordx2 v[14:15], v[4:5], off offset:2048
.LBB331_120:
	;; [unrolled: 9-line block ×3, first 2 shown]
	s_or_b64 exec, exec, s[4:5]
	v_or_b32_e32 v16, 0x200, v48
	v_cmp_gt_u32_e32 vcc, s33, v16
	s_and_saveexec_b64 s[4:5], vcc
	s_cbranch_execz .LBB331_124
; %bb.123:
	v_add_co_u32_e32 v16, vcc, 0x1000, v14
	v_addc_co_u32_e32 v17, vcc, 0, v15, vcc
	s_waitcnt lgkmcnt(1)
	global_store_dwordx2 v[16:17], v[8:9], off
.LBB331_124:
	s_or_b64 exec, exec, s[4:5]
	v_or_b32_e32 v16, 0x280, v48
	v_cmp_gt_u32_e32 vcc, s33, v16
	s_and_saveexec_b64 s[4:5], vcc
	s_cbranch_execz .LBB331_126
; %bb.125:
	v_add_co_u32_e32 v16, vcc, 0x1000, v14
	v_addc_co_u32_e32 v17, vcc, 0, v15, vcc
	s_waitcnt lgkmcnt(1)
	global_store_dwordx2 v[16:17], v[10:11], off offset:1024
.LBB331_126:
	s_or_b64 exec, exec, s[4:5]
	v_or_b32_e32 v16, 0x300, v48
	v_cmp_gt_u32_e32 vcc, s33, v16
	s_and_saveexec_b64 s[4:5], vcc
	s_cbranch_execz .LBB331_128
; %bb.127:
	v_add_co_u32_e32 v14, vcc, 0x1000, v14
	v_addc_co_u32_e32 v15, vcc, 0, v15, vcc
	s_waitcnt lgkmcnt(0)
	global_store_dwordx2 v[14:15], v[12:13], off offset:2048
.LBB331_128:
	s_or_b64 exec, exec, s[4:5]
	v_cmp_lt_u64_e64 s[4:5], s[42:43], 2
	s_and_b64 vcc, exec, s[4:5]
	s_cbranch_vccnz .LBB331_152
; %bb.129:
	s_add_u32 s4, s33, -1
	s_addc_u32 s5, s56, -1
	s_add_u32 s6, 0, 0x92481000
	s_addc_u32 s7, 0, 0x64
	s_add_i32 s7, s7, 0x249248c0
	s_mul_hi_u32 s11, s6, -7
	s_sub_i32 s11, s11, s6
	s_mul_i32 s12, s7, -7
	s_mul_i32 s8, s6, -7
	s_add_i32 s11, s11, s12
	s_mul_hi_u32 s9, s7, s8
	s_mul_i32 s10, s7, s8
	s_mul_i32 s13, s6, s11
	s_mul_hi_u32 s8, s6, s8
	s_mul_hi_u32 s12, s6, s11
	s_add_u32 s8, s8, s13
	s_addc_u32 s12, 0, s12
	s_add_u32 s8, s8, s10
	s_mul_hi_u32 s13, s7, s11
	s_addc_u32 s8, s12, s9
	s_addc_u32 s9, s13, 0
	s_mul_i32 s10, s7, s11
	s_add_u32 s8, s8, s10
	v_mov_b32_e32 v14, s8
	s_addc_u32 s9, 0, s9
	v_add_co_u32_e32 v14, vcc, s6, v14
	s_cmp_lg_u64 vcc, 0
	s_addc_u32 s6, s7, s9
	v_readfirstlane_b32 s9, v14
	s_mul_i32 s8, s4, s6
	s_mul_hi_u32 s10, s4, s9
	s_mul_hi_u32 s7, s4, s6
	s_add_u32 s8, s10, s8
	s_addc_u32 s7, 0, s7
	s_mul_hi_u32 s11, s5, s9
	s_mul_i32 s9, s5, s9
	s_add_u32 s8, s8, s9
	s_mul_hi_u32 s10, s5, s6
	s_addc_u32 s7, s7, s11
	s_addc_u32 s8, s10, 0
	s_mul_i32 s6, s5, s6
	s_add_u32 s6, s7, s6
	s_addc_u32 s7, 0, s8
	s_add_u32 s8, s6, 1
	s_addc_u32 s9, s7, 0
	s_add_u32 s10, s6, 2
	s_mul_i32 s12, s7, 7
	s_mul_hi_u32 s13, s6, 7
	s_addc_u32 s11, s7, 0
	s_add_i32 s13, s13, s12
	s_mul_i32 s12, s6, 7
	v_mov_b32_e32 v14, s12
	v_sub_co_u32_e32 v14, vcc, s4, v14
	s_cmp_lg_u64 vcc, 0
	s_subb_u32 s12, s5, s13
	v_subrev_co_u32_e32 v15, vcc, 7, v14
	s_cmp_lg_u64 vcc, 0
	s_subb_u32 s13, s12, 0
	v_readfirstlane_b32 s14, v15
	s_cmp_gt_u32 s14, 6
	s_cselect_b32 s14, -1, 0
	s_cmp_eq_u32 s13, 0
	s_cselect_b32 s13, s14, -1
	s_cmp_lg_u32 s13, 0
	s_cselect_b32 s8, s10, s8
	v_readfirstlane_b32 s10, v14
	s_cselect_b32 s9, s11, s9
	s_cmp_gt_u32 s10, 6
	s_cselect_b32 s10, -1, 0
	s_cmp_eq_u32 s12, 0
	s_cselect_b32 s10, s10, -1
	s_cmp_lg_u32 s10, 0
	s_cselect_b32 s7, s9, s7
	s_cselect_b32 s6, s8, s6
	v_cmp_eq_u64_e32 vcc, s[6:7], v[48:49]
	s_and_saveexec_b64 s[6:7], vcc
	s_cbranch_execz .LBB331_152
; %bb.130:
	v_mul_hi_u32_u24_e32 v15, 7, v48
	v_mov_b32_e32 v16, s5
	v_sub_co_u32_e32 v14, vcc, s4, v62
	v_subb_co_u32_e32 v15, vcc, v16, v15, vcc
	v_cmp_lt_i64_e32 vcc, 3, v[14:15]
	s_and_saveexec_b64 s[4:5], vcc
	s_xor_b64 s[4:5], exec, s[4:5]
	s_cbranch_execz .LBB331_140
; %bb.131:
	v_cmp_lt_i64_e32 vcc, 4, v[14:15]
	s_and_saveexec_b64 s[6:7], vcc
	s_xor_b64 s[6:7], exec, s[6:7]
	s_cbranch_execz .LBB331_137
; %bb.132:
	;; [unrolled: 5-line block ×3, first 2 shown]
	s_waitcnt lgkmcnt(3)
	v_mov_b32_e32 v0, 0
	s_waitcnt lgkmcnt(0)
	global_store_dwordx2 v0, v[12:13], s[38:39]
                                        ; implicit-def: $vgpr8_vgpr9_vgpr10_vgpr11
.LBB331_134:
	s_andn2_saveexec_b64 s[8:9], s[8:9]
	s_cbranch_execz .LBB331_136
; %bb.135:
	s_waitcnt lgkmcnt(3)
	v_mov_b32_e32 v0, 0
	s_waitcnt lgkmcnt(1)
	global_store_dwordx2 v0, v[10:11], s[38:39]
.LBB331_136:
	s_or_b64 exec, exec, s[8:9]
                                        ; implicit-def: $vgpr8_vgpr9_vgpr10_vgpr11
.LBB331_137:
	s_andn2_saveexec_b64 s[6:7], s[6:7]
	s_cbranch_execz .LBB331_139
; %bb.138:
	s_waitcnt lgkmcnt(3)
	v_mov_b32_e32 v0, 0
	s_waitcnt lgkmcnt(1)
	global_store_dwordx2 v0, v[8:9], s[38:39]
.LBB331_139:
	s_or_b64 exec, exec, s[6:7]
                                        ; implicit-def: $vgpr14_vgpr15
                                        ; implicit-def: $vgpr0_vgpr1_vgpr2_vgpr3
                                        ; implicit-def: $vgpr4_vgpr5_vgpr6_vgpr7
.LBB331_140:
	s_andn2_saveexec_b64 s[4:5], s[4:5]
	s_cbranch_execz .LBB331_152
; %bb.141:
	v_cmp_lt_i64_e32 vcc, 1, v[14:15]
	s_and_saveexec_b64 s[4:5], vcc
	s_xor_b64 s[4:5], exec, s[4:5]
	s_cbranch_execz .LBB331_147
; %bb.142:
	v_cmp_lt_i64_e32 vcc, 2, v[14:15]
	s_and_saveexec_b64 s[6:7], vcc
	s_xor_b64 s[6:7], exec, s[6:7]
	s_cbranch_execz .LBB331_144
; %bb.143:
	s_waitcnt lgkmcnt(3)
	v_mov_b32_e32 v0, 0
	s_waitcnt lgkmcnt(2)
	global_store_dwordx2 v0, v[6:7], s[38:39]
                                        ; implicit-def: $vgpr4_vgpr5_vgpr6_vgpr7
.LBB331_144:
	s_andn2_saveexec_b64 s[6:7], s[6:7]
	s_cbranch_execz .LBB331_146
; %bb.145:
	s_waitcnt lgkmcnt(3)
	v_mov_b32_e32 v0, 0
	s_waitcnt lgkmcnt(2)
	global_store_dwordx2 v0, v[4:5], s[38:39]
.LBB331_146:
	s_or_b64 exec, exec, s[6:7]
                                        ; implicit-def: $vgpr0_vgpr1_vgpr2_vgpr3
                                        ; implicit-def: $vgpr14_vgpr15
.LBB331_147:
	s_andn2_saveexec_b64 s[4:5], s[4:5]
	s_cbranch_execz .LBB331_152
; %bb.148:
	v_cmp_ne_u64_e32 vcc, 1, v[14:15]
	s_and_saveexec_b64 s[4:5], vcc
	s_xor_b64 s[4:5], exec, s[4:5]
	s_cbranch_execz .LBB331_150
; %bb.149:
	s_waitcnt lgkmcnt(3)
	v_mov_b32_e32 v2, 0
	global_store_dwordx2 v2, v[0:1], s[38:39]
                                        ; implicit-def: $vgpr0_vgpr1_vgpr2_vgpr3
.LBB331_150:
	s_andn2_saveexec_b64 s[4:5], s[4:5]
	s_cbranch_execz .LBB331_152
; %bb.151:
	s_waitcnt lgkmcnt(3)
	v_mov_b32_e32 v0, 0
	global_store_dwordx2 v0, v[2:3], s[38:39]
.LBB331_152:
	s_endpgm
	.section	.rodata,"a",@progbits
	.p2align	6, 0x0
	.amdhsa_kernel _ZN7rocprim17ROCPRIM_400000_NS6detail17trampoline_kernelINS0_14default_configENS1_20scan_config_selectorIN3c107complexIfEEEEZZNS1_9scan_implILNS1_25lookback_scan_determinismE0ELb0ELb0ES3_PKS7_PS7_S7_ZZZN2at6native31launch_logcumsumexp_cuda_kernelERKNSE_10TensorBaseESI_lENKUlvE_clEvENKUlvE2_clEvEUlS7_S7_E_S7_EEDaPvRmT3_T4_T5_mT6_P12ihipStream_tbENKUlT_T0_E_clISt17integral_constantIbLb0EESY_IbLb1EEEEDaSU_SV_EUlSU_E_NS1_11comp_targetILNS1_3genE4ELNS1_11target_archE910ELNS1_3gpuE8ELNS1_3repE0EEENS1_30default_config_static_selectorELNS0_4arch9wavefront6targetE1EEEvT1_
		.amdhsa_group_segment_fixed_size 7168
		.amdhsa_private_segment_fixed_size 0
		.amdhsa_kernarg_size 104
		.amdhsa_user_sgpr_count 8
		.amdhsa_user_sgpr_private_segment_buffer 1
		.amdhsa_user_sgpr_dispatch_ptr 0
		.amdhsa_user_sgpr_queue_ptr 0
		.amdhsa_user_sgpr_kernarg_segment_ptr 1
		.amdhsa_user_sgpr_dispatch_id 0
		.amdhsa_user_sgpr_flat_scratch_init 1
		.amdhsa_user_sgpr_kernarg_preload_length 0
		.amdhsa_user_sgpr_kernarg_preload_offset 0
		.amdhsa_user_sgpr_private_segment_size 0
		.amdhsa_uses_dynamic_stack 0
		.amdhsa_system_sgpr_private_segment_wavefront_offset 0
		.amdhsa_system_sgpr_workgroup_id_x 1
		.amdhsa_system_sgpr_workgroup_id_y 0
		.amdhsa_system_sgpr_workgroup_id_z 0
		.amdhsa_system_sgpr_workgroup_info 0
		.amdhsa_system_vgpr_workitem_id 0
		.amdhsa_next_free_vgpr 73
		.amdhsa_next_free_sgpr 63
		.amdhsa_accum_offset 76
		.amdhsa_reserve_vcc 1
		.amdhsa_reserve_flat_scratch 1
		.amdhsa_float_round_mode_32 0
		.amdhsa_float_round_mode_16_64 0
		.amdhsa_float_denorm_mode_32 3
		.amdhsa_float_denorm_mode_16_64 3
		.amdhsa_dx10_clamp 1
		.amdhsa_ieee_mode 1
		.amdhsa_fp16_overflow 0
		.amdhsa_tg_split 0
		.amdhsa_exception_fp_ieee_invalid_op 0
		.amdhsa_exception_fp_denorm_src 0
		.amdhsa_exception_fp_ieee_div_zero 0
		.amdhsa_exception_fp_ieee_overflow 0
		.amdhsa_exception_fp_ieee_underflow 0
		.amdhsa_exception_fp_ieee_inexact 0
		.amdhsa_exception_int_div_zero 0
	.end_amdhsa_kernel
	.section	.text._ZN7rocprim17ROCPRIM_400000_NS6detail17trampoline_kernelINS0_14default_configENS1_20scan_config_selectorIN3c107complexIfEEEEZZNS1_9scan_implILNS1_25lookback_scan_determinismE0ELb0ELb0ES3_PKS7_PS7_S7_ZZZN2at6native31launch_logcumsumexp_cuda_kernelERKNSE_10TensorBaseESI_lENKUlvE_clEvENKUlvE2_clEvEUlS7_S7_E_S7_EEDaPvRmT3_T4_T5_mT6_P12ihipStream_tbENKUlT_T0_E_clISt17integral_constantIbLb0EESY_IbLb1EEEEDaSU_SV_EUlSU_E_NS1_11comp_targetILNS1_3genE4ELNS1_11target_archE910ELNS1_3gpuE8ELNS1_3repE0EEENS1_30default_config_static_selectorELNS0_4arch9wavefront6targetE1EEEvT1_,"axG",@progbits,_ZN7rocprim17ROCPRIM_400000_NS6detail17trampoline_kernelINS0_14default_configENS1_20scan_config_selectorIN3c107complexIfEEEEZZNS1_9scan_implILNS1_25lookback_scan_determinismE0ELb0ELb0ES3_PKS7_PS7_S7_ZZZN2at6native31launch_logcumsumexp_cuda_kernelERKNSE_10TensorBaseESI_lENKUlvE_clEvENKUlvE2_clEvEUlS7_S7_E_S7_EEDaPvRmT3_T4_T5_mT6_P12ihipStream_tbENKUlT_T0_E_clISt17integral_constantIbLb0EESY_IbLb1EEEEDaSU_SV_EUlSU_E_NS1_11comp_targetILNS1_3genE4ELNS1_11target_archE910ELNS1_3gpuE8ELNS1_3repE0EEENS1_30default_config_static_selectorELNS0_4arch9wavefront6targetE1EEEvT1_,comdat
.Lfunc_end331:
	.size	_ZN7rocprim17ROCPRIM_400000_NS6detail17trampoline_kernelINS0_14default_configENS1_20scan_config_selectorIN3c107complexIfEEEEZZNS1_9scan_implILNS1_25lookback_scan_determinismE0ELb0ELb0ES3_PKS7_PS7_S7_ZZZN2at6native31launch_logcumsumexp_cuda_kernelERKNSE_10TensorBaseESI_lENKUlvE_clEvENKUlvE2_clEvEUlS7_S7_E_S7_EEDaPvRmT3_T4_T5_mT6_P12ihipStream_tbENKUlT_T0_E_clISt17integral_constantIbLb0EESY_IbLb1EEEEDaSU_SV_EUlSU_E_NS1_11comp_targetILNS1_3genE4ELNS1_11target_archE910ELNS1_3gpuE8ELNS1_3repE0EEENS1_30default_config_static_selectorELNS0_4arch9wavefront6targetE1EEEvT1_, .Lfunc_end331-_ZN7rocprim17ROCPRIM_400000_NS6detail17trampoline_kernelINS0_14default_configENS1_20scan_config_selectorIN3c107complexIfEEEEZZNS1_9scan_implILNS1_25lookback_scan_determinismE0ELb0ELb0ES3_PKS7_PS7_S7_ZZZN2at6native31launch_logcumsumexp_cuda_kernelERKNSE_10TensorBaseESI_lENKUlvE_clEvENKUlvE2_clEvEUlS7_S7_E_S7_EEDaPvRmT3_T4_T5_mT6_P12ihipStream_tbENKUlT_T0_E_clISt17integral_constantIbLb0EESY_IbLb1EEEEDaSU_SV_EUlSU_E_NS1_11comp_targetILNS1_3genE4ELNS1_11target_archE910ELNS1_3gpuE8ELNS1_3repE0EEENS1_30default_config_static_selectorELNS0_4arch9wavefront6targetE1EEEvT1_
                                        ; -- End function
	.section	.AMDGPU.csdata,"",@progbits
; Kernel info:
; codeLenInByte = 6548
; NumSgprs: 69
; NumVgprs: 73
; NumAgprs: 0
; TotalNumVgprs: 73
; ScratchSize: 0
; MemoryBound: 0
; FloatMode: 240
; IeeeMode: 1
; LDSByteSize: 7168 bytes/workgroup (compile time only)
; SGPRBlocks: 8
; VGPRBlocks: 9
; NumSGPRsForWavesPerEU: 69
; NumVGPRsForWavesPerEU: 73
; AccumOffset: 76
; Occupancy: 5
; WaveLimiterHint : 0
; COMPUTE_PGM_RSRC2:SCRATCH_EN: 0
; COMPUTE_PGM_RSRC2:USER_SGPR: 8
; COMPUTE_PGM_RSRC2:TRAP_HANDLER: 0
; COMPUTE_PGM_RSRC2:TGID_X_EN: 1
; COMPUTE_PGM_RSRC2:TGID_Y_EN: 0
; COMPUTE_PGM_RSRC2:TGID_Z_EN: 0
; COMPUTE_PGM_RSRC2:TIDIG_COMP_CNT: 0
; COMPUTE_PGM_RSRC3_GFX90A:ACCUM_OFFSET: 18
; COMPUTE_PGM_RSRC3_GFX90A:TG_SPLIT: 0
	.section	.text._ZN7rocprim17ROCPRIM_400000_NS6detail17trampoline_kernelINS0_14default_configENS1_20scan_config_selectorIN3c107complexIfEEEEZZNS1_9scan_implILNS1_25lookback_scan_determinismE0ELb0ELb0ES3_PKS7_PS7_S7_ZZZN2at6native31launch_logcumsumexp_cuda_kernelERKNSE_10TensorBaseESI_lENKUlvE_clEvENKUlvE2_clEvEUlS7_S7_E_S7_EEDaPvRmT3_T4_T5_mT6_P12ihipStream_tbENKUlT_T0_E_clISt17integral_constantIbLb0EESY_IbLb1EEEEDaSU_SV_EUlSU_E_NS1_11comp_targetILNS1_3genE3ELNS1_11target_archE908ELNS1_3gpuE7ELNS1_3repE0EEENS1_30default_config_static_selectorELNS0_4arch9wavefront6targetE1EEEvT1_,"axG",@progbits,_ZN7rocprim17ROCPRIM_400000_NS6detail17trampoline_kernelINS0_14default_configENS1_20scan_config_selectorIN3c107complexIfEEEEZZNS1_9scan_implILNS1_25lookback_scan_determinismE0ELb0ELb0ES3_PKS7_PS7_S7_ZZZN2at6native31launch_logcumsumexp_cuda_kernelERKNSE_10TensorBaseESI_lENKUlvE_clEvENKUlvE2_clEvEUlS7_S7_E_S7_EEDaPvRmT3_T4_T5_mT6_P12ihipStream_tbENKUlT_T0_E_clISt17integral_constantIbLb0EESY_IbLb1EEEEDaSU_SV_EUlSU_E_NS1_11comp_targetILNS1_3genE3ELNS1_11target_archE908ELNS1_3gpuE7ELNS1_3repE0EEENS1_30default_config_static_selectorELNS0_4arch9wavefront6targetE1EEEvT1_,comdat
	.globl	_ZN7rocprim17ROCPRIM_400000_NS6detail17trampoline_kernelINS0_14default_configENS1_20scan_config_selectorIN3c107complexIfEEEEZZNS1_9scan_implILNS1_25lookback_scan_determinismE0ELb0ELb0ES3_PKS7_PS7_S7_ZZZN2at6native31launch_logcumsumexp_cuda_kernelERKNSE_10TensorBaseESI_lENKUlvE_clEvENKUlvE2_clEvEUlS7_S7_E_S7_EEDaPvRmT3_T4_T5_mT6_P12ihipStream_tbENKUlT_T0_E_clISt17integral_constantIbLb0EESY_IbLb1EEEEDaSU_SV_EUlSU_E_NS1_11comp_targetILNS1_3genE3ELNS1_11target_archE908ELNS1_3gpuE7ELNS1_3repE0EEENS1_30default_config_static_selectorELNS0_4arch9wavefront6targetE1EEEvT1_ ; -- Begin function _ZN7rocprim17ROCPRIM_400000_NS6detail17trampoline_kernelINS0_14default_configENS1_20scan_config_selectorIN3c107complexIfEEEEZZNS1_9scan_implILNS1_25lookback_scan_determinismE0ELb0ELb0ES3_PKS7_PS7_S7_ZZZN2at6native31launch_logcumsumexp_cuda_kernelERKNSE_10TensorBaseESI_lENKUlvE_clEvENKUlvE2_clEvEUlS7_S7_E_S7_EEDaPvRmT3_T4_T5_mT6_P12ihipStream_tbENKUlT_T0_E_clISt17integral_constantIbLb0EESY_IbLb1EEEEDaSU_SV_EUlSU_E_NS1_11comp_targetILNS1_3genE3ELNS1_11target_archE908ELNS1_3gpuE7ELNS1_3repE0EEENS1_30default_config_static_selectorELNS0_4arch9wavefront6targetE1EEEvT1_
	.p2align	8
	.type	_ZN7rocprim17ROCPRIM_400000_NS6detail17trampoline_kernelINS0_14default_configENS1_20scan_config_selectorIN3c107complexIfEEEEZZNS1_9scan_implILNS1_25lookback_scan_determinismE0ELb0ELb0ES3_PKS7_PS7_S7_ZZZN2at6native31launch_logcumsumexp_cuda_kernelERKNSE_10TensorBaseESI_lENKUlvE_clEvENKUlvE2_clEvEUlS7_S7_E_S7_EEDaPvRmT3_T4_T5_mT6_P12ihipStream_tbENKUlT_T0_E_clISt17integral_constantIbLb0EESY_IbLb1EEEEDaSU_SV_EUlSU_E_NS1_11comp_targetILNS1_3genE3ELNS1_11target_archE908ELNS1_3gpuE7ELNS1_3repE0EEENS1_30default_config_static_selectorELNS0_4arch9wavefront6targetE1EEEvT1_,@function
_ZN7rocprim17ROCPRIM_400000_NS6detail17trampoline_kernelINS0_14default_configENS1_20scan_config_selectorIN3c107complexIfEEEEZZNS1_9scan_implILNS1_25lookback_scan_determinismE0ELb0ELb0ES3_PKS7_PS7_S7_ZZZN2at6native31launch_logcumsumexp_cuda_kernelERKNSE_10TensorBaseESI_lENKUlvE_clEvENKUlvE2_clEvEUlS7_S7_E_S7_EEDaPvRmT3_T4_T5_mT6_P12ihipStream_tbENKUlT_T0_E_clISt17integral_constantIbLb0EESY_IbLb1EEEEDaSU_SV_EUlSU_E_NS1_11comp_targetILNS1_3genE3ELNS1_11target_archE908ELNS1_3gpuE7ELNS1_3repE0EEENS1_30default_config_static_selectorELNS0_4arch9wavefront6targetE1EEEvT1_: ; @_ZN7rocprim17ROCPRIM_400000_NS6detail17trampoline_kernelINS0_14default_configENS1_20scan_config_selectorIN3c107complexIfEEEEZZNS1_9scan_implILNS1_25lookback_scan_determinismE0ELb0ELb0ES3_PKS7_PS7_S7_ZZZN2at6native31launch_logcumsumexp_cuda_kernelERKNSE_10TensorBaseESI_lENKUlvE_clEvENKUlvE2_clEvEUlS7_S7_E_S7_EEDaPvRmT3_T4_T5_mT6_P12ihipStream_tbENKUlT_T0_E_clISt17integral_constantIbLb0EESY_IbLb1EEEEDaSU_SV_EUlSU_E_NS1_11comp_targetILNS1_3genE3ELNS1_11target_archE908ELNS1_3gpuE7ELNS1_3repE0EEENS1_30default_config_static_selectorELNS0_4arch9wavefront6targetE1EEEvT1_
; %bb.0:
	.section	.rodata,"a",@progbits
	.p2align	6, 0x0
	.amdhsa_kernel _ZN7rocprim17ROCPRIM_400000_NS6detail17trampoline_kernelINS0_14default_configENS1_20scan_config_selectorIN3c107complexIfEEEEZZNS1_9scan_implILNS1_25lookback_scan_determinismE0ELb0ELb0ES3_PKS7_PS7_S7_ZZZN2at6native31launch_logcumsumexp_cuda_kernelERKNSE_10TensorBaseESI_lENKUlvE_clEvENKUlvE2_clEvEUlS7_S7_E_S7_EEDaPvRmT3_T4_T5_mT6_P12ihipStream_tbENKUlT_T0_E_clISt17integral_constantIbLb0EESY_IbLb1EEEEDaSU_SV_EUlSU_E_NS1_11comp_targetILNS1_3genE3ELNS1_11target_archE908ELNS1_3gpuE7ELNS1_3repE0EEENS1_30default_config_static_selectorELNS0_4arch9wavefront6targetE1EEEvT1_
		.amdhsa_group_segment_fixed_size 0
		.amdhsa_private_segment_fixed_size 0
		.amdhsa_kernarg_size 104
		.amdhsa_user_sgpr_count 6
		.amdhsa_user_sgpr_private_segment_buffer 1
		.amdhsa_user_sgpr_dispatch_ptr 0
		.amdhsa_user_sgpr_queue_ptr 0
		.amdhsa_user_sgpr_kernarg_segment_ptr 1
		.amdhsa_user_sgpr_dispatch_id 0
		.amdhsa_user_sgpr_flat_scratch_init 0
		.amdhsa_user_sgpr_kernarg_preload_length 0
		.amdhsa_user_sgpr_kernarg_preload_offset 0
		.amdhsa_user_sgpr_private_segment_size 0
		.amdhsa_uses_dynamic_stack 0
		.amdhsa_system_sgpr_private_segment_wavefront_offset 0
		.amdhsa_system_sgpr_workgroup_id_x 1
		.amdhsa_system_sgpr_workgroup_id_y 0
		.amdhsa_system_sgpr_workgroup_id_z 0
		.amdhsa_system_sgpr_workgroup_info 0
		.amdhsa_system_vgpr_workitem_id 0
		.amdhsa_next_free_vgpr 1
		.amdhsa_next_free_sgpr 0
		.amdhsa_accum_offset 4
		.amdhsa_reserve_vcc 0
		.amdhsa_reserve_flat_scratch 0
		.amdhsa_float_round_mode_32 0
		.amdhsa_float_round_mode_16_64 0
		.amdhsa_float_denorm_mode_32 3
		.amdhsa_float_denorm_mode_16_64 3
		.amdhsa_dx10_clamp 1
		.amdhsa_ieee_mode 1
		.amdhsa_fp16_overflow 0
		.amdhsa_tg_split 0
		.amdhsa_exception_fp_ieee_invalid_op 0
		.amdhsa_exception_fp_denorm_src 0
		.amdhsa_exception_fp_ieee_div_zero 0
		.amdhsa_exception_fp_ieee_overflow 0
		.amdhsa_exception_fp_ieee_underflow 0
		.amdhsa_exception_fp_ieee_inexact 0
		.amdhsa_exception_int_div_zero 0
	.end_amdhsa_kernel
	.section	.text._ZN7rocprim17ROCPRIM_400000_NS6detail17trampoline_kernelINS0_14default_configENS1_20scan_config_selectorIN3c107complexIfEEEEZZNS1_9scan_implILNS1_25lookback_scan_determinismE0ELb0ELb0ES3_PKS7_PS7_S7_ZZZN2at6native31launch_logcumsumexp_cuda_kernelERKNSE_10TensorBaseESI_lENKUlvE_clEvENKUlvE2_clEvEUlS7_S7_E_S7_EEDaPvRmT3_T4_T5_mT6_P12ihipStream_tbENKUlT_T0_E_clISt17integral_constantIbLb0EESY_IbLb1EEEEDaSU_SV_EUlSU_E_NS1_11comp_targetILNS1_3genE3ELNS1_11target_archE908ELNS1_3gpuE7ELNS1_3repE0EEENS1_30default_config_static_selectorELNS0_4arch9wavefront6targetE1EEEvT1_,"axG",@progbits,_ZN7rocprim17ROCPRIM_400000_NS6detail17trampoline_kernelINS0_14default_configENS1_20scan_config_selectorIN3c107complexIfEEEEZZNS1_9scan_implILNS1_25lookback_scan_determinismE0ELb0ELb0ES3_PKS7_PS7_S7_ZZZN2at6native31launch_logcumsumexp_cuda_kernelERKNSE_10TensorBaseESI_lENKUlvE_clEvENKUlvE2_clEvEUlS7_S7_E_S7_EEDaPvRmT3_T4_T5_mT6_P12ihipStream_tbENKUlT_T0_E_clISt17integral_constantIbLb0EESY_IbLb1EEEEDaSU_SV_EUlSU_E_NS1_11comp_targetILNS1_3genE3ELNS1_11target_archE908ELNS1_3gpuE7ELNS1_3repE0EEENS1_30default_config_static_selectorELNS0_4arch9wavefront6targetE1EEEvT1_,comdat
.Lfunc_end332:
	.size	_ZN7rocprim17ROCPRIM_400000_NS6detail17trampoline_kernelINS0_14default_configENS1_20scan_config_selectorIN3c107complexIfEEEEZZNS1_9scan_implILNS1_25lookback_scan_determinismE0ELb0ELb0ES3_PKS7_PS7_S7_ZZZN2at6native31launch_logcumsumexp_cuda_kernelERKNSE_10TensorBaseESI_lENKUlvE_clEvENKUlvE2_clEvEUlS7_S7_E_S7_EEDaPvRmT3_T4_T5_mT6_P12ihipStream_tbENKUlT_T0_E_clISt17integral_constantIbLb0EESY_IbLb1EEEEDaSU_SV_EUlSU_E_NS1_11comp_targetILNS1_3genE3ELNS1_11target_archE908ELNS1_3gpuE7ELNS1_3repE0EEENS1_30default_config_static_selectorELNS0_4arch9wavefront6targetE1EEEvT1_, .Lfunc_end332-_ZN7rocprim17ROCPRIM_400000_NS6detail17trampoline_kernelINS0_14default_configENS1_20scan_config_selectorIN3c107complexIfEEEEZZNS1_9scan_implILNS1_25lookback_scan_determinismE0ELb0ELb0ES3_PKS7_PS7_S7_ZZZN2at6native31launch_logcumsumexp_cuda_kernelERKNSE_10TensorBaseESI_lENKUlvE_clEvENKUlvE2_clEvEUlS7_S7_E_S7_EEDaPvRmT3_T4_T5_mT6_P12ihipStream_tbENKUlT_T0_E_clISt17integral_constantIbLb0EESY_IbLb1EEEEDaSU_SV_EUlSU_E_NS1_11comp_targetILNS1_3genE3ELNS1_11target_archE908ELNS1_3gpuE7ELNS1_3repE0EEENS1_30default_config_static_selectorELNS0_4arch9wavefront6targetE1EEEvT1_
                                        ; -- End function
	.section	.AMDGPU.csdata,"",@progbits
; Kernel info:
; codeLenInByte = 0
; NumSgprs: 4
; NumVgprs: 0
; NumAgprs: 0
; TotalNumVgprs: 0
; ScratchSize: 0
; MemoryBound: 0
; FloatMode: 240
; IeeeMode: 1
; LDSByteSize: 0 bytes/workgroup (compile time only)
; SGPRBlocks: 0
; VGPRBlocks: 0
; NumSGPRsForWavesPerEU: 4
; NumVGPRsForWavesPerEU: 1
; AccumOffset: 4
; Occupancy: 8
; WaveLimiterHint : 0
; COMPUTE_PGM_RSRC2:SCRATCH_EN: 0
; COMPUTE_PGM_RSRC2:USER_SGPR: 6
; COMPUTE_PGM_RSRC2:TRAP_HANDLER: 0
; COMPUTE_PGM_RSRC2:TGID_X_EN: 1
; COMPUTE_PGM_RSRC2:TGID_Y_EN: 0
; COMPUTE_PGM_RSRC2:TGID_Z_EN: 0
; COMPUTE_PGM_RSRC2:TIDIG_COMP_CNT: 0
; COMPUTE_PGM_RSRC3_GFX90A:ACCUM_OFFSET: 0
; COMPUTE_PGM_RSRC3_GFX90A:TG_SPLIT: 0
	.section	.text._ZN7rocprim17ROCPRIM_400000_NS6detail17trampoline_kernelINS0_14default_configENS1_20scan_config_selectorIN3c107complexIfEEEEZZNS1_9scan_implILNS1_25lookback_scan_determinismE0ELb0ELb0ES3_PKS7_PS7_S7_ZZZN2at6native31launch_logcumsumexp_cuda_kernelERKNSE_10TensorBaseESI_lENKUlvE_clEvENKUlvE2_clEvEUlS7_S7_E_S7_EEDaPvRmT3_T4_T5_mT6_P12ihipStream_tbENKUlT_T0_E_clISt17integral_constantIbLb0EESY_IbLb1EEEEDaSU_SV_EUlSU_E_NS1_11comp_targetILNS1_3genE2ELNS1_11target_archE906ELNS1_3gpuE6ELNS1_3repE0EEENS1_30default_config_static_selectorELNS0_4arch9wavefront6targetE1EEEvT1_,"axG",@progbits,_ZN7rocprim17ROCPRIM_400000_NS6detail17trampoline_kernelINS0_14default_configENS1_20scan_config_selectorIN3c107complexIfEEEEZZNS1_9scan_implILNS1_25lookback_scan_determinismE0ELb0ELb0ES3_PKS7_PS7_S7_ZZZN2at6native31launch_logcumsumexp_cuda_kernelERKNSE_10TensorBaseESI_lENKUlvE_clEvENKUlvE2_clEvEUlS7_S7_E_S7_EEDaPvRmT3_T4_T5_mT6_P12ihipStream_tbENKUlT_T0_E_clISt17integral_constantIbLb0EESY_IbLb1EEEEDaSU_SV_EUlSU_E_NS1_11comp_targetILNS1_3genE2ELNS1_11target_archE906ELNS1_3gpuE6ELNS1_3repE0EEENS1_30default_config_static_selectorELNS0_4arch9wavefront6targetE1EEEvT1_,comdat
	.globl	_ZN7rocprim17ROCPRIM_400000_NS6detail17trampoline_kernelINS0_14default_configENS1_20scan_config_selectorIN3c107complexIfEEEEZZNS1_9scan_implILNS1_25lookback_scan_determinismE0ELb0ELb0ES3_PKS7_PS7_S7_ZZZN2at6native31launch_logcumsumexp_cuda_kernelERKNSE_10TensorBaseESI_lENKUlvE_clEvENKUlvE2_clEvEUlS7_S7_E_S7_EEDaPvRmT3_T4_T5_mT6_P12ihipStream_tbENKUlT_T0_E_clISt17integral_constantIbLb0EESY_IbLb1EEEEDaSU_SV_EUlSU_E_NS1_11comp_targetILNS1_3genE2ELNS1_11target_archE906ELNS1_3gpuE6ELNS1_3repE0EEENS1_30default_config_static_selectorELNS0_4arch9wavefront6targetE1EEEvT1_ ; -- Begin function _ZN7rocprim17ROCPRIM_400000_NS6detail17trampoline_kernelINS0_14default_configENS1_20scan_config_selectorIN3c107complexIfEEEEZZNS1_9scan_implILNS1_25lookback_scan_determinismE0ELb0ELb0ES3_PKS7_PS7_S7_ZZZN2at6native31launch_logcumsumexp_cuda_kernelERKNSE_10TensorBaseESI_lENKUlvE_clEvENKUlvE2_clEvEUlS7_S7_E_S7_EEDaPvRmT3_T4_T5_mT6_P12ihipStream_tbENKUlT_T0_E_clISt17integral_constantIbLb0EESY_IbLb1EEEEDaSU_SV_EUlSU_E_NS1_11comp_targetILNS1_3genE2ELNS1_11target_archE906ELNS1_3gpuE6ELNS1_3repE0EEENS1_30default_config_static_selectorELNS0_4arch9wavefront6targetE1EEEvT1_
	.p2align	8
	.type	_ZN7rocprim17ROCPRIM_400000_NS6detail17trampoline_kernelINS0_14default_configENS1_20scan_config_selectorIN3c107complexIfEEEEZZNS1_9scan_implILNS1_25lookback_scan_determinismE0ELb0ELb0ES3_PKS7_PS7_S7_ZZZN2at6native31launch_logcumsumexp_cuda_kernelERKNSE_10TensorBaseESI_lENKUlvE_clEvENKUlvE2_clEvEUlS7_S7_E_S7_EEDaPvRmT3_T4_T5_mT6_P12ihipStream_tbENKUlT_T0_E_clISt17integral_constantIbLb0EESY_IbLb1EEEEDaSU_SV_EUlSU_E_NS1_11comp_targetILNS1_3genE2ELNS1_11target_archE906ELNS1_3gpuE6ELNS1_3repE0EEENS1_30default_config_static_selectorELNS0_4arch9wavefront6targetE1EEEvT1_,@function
_ZN7rocprim17ROCPRIM_400000_NS6detail17trampoline_kernelINS0_14default_configENS1_20scan_config_selectorIN3c107complexIfEEEEZZNS1_9scan_implILNS1_25lookback_scan_determinismE0ELb0ELb0ES3_PKS7_PS7_S7_ZZZN2at6native31launch_logcumsumexp_cuda_kernelERKNSE_10TensorBaseESI_lENKUlvE_clEvENKUlvE2_clEvEUlS7_S7_E_S7_EEDaPvRmT3_T4_T5_mT6_P12ihipStream_tbENKUlT_T0_E_clISt17integral_constantIbLb0EESY_IbLb1EEEEDaSU_SV_EUlSU_E_NS1_11comp_targetILNS1_3genE2ELNS1_11target_archE906ELNS1_3gpuE6ELNS1_3repE0EEENS1_30default_config_static_selectorELNS0_4arch9wavefront6targetE1EEEvT1_: ; @_ZN7rocprim17ROCPRIM_400000_NS6detail17trampoline_kernelINS0_14default_configENS1_20scan_config_selectorIN3c107complexIfEEEEZZNS1_9scan_implILNS1_25lookback_scan_determinismE0ELb0ELb0ES3_PKS7_PS7_S7_ZZZN2at6native31launch_logcumsumexp_cuda_kernelERKNSE_10TensorBaseESI_lENKUlvE_clEvENKUlvE2_clEvEUlS7_S7_E_S7_EEDaPvRmT3_T4_T5_mT6_P12ihipStream_tbENKUlT_T0_E_clISt17integral_constantIbLb0EESY_IbLb1EEEEDaSU_SV_EUlSU_E_NS1_11comp_targetILNS1_3genE2ELNS1_11target_archE906ELNS1_3gpuE6ELNS1_3repE0EEENS1_30default_config_static_selectorELNS0_4arch9wavefront6targetE1EEEvT1_
; %bb.0:
	.section	.rodata,"a",@progbits
	.p2align	6, 0x0
	.amdhsa_kernel _ZN7rocprim17ROCPRIM_400000_NS6detail17trampoline_kernelINS0_14default_configENS1_20scan_config_selectorIN3c107complexIfEEEEZZNS1_9scan_implILNS1_25lookback_scan_determinismE0ELb0ELb0ES3_PKS7_PS7_S7_ZZZN2at6native31launch_logcumsumexp_cuda_kernelERKNSE_10TensorBaseESI_lENKUlvE_clEvENKUlvE2_clEvEUlS7_S7_E_S7_EEDaPvRmT3_T4_T5_mT6_P12ihipStream_tbENKUlT_T0_E_clISt17integral_constantIbLb0EESY_IbLb1EEEEDaSU_SV_EUlSU_E_NS1_11comp_targetILNS1_3genE2ELNS1_11target_archE906ELNS1_3gpuE6ELNS1_3repE0EEENS1_30default_config_static_selectorELNS0_4arch9wavefront6targetE1EEEvT1_
		.amdhsa_group_segment_fixed_size 0
		.amdhsa_private_segment_fixed_size 0
		.amdhsa_kernarg_size 104
		.amdhsa_user_sgpr_count 6
		.amdhsa_user_sgpr_private_segment_buffer 1
		.amdhsa_user_sgpr_dispatch_ptr 0
		.amdhsa_user_sgpr_queue_ptr 0
		.amdhsa_user_sgpr_kernarg_segment_ptr 1
		.amdhsa_user_sgpr_dispatch_id 0
		.amdhsa_user_sgpr_flat_scratch_init 0
		.amdhsa_user_sgpr_kernarg_preload_length 0
		.amdhsa_user_sgpr_kernarg_preload_offset 0
		.amdhsa_user_sgpr_private_segment_size 0
		.amdhsa_uses_dynamic_stack 0
		.amdhsa_system_sgpr_private_segment_wavefront_offset 0
		.amdhsa_system_sgpr_workgroup_id_x 1
		.amdhsa_system_sgpr_workgroup_id_y 0
		.amdhsa_system_sgpr_workgroup_id_z 0
		.amdhsa_system_sgpr_workgroup_info 0
		.amdhsa_system_vgpr_workitem_id 0
		.amdhsa_next_free_vgpr 1
		.amdhsa_next_free_sgpr 0
		.amdhsa_accum_offset 4
		.amdhsa_reserve_vcc 0
		.amdhsa_reserve_flat_scratch 0
		.amdhsa_float_round_mode_32 0
		.amdhsa_float_round_mode_16_64 0
		.amdhsa_float_denorm_mode_32 3
		.amdhsa_float_denorm_mode_16_64 3
		.amdhsa_dx10_clamp 1
		.amdhsa_ieee_mode 1
		.amdhsa_fp16_overflow 0
		.amdhsa_tg_split 0
		.amdhsa_exception_fp_ieee_invalid_op 0
		.amdhsa_exception_fp_denorm_src 0
		.amdhsa_exception_fp_ieee_div_zero 0
		.amdhsa_exception_fp_ieee_overflow 0
		.amdhsa_exception_fp_ieee_underflow 0
		.amdhsa_exception_fp_ieee_inexact 0
		.amdhsa_exception_int_div_zero 0
	.end_amdhsa_kernel
	.section	.text._ZN7rocprim17ROCPRIM_400000_NS6detail17trampoline_kernelINS0_14default_configENS1_20scan_config_selectorIN3c107complexIfEEEEZZNS1_9scan_implILNS1_25lookback_scan_determinismE0ELb0ELb0ES3_PKS7_PS7_S7_ZZZN2at6native31launch_logcumsumexp_cuda_kernelERKNSE_10TensorBaseESI_lENKUlvE_clEvENKUlvE2_clEvEUlS7_S7_E_S7_EEDaPvRmT3_T4_T5_mT6_P12ihipStream_tbENKUlT_T0_E_clISt17integral_constantIbLb0EESY_IbLb1EEEEDaSU_SV_EUlSU_E_NS1_11comp_targetILNS1_3genE2ELNS1_11target_archE906ELNS1_3gpuE6ELNS1_3repE0EEENS1_30default_config_static_selectorELNS0_4arch9wavefront6targetE1EEEvT1_,"axG",@progbits,_ZN7rocprim17ROCPRIM_400000_NS6detail17trampoline_kernelINS0_14default_configENS1_20scan_config_selectorIN3c107complexIfEEEEZZNS1_9scan_implILNS1_25lookback_scan_determinismE0ELb0ELb0ES3_PKS7_PS7_S7_ZZZN2at6native31launch_logcumsumexp_cuda_kernelERKNSE_10TensorBaseESI_lENKUlvE_clEvENKUlvE2_clEvEUlS7_S7_E_S7_EEDaPvRmT3_T4_T5_mT6_P12ihipStream_tbENKUlT_T0_E_clISt17integral_constantIbLb0EESY_IbLb1EEEEDaSU_SV_EUlSU_E_NS1_11comp_targetILNS1_3genE2ELNS1_11target_archE906ELNS1_3gpuE6ELNS1_3repE0EEENS1_30default_config_static_selectorELNS0_4arch9wavefront6targetE1EEEvT1_,comdat
.Lfunc_end333:
	.size	_ZN7rocprim17ROCPRIM_400000_NS6detail17trampoline_kernelINS0_14default_configENS1_20scan_config_selectorIN3c107complexIfEEEEZZNS1_9scan_implILNS1_25lookback_scan_determinismE0ELb0ELb0ES3_PKS7_PS7_S7_ZZZN2at6native31launch_logcumsumexp_cuda_kernelERKNSE_10TensorBaseESI_lENKUlvE_clEvENKUlvE2_clEvEUlS7_S7_E_S7_EEDaPvRmT3_T4_T5_mT6_P12ihipStream_tbENKUlT_T0_E_clISt17integral_constantIbLb0EESY_IbLb1EEEEDaSU_SV_EUlSU_E_NS1_11comp_targetILNS1_3genE2ELNS1_11target_archE906ELNS1_3gpuE6ELNS1_3repE0EEENS1_30default_config_static_selectorELNS0_4arch9wavefront6targetE1EEEvT1_, .Lfunc_end333-_ZN7rocprim17ROCPRIM_400000_NS6detail17trampoline_kernelINS0_14default_configENS1_20scan_config_selectorIN3c107complexIfEEEEZZNS1_9scan_implILNS1_25lookback_scan_determinismE0ELb0ELb0ES3_PKS7_PS7_S7_ZZZN2at6native31launch_logcumsumexp_cuda_kernelERKNSE_10TensorBaseESI_lENKUlvE_clEvENKUlvE2_clEvEUlS7_S7_E_S7_EEDaPvRmT3_T4_T5_mT6_P12ihipStream_tbENKUlT_T0_E_clISt17integral_constantIbLb0EESY_IbLb1EEEEDaSU_SV_EUlSU_E_NS1_11comp_targetILNS1_3genE2ELNS1_11target_archE906ELNS1_3gpuE6ELNS1_3repE0EEENS1_30default_config_static_selectorELNS0_4arch9wavefront6targetE1EEEvT1_
                                        ; -- End function
	.section	.AMDGPU.csdata,"",@progbits
; Kernel info:
; codeLenInByte = 0
; NumSgprs: 4
; NumVgprs: 0
; NumAgprs: 0
; TotalNumVgprs: 0
; ScratchSize: 0
; MemoryBound: 0
; FloatMode: 240
; IeeeMode: 1
; LDSByteSize: 0 bytes/workgroup (compile time only)
; SGPRBlocks: 0
; VGPRBlocks: 0
; NumSGPRsForWavesPerEU: 4
; NumVGPRsForWavesPerEU: 1
; AccumOffset: 4
; Occupancy: 8
; WaveLimiterHint : 0
; COMPUTE_PGM_RSRC2:SCRATCH_EN: 0
; COMPUTE_PGM_RSRC2:USER_SGPR: 6
; COMPUTE_PGM_RSRC2:TRAP_HANDLER: 0
; COMPUTE_PGM_RSRC2:TGID_X_EN: 1
; COMPUTE_PGM_RSRC2:TGID_Y_EN: 0
; COMPUTE_PGM_RSRC2:TGID_Z_EN: 0
; COMPUTE_PGM_RSRC2:TIDIG_COMP_CNT: 0
; COMPUTE_PGM_RSRC3_GFX90A:ACCUM_OFFSET: 0
; COMPUTE_PGM_RSRC3_GFX90A:TG_SPLIT: 0
	.section	.text._ZN7rocprim17ROCPRIM_400000_NS6detail17trampoline_kernelINS0_14default_configENS1_20scan_config_selectorIN3c107complexIfEEEEZZNS1_9scan_implILNS1_25lookback_scan_determinismE0ELb0ELb0ES3_PKS7_PS7_S7_ZZZN2at6native31launch_logcumsumexp_cuda_kernelERKNSE_10TensorBaseESI_lENKUlvE_clEvENKUlvE2_clEvEUlS7_S7_E_S7_EEDaPvRmT3_T4_T5_mT6_P12ihipStream_tbENKUlT_T0_E_clISt17integral_constantIbLb0EESY_IbLb1EEEEDaSU_SV_EUlSU_E_NS1_11comp_targetILNS1_3genE10ELNS1_11target_archE1201ELNS1_3gpuE5ELNS1_3repE0EEENS1_30default_config_static_selectorELNS0_4arch9wavefront6targetE1EEEvT1_,"axG",@progbits,_ZN7rocprim17ROCPRIM_400000_NS6detail17trampoline_kernelINS0_14default_configENS1_20scan_config_selectorIN3c107complexIfEEEEZZNS1_9scan_implILNS1_25lookback_scan_determinismE0ELb0ELb0ES3_PKS7_PS7_S7_ZZZN2at6native31launch_logcumsumexp_cuda_kernelERKNSE_10TensorBaseESI_lENKUlvE_clEvENKUlvE2_clEvEUlS7_S7_E_S7_EEDaPvRmT3_T4_T5_mT6_P12ihipStream_tbENKUlT_T0_E_clISt17integral_constantIbLb0EESY_IbLb1EEEEDaSU_SV_EUlSU_E_NS1_11comp_targetILNS1_3genE10ELNS1_11target_archE1201ELNS1_3gpuE5ELNS1_3repE0EEENS1_30default_config_static_selectorELNS0_4arch9wavefront6targetE1EEEvT1_,comdat
	.globl	_ZN7rocprim17ROCPRIM_400000_NS6detail17trampoline_kernelINS0_14default_configENS1_20scan_config_selectorIN3c107complexIfEEEEZZNS1_9scan_implILNS1_25lookback_scan_determinismE0ELb0ELb0ES3_PKS7_PS7_S7_ZZZN2at6native31launch_logcumsumexp_cuda_kernelERKNSE_10TensorBaseESI_lENKUlvE_clEvENKUlvE2_clEvEUlS7_S7_E_S7_EEDaPvRmT3_T4_T5_mT6_P12ihipStream_tbENKUlT_T0_E_clISt17integral_constantIbLb0EESY_IbLb1EEEEDaSU_SV_EUlSU_E_NS1_11comp_targetILNS1_3genE10ELNS1_11target_archE1201ELNS1_3gpuE5ELNS1_3repE0EEENS1_30default_config_static_selectorELNS0_4arch9wavefront6targetE1EEEvT1_ ; -- Begin function _ZN7rocprim17ROCPRIM_400000_NS6detail17trampoline_kernelINS0_14default_configENS1_20scan_config_selectorIN3c107complexIfEEEEZZNS1_9scan_implILNS1_25lookback_scan_determinismE0ELb0ELb0ES3_PKS7_PS7_S7_ZZZN2at6native31launch_logcumsumexp_cuda_kernelERKNSE_10TensorBaseESI_lENKUlvE_clEvENKUlvE2_clEvEUlS7_S7_E_S7_EEDaPvRmT3_T4_T5_mT6_P12ihipStream_tbENKUlT_T0_E_clISt17integral_constantIbLb0EESY_IbLb1EEEEDaSU_SV_EUlSU_E_NS1_11comp_targetILNS1_3genE10ELNS1_11target_archE1201ELNS1_3gpuE5ELNS1_3repE0EEENS1_30default_config_static_selectorELNS0_4arch9wavefront6targetE1EEEvT1_
	.p2align	8
	.type	_ZN7rocprim17ROCPRIM_400000_NS6detail17trampoline_kernelINS0_14default_configENS1_20scan_config_selectorIN3c107complexIfEEEEZZNS1_9scan_implILNS1_25lookback_scan_determinismE0ELb0ELb0ES3_PKS7_PS7_S7_ZZZN2at6native31launch_logcumsumexp_cuda_kernelERKNSE_10TensorBaseESI_lENKUlvE_clEvENKUlvE2_clEvEUlS7_S7_E_S7_EEDaPvRmT3_T4_T5_mT6_P12ihipStream_tbENKUlT_T0_E_clISt17integral_constantIbLb0EESY_IbLb1EEEEDaSU_SV_EUlSU_E_NS1_11comp_targetILNS1_3genE10ELNS1_11target_archE1201ELNS1_3gpuE5ELNS1_3repE0EEENS1_30default_config_static_selectorELNS0_4arch9wavefront6targetE1EEEvT1_,@function
_ZN7rocprim17ROCPRIM_400000_NS6detail17trampoline_kernelINS0_14default_configENS1_20scan_config_selectorIN3c107complexIfEEEEZZNS1_9scan_implILNS1_25lookback_scan_determinismE0ELb0ELb0ES3_PKS7_PS7_S7_ZZZN2at6native31launch_logcumsumexp_cuda_kernelERKNSE_10TensorBaseESI_lENKUlvE_clEvENKUlvE2_clEvEUlS7_S7_E_S7_EEDaPvRmT3_T4_T5_mT6_P12ihipStream_tbENKUlT_T0_E_clISt17integral_constantIbLb0EESY_IbLb1EEEEDaSU_SV_EUlSU_E_NS1_11comp_targetILNS1_3genE10ELNS1_11target_archE1201ELNS1_3gpuE5ELNS1_3repE0EEENS1_30default_config_static_selectorELNS0_4arch9wavefront6targetE1EEEvT1_: ; @_ZN7rocprim17ROCPRIM_400000_NS6detail17trampoline_kernelINS0_14default_configENS1_20scan_config_selectorIN3c107complexIfEEEEZZNS1_9scan_implILNS1_25lookback_scan_determinismE0ELb0ELb0ES3_PKS7_PS7_S7_ZZZN2at6native31launch_logcumsumexp_cuda_kernelERKNSE_10TensorBaseESI_lENKUlvE_clEvENKUlvE2_clEvEUlS7_S7_E_S7_EEDaPvRmT3_T4_T5_mT6_P12ihipStream_tbENKUlT_T0_E_clISt17integral_constantIbLb0EESY_IbLb1EEEEDaSU_SV_EUlSU_E_NS1_11comp_targetILNS1_3genE10ELNS1_11target_archE1201ELNS1_3gpuE5ELNS1_3repE0EEENS1_30default_config_static_selectorELNS0_4arch9wavefront6targetE1EEEvT1_
; %bb.0:
	.section	.rodata,"a",@progbits
	.p2align	6, 0x0
	.amdhsa_kernel _ZN7rocprim17ROCPRIM_400000_NS6detail17trampoline_kernelINS0_14default_configENS1_20scan_config_selectorIN3c107complexIfEEEEZZNS1_9scan_implILNS1_25lookback_scan_determinismE0ELb0ELb0ES3_PKS7_PS7_S7_ZZZN2at6native31launch_logcumsumexp_cuda_kernelERKNSE_10TensorBaseESI_lENKUlvE_clEvENKUlvE2_clEvEUlS7_S7_E_S7_EEDaPvRmT3_T4_T5_mT6_P12ihipStream_tbENKUlT_T0_E_clISt17integral_constantIbLb0EESY_IbLb1EEEEDaSU_SV_EUlSU_E_NS1_11comp_targetILNS1_3genE10ELNS1_11target_archE1201ELNS1_3gpuE5ELNS1_3repE0EEENS1_30default_config_static_selectorELNS0_4arch9wavefront6targetE1EEEvT1_
		.amdhsa_group_segment_fixed_size 0
		.amdhsa_private_segment_fixed_size 0
		.amdhsa_kernarg_size 104
		.amdhsa_user_sgpr_count 6
		.amdhsa_user_sgpr_private_segment_buffer 1
		.amdhsa_user_sgpr_dispatch_ptr 0
		.amdhsa_user_sgpr_queue_ptr 0
		.amdhsa_user_sgpr_kernarg_segment_ptr 1
		.amdhsa_user_sgpr_dispatch_id 0
		.amdhsa_user_sgpr_flat_scratch_init 0
		.amdhsa_user_sgpr_kernarg_preload_length 0
		.amdhsa_user_sgpr_kernarg_preload_offset 0
		.amdhsa_user_sgpr_private_segment_size 0
		.amdhsa_uses_dynamic_stack 0
		.amdhsa_system_sgpr_private_segment_wavefront_offset 0
		.amdhsa_system_sgpr_workgroup_id_x 1
		.amdhsa_system_sgpr_workgroup_id_y 0
		.amdhsa_system_sgpr_workgroup_id_z 0
		.amdhsa_system_sgpr_workgroup_info 0
		.amdhsa_system_vgpr_workitem_id 0
		.amdhsa_next_free_vgpr 1
		.amdhsa_next_free_sgpr 0
		.amdhsa_accum_offset 4
		.amdhsa_reserve_vcc 0
		.amdhsa_reserve_flat_scratch 0
		.amdhsa_float_round_mode_32 0
		.amdhsa_float_round_mode_16_64 0
		.amdhsa_float_denorm_mode_32 3
		.amdhsa_float_denorm_mode_16_64 3
		.amdhsa_dx10_clamp 1
		.amdhsa_ieee_mode 1
		.amdhsa_fp16_overflow 0
		.amdhsa_tg_split 0
		.amdhsa_exception_fp_ieee_invalid_op 0
		.amdhsa_exception_fp_denorm_src 0
		.amdhsa_exception_fp_ieee_div_zero 0
		.amdhsa_exception_fp_ieee_overflow 0
		.amdhsa_exception_fp_ieee_underflow 0
		.amdhsa_exception_fp_ieee_inexact 0
		.amdhsa_exception_int_div_zero 0
	.end_amdhsa_kernel
	.section	.text._ZN7rocprim17ROCPRIM_400000_NS6detail17trampoline_kernelINS0_14default_configENS1_20scan_config_selectorIN3c107complexIfEEEEZZNS1_9scan_implILNS1_25lookback_scan_determinismE0ELb0ELb0ES3_PKS7_PS7_S7_ZZZN2at6native31launch_logcumsumexp_cuda_kernelERKNSE_10TensorBaseESI_lENKUlvE_clEvENKUlvE2_clEvEUlS7_S7_E_S7_EEDaPvRmT3_T4_T5_mT6_P12ihipStream_tbENKUlT_T0_E_clISt17integral_constantIbLb0EESY_IbLb1EEEEDaSU_SV_EUlSU_E_NS1_11comp_targetILNS1_3genE10ELNS1_11target_archE1201ELNS1_3gpuE5ELNS1_3repE0EEENS1_30default_config_static_selectorELNS0_4arch9wavefront6targetE1EEEvT1_,"axG",@progbits,_ZN7rocprim17ROCPRIM_400000_NS6detail17trampoline_kernelINS0_14default_configENS1_20scan_config_selectorIN3c107complexIfEEEEZZNS1_9scan_implILNS1_25lookback_scan_determinismE0ELb0ELb0ES3_PKS7_PS7_S7_ZZZN2at6native31launch_logcumsumexp_cuda_kernelERKNSE_10TensorBaseESI_lENKUlvE_clEvENKUlvE2_clEvEUlS7_S7_E_S7_EEDaPvRmT3_T4_T5_mT6_P12ihipStream_tbENKUlT_T0_E_clISt17integral_constantIbLb0EESY_IbLb1EEEEDaSU_SV_EUlSU_E_NS1_11comp_targetILNS1_3genE10ELNS1_11target_archE1201ELNS1_3gpuE5ELNS1_3repE0EEENS1_30default_config_static_selectorELNS0_4arch9wavefront6targetE1EEEvT1_,comdat
.Lfunc_end334:
	.size	_ZN7rocprim17ROCPRIM_400000_NS6detail17trampoline_kernelINS0_14default_configENS1_20scan_config_selectorIN3c107complexIfEEEEZZNS1_9scan_implILNS1_25lookback_scan_determinismE0ELb0ELb0ES3_PKS7_PS7_S7_ZZZN2at6native31launch_logcumsumexp_cuda_kernelERKNSE_10TensorBaseESI_lENKUlvE_clEvENKUlvE2_clEvEUlS7_S7_E_S7_EEDaPvRmT3_T4_T5_mT6_P12ihipStream_tbENKUlT_T0_E_clISt17integral_constantIbLb0EESY_IbLb1EEEEDaSU_SV_EUlSU_E_NS1_11comp_targetILNS1_3genE10ELNS1_11target_archE1201ELNS1_3gpuE5ELNS1_3repE0EEENS1_30default_config_static_selectorELNS0_4arch9wavefront6targetE1EEEvT1_, .Lfunc_end334-_ZN7rocprim17ROCPRIM_400000_NS6detail17trampoline_kernelINS0_14default_configENS1_20scan_config_selectorIN3c107complexIfEEEEZZNS1_9scan_implILNS1_25lookback_scan_determinismE0ELb0ELb0ES3_PKS7_PS7_S7_ZZZN2at6native31launch_logcumsumexp_cuda_kernelERKNSE_10TensorBaseESI_lENKUlvE_clEvENKUlvE2_clEvEUlS7_S7_E_S7_EEDaPvRmT3_T4_T5_mT6_P12ihipStream_tbENKUlT_T0_E_clISt17integral_constantIbLb0EESY_IbLb1EEEEDaSU_SV_EUlSU_E_NS1_11comp_targetILNS1_3genE10ELNS1_11target_archE1201ELNS1_3gpuE5ELNS1_3repE0EEENS1_30default_config_static_selectorELNS0_4arch9wavefront6targetE1EEEvT1_
                                        ; -- End function
	.section	.AMDGPU.csdata,"",@progbits
; Kernel info:
; codeLenInByte = 0
; NumSgprs: 4
; NumVgprs: 0
; NumAgprs: 0
; TotalNumVgprs: 0
; ScratchSize: 0
; MemoryBound: 0
; FloatMode: 240
; IeeeMode: 1
; LDSByteSize: 0 bytes/workgroup (compile time only)
; SGPRBlocks: 0
; VGPRBlocks: 0
; NumSGPRsForWavesPerEU: 4
; NumVGPRsForWavesPerEU: 1
; AccumOffset: 4
; Occupancy: 8
; WaveLimiterHint : 0
; COMPUTE_PGM_RSRC2:SCRATCH_EN: 0
; COMPUTE_PGM_RSRC2:USER_SGPR: 6
; COMPUTE_PGM_RSRC2:TRAP_HANDLER: 0
; COMPUTE_PGM_RSRC2:TGID_X_EN: 1
; COMPUTE_PGM_RSRC2:TGID_Y_EN: 0
; COMPUTE_PGM_RSRC2:TGID_Z_EN: 0
; COMPUTE_PGM_RSRC2:TIDIG_COMP_CNT: 0
; COMPUTE_PGM_RSRC3_GFX90A:ACCUM_OFFSET: 0
; COMPUTE_PGM_RSRC3_GFX90A:TG_SPLIT: 0
	.section	.text._ZN7rocprim17ROCPRIM_400000_NS6detail17trampoline_kernelINS0_14default_configENS1_20scan_config_selectorIN3c107complexIfEEEEZZNS1_9scan_implILNS1_25lookback_scan_determinismE0ELb0ELb0ES3_PKS7_PS7_S7_ZZZN2at6native31launch_logcumsumexp_cuda_kernelERKNSE_10TensorBaseESI_lENKUlvE_clEvENKUlvE2_clEvEUlS7_S7_E_S7_EEDaPvRmT3_T4_T5_mT6_P12ihipStream_tbENKUlT_T0_E_clISt17integral_constantIbLb0EESY_IbLb1EEEEDaSU_SV_EUlSU_E_NS1_11comp_targetILNS1_3genE10ELNS1_11target_archE1200ELNS1_3gpuE4ELNS1_3repE0EEENS1_30default_config_static_selectorELNS0_4arch9wavefront6targetE1EEEvT1_,"axG",@progbits,_ZN7rocprim17ROCPRIM_400000_NS6detail17trampoline_kernelINS0_14default_configENS1_20scan_config_selectorIN3c107complexIfEEEEZZNS1_9scan_implILNS1_25lookback_scan_determinismE0ELb0ELb0ES3_PKS7_PS7_S7_ZZZN2at6native31launch_logcumsumexp_cuda_kernelERKNSE_10TensorBaseESI_lENKUlvE_clEvENKUlvE2_clEvEUlS7_S7_E_S7_EEDaPvRmT3_T4_T5_mT6_P12ihipStream_tbENKUlT_T0_E_clISt17integral_constantIbLb0EESY_IbLb1EEEEDaSU_SV_EUlSU_E_NS1_11comp_targetILNS1_3genE10ELNS1_11target_archE1200ELNS1_3gpuE4ELNS1_3repE0EEENS1_30default_config_static_selectorELNS0_4arch9wavefront6targetE1EEEvT1_,comdat
	.globl	_ZN7rocprim17ROCPRIM_400000_NS6detail17trampoline_kernelINS0_14default_configENS1_20scan_config_selectorIN3c107complexIfEEEEZZNS1_9scan_implILNS1_25lookback_scan_determinismE0ELb0ELb0ES3_PKS7_PS7_S7_ZZZN2at6native31launch_logcumsumexp_cuda_kernelERKNSE_10TensorBaseESI_lENKUlvE_clEvENKUlvE2_clEvEUlS7_S7_E_S7_EEDaPvRmT3_T4_T5_mT6_P12ihipStream_tbENKUlT_T0_E_clISt17integral_constantIbLb0EESY_IbLb1EEEEDaSU_SV_EUlSU_E_NS1_11comp_targetILNS1_3genE10ELNS1_11target_archE1200ELNS1_3gpuE4ELNS1_3repE0EEENS1_30default_config_static_selectorELNS0_4arch9wavefront6targetE1EEEvT1_ ; -- Begin function _ZN7rocprim17ROCPRIM_400000_NS6detail17trampoline_kernelINS0_14default_configENS1_20scan_config_selectorIN3c107complexIfEEEEZZNS1_9scan_implILNS1_25lookback_scan_determinismE0ELb0ELb0ES3_PKS7_PS7_S7_ZZZN2at6native31launch_logcumsumexp_cuda_kernelERKNSE_10TensorBaseESI_lENKUlvE_clEvENKUlvE2_clEvEUlS7_S7_E_S7_EEDaPvRmT3_T4_T5_mT6_P12ihipStream_tbENKUlT_T0_E_clISt17integral_constantIbLb0EESY_IbLb1EEEEDaSU_SV_EUlSU_E_NS1_11comp_targetILNS1_3genE10ELNS1_11target_archE1200ELNS1_3gpuE4ELNS1_3repE0EEENS1_30default_config_static_selectorELNS0_4arch9wavefront6targetE1EEEvT1_
	.p2align	8
	.type	_ZN7rocprim17ROCPRIM_400000_NS6detail17trampoline_kernelINS0_14default_configENS1_20scan_config_selectorIN3c107complexIfEEEEZZNS1_9scan_implILNS1_25lookback_scan_determinismE0ELb0ELb0ES3_PKS7_PS7_S7_ZZZN2at6native31launch_logcumsumexp_cuda_kernelERKNSE_10TensorBaseESI_lENKUlvE_clEvENKUlvE2_clEvEUlS7_S7_E_S7_EEDaPvRmT3_T4_T5_mT6_P12ihipStream_tbENKUlT_T0_E_clISt17integral_constantIbLb0EESY_IbLb1EEEEDaSU_SV_EUlSU_E_NS1_11comp_targetILNS1_3genE10ELNS1_11target_archE1200ELNS1_3gpuE4ELNS1_3repE0EEENS1_30default_config_static_selectorELNS0_4arch9wavefront6targetE1EEEvT1_,@function
_ZN7rocprim17ROCPRIM_400000_NS6detail17trampoline_kernelINS0_14default_configENS1_20scan_config_selectorIN3c107complexIfEEEEZZNS1_9scan_implILNS1_25lookback_scan_determinismE0ELb0ELb0ES3_PKS7_PS7_S7_ZZZN2at6native31launch_logcumsumexp_cuda_kernelERKNSE_10TensorBaseESI_lENKUlvE_clEvENKUlvE2_clEvEUlS7_S7_E_S7_EEDaPvRmT3_T4_T5_mT6_P12ihipStream_tbENKUlT_T0_E_clISt17integral_constantIbLb0EESY_IbLb1EEEEDaSU_SV_EUlSU_E_NS1_11comp_targetILNS1_3genE10ELNS1_11target_archE1200ELNS1_3gpuE4ELNS1_3repE0EEENS1_30default_config_static_selectorELNS0_4arch9wavefront6targetE1EEEvT1_: ; @_ZN7rocprim17ROCPRIM_400000_NS6detail17trampoline_kernelINS0_14default_configENS1_20scan_config_selectorIN3c107complexIfEEEEZZNS1_9scan_implILNS1_25lookback_scan_determinismE0ELb0ELb0ES3_PKS7_PS7_S7_ZZZN2at6native31launch_logcumsumexp_cuda_kernelERKNSE_10TensorBaseESI_lENKUlvE_clEvENKUlvE2_clEvEUlS7_S7_E_S7_EEDaPvRmT3_T4_T5_mT6_P12ihipStream_tbENKUlT_T0_E_clISt17integral_constantIbLb0EESY_IbLb1EEEEDaSU_SV_EUlSU_E_NS1_11comp_targetILNS1_3genE10ELNS1_11target_archE1200ELNS1_3gpuE4ELNS1_3repE0EEENS1_30default_config_static_selectorELNS0_4arch9wavefront6targetE1EEEvT1_
; %bb.0:
	.section	.rodata,"a",@progbits
	.p2align	6, 0x0
	.amdhsa_kernel _ZN7rocprim17ROCPRIM_400000_NS6detail17trampoline_kernelINS0_14default_configENS1_20scan_config_selectorIN3c107complexIfEEEEZZNS1_9scan_implILNS1_25lookback_scan_determinismE0ELb0ELb0ES3_PKS7_PS7_S7_ZZZN2at6native31launch_logcumsumexp_cuda_kernelERKNSE_10TensorBaseESI_lENKUlvE_clEvENKUlvE2_clEvEUlS7_S7_E_S7_EEDaPvRmT3_T4_T5_mT6_P12ihipStream_tbENKUlT_T0_E_clISt17integral_constantIbLb0EESY_IbLb1EEEEDaSU_SV_EUlSU_E_NS1_11comp_targetILNS1_3genE10ELNS1_11target_archE1200ELNS1_3gpuE4ELNS1_3repE0EEENS1_30default_config_static_selectorELNS0_4arch9wavefront6targetE1EEEvT1_
		.amdhsa_group_segment_fixed_size 0
		.amdhsa_private_segment_fixed_size 0
		.amdhsa_kernarg_size 104
		.amdhsa_user_sgpr_count 6
		.amdhsa_user_sgpr_private_segment_buffer 1
		.amdhsa_user_sgpr_dispatch_ptr 0
		.amdhsa_user_sgpr_queue_ptr 0
		.amdhsa_user_sgpr_kernarg_segment_ptr 1
		.amdhsa_user_sgpr_dispatch_id 0
		.amdhsa_user_sgpr_flat_scratch_init 0
		.amdhsa_user_sgpr_kernarg_preload_length 0
		.amdhsa_user_sgpr_kernarg_preload_offset 0
		.amdhsa_user_sgpr_private_segment_size 0
		.amdhsa_uses_dynamic_stack 0
		.amdhsa_system_sgpr_private_segment_wavefront_offset 0
		.amdhsa_system_sgpr_workgroup_id_x 1
		.amdhsa_system_sgpr_workgroup_id_y 0
		.amdhsa_system_sgpr_workgroup_id_z 0
		.amdhsa_system_sgpr_workgroup_info 0
		.amdhsa_system_vgpr_workitem_id 0
		.amdhsa_next_free_vgpr 1
		.amdhsa_next_free_sgpr 0
		.amdhsa_accum_offset 4
		.amdhsa_reserve_vcc 0
		.amdhsa_reserve_flat_scratch 0
		.amdhsa_float_round_mode_32 0
		.amdhsa_float_round_mode_16_64 0
		.amdhsa_float_denorm_mode_32 3
		.amdhsa_float_denorm_mode_16_64 3
		.amdhsa_dx10_clamp 1
		.amdhsa_ieee_mode 1
		.amdhsa_fp16_overflow 0
		.amdhsa_tg_split 0
		.amdhsa_exception_fp_ieee_invalid_op 0
		.amdhsa_exception_fp_denorm_src 0
		.amdhsa_exception_fp_ieee_div_zero 0
		.amdhsa_exception_fp_ieee_overflow 0
		.amdhsa_exception_fp_ieee_underflow 0
		.amdhsa_exception_fp_ieee_inexact 0
		.amdhsa_exception_int_div_zero 0
	.end_amdhsa_kernel
	.section	.text._ZN7rocprim17ROCPRIM_400000_NS6detail17trampoline_kernelINS0_14default_configENS1_20scan_config_selectorIN3c107complexIfEEEEZZNS1_9scan_implILNS1_25lookback_scan_determinismE0ELb0ELb0ES3_PKS7_PS7_S7_ZZZN2at6native31launch_logcumsumexp_cuda_kernelERKNSE_10TensorBaseESI_lENKUlvE_clEvENKUlvE2_clEvEUlS7_S7_E_S7_EEDaPvRmT3_T4_T5_mT6_P12ihipStream_tbENKUlT_T0_E_clISt17integral_constantIbLb0EESY_IbLb1EEEEDaSU_SV_EUlSU_E_NS1_11comp_targetILNS1_3genE10ELNS1_11target_archE1200ELNS1_3gpuE4ELNS1_3repE0EEENS1_30default_config_static_selectorELNS0_4arch9wavefront6targetE1EEEvT1_,"axG",@progbits,_ZN7rocprim17ROCPRIM_400000_NS6detail17trampoline_kernelINS0_14default_configENS1_20scan_config_selectorIN3c107complexIfEEEEZZNS1_9scan_implILNS1_25lookback_scan_determinismE0ELb0ELb0ES3_PKS7_PS7_S7_ZZZN2at6native31launch_logcumsumexp_cuda_kernelERKNSE_10TensorBaseESI_lENKUlvE_clEvENKUlvE2_clEvEUlS7_S7_E_S7_EEDaPvRmT3_T4_T5_mT6_P12ihipStream_tbENKUlT_T0_E_clISt17integral_constantIbLb0EESY_IbLb1EEEEDaSU_SV_EUlSU_E_NS1_11comp_targetILNS1_3genE10ELNS1_11target_archE1200ELNS1_3gpuE4ELNS1_3repE0EEENS1_30default_config_static_selectorELNS0_4arch9wavefront6targetE1EEEvT1_,comdat
.Lfunc_end335:
	.size	_ZN7rocprim17ROCPRIM_400000_NS6detail17trampoline_kernelINS0_14default_configENS1_20scan_config_selectorIN3c107complexIfEEEEZZNS1_9scan_implILNS1_25lookback_scan_determinismE0ELb0ELb0ES3_PKS7_PS7_S7_ZZZN2at6native31launch_logcumsumexp_cuda_kernelERKNSE_10TensorBaseESI_lENKUlvE_clEvENKUlvE2_clEvEUlS7_S7_E_S7_EEDaPvRmT3_T4_T5_mT6_P12ihipStream_tbENKUlT_T0_E_clISt17integral_constantIbLb0EESY_IbLb1EEEEDaSU_SV_EUlSU_E_NS1_11comp_targetILNS1_3genE10ELNS1_11target_archE1200ELNS1_3gpuE4ELNS1_3repE0EEENS1_30default_config_static_selectorELNS0_4arch9wavefront6targetE1EEEvT1_, .Lfunc_end335-_ZN7rocprim17ROCPRIM_400000_NS6detail17trampoline_kernelINS0_14default_configENS1_20scan_config_selectorIN3c107complexIfEEEEZZNS1_9scan_implILNS1_25lookback_scan_determinismE0ELb0ELb0ES3_PKS7_PS7_S7_ZZZN2at6native31launch_logcumsumexp_cuda_kernelERKNSE_10TensorBaseESI_lENKUlvE_clEvENKUlvE2_clEvEUlS7_S7_E_S7_EEDaPvRmT3_T4_T5_mT6_P12ihipStream_tbENKUlT_T0_E_clISt17integral_constantIbLb0EESY_IbLb1EEEEDaSU_SV_EUlSU_E_NS1_11comp_targetILNS1_3genE10ELNS1_11target_archE1200ELNS1_3gpuE4ELNS1_3repE0EEENS1_30default_config_static_selectorELNS0_4arch9wavefront6targetE1EEEvT1_
                                        ; -- End function
	.section	.AMDGPU.csdata,"",@progbits
; Kernel info:
; codeLenInByte = 0
; NumSgprs: 4
; NumVgprs: 0
; NumAgprs: 0
; TotalNumVgprs: 0
; ScratchSize: 0
; MemoryBound: 0
; FloatMode: 240
; IeeeMode: 1
; LDSByteSize: 0 bytes/workgroup (compile time only)
; SGPRBlocks: 0
; VGPRBlocks: 0
; NumSGPRsForWavesPerEU: 4
; NumVGPRsForWavesPerEU: 1
; AccumOffset: 4
; Occupancy: 8
; WaveLimiterHint : 0
; COMPUTE_PGM_RSRC2:SCRATCH_EN: 0
; COMPUTE_PGM_RSRC2:USER_SGPR: 6
; COMPUTE_PGM_RSRC2:TRAP_HANDLER: 0
; COMPUTE_PGM_RSRC2:TGID_X_EN: 1
; COMPUTE_PGM_RSRC2:TGID_Y_EN: 0
; COMPUTE_PGM_RSRC2:TGID_Z_EN: 0
; COMPUTE_PGM_RSRC2:TIDIG_COMP_CNT: 0
; COMPUTE_PGM_RSRC3_GFX90A:ACCUM_OFFSET: 0
; COMPUTE_PGM_RSRC3_GFX90A:TG_SPLIT: 0
	.section	.text._ZN7rocprim17ROCPRIM_400000_NS6detail17trampoline_kernelINS0_14default_configENS1_20scan_config_selectorIN3c107complexIfEEEEZZNS1_9scan_implILNS1_25lookback_scan_determinismE0ELb0ELb0ES3_PKS7_PS7_S7_ZZZN2at6native31launch_logcumsumexp_cuda_kernelERKNSE_10TensorBaseESI_lENKUlvE_clEvENKUlvE2_clEvEUlS7_S7_E_S7_EEDaPvRmT3_T4_T5_mT6_P12ihipStream_tbENKUlT_T0_E_clISt17integral_constantIbLb0EESY_IbLb1EEEEDaSU_SV_EUlSU_E_NS1_11comp_targetILNS1_3genE9ELNS1_11target_archE1100ELNS1_3gpuE3ELNS1_3repE0EEENS1_30default_config_static_selectorELNS0_4arch9wavefront6targetE1EEEvT1_,"axG",@progbits,_ZN7rocprim17ROCPRIM_400000_NS6detail17trampoline_kernelINS0_14default_configENS1_20scan_config_selectorIN3c107complexIfEEEEZZNS1_9scan_implILNS1_25lookback_scan_determinismE0ELb0ELb0ES3_PKS7_PS7_S7_ZZZN2at6native31launch_logcumsumexp_cuda_kernelERKNSE_10TensorBaseESI_lENKUlvE_clEvENKUlvE2_clEvEUlS7_S7_E_S7_EEDaPvRmT3_T4_T5_mT6_P12ihipStream_tbENKUlT_T0_E_clISt17integral_constantIbLb0EESY_IbLb1EEEEDaSU_SV_EUlSU_E_NS1_11comp_targetILNS1_3genE9ELNS1_11target_archE1100ELNS1_3gpuE3ELNS1_3repE0EEENS1_30default_config_static_selectorELNS0_4arch9wavefront6targetE1EEEvT1_,comdat
	.globl	_ZN7rocprim17ROCPRIM_400000_NS6detail17trampoline_kernelINS0_14default_configENS1_20scan_config_selectorIN3c107complexIfEEEEZZNS1_9scan_implILNS1_25lookback_scan_determinismE0ELb0ELb0ES3_PKS7_PS7_S7_ZZZN2at6native31launch_logcumsumexp_cuda_kernelERKNSE_10TensorBaseESI_lENKUlvE_clEvENKUlvE2_clEvEUlS7_S7_E_S7_EEDaPvRmT3_T4_T5_mT6_P12ihipStream_tbENKUlT_T0_E_clISt17integral_constantIbLb0EESY_IbLb1EEEEDaSU_SV_EUlSU_E_NS1_11comp_targetILNS1_3genE9ELNS1_11target_archE1100ELNS1_3gpuE3ELNS1_3repE0EEENS1_30default_config_static_selectorELNS0_4arch9wavefront6targetE1EEEvT1_ ; -- Begin function _ZN7rocprim17ROCPRIM_400000_NS6detail17trampoline_kernelINS0_14default_configENS1_20scan_config_selectorIN3c107complexIfEEEEZZNS1_9scan_implILNS1_25lookback_scan_determinismE0ELb0ELb0ES3_PKS7_PS7_S7_ZZZN2at6native31launch_logcumsumexp_cuda_kernelERKNSE_10TensorBaseESI_lENKUlvE_clEvENKUlvE2_clEvEUlS7_S7_E_S7_EEDaPvRmT3_T4_T5_mT6_P12ihipStream_tbENKUlT_T0_E_clISt17integral_constantIbLb0EESY_IbLb1EEEEDaSU_SV_EUlSU_E_NS1_11comp_targetILNS1_3genE9ELNS1_11target_archE1100ELNS1_3gpuE3ELNS1_3repE0EEENS1_30default_config_static_selectorELNS0_4arch9wavefront6targetE1EEEvT1_
	.p2align	8
	.type	_ZN7rocprim17ROCPRIM_400000_NS6detail17trampoline_kernelINS0_14default_configENS1_20scan_config_selectorIN3c107complexIfEEEEZZNS1_9scan_implILNS1_25lookback_scan_determinismE0ELb0ELb0ES3_PKS7_PS7_S7_ZZZN2at6native31launch_logcumsumexp_cuda_kernelERKNSE_10TensorBaseESI_lENKUlvE_clEvENKUlvE2_clEvEUlS7_S7_E_S7_EEDaPvRmT3_T4_T5_mT6_P12ihipStream_tbENKUlT_T0_E_clISt17integral_constantIbLb0EESY_IbLb1EEEEDaSU_SV_EUlSU_E_NS1_11comp_targetILNS1_3genE9ELNS1_11target_archE1100ELNS1_3gpuE3ELNS1_3repE0EEENS1_30default_config_static_selectorELNS0_4arch9wavefront6targetE1EEEvT1_,@function
_ZN7rocprim17ROCPRIM_400000_NS6detail17trampoline_kernelINS0_14default_configENS1_20scan_config_selectorIN3c107complexIfEEEEZZNS1_9scan_implILNS1_25lookback_scan_determinismE0ELb0ELb0ES3_PKS7_PS7_S7_ZZZN2at6native31launch_logcumsumexp_cuda_kernelERKNSE_10TensorBaseESI_lENKUlvE_clEvENKUlvE2_clEvEUlS7_S7_E_S7_EEDaPvRmT3_T4_T5_mT6_P12ihipStream_tbENKUlT_T0_E_clISt17integral_constantIbLb0EESY_IbLb1EEEEDaSU_SV_EUlSU_E_NS1_11comp_targetILNS1_3genE9ELNS1_11target_archE1100ELNS1_3gpuE3ELNS1_3repE0EEENS1_30default_config_static_selectorELNS0_4arch9wavefront6targetE1EEEvT1_: ; @_ZN7rocprim17ROCPRIM_400000_NS6detail17trampoline_kernelINS0_14default_configENS1_20scan_config_selectorIN3c107complexIfEEEEZZNS1_9scan_implILNS1_25lookback_scan_determinismE0ELb0ELb0ES3_PKS7_PS7_S7_ZZZN2at6native31launch_logcumsumexp_cuda_kernelERKNSE_10TensorBaseESI_lENKUlvE_clEvENKUlvE2_clEvEUlS7_S7_E_S7_EEDaPvRmT3_T4_T5_mT6_P12ihipStream_tbENKUlT_T0_E_clISt17integral_constantIbLb0EESY_IbLb1EEEEDaSU_SV_EUlSU_E_NS1_11comp_targetILNS1_3genE9ELNS1_11target_archE1100ELNS1_3gpuE3ELNS1_3repE0EEENS1_30default_config_static_selectorELNS0_4arch9wavefront6targetE1EEEvT1_
; %bb.0:
	.section	.rodata,"a",@progbits
	.p2align	6, 0x0
	.amdhsa_kernel _ZN7rocprim17ROCPRIM_400000_NS6detail17trampoline_kernelINS0_14default_configENS1_20scan_config_selectorIN3c107complexIfEEEEZZNS1_9scan_implILNS1_25lookback_scan_determinismE0ELb0ELb0ES3_PKS7_PS7_S7_ZZZN2at6native31launch_logcumsumexp_cuda_kernelERKNSE_10TensorBaseESI_lENKUlvE_clEvENKUlvE2_clEvEUlS7_S7_E_S7_EEDaPvRmT3_T4_T5_mT6_P12ihipStream_tbENKUlT_T0_E_clISt17integral_constantIbLb0EESY_IbLb1EEEEDaSU_SV_EUlSU_E_NS1_11comp_targetILNS1_3genE9ELNS1_11target_archE1100ELNS1_3gpuE3ELNS1_3repE0EEENS1_30default_config_static_selectorELNS0_4arch9wavefront6targetE1EEEvT1_
		.amdhsa_group_segment_fixed_size 0
		.amdhsa_private_segment_fixed_size 0
		.amdhsa_kernarg_size 104
		.amdhsa_user_sgpr_count 6
		.amdhsa_user_sgpr_private_segment_buffer 1
		.amdhsa_user_sgpr_dispatch_ptr 0
		.amdhsa_user_sgpr_queue_ptr 0
		.amdhsa_user_sgpr_kernarg_segment_ptr 1
		.amdhsa_user_sgpr_dispatch_id 0
		.amdhsa_user_sgpr_flat_scratch_init 0
		.amdhsa_user_sgpr_kernarg_preload_length 0
		.amdhsa_user_sgpr_kernarg_preload_offset 0
		.amdhsa_user_sgpr_private_segment_size 0
		.amdhsa_uses_dynamic_stack 0
		.amdhsa_system_sgpr_private_segment_wavefront_offset 0
		.amdhsa_system_sgpr_workgroup_id_x 1
		.amdhsa_system_sgpr_workgroup_id_y 0
		.amdhsa_system_sgpr_workgroup_id_z 0
		.amdhsa_system_sgpr_workgroup_info 0
		.amdhsa_system_vgpr_workitem_id 0
		.amdhsa_next_free_vgpr 1
		.amdhsa_next_free_sgpr 0
		.amdhsa_accum_offset 4
		.amdhsa_reserve_vcc 0
		.amdhsa_reserve_flat_scratch 0
		.amdhsa_float_round_mode_32 0
		.amdhsa_float_round_mode_16_64 0
		.amdhsa_float_denorm_mode_32 3
		.amdhsa_float_denorm_mode_16_64 3
		.amdhsa_dx10_clamp 1
		.amdhsa_ieee_mode 1
		.amdhsa_fp16_overflow 0
		.amdhsa_tg_split 0
		.amdhsa_exception_fp_ieee_invalid_op 0
		.amdhsa_exception_fp_denorm_src 0
		.amdhsa_exception_fp_ieee_div_zero 0
		.amdhsa_exception_fp_ieee_overflow 0
		.amdhsa_exception_fp_ieee_underflow 0
		.amdhsa_exception_fp_ieee_inexact 0
		.amdhsa_exception_int_div_zero 0
	.end_amdhsa_kernel
	.section	.text._ZN7rocprim17ROCPRIM_400000_NS6detail17trampoline_kernelINS0_14default_configENS1_20scan_config_selectorIN3c107complexIfEEEEZZNS1_9scan_implILNS1_25lookback_scan_determinismE0ELb0ELb0ES3_PKS7_PS7_S7_ZZZN2at6native31launch_logcumsumexp_cuda_kernelERKNSE_10TensorBaseESI_lENKUlvE_clEvENKUlvE2_clEvEUlS7_S7_E_S7_EEDaPvRmT3_T4_T5_mT6_P12ihipStream_tbENKUlT_T0_E_clISt17integral_constantIbLb0EESY_IbLb1EEEEDaSU_SV_EUlSU_E_NS1_11comp_targetILNS1_3genE9ELNS1_11target_archE1100ELNS1_3gpuE3ELNS1_3repE0EEENS1_30default_config_static_selectorELNS0_4arch9wavefront6targetE1EEEvT1_,"axG",@progbits,_ZN7rocprim17ROCPRIM_400000_NS6detail17trampoline_kernelINS0_14default_configENS1_20scan_config_selectorIN3c107complexIfEEEEZZNS1_9scan_implILNS1_25lookback_scan_determinismE0ELb0ELb0ES3_PKS7_PS7_S7_ZZZN2at6native31launch_logcumsumexp_cuda_kernelERKNSE_10TensorBaseESI_lENKUlvE_clEvENKUlvE2_clEvEUlS7_S7_E_S7_EEDaPvRmT3_T4_T5_mT6_P12ihipStream_tbENKUlT_T0_E_clISt17integral_constantIbLb0EESY_IbLb1EEEEDaSU_SV_EUlSU_E_NS1_11comp_targetILNS1_3genE9ELNS1_11target_archE1100ELNS1_3gpuE3ELNS1_3repE0EEENS1_30default_config_static_selectorELNS0_4arch9wavefront6targetE1EEEvT1_,comdat
.Lfunc_end336:
	.size	_ZN7rocprim17ROCPRIM_400000_NS6detail17trampoline_kernelINS0_14default_configENS1_20scan_config_selectorIN3c107complexIfEEEEZZNS1_9scan_implILNS1_25lookback_scan_determinismE0ELb0ELb0ES3_PKS7_PS7_S7_ZZZN2at6native31launch_logcumsumexp_cuda_kernelERKNSE_10TensorBaseESI_lENKUlvE_clEvENKUlvE2_clEvEUlS7_S7_E_S7_EEDaPvRmT3_T4_T5_mT6_P12ihipStream_tbENKUlT_T0_E_clISt17integral_constantIbLb0EESY_IbLb1EEEEDaSU_SV_EUlSU_E_NS1_11comp_targetILNS1_3genE9ELNS1_11target_archE1100ELNS1_3gpuE3ELNS1_3repE0EEENS1_30default_config_static_selectorELNS0_4arch9wavefront6targetE1EEEvT1_, .Lfunc_end336-_ZN7rocprim17ROCPRIM_400000_NS6detail17trampoline_kernelINS0_14default_configENS1_20scan_config_selectorIN3c107complexIfEEEEZZNS1_9scan_implILNS1_25lookback_scan_determinismE0ELb0ELb0ES3_PKS7_PS7_S7_ZZZN2at6native31launch_logcumsumexp_cuda_kernelERKNSE_10TensorBaseESI_lENKUlvE_clEvENKUlvE2_clEvEUlS7_S7_E_S7_EEDaPvRmT3_T4_T5_mT6_P12ihipStream_tbENKUlT_T0_E_clISt17integral_constantIbLb0EESY_IbLb1EEEEDaSU_SV_EUlSU_E_NS1_11comp_targetILNS1_3genE9ELNS1_11target_archE1100ELNS1_3gpuE3ELNS1_3repE0EEENS1_30default_config_static_selectorELNS0_4arch9wavefront6targetE1EEEvT1_
                                        ; -- End function
	.section	.AMDGPU.csdata,"",@progbits
; Kernel info:
; codeLenInByte = 0
; NumSgprs: 4
; NumVgprs: 0
; NumAgprs: 0
; TotalNumVgprs: 0
; ScratchSize: 0
; MemoryBound: 0
; FloatMode: 240
; IeeeMode: 1
; LDSByteSize: 0 bytes/workgroup (compile time only)
; SGPRBlocks: 0
; VGPRBlocks: 0
; NumSGPRsForWavesPerEU: 4
; NumVGPRsForWavesPerEU: 1
; AccumOffset: 4
; Occupancy: 8
; WaveLimiterHint : 0
; COMPUTE_PGM_RSRC2:SCRATCH_EN: 0
; COMPUTE_PGM_RSRC2:USER_SGPR: 6
; COMPUTE_PGM_RSRC2:TRAP_HANDLER: 0
; COMPUTE_PGM_RSRC2:TGID_X_EN: 1
; COMPUTE_PGM_RSRC2:TGID_Y_EN: 0
; COMPUTE_PGM_RSRC2:TGID_Z_EN: 0
; COMPUTE_PGM_RSRC2:TIDIG_COMP_CNT: 0
; COMPUTE_PGM_RSRC3_GFX90A:ACCUM_OFFSET: 0
; COMPUTE_PGM_RSRC3_GFX90A:TG_SPLIT: 0
	.section	.text._ZN7rocprim17ROCPRIM_400000_NS6detail17trampoline_kernelINS0_14default_configENS1_20scan_config_selectorIN3c107complexIfEEEEZZNS1_9scan_implILNS1_25lookback_scan_determinismE0ELb0ELb0ES3_PKS7_PS7_S7_ZZZN2at6native31launch_logcumsumexp_cuda_kernelERKNSE_10TensorBaseESI_lENKUlvE_clEvENKUlvE2_clEvEUlS7_S7_E_S7_EEDaPvRmT3_T4_T5_mT6_P12ihipStream_tbENKUlT_T0_E_clISt17integral_constantIbLb0EESY_IbLb1EEEEDaSU_SV_EUlSU_E_NS1_11comp_targetILNS1_3genE8ELNS1_11target_archE1030ELNS1_3gpuE2ELNS1_3repE0EEENS1_30default_config_static_selectorELNS0_4arch9wavefront6targetE1EEEvT1_,"axG",@progbits,_ZN7rocprim17ROCPRIM_400000_NS6detail17trampoline_kernelINS0_14default_configENS1_20scan_config_selectorIN3c107complexIfEEEEZZNS1_9scan_implILNS1_25lookback_scan_determinismE0ELb0ELb0ES3_PKS7_PS7_S7_ZZZN2at6native31launch_logcumsumexp_cuda_kernelERKNSE_10TensorBaseESI_lENKUlvE_clEvENKUlvE2_clEvEUlS7_S7_E_S7_EEDaPvRmT3_T4_T5_mT6_P12ihipStream_tbENKUlT_T0_E_clISt17integral_constantIbLb0EESY_IbLb1EEEEDaSU_SV_EUlSU_E_NS1_11comp_targetILNS1_3genE8ELNS1_11target_archE1030ELNS1_3gpuE2ELNS1_3repE0EEENS1_30default_config_static_selectorELNS0_4arch9wavefront6targetE1EEEvT1_,comdat
	.globl	_ZN7rocprim17ROCPRIM_400000_NS6detail17trampoline_kernelINS0_14default_configENS1_20scan_config_selectorIN3c107complexIfEEEEZZNS1_9scan_implILNS1_25lookback_scan_determinismE0ELb0ELb0ES3_PKS7_PS7_S7_ZZZN2at6native31launch_logcumsumexp_cuda_kernelERKNSE_10TensorBaseESI_lENKUlvE_clEvENKUlvE2_clEvEUlS7_S7_E_S7_EEDaPvRmT3_T4_T5_mT6_P12ihipStream_tbENKUlT_T0_E_clISt17integral_constantIbLb0EESY_IbLb1EEEEDaSU_SV_EUlSU_E_NS1_11comp_targetILNS1_3genE8ELNS1_11target_archE1030ELNS1_3gpuE2ELNS1_3repE0EEENS1_30default_config_static_selectorELNS0_4arch9wavefront6targetE1EEEvT1_ ; -- Begin function _ZN7rocprim17ROCPRIM_400000_NS6detail17trampoline_kernelINS0_14default_configENS1_20scan_config_selectorIN3c107complexIfEEEEZZNS1_9scan_implILNS1_25lookback_scan_determinismE0ELb0ELb0ES3_PKS7_PS7_S7_ZZZN2at6native31launch_logcumsumexp_cuda_kernelERKNSE_10TensorBaseESI_lENKUlvE_clEvENKUlvE2_clEvEUlS7_S7_E_S7_EEDaPvRmT3_T4_T5_mT6_P12ihipStream_tbENKUlT_T0_E_clISt17integral_constantIbLb0EESY_IbLb1EEEEDaSU_SV_EUlSU_E_NS1_11comp_targetILNS1_3genE8ELNS1_11target_archE1030ELNS1_3gpuE2ELNS1_3repE0EEENS1_30default_config_static_selectorELNS0_4arch9wavefront6targetE1EEEvT1_
	.p2align	8
	.type	_ZN7rocprim17ROCPRIM_400000_NS6detail17trampoline_kernelINS0_14default_configENS1_20scan_config_selectorIN3c107complexIfEEEEZZNS1_9scan_implILNS1_25lookback_scan_determinismE0ELb0ELb0ES3_PKS7_PS7_S7_ZZZN2at6native31launch_logcumsumexp_cuda_kernelERKNSE_10TensorBaseESI_lENKUlvE_clEvENKUlvE2_clEvEUlS7_S7_E_S7_EEDaPvRmT3_T4_T5_mT6_P12ihipStream_tbENKUlT_T0_E_clISt17integral_constantIbLb0EESY_IbLb1EEEEDaSU_SV_EUlSU_E_NS1_11comp_targetILNS1_3genE8ELNS1_11target_archE1030ELNS1_3gpuE2ELNS1_3repE0EEENS1_30default_config_static_selectorELNS0_4arch9wavefront6targetE1EEEvT1_,@function
_ZN7rocprim17ROCPRIM_400000_NS6detail17trampoline_kernelINS0_14default_configENS1_20scan_config_selectorIN3c107complexIfEEEEZZNS1_9scan_implILNS1_25lookback_scan_determinismE0ELb0ELb0ES3_PKS7_PS7_S7_ZZZN2at6native31launch_logcumsumexp_cuda_kernelERKNSE_10TensorBaseESI_lENKUlvE_clEvENKUlvE2_clEvEUlS7_S7_E_S7_EEDaPvRmT3_T4_T5_mT6_P12ihipStream_tbENKUlT_T0_E_clISt17integral_constantIbLb0EESY_IbLb1EEEEDaSU_SV_EUlSU_E_NS1_11comp_targetILNS1_3genE8ELNS1_11target_archE1030ELNS1_3gpuE2ELNS1_3repE0EEENS1_30default_config_static_selectorELNS0_4arch9wavefront6targetE1EEEvT1_: ; @_ZN7rocprim17ROCPRIM_400000_NS6detail17trampoline_kernelINS0_14default_configENS1_20scan_config_selectorIN3c107complexIfEEEEZZNS1_9scan_implILNS1_25lookback_scan_determinismE0ELb0ELb0ES3_PKS7_PS7_S7_ZZZN2at6native31launch_logcumsumexp_cuda_kernelERKNSE_10TensorBaseESI_lENKUlvE_clEvENKUlvE2_clEvEUlS7_S7_E_S7_EEDaPvRmT3_T4_T5_mT6_P12ihipStream_tbENKUlT_T0_E_clISt17integral_constantIbLb0EESY_IbLb1EEEEDaSU_SV_EUlSU_E_NS1_11comp_targetILNS1_3genE8ELNS1_11target_archE1030ELNS1_3gpuE2ELNS1_3repE0EEENS1_30default_config_static_selectorELNS0_4arch9wavefront6targetE1EEEvT1_
; %bb.0:
	.section	.rodata,"a",@progbits
	.p2align	6, 0x0
	.amdhsa_kernel _ZN7rocprim17ROCPRIM_400000_NS6detail17trampoline_kernelINS0_14default_configENS1_20scan_config_selectorIN3c107complexIfEEEEZZNS1_9scan_implILNS1_25lookback_scan_determinismE0ELb0ELb0ES3_PKS7_PS7_S7_ZZZN2at6native31launch_logcumsumexp_cuda_kernelERKNSE_10TensorBaseESI_lENKUlvE_clEvENKUlvE2_clEvEUlS7_S7_E_S7_EEDaPvRmT3_T4_T5_mT6_P12ihipStream_tbENKUlT_T0_E_clISt17integral_constantIbLb0EESY_IbLb1EEEEDaSU_SV_EUlSU_E_NS1_11comp_targetILNS1_3genE8ELNS1_11target_archE1030ELNS1_3gpuE2ELNS1_3repE0EEENS1_30default_config_static_selectorELNS0_4arch9wavefront6targetE1EEEvT1_
		.amdhsa_group_segment_fixed_size 0
		.amdhsa_private_segment_fixed_size 0
		.amdhsa_kernarg_size 104
		.amdhsa_user_sgpr_count 6
		.amdhsa_user_sgpr_private_segment_buffer 1
		.amdhsa_user_sgpr_dispatch_ptr 0
		.amdhsa_user_sgpr_queue_ptr 0
		.amdhsa_user_sgpr_kernarg_segment_ptr 1
		.amdhsa_user_sgpr_dispatch_id 0
		.amdhsa_user_sgpr_flat_scratch_init 0
		.amdhsa_user_sgpr_kernarg_preload_length 0
		.amdhsa_user_sgpr_kernarg_preload_offset 0
		.amdhsa_user_sgpr_private_segment_size 0
		.amdhsa_uses_dynamic_stack 0
		.amdhsa_system_sgpr_private_segment_wavefront_offset 0
		.amdhsa_system_sgpr_workgroup_id_x 1
		.amdhsa_system_sgpr_workgroup_id_y 0
		.amdhsa_system_sgpr_workgroup_id_z 0
		.amdhsa_system_sgpr_workgroup_info 0
		.amdhsa_system_vgpr_workitem_id 0
		.amdhsa_next_free_vgpr 1
		.amdhsa_next_free_sgpr 0
		.amdhsa_accum_offset 4
		.amdhsa_reserve_vcc 0
		.amdhsa_reserve_flat_scratch 0
		.amdhsa_float_round_mode_32 0
		.amdhsa_float_round_mode_16_64 0
		.amdhsa_float_denorm_mode_32 3
		.amdhsa_float_denorm_mode_16_64 3
		.amdhsa_dx10_clamp 1
		.amdhsa_ieee_mode 1
		.amdhsa_fp16_overflow 0
		.amdhsa_tg_split 0
		.amdhsa_exception_fp_ieee_invalid_op 0
		.amdhsa_exception_fp_denorm_src 0
		.amdhsa_exception_fp_ieee_div_zero 0
		.amdhsa_exception_fp_ieee_overflow 0
		.amdhsa_exception_fp_ieee_underflow 0
		.amdhsa_exception_fp_ieee_inexact 0
		.amdhsa_exception_int_div_zero 0
	.end_amdhsa_kernel
	.section	.text._ZN7rocprim17ROCPRIM_400000_NS6detail17trampoline_kernelINS0_14default_configENS1_20scan_config_selectorIN3c107complexIfEEEEZZNS1_9scan_implILNS1_25lookback_scan_determinismE0ELb0ELb0ES3_PKS7_PS7_S7_ZZZN2at6native31launch_logcumsumexp_cuda_kernelERKNSE_10TensorBaseESI_lENKUlvE_clEvENKUlvE2_clEvEUlS7_S7_E_S7_EEDaPvRmT3_T4_T5_mT6_P12ihipStream_tbENKUlT_T0_E_clISt17integral_constantIbLb0EESY_IbLb1EEEEDaSU_SV_EUlSU_E_NS1_11comp_targetILNS1_3genE8ELNS1_11target_archE1030ELNS1_3gpuE2ELNS1_3repE0EEENS1_30default_config_static_selectorELNS0_4arch9wavefront6targetE1EEEvT1_,"axG",@progbits,_ZN7rocprim17ROCPRIM_400000_NS6detail17trampoline_kernelINS0_14default_configENS1_20scan_config_selectorIN3c107complexIfEEEEZZNS1_9scan_implILNS1_25lookback_scan_determinismE0ELb0ELb0ES3_PKS7_PS7_S7_ZZZN2at6native31launch_logcumsumexp_cuda_kernelERKNSE_10TensorBaseESI_lENKUlvE_clEvENKUlvE2_clEvEUlS7_S7_E_S7_EEDaPvRmT3_T4_T5_mT6_P12ihipStream_tbENKUlT_T0_E_clISt17integral_constantIbLb0EESY_IbLb1EEEEDaSU_SV_EUlSU_E_NS1_11comp_targetILNS1_3genE8ELNS1_11target_archE1030ELNS1_3gpuE2ELNS1_3repE0EEENS1_30default_config_static_selectorELNS0_4arch9wavefront6targetE1EEEvT1_,comdat
.Lfunc_end337:
	.size	_ZN7rocprim17ROCPRIM_400000_NS6detail17trampoline_kernelINS0_14default_configENS1_20scan_config_selectorIN3c107complexIfEEEEZZNS1_9scan_implILNS1_25lookback_scan_determinismE0ELb0ELb0ES3_PKS7_PS7_S7_ZZZN2at6native31launch_logcumsumexp_cuda_kernelERKNSE_10TensorBaseESI_lENKUlvE_clEvENKUlvE2_clEvEUlS7_S7_E_S7_EEDaPvRmT3_T4_T5_mT6_P12ihipStream_tbENKUlT_T0_E_clISt17integral_constantIbLb0EESY_IbLb1EEEEDaSU_SV_EUlSU_E_NS1_11comp_targetILNS1_3genE8ELNS1_11target_archE1030ELNS1_3gpuE2ELNS1_3repE0EEENS1_30default_config_static_selectorELNS0_4arch9wavefront6targetE1EEEvT1_, .Lfunc_end337-_ZN7rocprim17ROCPRIM_400000_NS6detail17trampoline_kernelINS0_14default_configENS1_20scan_config_selectorIN3c107complexIfEEEEZZNS1_9scan_implILNS1_25lookback_scan_determinismE0ELb0ELb0ES3_PKS7_PS7_S7_ZZZN2at6native31launch_logcumsumexp_cuda_kernelERKNSE_10TensorBaseESI_lENKUlvE_clEvENKUlvE2_clEvEUlS7_S7_E_S7_EEDaPvRmT3_T4_T5_mT6_P12ihipStream_tbENKUlT_T0_E_clISt17integral_constantIbLb0EESY_IbLb1EEEEDaSU_SV_EUlSU_E_NS1_11comp_targetILNS1_3genE8ELNS1_11target_archE1030ELNS1_3gpuE2ELNS1_3repE0EEENS1_30default_config_static_selectorELNS0_4arch9wavefront6targetE1EEEvT1_
                                        ; -- End function
	.section	.AMDGPU.csdata,"",@progbits
; Kernel info:
; codeLenInByte = 0
; NumSgprs: 4
; NumVgprs: 0
; NumAgprs: 0
; TotalNumVgprs: 0
; ScratchSize: 0
; MemoryBound: 0
; FloatMode: 240
; IeeeMode: 1
; LDSByteSize: 0 bytes/workgroup (compile time only)
; SGPRBlocks: 0
; VGPRBlocks: 0
; NumSGPRsForWavesPerEU: 4
; NumVGPRsForWavesPerEU: 1
; AccumOffset: 4
; Occupancy: 8
; WaveLimiterHint : 0
; COMPUTE_PGM_RSRC2:SCRATCH_EN: 0
; COMPUTE_PGM_RSRC2:USER_SGPR: 6
; COMPUTE_PGM_RSRC2:TRAP_HANDLER: 0
; COMPUTE_PGM_RSRC2:TGID_X_EN: 1
; COMPUTE_PGM_RSRC2:TGID_Y_EN: 0
; COMPUTE_PGM_RSRC2:TGID_Z_EN: 0
; COMPUTE_PGM_RSRC2:TIDIG_COMP_CNT: 0
; COMPUTE_PGM_RSRC3_GFX90A:ACCUM_OFFSET: 0
; COMPUTE_PGM_RSRC3_GFX90A:TG_SPLIT: 0
	.section	.text._ZN7rocprim17ROCPRIM_400000_NS6detail17trampoline_kernelINS0_14default_configENS1_20scan_config_selectorIN3c107complexIfEEEEZZNS1_9scan_implILNS1_25lookback_scan_determinismE0ELb0ELb0ES3_PKS7_PS7_S7_ZZZN2at6native31launch_logcumsumexp_cuda_kernelERKNSE_10TensorBaseESI_lENKUlvE_clEvENKUlvE2_clEvEUlS7_S7_E_S7_EEDaPvRmT3_T4_T5_mT6_P12ihipStream_tbENKUlT_T0_E_clISt17integral_constantIbLb0EESY_IbLb1EEEEDaSU_SV_EUlSU_E0_NS1_11comp_targetILNS1_3genE0ELNS1_11target_archE4294967295ELNS1_3gpuE0ELNS1_3repE0EEENS1_30default_config_static_selectorELNS0_4arch9wavefront6targetE1EEEvT1_,"axG",@progbits,_ZN7rocprim17ROCPRIM_400000_NS6detail17trampoline_kernelINS0_14default_configENS1_20scan_config_selectorIN3c107complexIfEEEEZZNS1_9scan_implILNS1_25lookback_scan_determinismE0ELb0ELb0ES3_PKS7_PS7_S7_ZZZN2at6native31launch_logcumsumexp_cuda_kernelERKNSE_10TensorBaseESI_lENKUlvE_clEvENKUlvE2_clEvEUlS7_S7_E_S7_EEDaPvRmT3_T4_T5_mT6_P12ihipStream_tbENKUlT_T0_E_clISt17integral_constantIbLb0EESY_IbLb1EEEEDaSU_SV_EUlSU_E0_NS1_11comp_targetILNS1_3genE0ELNS1_11target_archE4294967295ELNS1_3gpuE0ELNS1_3repE0EEENS1_30default_config_static_selectorELNS0_4arch9wavefront6targetE1EEEvT1_,comdat
	.globl	_ZN7rocprim17ROCPRIM_400000_NS6detail17trampoline_kernelINS0_14default_configENS1_20scan_config_selectorIN3c107complexIfEEEEZZNS1_9scan_implILNS1_25lookback_scan_determinismE0ELb0ELb0ES3_PKS7_PS7_S7_ZZZN2at6native31launch_logcumsumexp_cuda_kernelERKNSE_10TensorBaseESI_lENKUlvE_clEvENKUlvE2_clEvEUlS7_S7_E_S7_EEDaPvRmT3_T4_T5_mT6_P12ihipStream_tbENKUlT_T0_E_clISt17integral_constantIbLb0EESY_IbLb1EEEEDaSU_SV_EUlSU_E0_NS1_11comp_targetILNS1_3genE0ELNS1_11target_archE4294967295ELNS1_3gpuE0ELNS1_3repE0EEENS1_30default_config_static_selectorELNS0_4arch9wavefront6targetE1EEEvT1_ ; -- Begin function _ZN7rocprim17ROCPRIM_400000_NS6detail17trampoline_kernelINS0_14default_configENS1_20scan_config_selectorIN3c107complexIfEEEEZZNS1_9scan_implILNS1_25lookback_scan_determinismE0ELb0ELb0ES3_PKS7_PS7_S7_ZZZN2at6native31launch_logcumsumexp_cuda_kernelERKNSE_10TensorBaseESI_lENKUlvE_clEvENKUlvE2_clEvEUlS7_S7_E_S7_EEDaPvRmT3_T4_T5_mT6_P12ihipStream_tbENKUlT_T0_E_clISt17integral_constantIbLb0EESY_IbLb1EEEEDaSU_SV_EUlSU_E0_NS1_11comp_targetILNS1_3genE0ELNS1_11target_archE4294967295ELNS1_3gpuE0ELNS1_3repE0EEENS1_30default_config_static_selectorELNS0_4arch9wavefront6targetE1EEEvT1_
	.p2align	8
	.type	_ZN7rocprim17ROCPRIM_400000_NS6detail17trampoline_kernelINS0_14default_configENS1_20scan_config_selectorIN3c107complexIfEEEEZZNS1_9scan_implILNS1_25lookback_scan_determinismE0ELb0ELb0ES3_PKS7_PS7_S7_ZZZN2at6native31launch_logcumsumexp_cuda_kernelERKNSE_10TensorBaseESI_lENKUlvE_clEvENKUlvE2_clEvEUlS7_S7_E_S7_EEDaPvRmT3_T4_T5_mT6_P12ihipStream_tbENKUlT_T0_E_clISt17integral_constantIbLb0EESY_IbLb1EEEEDaSU_SV_EUlSU_E0_NS1_11comp_targetILNS1_3genE0ELNS1_11target_archE4294967295ELNS1_3gpuE0ELNS1_3repE0EEENS1_30default_config_static_selectorELNS0_4arch9wavefront6targetE1EEEvT1_,@function
_ZN7rocprim17ROCPRIM_400000_NS6detail17trampoline_kernelINS0_14default_configENS1_20scan_config_selectorIN3c107complexIfEEEEZZNS1_9scan_implILNS1_25lookback_scan_determinismE0ELb0ELb0ES3_PKS7_PS7_S7_ZZZN2at6native31launch_logcumsumexp_cuda_kernelERKNSE_10TensorBaseESI_lENKUlvE_clEvENKUlvE2_clEvEUlS7_S7_E_S7_EEDaPvRmT3_T4_T5_mT6_P12ihipStream_tbENKUlT_T0_E_clISt17integral_constantIbLb0EESY_IbLb1EEEEDaSU_SV_EUlSU_E0_NS1_11comp_targetILNS1_3genE0ELNS1_11target_archE4294967295ELNS1_3gpuE0ELNS1_3repE0EEENS1_30default_config_static_selectorELNS0_4arch9wavefront6targetE1EEEvT1_: ; @_ZN7rocprim17ROCPRIM_400000_NS6detail17trampoline_kernelINS0_14default_configENS1_20scan_config_selectorIN3c107complexIfEEEEZZNS1_9scan_implILNS1_25lookback_scan_determinismE0ELb0ELb0ES3_PKS7_PS7_S7_ZZZN2at6native31launch_logcumsumexp_cuda_kernelERKNSE_10TensorBaseESI_lENKUlvE_clEvENKUlvE2_clEvEUlS7_S7_E_S7_EEDaPvRmT3_T4_T5_mT6_P12ihipStream_tbENKUlT_T0_E_clISt17integral_constantIbLb0EESY_IbLb1EEEEDaSU_SV_EUlSU_E0_NS1_11comp_targetILNS1_3genE0ELNS1_11target_archE4294967295ELNS1_3gpuE0ELNS1_3repE0EEENS1_30default_config_static_selectorELNS0_4arch9wavefront6targetE1EEEvT1_
; %bb.0:
	.section	.rodata,"a",@progbits
	.p2align	6, 0x0
	.amdhsa_kernel _ZN7rocprim17ROCPRIM_400000_NS6detail17trampoline_kernelINS0_14default_configENS1_20scan_config_selectorIN3c107complexIfEEEEZZNS1_9scan_implILNS1_25lookback_scan_determinismE0ELb0ELb0ES3_PKS7_PS7_S7_ZZZN2at6native31launch_logcumsumexp_cuda_kernelERKNSE_10TensorBaseESI_lENKUlvE_clEvENKUlvE2_clEvEUlS7_S7_E_S7_EEDaPvRmT3_T4_T5_mT6_P12ihipStream_tbENKUlT_T0_E_clISt17integral_constantIbLb0EESY_IbLb1EEEEDaSU_SV_EUlSU_E0_NS1_11comp_targetILNS1_3genE0ELNS1_11target_archE4294967295ELNS1_3gpuE0ELNS1_3repE0EEENS1_30default_config_static_selectorELNS0_4arch9wavefront6targetE1EEEvT1_
		.amdhsa_group_segment_fixed_size 0
		.amdhsa_private_segment_fixed_size 0
		.amdhsa_kernarg_size 40
		.amdhsa_user_sgpr_count 6
		.amdhsa_user_sgpr_private_segment_buffer 1
		.amdhsa_user_sgpr_dispatch_ptr 0
		.amdhsa_user_sgpr_queue_ptr 0
		.amdhsa_user_sgpr_kernarg_segment_ptr 1
		.amdhsa_user_sgpr_dispatch_id 0
		.amdhsa_user_sgpr_flat_scratch_init 0
		.amdhsa_user_sgpr_kernarg_preload_length 0
		.amdhsa_user_sgpr_kernarg_preload_offset 0
		.amdhsa_user_sgpr_private_segment_size 0
		.amdhsa_uses_dynamic_stack 0
		.amdhsa_system_sgpr_private_segment_wavefront_offset 0
		.amdhsa_system_sgpr_workgroup_id_x 1
		.amdhsa_system_sgpr_workgroup_id_y 0
		.amdhsa_system_sgpr_workgroup_id_z 0
		.amdhsa_system_sgpr_workgroup_info 0
		.amdhsa_system_vgpr_workitem_id 0
		.amdhsa_next_free_vgpr 1
		.amdhsa_next_free_sgpr 0
		.amdhsa_accum_offset 4
		.amdhsa_reserve_vcc 0
		.amdhsa_reserve_flat_scratch 0
		.amdhsa_float_round_mode_32 0
		.amdhsa_float_round_mode_16_64 0
		.amdhsa_float_denorm_mode_32 3
		.amdhsa_float_denorm_mode_16_64 3
		.amdhsa_dx10_clamp 1
		.amdhsa_ieee_mode 1
		.amdhsa_fp16_overflow 0
		.amdhsa_tg_split 0
		.amdhsa_exception_fp_ieee_invalid_op 0
		.amdhsa_exception_fp_denorm_src 0
		.amdhsa_exception_fp_ieee_div_zero 0
		.amdhsa_exception_fp_ieee_overflow 0
		.amdhsa_exception_fp_ieee_underflow 0
		.amdhsa_exception_fp_ieee_inexact 0
		.amdhsa_exception_int_div_zero 0
	.end_amdhsa_kernel
	.section	.text._ZN7rocprim17ROCPRIM_400000_NS6detail17trampoline_kernelINS0_14default_configENS1_20scan_config_selectorIN3c107complexIfEEEEZZNS1_9scan_implILNS1_25lookback_scan_determinismE0ELb0ELb0ES3_PKS7_PS7_S7_ZZZN2at6native31launch_logcumsumexp_cuda_kernelERKNSE_10TensorBaseESI_lENKUlvE_clEvENKUlvE2_clEvEUlS7_S7_E_S7_EEDaPvRmT3_T4_T5_mT6_P12ihipStream_tbENKUlT_T0_E_clISt17integral_constantIbLb0EESY_IbLb1EEEEDaSU_SV_EUlSU_E0_NS1_11comp_targetILNS1_3genE0ELNS1_11target_archE4294967295ELNS1_3gpuE0ELNS1_3repE0EEENS1_30default_config_static_selectorELNS0_4arch9wavefront6targetE1EEEvT1_,"axG",@progbits,_ZN7rocprim17ROCPRIM_400000_NS6detail17trampoline_kernelINS0_14default_configENS1_20scan_config_selectorIN3c107complexIfEEEEZZNS1_9scan_implILNS1_25lookback_scan_determinismE0ELb0ELb0ES3_PKS7_PS7_S7_ZZZN2at6native31launch_logcumsumexp_cuda_kernelERKNSE_10TensorBaseESI_lENKUlvE_clEvENKUlvE2_clEvEUlS7_S7_E_S7_EEDaPvRmT3_T4_T5_mT6_P12ihipStream_tbENKUlT_T0_E_clISt17integral_constantIbLb0EESY_IbLb1EEEEDaSU_SV_EUlSU_E0_NS1_11comp_targetILNS1_3genE0ELNS1_11target_archE4294967295ELNS1_3gpuE0ELNS1_3repE0EEENS1_30default_config_static_selectorELNS0_4arch9wavefront6targetE1EEEvT1_,comdat
.Lfunc_end338:
	.size	_ZN7rocprim17ROCPRIM_400000_NS6detail17trampoline_kernelINS0_14default_configENS1_20scan_config_selectorIN3c107complexIfEEEEZZNS1_9scan_implILNS1_25lookback_scan_determinismE0ELb0ELb0ES3_PKS7_PS7_S7_ZZZN2at6native31launch_logcumsumexp_cuda_kernelERKNSE_10TensorBaseESI_lENKUlvE_clEvENKUlvE2_clEvEUlS7_S7_E_S7_EEDaPvRmT3_T4_T5_mT6_P12ihipStream_tbENKUlT_T0_E_clISt17integral_constantIbLb0EESY_IbLb1EEEEDaSU_SV_EUlSU_E0_NS1_11comp_targetILNS1_3genE0ELNS1_11target_archE4294967295ELNS1_3gpuE0ELNS1_3repE0EEENS1_30default_config_static_selectorELNS0_4arch9wavefront6targetE1EEEvT1_, .Lfunc_end338-_ZN7rocprim17ROCPRIM_400000_NS6detail17trampoline_kernelINS0_14default_configENS1_20scan_config_selectorIN3c107complexIfEEEEZZNS1_9scan_implILNS1_25lookback_scan_determinismE0ELb0ELb0ES3_PKS7_PS7_S7_ZZZN2at6native31launch_logcumsumexp_cuda_kernelERKNSE_10TensorBaseESI_lENKUlvE_clEvENKUlvE2_clEvEUlS7_S7_E_S7_EEDaPvRmT3_T4_T5_mT6_P12ihipStream_tbENKUlT_T0_E_clISt17integral_constantIbLb0EESY_IbLb1EEEEDaSU_SV_EUlSU_E0_NS1_11comp_targetILNS1_3genE0ELNS1_11target_archE4294967295ELNS1_3gpuE0ELNS1_3repE0EEENS1_30default_config_static_selectorELNS0_4arch9wavefront6targetE1EEEvT1_
                                        ; -- End function
	.section	.AMDGPU.csdata,"",@progbits
; Kernel info:
; codeLenInByte = 0
; NumSgprs: 4
; NumVgprs: 0
; NumAgprs: 0
; TotalNumVgprs: 0
; ScratchSize: 0
; MemoryBound: 0
; FloatMode: 240
; IeeeMode: 1
; LDSByteSize: 0 bytes/workgroup (compile time only)
; SGPRBlocks: 0
; VGPRBlocks: 0
; NumSGPRsForWavesPerEU: 4
; NumVGPRsForWavesPerEU: 1
; AccumOffset: 4
; Occupancy: 8
; WaveLimiterHint : 0
; COMPUTE_PGM_RSRC2:SCRATCH_EN: 0
; COMPUTE_PGM_RSRC2:USER_SGPR: 6
; COMPUTE_PGM_RSRC2:TRAP_HANDLER: 0
; COMPUTE_PGM_RSRC2:TGID_X_EN: 1
; COMPUTE_PGM_RSRC2:TGID_Y_EN: 0
; COMPUTE_PGM_RSRC2:TGID_Z_EN: 0
; COMPUTE_PGM_RSRC2:TIDIG_COMP_CNT: 0
; COMPUTE_PGM_RSRC3_GFX90A:ACCUM_OFFSET: 0
; COMPUTE_PGM_RSRC3_GFX90A:TG_SPLIT: 0
	.section	.text._ZN7rocprim17ROCPRIM_400000_NS6detail17trampoline_kernelINS0_14default_configENS1_20scan_config_selectorIN3c107complexIfEEEEZZNS1_9scan_implILNS1_25lookback_scan_determinismE0ELb0ELb0ES3_PKS7_PS7_S7_ZZZN2at6native31launch_logcumsumexp_cuda_kernelERKNSE_10TensorBaseESI_lENKUlvE_clEvENKUlvE2_clEvEUlS7_S7_E_S7_EEDaPvRmT3_T4_T5_mT6_P12ihipStream_tbENKUlT_T0_E_clISt17integral_constantIbLb0EESY_IbLb1EEEEDaSU_SV_EUlSU_E0_NS1_11comp_targetILNS1_3genE5ELNS1_11target_archE942ELNS1_3gpuE9ELNS1_3repE0EEENS1_30default_config_static_selectorELNS0_4arch9wavefront6targetE1EEEvT1_,"axG",@progbits,_ZN7rocprim17ROCPRIM_400000_NS6detail17trampoline_kernelINS0_14default_configENS1_20scan_config_selectorIN3c107complexIfEEEEZZNS1_9scan_implILNS1_25lookback_scan_determinismE0ELb0ELb0ES3_PKS7_PS7_S7_ZZZN2at6native31launch_logcumsumexp_cuda_kernelERKNSE_10TensorBaseESI_lENKUlvE_clEvENKUlvE2_clEvEUlS7_S7_E_S7_EEDaPvRmT3_T4_T5_mT6_P12ihipStream_tbENKUlT_T0_E_clISt17integral_constantIbLb0EESY_IbLb1EEEEDaSU_SV_EUlSU_E0_NS1_11comp_targetILNS1_3genE5ELNS1_11target_archE942ELNS1_3gpuE9ELNS1_3repE0EEENS1_30default_config_static_selectorELNS0_4arch9wavefront6targetE1EEEvT1_,comdat
	.globl	_ZN7rocprim17ROCPRIM_400000_NS6detail17trampoline_kernelINS0_14default_configENS1_20scan_config_selectorIN3c107complexIfEEEEZZNS1_9scan_implILNS1_25lookback_scan_determinismE0ELb0ELb0ES3_PKS7_PS7_S7_ZZZN2at6native31launch_logcumsumexp_cuda_kernelERKNSE_10TensorBaseESI_lENKUlvE_clEvENKUlvE2_clEvEUlS7_S7_E_S7_EEDaPvRmT3_T4_T5_mT6_P12ihipStream_tbENKUlT_T0_E_clISt17integral_constantIbLb0EESY_IbLb1EEEEDaSU_SV_EUlSU_E0_NS1_11comp_targetILNS1_3genE5ELNS1_11target_archE942ELNS1_3gpuE9ELNS1_3repE0EEENS1_30default_config_static_selectorELNS0_4arch9wavefront6targetE1EEEvT1_ ; -- Begin function _ZN7rocprim17ROCPRIM_400000_NS6detail17trampoline_kernelINS0_14default_configENS1_20scan_config_selectorIN3c107complexIfEEEEZZNS1_9scan_implILNS1_25lookback_scan_determinismE0ELb0ELb0ES3_PKS7_PS7_S7_ZZZN2at6native31launch_logcumsumexp_cuda_kernelERKNSE_10TensorBaseESI_lENKUlvE_clEvENKUlvE2_clEvEUlS7_S7_E_S7_EEDaPvRmT3_T4_T5_mT6_P12ihipStream_tbENKUlT_T0_E_clISt17integral_constantIbLb0EESY_IbLb1EEEEDaSU_SV_EUlSU_E0_NS1_11comp_targetILNS1_3genE5ELNS1_11target_archE942ELNS1_3gpuE9ELNS1_3repE0EEENS1_30default_config_static_selectorELNS0_4arch9wavefront6targetE1EEEvT1_
	.p2align	8
	.type	_ZN7rocprim17ROCPRIM_400000_NS6detail17trampoline_kernelINS0_14default_configENS1_20scan_config_selectorIN3c107complexIfEEEEZZNS1_9scan_implILNS1_25lookback_scan_determinismE0ELb0ELb0ES3_PKS7_PS7_S7_ZZZN2at6native31launch_logcumsumexp_cuda_kernelERKNSE_10TensorBaseESI_lENKUlvE_clEvENKUlvE2_clEvEUlS7_S7_E_S7_EEDaPvRmT3_T4_T5_mT6_P12ihipStream_tbENKUlT_T0_E_clISt17integral_constantIbLb0EESY_IbLb1EEEEDaSU_SV_EUlSU_E0_NS1_11comp_targetILNS1_3genE5ELNS1_11target_archE942ELNS1_3gpuE9ELNS1_3repE0EEENS1_30default_config_static_selectorELNS0_4arch9wavefront6targetE1EEEvT1_,@function
_ZN7rocprim17ROCPRIM_400000_NS6detail17trampoline_kernelINS0_14default_configENS1_20scan_config_selectorIN3c107complexIfEEEEZZNS1_9scan_implILNS1_25lookback_scan_determinismE0ELb0ELb0ES3_PKS7_PS7_S7_ZZZN2at6native31launch_logcumsumexp_cuda_kernelERKNSE_10TensorBaseESI_lENKUlvE_clEvENKUlvE2_clEvEUlS7_S7_E_S7_EEDaPvRmT3_T4_T5_mT6_P12ihipStream_tbENKUlT_T0_E_clISt17integral_constantIbLb0EESY_IbLb1EEEEDaSU_SV_EUlSU_E0_NS1_11comp_targetILNS1_3genE5ELNS1_11target_archE942ELNS1_3gpuE9ELNS1_3repE0EEENS1_30default_config_static_selectorELNS0_4arch9wavefront6targetE1EEEvT1_: ; @_ZN7rocprim17ROCPRIM_400000_NS6detail17trampoline_kernelINS0_14default_configENS1_20scan_config_selectorIN3c107complexIfEEEEZZNS1_9scan_implILNS1_25lookback_scan_determinismE0ELb0ELb0ES3_PKS7_PS7_S7_ZZZN2at6native31launch_logcumsumexp_cuda_kernelERKNSE_10TensorBaseESI_lENKUlvE_clEvENKUlvE2_clEvEUlS7_S7_E_S7_EEDaPvRmT3_T4_T5_mT6_P12ihipStream_tbENKUlT_T0_E_clISt17integral_constantIbLb0EESY_IbLb1EEEEDaSU_SV_EUlSU_E0_NS1_11comp_targetILNS1_3genE5ELNS1_11target_archE942ELNS1_3gpuE9ELNS1_3repE0EEENS1_30default_config_static_selectorELNS0_4arch9wavefront6targetE1EEEvT1_
; %bb.0:
	.section	.rodata,"a",@progbits
	.p2align	6, 0x0
	.amdhsa_kernel _ZN7rocprim17ROCPRIM_400000_NS6detail17trampoline_kernelINS0_14default_configENS1_20scan_config_selectorIN3c107complexIfEEEEZZNS1_9scan_implILNS1_25lookback_scan_determinismE0ELb0ELb0ES3_PKS7_PS7_S7_ZZZN2at6native31launch_logcumsumexp_cuda_kernelERKNSE_10TensorBaseESI_lENKUlvE_clEvENKUlvE2_clEvEUlS7_S7_E_S7_EEDaPvRmT3_T4_T5_mT6_P12ihipStream_tbENKUlT_T0_E_clISt17integral_constantIbLb0EESY_IbLb1EEEEDaSU_SV_EUlSU_E0_NS1_11comp_targetILNS1_3genE5ELNS1_11target_archE942ELNS1_3gpuE9ELNS1_3repE0EEENS1_30default_config_static_selectorELNS0_4arch9wavefront6targetE1EEEvT1_
		.amdhsa_group_segment_fixed_size 0
		.amdhsa_private_segment_fixed_size 0
		.amdhsa_kernarg_size 40
		.amdhsa_user_sgpr_count 6
		.amdhsa_user_sgpr_private_segment_buffer 1
		.amdhsa_user_sgpr_dispatch_ptr 0
		.amdhsa_user_sgpr_queue_ptr 0
		.amdhsa_user_sgpr_kernarg_segment_ptr 1
		.amdhsa_user_sgpr_dispatch_id 0
		.amdhsa_user_sgpr_flat_scratch_init 0
		.amdhsa_user_sgpr_kernarg_preload_length 0
		.amdhsa_user_sgpr_kernarg_preload_offset 0
		.amdhsa_user_sgpr_private_segment_size 0
		.amdhsa_uses_dynamic_stack 0
		.amdhsa_system_sgpr_private_segment_wavefront_offset 0
		.amdhsa_system_sgpr_workgroup_id_x 1
		.amdhsa_system_sgpr_workgroup_id_y 0
		.amdhsa_system_sgpr_workgroup_id_z 0
		.amdhsa_system_sgpr_workgroup_info 0
		.amdhsa_system_vgpr_workitem_id 0
		.amdhsa_next_free_vgpr 1
		.amdhsa_next_free_sgpr 0
		.amdhsa_accum_offset 4
		.amdhsa_reserve_vcc 0
		.amdhsa_reserve_flat_scratch 0
		.amdhsa_float_round_mode_32 0
		.amdhsa_float_round_mode_16_64 0
		.amdhsa_float_denorm_mode_32 3
		.amdhsa_float_denorm_mode_16_64 3
		.amdhsa_dx10_clamp 1
		.amdhsa_ieee_mode 1
		.amdhsa_fp16_overflow 0
		.amdhsa_tg_split 0
		.amdhsa_exception_fp_ieee_invalid_op 0
		.amdhsa_exception_fp_denorm_src 0
		.amdhsa_exception_fp_ieee_div_zero 0
		.amdhsa_exception_fp_ieee_overflow 0
		.amdhsa_exception_fp_ieee_underflow 0
		.amdhsa_exception_fp_ieee_inexact 0
		.amdhsa_exception_int_div_zero 0
	.end_amdhsa_kernel
	.section	.text._ZN7rocprim17ROCPRIM_400000_NS6detail17trampoline_kernelINS0_14default_configENS1_20scan_config_selectorIN3c107complexIfEEEEZZNS1_9scan_implILNS1_25lookback_scan_determinismE0ELb0ELb0ES3_PKS7_PS7_S7_ZZZN2at6native31launch_logcumsumexp_cuda_kernelERKNSE_10TensorBaseESI_lENKUlvE_clEvENKUlvE2_clEvEUlS7_S7_E_S7_EEDaPvRmT3_T4_T5_mT6_P12ihipStream_tbENKUlT_T0_E_clISt17integral_constantIbLb0EESY_IbLb1EEEEDaSU_SV_EUlSU_E0_NS1_11comp_targetILNS1_3genE5ELNS1_11target_archE942ELNS1_3gpuE9ELNS1_3repE0EEENS1_30default_config_static_selectorELNS0_4arch9wavefront6targetE1EEEvT1_,"axG",@progbits,_ZN7rocprim17ROCPRIM_400000_NS6detail17trampoline_kernelINS0_14default_configENS1_20scan_config_selectorIN3c107complexIfEEEEZZNS1_9scan_implILNS1_25lookback_scan_determinismE0ELb0ELb0ES3_PKS7_PS7_S7_ZZZN2at6native31launch_logcumsumexp_cuda_kernelERKNSE_10TensorBaseESI_lENKUlvE_clEvENKUlvE2_clEvEUlS7_S7_E_S7_EEDaPvRmT3_T4_T5_mT6_P12ihipStream_tbENKUlT_T0_E_clISt17integral_constantIbLb0EESY_IbLb1EEEEDaSU_SV_EUlSU_E0_NS1_11comp_targetILNS1_3genE5ELNS1_11target_archE942ELNS1_3gpuE9ELNS1_3repE0EEENS1_30default_config_static_selectorELNS0_4arch9wavefront6targetE1EEEvT1_,comdat
.Lfunc_end339:
	.size	_ZN7rocprim17ROCPRIM_400000_NS6detail17trampoline_kernelINS0_14default_configENS1_20scan_config_selectorIN3c107complexIfEEEEZZNS1_9scan_implILNS1_25lookback_scan_determinismE0ELb0ELb0ES3_PKS7_PS7_S7_ZZZN2at6native31launch_logcumsumexp_cuda_kernelERKNSE_10TensorBaseESI_lENKUlvE_clEvENKUlvE2_clEvEUlS7_S7_E_S7_EEDaPvRmT3_T4_T5_mT6_P12ihipStream_tbENKUlT_T0_E_clISt17integral_constantIbLb0EESY_IbLb1EEEEDaSU_SV_EUlSU_E0_NS1_11comp_targetILNS1_3genE5ELNS1_11target_archE942ELNS1_3gpuE9ELNS1_3repE0EEENS1_30default_config_static_selectorELNS0_4arch9wavefront6targetE1EEEvT1_, .Lfunc_end339-_ZN7rocprim17ROCPRIM_400000_NS6detail17trampoline_kernelINS0_14default_configENS1_20scan_config_selectorIN3c107complexIfEEEEZZNS1_9scan_implILNS1_25lookback_scan_determinismE0ELb0ELb0ES3_PKS7_PS7_S7_ZZZN2at6native31launch_logcumsumexp_cuda_kernelERKNSE_10TensorBaseESI_lENKUlvE_clEvENKUlvE2_clEvEUlS7_S7_E_S7_EEDaPvRmT3_T4_T5_mT6_P12ihipStream_tbENKUlT_T0_E_clISt17integral_constantIbLb0EESY_IbLb1EEEEDaSU_SV_EUlSU_E0_NS1_11comp_targetILNS1_3genE5ELNS1_11target_archE942ELNS1_3gpuE9ELNS1_3repE0EEENS1_30default_config_static_selectorELNS0_4arch9wavefront6targetE1EEEvT1_
                                        ; -- End function
	.section	.AMDGPU.csdata,"",@progbits
; Kernel info:
; codeLenInByte = 0
; NumSgprs: 4
; NumVgprs: 0
; NumAgprs: 0
; TotalNumVgprs: 0
; ScratchSize: 0
; MemoryBound: 0
; FloatMode: 240
; IeeeMode: 1
; LDSByteSize: 0 bytes/workgroup (compile time only)
; SGPRBlocks: 0
; VGPRBlocks: 0
; NumSGPRsForWavesPerEU: 4
; NumVGPRsForWavesPerEU: 1
; AccumOffset: 4
; Occupancy: 8
; WaveLimiterHint : 0
; COMPUTE_PGM_RSRC2:SCRATCH_EN: 0
; COMPUTE_PGM_RSRC2:USER_SGPR: 6
; COMPUTE_PGM_RSRC2:TRAP_HANDLER: 0
; COMPUTE_PGM_RSRC2:TGID_X_EN: 1
; COMPUTE_PGM_RSRC2:TGID_Y_EN: 0
; COMPUTE_PGM_RSRC2:TGID_Z_EN: 0
; COMPUTE_PGM_RSRC2:TIDIG_COMP_CNT: 0
; COMPUTE_PGM_RSRC3_GFX90A:ACCUM_OFFSET: 0
; COMPUTE_PGM_RSRC3_GFX90A:TG_SPLIT: 0
	.section	.text._ZN7rocprim17ROCPRIM_400000_NS6detail17trampoline_kernelINS0_14default_configENS1_20scan_config_selectorIN3c107complexIfEEEEZZNS1_9scan_implILNS1_25lookback_scan_determinismE0ELb0ELb0ES3_PKS7_PS7_S7_ZZZN2at6native31launch_logcumsumexp_cuda_kernelERKNSE_10TensorBaseESI_lENKUlvE_clEvENKUlvE2_clEvEUlS7_S7_E_S7_EEDaPvRmT3_T4_T5_mT6_P12ihipStream_tbENKUlT_T0_E_clISt17integral_constantIbLb0EESY_IbLb1EEEEDaSU_SV_EUlSU_E0_NS1_11comp_targetILNS1_3genE4ELNS1_11target_archE910ELNS1_3gpuE8ELNS1_3repE0EEENS1_30default_config_static_selectorELNS0_4arch9wavefront6targetE1EEEvT1_,"axG",@progbits,_ZN7rocprim17ROCPRIM_400000_NS6detail17trampoline_kernelINS0_14default_configENS1_20scan_config_selectorIN3c107complexIfEEEEZZNS1_9scan_implILNS1_25lookback_scan_determinismE0ELb0ELb0ES3_PKS7_PS7_S7_ZZZN2at6native31launch_logcumsumexp_cuda_kernelERKNSE_10TensorBaseESI_lENKUlvE_clEvENKUlvE2_clEvEUlS7_S7_E_S7_EEDaPvRmT3_T4_T5_mT6_P12ihipStream_tbENKUlT_T0_E_clISt17integral_constantIbLb0EESY_IbLb1EEEEDaSU_SV_EUlSU_E0_NS1_11comp_targetILNS1_3genE4ELNS1_11target_archE910ELNS1_3gpuE8ELNS1_3repE0EEENS1_30default_config_static_selectorELNS0_4arch9wavefront6targetE1EEEvT1_,comdat
	.globl	_ZN7rocprim17ROCPRIM_400000_NS6detail17trampoline_kernelINS0_14default_configENS1_20scan_config_selectorIN3c107complexIfEEEEZZNS1_9scan_implILNS1_25lookback_scan_determinismE0ELb0ELb0ES3_PKS7_PS7_S7_ZZZN2at6native31launch_logcumsumexp_cuda_kernelERKNSE_10TensorBaseESI_lENKUlvE_clEvENKUlvE2_clEvEUlS7_S7_E_S7_EEDaPvRmT3_T4_T5_mT6_P12ihipStream_tbENKUlT_T0_E_clISt17integral_constantIbLb0EESY_IbLb1EEEEDaSU_SV_EUlSU_E0_NS1_11comp_targetILNS1_3genE4ELNS1_11target_archE910ELNS1_3gpuE8ELNS1_3repE0EEENS1_30default_config_static_selectorELNS0_4arch9wavefront6targetE1EEEvT1_ ; -- Begin function _ZN7rocprim17ROCPRIM_400000_NS6detail17trampoline_kernelINS0_14default_configENS1_20scan_config_selectorIN3c107complexIfEEEEZZNS1_9scan_implILNS1_25lookback_scan_determinismE0ELb0ELb0ES3_PKS7_PS7_S7_ZZZN2at6native31launch_logcumsumexp_cuda_kernelERKNSE_10TensorBaseESI_lENKUlvE_clEvENKUlvE2_clEvEUlS7_S7_E_S7_EEDaPvRmT3_T4_T5_mT6_P12ihipStream_tbENKUlT_T0_E_clISt17integral_constantIbLb0EESY_IbLb1EEEEDaSU_SV_EUlSU_E0_NS1_11comp_targetILNS1_3genE4ELNS1_11target_archE910ELNS1_3gpuE8ELNS1_3repE0EEENS1_30default_config_static_selectorELNS0_4arch9wavefront6targetE1EEEvT1_
	.p2align	8
	.type	_ZN7rocprim17ROCPRIM_400000_NS6detail17trampoline_kernelINS0_14default_configENS1_20scan_config_selectorIN3c107complexIfEEEEZZNS1_9scan_implILNS1_25lookback_scan_determinismE0ELb0ELb0ES3_PKS7_PS7_S7_ZZZN2at6native31launch_logcumsumexp_cuda_kernelERKNSE_10TensorBaseESI_lENKUlvE_clEvENKUlvE2_clEvEUlS7_S7_E_S7_EEDaPvRmT3_T4_T5_mT6_P12ihipStream_tbENKUlT_T0_E_clISt17integral_constantIbLb0EESY_IbLb1EEEEDaSU_SV_EUlSU_E0_NS1_11comp_targetILNS1_3genE4ELNS1_11target_archE910ELNS1_3gpuE8ELNS1_3repE0EEENS1_30default_config_static_selectorELNS0_4arch9wavefront6targetE1EEEvT1_,@function
_ZN7rocprim17ROCPRIM_400000_NS6detail17trampoline_kernelINS0_14default_configENS1_20scan_config_selectorIN3c107complexIfEEEEZZNS1_9scan_implILNS1_25lookback_scan_determinismE0ELb0ELb0ES3_PKS7_PS7_S7_ZZZN2at6native31launch_logcumsumexp_cuda_kernelERKNSE_10TensorBaseESI_lENKUlvE_clEvENKUlvE2_clEvEUlS7_S7_E_S7_EEDaPvRmT3_T4_T5_mT6_P12ihipStream_tbENKUlT_T0_E_clISt17integral_constantIbLb0EESY_IbLb1EEEEDaSU_SV_EUlSU_E0_NS1_11comp_targetILNS1_3genE4ELNS1_11target_archE910ELNS1_3gpuE8ELNS1_3repE0EEENS1_30default_config_static_selectorELNS0_4arch9wavefront6targetE1EEEvT1_: ; @_ZN7rocprim17ROCPRIM_400000_NS6detail17trampoline_kernelINS0_14default_configENS1_20scan_config_selectorIN3c107complexIfEEEEZZNS1_9scan_implILNS1_25lookback_scan_determinismE0ELb0ELb0ES3_PKS7_PS7_S7_ZZZN2at6native31launch_logcumsumexp_cuda_kernelERKNSE_10TensorBaseESI_lENKUlvE_clEvENKUlvE2_clEvEUlS7_S7_E_S7_EEDaPvRmT3_T4_T5_mT6_P12ihipStream_tbENKUlT_T0_E_clISt17integral_constantIbLb0EESY_IbLb1EEEEDaSU_SV_EUlSU_E0_NS1_11comp_targetILNS1_3genE4ELNS1_11target_archE910ELNS1_3gpuE8ELNS1_3repE0EEENS1_30default_config_static_selectorELNS0_4arch9wavefront6targetE1EEEvT1_
; %bb.0:
	s_add_u32 flat_scratch_lo, s6, s9
	s_addc_u32 flat_scratch_hi, s7, 0
	s_add_u32 s0, s0, s9
	s_load_dwordx4 s[8:11], s[4:5], 0x0
	v_mov_b32_e32 v27, v0
	s_addc_u32 s1, s1, 0
	v_lshlrev_b32_e32 v58, 3, v27
	s_mov_b32 s32, 0
	s_waitcnt lgkmcnt(0)
	s_load_dwordx2 s[6:7], s[8:9], 0x0
	v_cmp_gt_u32_e64 s[20:21], s10, v27
	s_waitcnt lgkmcnt(0)
	v_pk_mov_b32 v[0:1], s[6:7], s[6:7] op_sel:[0,1]
	s_and_saveexec_b64 s[12:13], s[20:21]
	s_cbranch_execz .LBB340_2
; %bb.1:
	global_load_dwordx2 v[0:1], v58, s[8:9]
.LBB340_2:
	s_or_b64 exec, exec, s[12:13]
	v_or_b32_e32 v2, 0x80, v27
	v_cmp_gt_u32_e64 s[22:23], s10, v2
	v_pk_mov_b32 v[2:3], s[6:7], s[6:7] op_sel:[0,1]
	s_and_saveexec_b64 s[12:13], s[22:23]
	s_cbranch_execz .LBB340_4
; %bb.3:
	global_load_dwordx2 v[2:3], v58, s[8:9] offset:1024
.LBB340_4:
	s_or_b64 exec, exec, s[12:13]
	v_or_b32_e32 v4, 0x100, v27
	v_cmp_gt_u32_e64 s[24:25], s10, v4
	v_pk_mov_b32 v[4:5], s[6:7], s[6:7] op_sel:[0,1]
	s_and_saveexec_b64 s[12:13], s[24:25]
	s_cbranch_execz .LBB340_6
; %bb.5:
	global_load_dwordx2 v[4:5], v58, s[8:9] offset:2048
.LBB340_6:
	;; [unrolled: 9-line block ×3, first 2 shown]
	s_or_b64 exec, exec, s[12:13]
	v_or_b32_e32 v10, 0x200, v27
	v_cmp_gt_u32_e64 s[28:29], s10, v10
	v_pk_mov_b32 v[8:9], s[6:7], s[6:7] op_sel:[0,1]
	s_and_saveexec_b64 s[12:13], s[28:29]
	s_cbranch_execz .LBB340_10
; %bb.9:
	v_lshlrev_b32_e32 v8, 3, v10
	global_load_dwordx2 v[8:9], v8, s[8:9]
.LBB340_10:
	s_or_b64 exec, exec, s[12:13]
	v_or_b32_e32 v12, 0x280, v27
	v_cmp_gt_u32_e64 s[34:35], s10, v12
	v_pk_mov_b32 v[10:11], s[6:7], s[6:7] op_sel:[0,1]
	s_and_saveexec_b64 s[12:13], s[34:35]
	s_cbranch_execz .LBB340_12
; %bb.11:
	v_lshlrev_b32_e32 v10, 3, v12
	global_load_dwordx2 v[10:11], v10, s[8:9]
.LBB340_12:
	;; [unrolled: 10-line block ×3, first 2 shown]
	s_or_b64 exec, exec, s[6:7]
	s_load_dwordx2 s[38:39], s[4:5], 0x20
	v_mad_u32_u24 v59, v27, 48, v58
	s_waitcnt vmcnt(0)
	ds_write2st64_b64 v58, v[0:1], v[2:3] offset1:2
	ds_write2st64_b64 v58, v[4:5], v[6:7] offset0:4 offset1:6
	ds_write2st64_b64 v58, v[8:9], v[10:11] offset0:8 offset1:10
	ds_write_b64 v58, v[12:13] offset:6144
	s_waitcnt lgkmcnt(0)
	s_barrier
	ds_read2_b64 v[28:31], v59 offset1:1
	ds_read2_b64 v[36:39], v59 offset0:2 offset1:3
	ds_read2_b64 v[32:35], v59 offset0:4 offset1:5
	ds_read_b64 v[52:53], v59 offset:48
	s_waitcnt lgkmcnt(0)
	v_mov_b32_e32 v0, v28
	v_mov_b32_e32 v1, v29
	;; [unrolled: 1-line block ×4, first 2 shown]
	s_barrier
	s_getpc_b64 s[42:43]
	s_add_u32 s42, s42, _ZZZZN2at6native31launch_logcumsumexp_cuda_kernelERKNS_10TensorBaseES3_lENKUlvE_clEvENKUlvE2_clEvENKUlN3c107complexIfEES8_E_clES8_S8_@rel32@lo+4
	s_addc_u32 s43, s43, _ZZZZN2at6native31launch_logcumsumexp_cuda_kernelERKNS_10TensorBaseES3_lENKUlvE_clEvENKUlvE2_clEvENKUlN3c107complexIfEES8_E_clES8_S8_@rel32@hi+12
	s_swappc_b64 s[30:31], s[42:43]
	v_mov_b32_e32 v2, v36
	v_mov_b32_e32 v3, v37
	v_mov_b32_e32 v56, v0
	v_mov_b32_e32 v57, v1
	s_swappc_b64 s[30:31], s[42:43]
	v_mov_b32_e32 v2, v38
	v_mov_b32_e32 v3, v39
	v_mov_b32_e32 v44, v0
	v_mov_b32_e32 v45, v1
	;; [unrolled: 5-line block ×5, first 2 shown]
	s_swappc_b64 s[30:31], s[42:43]
	v_mov_b32_e32 v54, v0
	v_lshrrev_b32_e32 v0, 2, v27
	v_and_b32_e32 v0, 24, v0
	v_mov_b32_e32 v55, v1
	v_add_u32_e32 v0, v58, v0
	v_cmp_gt_u32_e32 vcc, 64, v27
	ds_write_b64 v0, v[54:55]
	s_waitcnt lgkmcnt(0)
	s_barrier
	s_and_saveexec_b64 s[40:41], vcc
	s_cbranch_execz .LBB340_28
; %bb.15:
	v_lshlrev_b32_e32 v0, 1, v27
	v_lshrrev_b32_e32 v1, 4, v27
	v_add_lshl_u32 v60, v1, v0, 3
	ds_read2_b64 v[40:43], v60 offset1:1
	s_waitcnt lgkmcnt(0)
	v_mov_b32_e32 v0, v40
	v_mov_b32_e32 v1, v41
	;; [unrolled: 1-line block ×4, first 2 shown]
	s_swappc_b64 s[30:31], s[42:43]
	v_mov_b32_e32 v2, v0
	v_mbcnt_lo_u32_b32 v0, -1, 0
	v_mbcnt_hi_u32_b32 v42, -1, v0
	v_mov_b32_e32 v3, v1
	v_and_b32_e32 v43, 15, v42
	v_mov_b32_dpp v0, v2 row_shr:1 row_mask:0xf bank_mask:0xf
	v_mov_b32_dpp v1, v3 row_shr:1 row_mask:0xf bank_mask:0xf
	v_cmp_ne_u32_e32 vcc, 0, v43
	s_and_saveexec_b64 s[42:43], vcc
	s_cbranch_execz .LBB340_17
; %bb.16:
	s_getpc_b64 s[4:5]
	s_add_u32 s4, s4, _ZZZZN2at6native31launch_logcumsumexp_cuda_kernelERKNS_10TensorBaseES3_lENKUlvE_clEvENKUlvE2_clEvENKUlN3c107complexIfEES8_E_clES8_S8_@rel32@lo+4
	s_addc_u32 s5, s5, _ZZZZN2at6native31launch_logcumsumexp_cuda_kernelERKNS_10TensorBaseES3_lENKUlvE_clEvENKUlvE2_clEvENKUlN3c107complexIfEES8_E_clES8_S8_@rel32@hi+12
	s_swappc_b64 s[30:31], s[4:5]
	v_mov_b32_e32 v2, v0
	v_mov_b32_e32 v3, v1
.LBB340_17:
	s_or_b64 exec, exec, s[42:43]
	v_mov_b32_dpp v0, v2 row_shr:2 row_mask:0xf bank_mask:0xf
	v_mov_b32_dpp v1, v3 row_shr:2 row_mask:0xf bank_mask:0xf
	v_cmp_lt_u32_e32 vcc, 1, v43
	s_and_saveexec_b64 s[42:43], vcc
	s_cbranch_execz .LBB340_19
; %bb.18:
	s_getpc_b64 s[4:5]
	s_add_u32 s4, s4, _ZZZZN2at6native31launch_logcumsumexp_cuda_kernelERKNS_10TensorBaseES3_lENKUlvE_clEvENKUlvE2_clEvENKUlN3c107complexIfEES8_E_clES8_S8_@rel32@lo+4
	s_addc_u32 s5, s5, _ZZZZN2at6native31launch_logcumsumexp_cuda_kernelERKNS_10TensorBaseES3_lENKUlvE_clEvENKUlvE2_clEvENKUlN3c107complexIfEES8_E_clES8_S8_@rel32@hi+12
	s_swappc_b64 s[30:31], s[4:5]
	v_mov_b32_e32 v2, v0
	v_mov_b32_e32 v3, v1
.LBB340_19:
	s_or_b64 exec, exec, s[42:43]
	v_mov_b32_dpp v0, v2 row_shr:4 row_mask:0xf bank_mask:0xf
	v_mov_b32_dpp v1, v3 row_shr:4 row_mask:0xf bank_mask:0xf
	v_cmp_lt_u32_e32 vcc, 3, v43
	;; [unrolled: 14-line block ×3, first 2 shown]
	s_and_saveexec_b64 s[42:43], vcc
	s_cbranch_execz .LBB340_23
; %bb.22:
	s_getpc_b64 s[4:5]
	s_add_u32 s4, s4, _ZZZZN2at6native31launch_logcumsumexp_cuda_kernelERKNS_10TensorBaseES3_lENKUlvE_clEvENKUlvE2_clEvENKUlN3c107complexIfEES8_E_clES8_S8_@rel32@lo+4
	s_addc_u32 s5, s5, _ZZZZN2at6native31launch_logcumsumexp_cuda_kernelERKNS_10TensorBaseES3_lENKUlvE_clEvENKUlvE2_clEvENKUlN3c107complexIfEES8_E_clES8_S8_@rel32@hi+12
	s_swappc_b64 s[30:31], s[4:5]
	v_mov_b32_e32 v2, v0
	v_mov_b32_e32 v3, v1
.LBB340_23:
	s_or_b64 exec, exec, s[42:43]
	v_and_b32_e32 v4, 16, v42
	v_mov_b32_dpp v0, v2 row_bcast:15 row_mask:0xf bank_mask:0xf
	v_mov_b32_dpp v1, v3 row_bcast:15 row_mask:0xf bank_mask:0xf
	v_cmp_ne_u32_e32 vcc, 0, v4
	s_and_saveexec_b64 s[42:43], vcc
	s_cbranch_execz .LBB340_25
; %bb.24:
	s_getpc_b64 s[4:5]
	s_add_u32 s4, s4, _ZZZZN2at6native31launch_logcumsumexp_cuda_kernelERKNS_10TensorBaseES3_lENKUlvE_clEvENKUlvE2_clEvENKUlN3c107complexIfEES8_E_clES8_S8_@rel32@lo+4
	s_addc_u32 s5, s5, _ZZZZN2at6native31launch_logcumsumexp_cuda_kernelERKNS_10TensorBaseES3_lENKUlvE_clEvENKUlvE2_clEvENKUlN3c107complexIfEES8_E_clES8_S8_@rel32@hi+12
	s_swappc_b64 s[30:31], s[4:5]
	v_mov_b32_e32 v2, v0
	v_mov_b32_e32 v3, v1
.LBB340_25:
	s_or_b64 exec, exec, s[42:43]
	v_mov_b32_dpp v0, v2 row_bcast:31 row_mask:0xf bank_mask:0xf
	v_mov_b32_dpp v1, v3 row_bcast:31 row_mask:0xf bank_mask:0xf
	v_cmp_lt_u32_e32 vcc, 31, v42
	s_and_saveexec_b64 s[42:43], vcc
	s_cbranch_execz .LBB340_27
; %bb.26:
	s_getpc_b64 s[4:5]
	s_add_u32 s4, s4, _ZZZZN2at6native31launch_logcumsumexp_cuda_kernelERKNS_10TensorBaseES3_lENKUlvE_clEvENKUlvE2_clEvENKUlN3c107complexIfEES8_E_clES8_S8_@rel32@lo+4
	s_addc_u32 s5, s5, _ZZZZN2at6native31launch_logcumsumexp_cuda_kernelERKNS_10TensorBaseES3_lENKUlvE_clEvENKUlvE2_clEvENKUlN3c107complexIfEES8_E_clES8_S8_@rel32@hi+12
	s_swappc_b64 s[30:31], s[4:5]
	v_mov_b32_e32 v2, v0
	v_mov_b32_e32 v3, v1
.LBB340_27:
	s_or_b64 exec, exec, s[42:43]
	v_add_u32_e32 v0, -1, v42
	v_and_b32_e32 v1, 64, v42
	v_cmp_lt_i32_e32 vcc, v0, v1
	v_cndmask_b32_e32 v0, v0, v42, vcc
	v_lshlrev_b32_e32 v1, 2, v0
	ds_bpermute_b32 v0, v1, v2
	ds_bpermute_b32 v1, v1, v3
	v_mov_b32_e32 v2, v40
	v_mov_b32_e32 v3, v41
	s_getpc_b64 s[42:43]
	s_add_u32 s42, s42, _ZZZZN2at6native31launch_logcumsumexp_cuda_kernelERKNS_10TensorBaseES3_lENKUlvE_clEvENKUlvE2_clEvENKUlN3c107complexIfEES8_E_clES8_S8_@rel32@lo+4
	s_addc_u32 s43, s43, _ZZZZN2at6native31launch_logcumsumexp_cuda_kernelERKNS_10TensorBaseES3_lENKUlvE_clEvENKUlvE2_clEvENKUlN3c107complexIfEES8_E_clES8_S8_@rel32@hi+12
	s_swappc_b64 s[30:31], s[42:43]
	v_cmp_eq_u32_e32 vcc, 0, v27
	v_cndmask_b32_e32 v0, v0, v54, vcc
	v_cndmask_b32_e32 v1, v1, v55, vcc
	; wave barrier
	ds_write_b64 v60, v[0:1]
	; wave barrier
	ds_read_b64 v[2:3], v60 offset:8
	s_swappc_b64 s[30:31], s[42:43]
	ds_write_b64 v60, v[0:1] offset:8
.LBB340_28:
	s_or_b64 exec, exec, s[40:41]
	v_cmp_ne_u32_e32 vcc, 0, v27
	v_mov_b32_e32 v1, v55
	v_mov_b32_e32 v0, v54
	s_waitcnt lgkmcnt(0)
	s_barrier
	s_and_saveexec_b64 s[4:5], vcc
	s_cbranch_execnz .LBB340_40
; %bb.29:
	s_or_b64 exec, exec, s[4:5]
	s_and_saveexec_b64 s[4:5], vcc
	s_xor_b64 s[40:41], exec, s[4:5]
	s_cbranch_execnz .LBB340_41
.LBB340_30:
	s_andn2_saveexec_b64 s[4:5], s[40:41]
.LBB340_31:
	v_mov_b32_e32 v30, v56
	v_mov_b32_e32 v31, v57
.LBB340_32:
	s_or_b64 exec, exec, s[4:5]
	s_movk_i32 s4, 0xffd0
	s_waitcnt lgkmcnt(0)
	v_mad_i32_i24 v0, v27, s4, v59
	s_barrier
	ds_write2_b64 v59, v[28:29], v[30:31] offset1:1
	ds_write2_b64 v59, v[44:45], v[46:47] offset0:2 offset1:3
	ds_write2_b64 v59, v[48:49], v[50:51] offset0:4 offset1:5
	ds_write_b64 v59, v[54:55] offset:48
	s_waitcnt lgkmcnt(0)
	s_barrier
	ds_read2st64_b64 v[8:11], v0 offset0:2 offset1:4
	ds_read2st64_b64 v[4:7], v0 offset0:6 offset1:8
	;; [unrolled: 1-line block ×3, first 2 shown]
	v_mov_b32_e32 v13, s39
	v_add_co_u32_e32 v12, vcc, s38, v58
	v_addc_co_u32_e32 v13, vcc, 0, v13, vcc
	s_and_saveexec_b64 s[4:5], s[20:21]
	s_cbranch_execnz .LBB340_42
; %bb.33:
	s_or_b64 exec, exec, s[4:5]
	s_and_saveexec_b64 s[4:5], s[22:23]
	s_cbranch_execnz .LBB340_43
.LBB340_34:
	s_or_b64 exec, exec, s[4:5]
	s_and_saveexec_b64 s[4:5], s[24:25]
	s_cbranch_execnz .LBB340_44
.LBB340_35:
	s_or_b64 exec, exec, s[4:5]
	s_and_saveexec_b64 s[4:5], s[26:27]
	s_cbranch_execnz .LBB340_45
.LBB340_36:
	s_or_b64 exec, exec, s[4:5]
	s_and_saveexec_b64 s[4:5], s[28:29]
	s_cbranch_execnz .LBB340_46
.LBB340_37:
	s_or_b64 exec, exec, s[4:5]
	s_and_saveexec_b64 s[4:5], s[34:35]
	s_cbranch_execnz .LBB340_47
.LBB340_38:
	s_or_b64 exec, exec, s[4:5]
	s_and_saveexec_b64 s[4:5], s[36:37]
	s_cbranch_execnz .LBB340_48
.LBB340_39:
	s_endpgm
.LBB340_40:
	v_add_u32_e32 v0, -1, v27
	v_lshrrev_b32_e32 v1, 5, v0
	v_add_lshl_u32 v0, v1, v0, 3
	ds_read_b64 v[0:1], v0
	s_or_b64 exec, exec, s[4:5]
	s_and_saveexec_b64 s[4:5], vcc
	s_xor_b64 s[40:41], exec, s[4:5]
	s_cbranch_execz .LBB340_30
.LBB340_41:
	v_mov_b32_e32 v2, v28
	v_mov_b32_e32 v3, v29
	s_getpc_b64 s[42:43]
	s_add_u32 s42, s42, _ZZZZN2at6native31launch_logcumsumexp_cuda_kernelERKNS_10TensorBaseES3_lENKUlvE_clEvENKUlvE2_clEvENKUlN3c107complexIfEES8_E_clES8_S8_@rel32@lo+4
	s_addc_u32 s43, s43, _ZZZZN2at6native31launch_logcumsumexp_cuda_kernelERKNS_10TensorBaseES3_lENKUlvE_clEvENKUlvE2_clEvENKUlN3c107complexIfEES8_E_clES8_S8_@rel32@hi+12
	s_swappc_b64 s[30:31], s[42:43]
	v_mov_b32_e32 v2, v30
	v_mov_b32_e32 v3, v31
	;; [unrolled: 1-line block ×4, first 2 shown]
	;;#ASMSTART
	;;#ASMEND
	s_swappc_b64 s[30:31], s[42:43]
	v_mov_b32_e32 v2, v36
	v_mov_b32_e32 v3, v37
	v_mov_b32_e32 v30, v0
	v_mov_b32_e32 v31, v1
	s_swappc_b64 s[30:31], s[42:43]
	v_mov_b32_e32 v2, v38
	v_mov_b32_e32 v3, v39
	v_mov_b32_e32 v44, v0
	v_mov_b32_e32 v45, v1
	;; [unrolled: 5-line block ×5, first 2 shown]
	s_swappc_b64 s[30:31], s[42:43]
	v_mov_b32_e32 v54, v0
	v_mov_b32_e32 v55, v1
                                        ; implicit-def: $vgpr56
                                        ; implicit-def: $vgpr57
	s_andn2_saveexec_b64 s[4:5], s[40:41]
	s_cbranch_execnz .LBB340_31
	s_branch .LBB340_32
.LBB340_42:
	ds_read_b64 v[14:15], v58
	s_waitcnt lgkmcnt(0)
	global_store_dwordx2 v[12:13], v[14:15], off
	s_or_b64 exec, exec, s[4:5]
	s_and_saveexec_b64 s[4:5], s[22:23]
	s_cbranch_execz .LBB340_34
.LBB340_43:
	s_waitcnt lgkmcnt(2)
	global_store_dwordx2 v[12:13], v[8:9], off offset:1024
	s_or_b64 exec, exec, s[4:5]
	s_and_saveexec_b64 s[4:5], s[24:25]
	s_cbranch_execz .LBB340_35
.LBB340_44:
	s_waitcnt lgkmcnt(2)
	global_store_dwordx2 v[12:13], v[10:11], off offset:2048
	s_or_b64 exec, exec, s[4:5]
	s_and_saveexec_b64 s[4:5], s[26:27]
	s_cbranch_execz .LBB340_36
.LBB340_45:
	s_waitcnt lgkmcnt(1)
	global_store_dwordx2 v[12:13], v[4:5], off offset:3072
	s_or_b64 exec, exec, s[4:5]
	s_and_saveexec_b64 s[4:5], s[28:29]
	s_cbranch_execz .LBB340_37
.LBB340_46:
	s_waitcnt lgkmcnt(1)
	v_add_co_u32_e32 v4, vcc, 0x1000, v12
	v_addc_co_u32_e32 v5, vcc, 0, v13, vcc
	global_store_dwordx2 v[4:5], v[6:7], off
	s_or_b64 exec, exec, s[4:5]
	s_and_saveexec_b64 s[4:5], s[34:35]
	s_cbranch_execz .LBB340_38
.LBB340_47:
	s_waitcnt lgkmcnt(1)
	v_add_co_u32_e32 v4, vcc, 0x1000, v12
	v_addc_co_u32_e32 v5, vcc, 0, v13, vcc
	s_waitcnt lgkmcnt(0)
	global_store_dwordx2 v[4:5], v[0:1], off offset:1024
	s_or_b64 exec, exec, s[4:5]
	s_and_saveexec_b64 s[4:5], s[36:37]
	s_cbranch_execz .LBB340_39
.LBB340_48:
	s_waitcnt lgkmcnt(0)
	v_add_co_u32_e32 v0, vcc, 0x1000, v12
	v_addc_co_u32_e32 v1, vcc, 0, v13, vcc
	global_store_dwordx2 v[0:1], v[2:3], off offset:2048
	s_endpgm
	.section	.rodata,"a",@progbits
	.p2align	6, 0x0
	.amdhsa_kernel _ZN7rocprim17ROCPRIM_400000_NS6detail17trampoline_kernelINS0_14default_configENS1_20scan_config_selectorIN3c107complexIfEEEEZZNS1_9scan_implILNS1_25lookback_scan_determinismE0ELb0ELb0ES3_PKS7_PS7_S7_ZZZN2at6native31launch_logcumsumexp_cuda_kernelERKNSE_10TensorBaseESI_lENKUlvE_clEvENKUlvE2_clEvEUlS7_S7_E_S7_EEDaPvRmT3_T4_T5_mT6_P12ihipStream_tbENKUlT_T0_E_clISt17integral_constantIbLb0EESY_IbLb1EEEEDaSU_SV_EUlSU_E0_NS1_11comp_targetILNS1_3genE4ELNS1_11target_archE910ELNS1_3gpuE8ELNS1_3repE0EEENS1_30default_config_static_selectorELNS0_4arch9wavefront6targetE1EEEvT1_
		.amdhsa_group_segment_fixed_size 7168
		.amdhsa_private_segment_fixed_size 0
		.amdhsa_kernarg_size 40
		.amdhsa_user_sgpr_count 8
		.amdhsa_user_sgpr_private_segment_buffer 1
		.amdhsa_user_sgpr_dispatch_ptr 0
		.amdhsa_user_sgpr_queue_ptr 0
		.amdhsa_user_sgpr_kernarg_segment_ptr 1
		.amdhsa_user_sgpr_dispatch_id 0
		.amdhsa_user_sgpr_flat_scratch_init 1
		.amdhsa_user_sgpr_kernarg_preload_length 0
		.amdhsa_user_sgpr_kernarg_preload_offset 0
		.amdhsa_user_sgpr_private_segment_size 0
		.amdhsa_uses_dynamic_stack 0
		.amdhsa_system_sgpr_private_segment_wavefront_offset 0
		.amdhsa_system_sgpr_workgroup_id_x 1
		.amdhsa_system_sgpr_workgroup_id_y 0
		.amdhsa_system_sgpr_workgroup_id_z 0
		.amdhsa_system_sgpr_workgroup_info 0
		.amdhsa_system_vgpr_workitem_id 0
		.amdhsa_next_free_vgpr 61
		.amdhsa_next_free_sgpr 44
		.amdhsa_accum_offset 64
		.amdhsa_reserve_vcc 1
		.amdhsa_reserve_flat_scratch 1
		.amdhsa_float_round_mode_32 0
		.amdhsa_float_round_mode_16_64 0
		.amdhsa_float_denorm_mode_32 3
		.amdhsa_float_denorm_mode_16_64 3
		.amdhsa_dx10_clamp 1
		.amdhsa_ieee_mode 1
		.amdhsa_fp16_overflow 0
		.amdhsa_tg_split 0
		.amdhsa_exception_fp_ieee_invalid_op 0
		.amdhsa_exception_fp_denorm_src 0
		.amdhsa_exception_fp_ieee_div_zero 0
		.amdhsa_exception_fp_ieee_overflow 0
		.amdhsa_exception_fp_ieee_underflow 0
		.amdhsa_exception_fp_ieee_inexact 0
		.amdhsa_exception_int_div_zero 0
	.end_amdhsa_kernel
	.section	.text._ZN7rocprim17ROCPRIM_400000_NS6detail17trampoline_kernelINS0_14default_configENS1_20scan_config_selectorIN3c107complexIfEEEEZZNS1_9scan_implILNS1_25lookback_scan_determinismE0ELb0ELb0ES3_PKS7_PS7_S7_ZZZN2at6native31launch_logcumsumexp_cuda_kernelERKNSE_10TensorBaseESI_lENKUlvE_clEvENKUlvE2_clEvEUlS7_S7_E_S7_EEDaPvRmT3_T4_T5_mT6_P12ihipStream_tbENKUlT_T0_E_clISt17integral_constantIbLb0EESY_IbLb1EEEEDaSU_SV_EUlSU_E0_NS1_11comp_targetILNS1_3genE4ELNS1_11target_archE910ELNS1_3gpuE8ELNS1_3repE0EEENS1_30default_config_static_selectorELNS0_4arch9wavefront6targetE1EEEvT1_,"axG",@progbits,_ZN7rocprim17ROCPRIM_400000_NS6detail17trampoline_kernelINS0_14default_configENS1_20scan_config_selectorIN3c107complexIfEEEEZZNS1_9scan_implILNS1_25lookback_scan_determinismE0ELb0ELb0ES3_PKS7_PS7_S7_ZZZN2at6native31launch_logcumsumexp_cuda_kernelERKNSE_10TensorBaseESI_lENKUlvE_clEvENKUlvE2_clEvEUlS7_S7_E_S7_EEDaPvRmT3_T4_T5_mT6_P12ihipStream_tbENKUlT_T0_E_clISt17integral_constantIbLb0EESY_IbLb1EEEEDaSU_SV_EUlSU_E0_NS1_11comp_targetILNS1_3genE4ELNS1_11target_archE910ELNS1_3gpuE8ELNS1_3repE0EEENS1_30default_config_static_selectorELNS0_4arch9wavefront6targetE1EEEvT1_,comdat
.Lfunc_end340:
	.size	_ZN7rocprim17ROCPRIM_400000_NS6detail17trampoline_kernelINS0_14default_configENS1_20scan_config_selectorIN3c107complexIfEEEEZZNS1_9scan_implILNS1_25lookback_scan_determinismE0ELb0ELb0ES3_PKS7_PS7_S7_ZZZN2at6native31launch_logcumsumexp_cuda_kernelERKNSE_10TensorBaseESI_lENKUlvE_clEvENKUlvE2_clEvEUlS7_S7_E_S7_EEDaPvRmT3_T4_T5_mT6_P12ihipStream_tbENKUlT_T0_E_clISt17integral_constantIbLb0EESY_IbLb1EEEEDaSU_SV_EUlSU_E0_NS1_11comp_targetILNS1_3genE4ELNS1_11target_archE910ELNS1_3gpuE8ELNS1_3repE0EEENS1_30default_config_static_selectorELNS0_4arch9wavefront6targetE1EEEvT1_, .Lfunc_end340-_ZN7rocprim17ROCPRIM_400000_NS6detail17trampoline_kernelINS0_14default_configENS1_20scan_config_selectorIN3c107complexIfEEEEZZNS1_9scan_implILNS1_25lookback_scan_determinismE0ELb0ELb0ES3_PKS7_PS7_S7_ZZZN2at6native31launch_logcumsumexp_cuda_kernelERKNSE_10TensorBaseESI_lENKUlvE_clEvENKUlvE2_clEvEUlS7_S7_E_S7_EEDaPvRmT3_T4_T5_mT6_P12ihipStream_tbENKUlT_T0_E_clISt17integral_constantIbLb0EESY_IbLb1EEEEDaSU_SV_EUlSU_E0_NS1_11comp_targetILNS1_3genE4ELNS1_11target_archE910ELNS1_3gpuE8ELNS1_3repE0EEENS1_30default_config_static_selectorELNS0_4arch9wavefront6targetE1EEEvT1_
                                        ; -- End function
	.section	.AMDGPU.csdata,"",@progbits
; Kernel info:
; codeLenInByte = 1888
; NumSgprs: 50
; NumVgprs: 61
; NumAgprs: 0
; TotalNumVgprs: 61
; ScratchSize: 0
; MemoryBound: 0
; FloatMode: 240
; IeeeMode: 1
; LDSByteSize: 7168 bytes/workgroup (compile time only)
; SGPRBlocks: 6
; VGPRBlocks: 7
; NumSGPRsForWavesPerEU: 50
; NumVGPRsForWavesPerEU: 61
; AccumOffset: 64
; Occupancy: 5
; WaveLimiterHint : 0
; COMPUTE_PGM_RSRC2:SCRATCH_EN: 0
; COMPUTE_PGM_RSRC2:USER_SGPR: 8
; COMPUTE_PGM_RSRC2:TRAP_HANDLER: 0
; COMPUTE_PGM_RSRC2:TGID_X_EN: 1
; COMPUTE_PGM_RSRC2:TGID_Y_EN: 0
; COMPUTE_PGM_RSRC2:TGID_Z_EN: 0
; COMPUTE_PGM_RSRC2:TIDIG_COMP_CNT: 0
; COMPUTE_PGM_RSRC3_GFX90A:ACCUM_OFFSET: 15
; COMPUTE_PGM_RSRC3_GFX90A:TG_SPLIT: 0
	.section	.text._ZN7rocprim17ROCPRIM_400000_NS6detail17trampoline_kernelINS0_14default_configENS1_20scan_config_selectorIN3c107complexIfEEEEZZNS1_9scan_implILNS1_25lookback_scan_determinismE0ELb0ELb0ES3_PKS7_PS7_S7_ZZZN2at6native31launch_logcumsumexp_cuda_kernelERKNSE_10TensorBaseESI_lENKUlvE_clEvENKUlvE2_clEvEUlS7_S7_E_S7_EEDaPvRmT3_T4_T5_mT6_P12ihipStream_tbENKUlT_T0_E_clISt17integral_constantIbLb0EESY_IbLb1EEEEDaSU_SV_EUlSU_E0_NS1_11comp_targetILNS1_3genE3ELNS1_11target_archE908ELNS1_3gpuE7ELNS1_3repE0EEENS1_30default_config_static_selectorELNS0_4arch9wavefront6targetE1EEEvT1_,"axG",@progbits,_ZN7rocprim17ROCPRIM_400000_NS6detail17trampoline_kernelINS0_14default_configENS1_20scan_config_selectorIN3c107complexIfEEEEZZNS1_9scan_implILNS1_25lookback_scan_determinismE0ELb0ELb0ES3_PKS7_PS7_S7_ZZZN2at6native31launch_logcumsumexp_cuda_kernelERKNSE_10TensorBaseESI_lENKUlvE_clEvENKUlvE2_clEvEUlS7_S7_E_S7_EEDaPvRmT3_T4_T5_mT6_P12ihipStream_tbENKUlT_T0_E_clISt17integral_constantIbLb0EESY_IbLb1EEEEDaSU_SV_EUlSU_E0_NS1_11comp_targetILNS1_3genE3ELNS1_11target_archE908ELNS1_3gpuE7ELNS1_3repE0EEENS1_30default_config_static_selectorELNS0_4arch9wavefront6targetE1EEEvT1_,comdat
	.globl	_ZN7rocprim17ROCPRIM_400000_NS6detail17trampoline_kernelINS0_14default_configENS1_20scan_config_selectorIN3c107complexIfEEEEZZNS1_9scan_implILNS1_25lookback_scan_determinismE0ELb0ELb0ES3_PKS7_PS7_S7_ZZZN2at6native31launch_logcumsumexp_cuda_kernelERKNSE_10TensorBaseESI_lENKUlvE_clEvENKUlvE2_clEvEUlS7_S7_E_S7_EEDaPvRmT3_T4_T5_mT6_P12ihipStream_tbENKUlT_T0_E_clISt17integral_constantIbLb0EESY_IbLb1EEEEDaSU_SV_EUlSU_E0_NS1_11comp_targetILNS1_3genE3ELNS1_11target_archE908ELNS1_3gpuE7ELNS1_3repE0EEENS1_30default_config_static_selectorELNS0_4arch9wavefront6targetE1EEEvT1_ ; -- Begin function _ZN7rocprim17ROCPRIM_400000_NS6detail17trampoline_kernelINS0_14default_configENS1_20scan_config_selectorIN3c107complexIfEEEEZZNS1_9scan_implILNS1_25lookback_scan_determinismE0ELb0ELb0ES3_PKS7_PS7_S7_ZZZN2at6native31launch_logcumsumexp_cuda_kernelERKNSE_10TensorBaseESI_lENKUlvE_clEvENKUlvE2_clEvEUlS7_S7_E_S7_EEDaPvRmT3_T4_T5_mT6_P12ihipStream_tbENKUlT_T0_E_clISt17integral_constantIbLb0EESY_IbLb1EEEEDaSU_SV_EUlSU_E0_NS1_11comp_targetILNS1_3genE3ELNS1_11target_archE908ELNS1_3gpuE7ELNS1_3repE0EEENS1_30default_config_static_selectorELNS0_4arch9wavefront6targetE1EEEvT1_
	.p2align	8
	.type	_ZN7rocprim17ROCPRIM_400000_NS6detail17trampoline_kernelINS0_14default_configENS1_20scan_config_selectorIN3c107complexIfEEEEZZNS1_9scan_implILNS1_25lookback_scan_determinismE0ELb0ELb0ES3_PKS7_PS7_S7_ZZZN2at6native31launch_logcumsumexp_cuda_kernelERKNSE_10TensorBaseESI_lENKUlvE_clEvENKUlvE2_clEvEUlS7_S7_E_S7_EEDaPvRmT3_T4_T5_mT6_P12ihipStream_tbENKUlT_T0_E_clISt17integral_constantIbLb0EESY_IbLb1EEEEDaSU_SV_EUlSU_E0_NS1_11comp_targetILNS1_3genE3ELNS1_11target_archE908ELNS1_3gpuE7ELNS1_3repE0EEENS1_30default_config_static_selectorELNS0_4arch9wavefront6targetE1EEEvT1_,@function
_ZN7rocprim17ROCPRIM_400000_NS6detail17trampoline_kernelINS0_14default_configENS1_20scan_config_selectorIN3c107complexIfEEEEZZNS1_9scan_implILNS1_25lookback_scan_determinismE0ELb0ELb0ES3_PKS7_PS7_S7_ZZZN2at6native31launch_logcumsumexp_cuda_kernelERKNSE_10TensorBaseESI_lENKUlvE_clEvENKUlvE2_clEvEUlS7_S7_E_S7_EEDaPvRmT3_T4_T5_mT6_P12ihipStream_tbENKUlT_T0_E_clISt17integral_constantIbLb0EESY_IbLb1EEEEDaSU_SV_EUlSU_E0_NS1_11comp_targetILNS1_3genE3ELNS1_11target_archE908ELNS1_3gpuE7ELNS1_3repE0EEENS1_30default_config_static_selectorELNS0_4arch9wavefront6targetE1EEEvT1_: ; @_ZN7rocprim17ROCPRIM_400000_NS6detail17trampoline_kernelINS0_14default_configENS1_20scan_config_selectorIN3c107complexIfEEEEZZNS1_9scan_implILNS1_25lookback_scan_determinismE0ELb0ELb0ES3_PKS7_PS7_S7_ZZZN2at6native31launch_logcumsumexp_cuda_kernelERKNSE_10TensorBaseESI_lENKUlvE_clEvENKUlvE2_clEvEUlS7_S7_E_S7_EEDaPvRmT3_T4_T5_mT6_P12ihipStream_tbENKUlT_T0_E_clISt17integral_constantIbLb0EESY_IbLb1EEEEDaSU_SV_EUlSU_E0_NS1_11comp_targetILNS1_3genE3ELNS1_11target_archE908ELNS1_3gpuE7ELNS1_3repE0EEENS1_30default_config_static_selectorELNS0_4arch9wavefront6targetE1EEEvT1_
; %bb.0:
	.section	.rodata,"a",@progbits
	.p2align	6, 0x0
	.amdhsa_kernel _ZN7rocprim17ROCPRIM_400000_NS6detail17trampoline_kernelINS0_14default_configENS1_20scan_config_selectorIN3c107complexIfEEEEZZNS1_9scan_implILNS1_25lookback_scan_determinismE0ELb0ELb0ES3_PKS7_PS7_S7_ZZZN2at6native31launch_logcumsumexp_cuda_kernelERKNSE_10TensorBaseESI_lENKUlvE_clEvENKUlvE2_clEvEUlS7_S7_E_S7_EEDaPvRmT3_T4_T5_mT6_P12ihipStream_tbENKUlT_T0_E_clISt17integral_constantIbLb0EESY_IbLb1EEEEDaSU_SV_EUlSU_E0_NS1_11comp_targetILNS1_3genE3ELNS1_11target_archE908ELNS1_3gpuE7ELNS1_3repE0EEENS1_30default_config_static_selectorELNS0_4arch9wavefront6targetE1EEEvT1_
		.amdhsa_group_segment_fixed_size 0
		.amdhsa_private_segment_fixed_size 0
		.amdhsa_kernarg_size 40
		.amdhsa_user_sgpr_count 6
		.amdhsa_user_sgpr_private_segment_buffer 1
		.amdhsa_user_sgpr_dispatch_ptr 0
		.amdhsa_user_sgpr_queue_ptr 0
		.amdhsa_user_sgpr_kernarg_segment_ptr 1
		.amdhsa_user_sgpr_dispatch_id 0
		.amdhsa_user_sgpr_flat_scratch_init 0
		.amdhsa_user_sgpr_kernarg_preload_length 0
		.amdhsa_user_sgpr_kernarg_preload_offset 0
		.amdhsa_user_sgpr_private_segment_size 0
		.amdhsa_uses_dynamic_stack 0
		.amdhsa_system_sgpr_private_segment_wavefront_offset 0
		.amdhsa_system_sgpr_workgroup_id_x 1
		.amdhsa_system_sgpr_workgroup_id_y 0
		.amdhsa_system_sgpr_workgroup_id_z 0
		.amdhsa_system_sgpr_workgroup_info 0
		.amdhsa_system_vgpr_workitem_id 0
		.amdhsa_next_free_vgpr 1
		.amdhsa_next_free_sgpr 0
		.amdhsa_accum_offset 4
		.amdhsa_reserve_vcc 0
		.amdhsa_reserve_flat_scratch 0
		.amdhsa_float_round_mode_32 0
		.amdhsa_float_round_mode_16_64 0
		.amdhsa_float_denorm_mode_32 3
		.amdhsa_float_denorm_mode_16_64 3
		.amdhsa_dx10_clamp 1
		.amdhsa_ieee_mode 1
		.amdhsa_fp16_overflow 0
		.amdhsa_tg_split 0
		.amdhsa_exception_fp_ieee_invalid_op 0
		.amdhsa_exception_fp_denorm_src 0
		.amdhsa_exception_fp_ieee_div_zero 0
		.amdhsa_exception_fp_ieee_overflow 0
		.amdhsa_exception_fp_ieee_underflow 0
		.amdhsa_exception_fp_ieee_inexact 0
		.amdhsa_exception_int_div_zero 0
	.end_amdhsa_kernel
	.section	.text._ZN7rocprim17ROCPRIM_400000_NS6detail17trampoline_kernelINS0_14default_configENS1_20scan_config_selectorIN3c107complexIfEEEEZZNS1_9scan_implILNS1_25lookback_scan_determinismE0ELb0ELb0ES3_PKS7_PS7_S7_ZZZN2at6native31launch_logcumsumexp_cuda_kernelERKNSE_10TensorBaseESI_lENKUlvE_clEvENKUlvE2_clEvEUlS7_S7_E_S7_EEDaPvRmT3_T4_T5_mT6_P12ihipStream_tbENKUlT_T0_E_clISt17integral_constantIbLb0EESY_IbLb1EEEEDaSU_SV_EUlSU_E0_NS1_11comp_targetILNS1_3genE3ELNS1_11target_archE908ELNS1_3gpuE7ELNS1_3repE0EEENS1_30default_config_static_selectorELNS0_4arch9wavefront6targetE1EEEvT1_,"axG",@progbits,_ZN7rocprim17ROCPRIM_400000_NS6detail17trampoline_kernelINS0_14default_configENS1_20scan_config_selectorIN3c107complexIfEEEEZZNS1_9scan_implILNS1_25lookback_scan_determinismE0ELb0ELb0ES3_PKS7_PS7_S7_ZZZN2at6native31launch_logcumsumexp_cuda_kernelERKNSE_10TensorBaseESI_lENKUlvE_clEvENKUlvE2_clEvEUlS7_S7_E_S7_EEDaPvRmT3_T4_T5_mT6_P12ihipStream_tbENKUlT_T0_E_clISt17integral_constantIbLb0EESY_IbLb1EEEEDaSU_SV_EUlSU_E0_NS1_11comp_targetILNS1_3genE3ELNS1_11target_archE908ELNS1_3gpuE7ELNS1_3repE0EEENS1_30default_config_static_selectorELNS0_4arch9wavefront6targetE1EEEvT1_,comdat
.Lfunc_end341:
	.size	_ZN7rocprim17ROCPRIM_400000_NS6detail17trampoline_kernelINS0_14default_configENS1_20scan_config_selectorIN3c107complexIfEEEEZZNS1_9scan_implILNS1_25lookback_scan_determinismE0ELb0ELb0ES3_PKS7_PS7_S7_ZZZN2at6native31launch_logcumsumexp_cuda_kernelERKNSE_10TensorBaseESI_lENKUlvE_clEvENKUlvE2_clEvEUlS7_S7_E_S7_EEDaPvRmT3_T4_T5_mT6_P12ihipStream_tbENKUlT_T0_E_clISt17integral_constantIbLb0EESY_IbLb1EEEEDaSU_SV_EUlSU_E0_NS1_11comp_targetILNS1_3genE3ELNS1_11target_archE908ELNS1_3gpuE7ELNS1_3repE0EEENS1_30default_config_static_selectorELNS0_4arch9wavefront6targetE1EEEvT1_, .Lfunc_end341-_ZN7rocprim17ROCPRIM_400000_NS6detail17trampoline_kernelINS0_14default_configENS1_20scan_config_selectorIN3c107complexIfEEEEZZNS1_9scan_implILNS1_25lookback_scan_determinismE0ELb0ELb0ES3_PKS7_PS7_S7_ZZZN2at6native31launch_logcumsumexp_cuda_kernelERKNSE_10TensorBaseESI_lENKUlvE_clEvENKUlvE2_clEvEUlS7_S7_E_S7_EEDaPvRmT3_T4_T5_mT6_P12ihipStream_tbENKUlT_T0_E_clISt17integral_constantIbLb0EESY_IbLb1EEEEDaSU_SV_EUlSU_E0_NS1_11comp_targetILNS1_3genE3ELNS1_11target_archE908ELNS1_3gpuE7ELNS1_3repE0EEENS1_30default_config_static_selectorELNS0_4arch9wavefront6targetE1EEEvT1_
                                        ; -- End function
	.section	.AMDGPU.csdata,"",@progbits
; Kernel info:
; codeLenInByte = 0
; NumSgprs: 4
; NumVgprs: 0
; NumAgprs: 0
; TotalNumVgprs: 0
; ScratchSize: 0
; MemoryBound: 0
; FloatMode: 240
; IeeeMode: 1
; LDSByteSize: 0 bytes/workgroup (compile time only)
; SGPRBlocks: 0
; VGPRBlocks: 0
; NumSGPRsForWavesPerEU: 4
; NumVGPRsForWavesPerEU: 1
; AccumOffset: 4
; Occupancy: 8
; WaveLimiterHint : 0
; COMPUTE_PGM_RSRC2:SCRATCH_EN: 0
; COMPUTE_PGM_RSRC2:USER_SGPR: 6
; COMPUTE_PGM_RSRC2:TRAP_HANDLER: 0
; COMPUTE_PGM_RSRC2:TGID_X_EN: 1
; COMPUTE_PGM_RSRC2:TGID_Y_EN: 0
; COMPUTE_PGM_RSRC2:TGID_Z_EN: 0
; COMPUTE_PGM_RSRC2:TIDIG_COMP_CNT: 0
; COMPUTE_PGM_RSRC3_GFX90A:ACCUM_OFFSET: 0
; COMPUTE_PGM_RSRC3_GFX90A:TG_SPLIT: 0
	.section	.text._ZN7rocprim17ROCPRIM_400000_NS6detail17trampoline_kernelINS0_14default_configENS1_20scan_config_selectorIN3c107complexIfEEEEZZNS1_9scan_implILNS1_25lookback_scan_determinismE0ELb0ELb0ES3_PKS7_PS7_S7_ZZZN2at6native31launch_logcumsumexp_cuda_kernelERKNSE_10TensorBaseESI_lENKUlvE_clEvENKUlvE2_clEvEUlS7_S7_E_S7_EEDaPvRmT3_T4_T5_mT6_P12ihipStream_tbENKUlT_T0_E_clISt17integral_constantIbLb0EESY_IbLb1EEEEDaSU_SV_EUlSU_E0_NS1_11comp_targetILNS1_3genE2ELNS1_11target_archE906ELNS1_3gpuE6ELNS1_3repE0EEENS1_30default_config_static_selectorELNS0_4arch9wavefront6targetE1EEEvT1_,"axG",@progbits,_ZN7rocprim17ROCPRIM_400000_NS6detail17trampoline_kernelINS0_14default_configENS1_20scan_config_selectorIN3c107complexIfEEEEZZNS1_9scan_implILNS1_25lookback_scan_determinismE0ELb0ELb0ES3_PKS7_PS7_S7_ZZZN2at6native31launch_logcumsumexp_cuda_kernelERKNSE_10TensorBaseESI_lENKUlvE_clEvENKUlvE2_clEvEUlS7_S7_E_S7_EEDaPvRmT3_T4_T5_mT6_P12ihipStream_tbENKUlT_T0_E_clISt17integral_constantIbLb0EESY_IbLb1EEEEDaSU_SV_EUlSU_E0_NS1_11comp_targetILNS1_3genE2ELNS1_11target_archE906ELNS1_3gpuE6ELNS1_3repE0EEENS1_30default_config_static_selectorELNS0_4arch9wavefront6targetE1EEEvT1_,comdat
	.globl	_ZN7rocprim17ROCPRIM_400000_NS6detail17trampoline_kernelINS0_14default_configENS1_20scan_config_selectorIN3c107complexIfEEEEZZNS1_9scan_implILNS1_25lookback_scan_determinismE0ELb0ELb0ES3_PKS7_PS7_S7_ZZZN2at6native31launch_logcumsumexp_cuda_kernelERKNSE_10TensorBaseESI_lENKUlvE_clEvENKUlvE2_clEvEUlS7_S7_E_S7_EEDaPvRmT3_T4_T5_mT6_P12ihipStream_tbENKUlT_T0_E_clISt17integral_constantIbLb0EESY_IbLb1EEEEDaSU_SV_EUlSU_E0_NS1_11comp_targetILNS1_3genE2ELNS1_11target_archE906ELNS1_3gpuE6ELNS1_3repE0EEENS1_30default_config_static_selectorELNS0_4arch9wavefront6targetE1EEEvT1_ ; -- Begin function _ZN7rocprim17ROCPRIM_400000_NS6detail17trampoline_kernelINS0_14default_configENS1_20scan_config_selectorIN3c107complexIfEEEEZZNS1_9scan_implILNS1_25lookback_scan_determinismE0ELb0ELb0ES3_PKS7_PS7_S7_ZZZN2at6native31launch_logcumsumexp_cuda_kernelERKNSE_10TensorBaseESI_lENKUlvE_clEvENKUlvE2_clEvEUlS7_S7_E_S7_EEDaPvRmT3_T4_T5_mT6_P12ihipStream_tbENKUlT_T0_E_clISt17integral_constantIbLb0EESY_IbLb1EEEEDaSU_SV_EUlSU_E0_NS1_11comp_targetILNS1_3genE2ELNS1_11target_archE906ELNS1_3gpuE6ELNS1_3repE0EEENS1_30default_config_static_selectorELNS0_4arch9wavefront6targetE1EEEvT1_
	.p2align	8
	.type	_ZN7rocprim17ROCPRIM_400000_NS6detail17trampoline_kernelINS0_14default_configENS1_20scan_config_selectorIN3c107complexIfEEEEZZNS1_9scan_implILNS1_25lookback_scan_determinismE0ELb0ELb0ES3_PKS7_PS7_S7_ZZZN2at6native31launch_logcumsumexp_cuda_kernelERKNSE_10TensorBaseESI_lENKUlvE_clEvENKUlvE2_clEvEUlS7_S7_E_S7_EEDaPvRmT3_T4_T5_mT6_P12ihipStream_tbENKUlT_T0_E_clISt17integral_constantIbLb0EESY_IbLb1EEEEDaSU_SV_EUlSU_E0_NS1_11comp_targetILNS1_3genE2ELNS1_11target_archE906ELNS1_3gpuE6ELNS1_3repE0EEENS1_30default_config_static_selectorELNS0_4arch9wavefront6targetE1EEEvT1_,@function
_ZN7rocprim17ROCPRIM_400000_NS6detail17trampoline_kernelINS0_14default_configENS1_20scan_config_selectorIN3c107complexIfEEEEZZNS1_9scan_implILNS1_25lookback_scan_determinismE0ELb0ELb0ES3_PKS7_PS7_S7_ZZZN2at6native31launch_logcumsumexp_cuda_kernelERKNSE_10TensorBaseESI_lENKUlvE_clEvENKUlvE2_clEvEUlS7_S7_E_S7_EEDaPvRmT3_T4_T5_mT6_P12ihipStream_tbENKUlT_T0_E_clISt17integral_constantIbLb0EESY_IbLb1EEEEDaSU_SV_EUlSU_E0_NS1_11comp_targetILNS1_3genE2ELNS1_11target_archE906ELNS1_3gpuE6ELNS1_3repE0EEENS1_30default_config_static_selectorELNS0_4arch9wavefront6targetE1EEEvT1_: ; @_ZN7rocprim17ROCPRIM_400000_NS6detail17trampoline_kernelINS0_14default_configENS1_20scan_config_selectorIN3c107complexIfEEEEZZNS1_9scan_implILNS1_25lookback_scan_determinismE0ELb0ELb0ES3_PKS7_PS7_S7_ZZZN2at6native31launch_logcumsumexp_cuda_kernelERKNSE_10TensorBaseESI_lENKUlvE_clEvENKUlvE2_clEvEUlS7_S7_E_S7_EEDaPvRmT3_T4_T5_mT6_P12ihipStream_tbENKUlT_T0_E_clISt17integral_constantIbLb0EESY_IbLb1EEEEDaSU_SV_EUlSU_E0_NS1_11comp_targetILNS1_3genE2ELNS1_11target_archE906ELNS1_3gpuE6ELNS1_3repE0EEENS1_30default_config_static_selectorELNS0_4arch9wavefront6targetE1EEEvT1_
; %bb.0:
	.section	.rodata,"a",@progbits
	.p2align	6, 0x0
	.amdhsa_kernel _ZN7rocprim17ROCPRIM_400000_NS6detail17trampoline_kernelINS0_14default_configENS1_20scan_config_selectorIN3c107complexIfEEEEZZNS1_9scan_implILNS1_25lookback_scan_determinismE0ELb0ELb0ES3_PKS7_PS7_S7_ZZZN2at6native31launch_logcumsumexp_cuda_kernelERKNSE_10TensorBaseESI_lENKUlvE_clEvENKUlvE2_clEvEUlS7_S7_E_S7_EEDaPvRmT3_T4_T5_mT6_P12ihipStream_tbENKUlT_T0_E_clISt17integral_constantIbLb0EESY_IbLb1EEEEDaSU_SV_EUlSU_E0_NS1_11comp_targetILNS1_3genE2ELNS1_11target_archE906ELNS1_3gpuE6ELNS1_3repE0EEENS1_30default_config_static_selectorELNS0_4arch9wavefront6targetE1EEEvT1_
		.amdhsa_group_segment_fixed_size 0
		.amdhsa_private_segment_fixed_size 0
		.amdhsa_kernarg_size 40
		.amdhsa_user_sgpr_count 6
		.amdhsa_user_sgpr_private_segment_buffer 1
		.amdhsa_user_sgpr_dispatch_ptr 0
		.amdhsa_user_sgpr_queue_ptr 0
		.amdhsa_user_sgpr_kernarg_segment_ptr 1
		.amdhsa_user_sgpr_dispatch_id 0
		.amdhsa_user_sgpr_flat_scratch_init 0
		.amdhsa_user_sgpr_kernarg_preload_length 0
		.amdhsa_user_sgpr_kernarg_preload_offset 0
		.amdhsa_user_sgpr_private_segment_size 0
		.amdhsa_uses_dynamic_stack 0
		.amdhsa_system_sgpr_private_segment_wavefront_offset 0
		.amdhsa_system_sgpr_workgroup_id_x 1
		.amdhsa_system_sgpr_workgroup_id_y 0
		.amdhsa_system_sgpr_workgroup_id_z 0
		.amdhsa_system_sgpr_workgroup_info 0
		.amdhsa_system_vgpr_workitem_id 0
		.amdhsa_next_free_vgpr 1
		.amdhsa_next_free_sgpr 0
		.amdhsa_accum_offset 4
		.amdhsa_reserve_vcc 0
		.amdhsa_reserve_flat_scratch 0
		.amdhsa_float_round_mode_32 0
		.amdhsa_float_round_mode_16_64 0
		.amdhsa_float_denorm_mode_32 3
		.amdhsa_float_denorm_mode_16_64 3
		.amdhsa_dx10_clamp 1
		.amdhsa_ieee_mode 1
		.amdhsa_fp16_overflow 0
		.amdhsa_tg_split 0
		.amdhsa_exception_fp_ieee_invalid_op 0
		.amdhsa_exception_fp_denorm_src 0
		.amdhsa_exception_fp_ieee_div_zero 0
		.amdhsa_exception_fp_ieee_overflow 0
		.amdhsa_exception_fp_ieee_underflow 0
		.amdhsa_exception_fp_ieee_inexact 0
		.amdhsa_exception_int_div_zero 0
	.end_amdhsa_kernel
	.section	.text._ZN7rocprim17ROCPRIM_400000_NS6detail17trampoline_kernelINS0_14default_configENS1_20scan_config_selectorIN3c107complexIfEEEEZZNS1_9scan_implILNS1_25lookback_scan_determinismE0ELb0ELb0ES3_PKS7_PS7_S7_ZZZN2at6native31launch_logcumsumexp_cuda_kernelERKNSE_10TensorBaseESI_lENKUlvE_clEvENKUlvE2_clEvEUlS7_S7_E_S7_EEDaPvRmT3_T4_T5_mT6_P12ihipStream_tbENKUlT_T0_E_clISt17integral_constantIbLb0EESY_IbLb1EEEEDaSU_SV_EUlSU_E0_NS1_11comp_targetILNS1_3genE2ELNS1_11target_archE906ELNS1_3gpuE6ELNS1_3repE0EEENS1_30default_config_static_selectorELNS0_4arch9wavefront6targetE1EEEvT1_,"axG",@progbits,_ZN7rocprim17ROCPRIM_400000_NS6detail17trampoline_kernelINS0_14default_configENS1_20scan_config_selectorIN3c107complexIfEEEEZZNS1_9scan_implILNS1_25lookback_scan_determinismE0ELb0ELb0ES3_PKS7_PS7_S7_ZZZN2at6native31launch_logcumsumexp_cuda_kernelERKNSE_10TensorBaseESI_lENKUlvE_clEvENKUlvE2_clEvEUlS7_S7_E_S7_EEDaPvRmT3_T4_T5_mT6_P12ihipStream_tbENKUlT_T0_E_clISt17integral_constantIbLb0EESY_IbLb1EEEEDaSU_SV_EUlSU_E0_NS1_11comp_targetILNS1_3genE2ELNS1_11target_archE906ELNS1_3gpuE6ELNS1_3repE0EEENS1_30default_config_static_selectorELNS0_4arch9wavefront6targetE1EEEvT1_,comdat
.Lfunc_end342:
	.size	_ZN7rocprim17ROCPRIM_400000_NS6detail17trampoline_kernelINS0_14default_configENS1_20scan_config_selectorIN3c107complexIfEEEEZZNS1_9scan_implILNS1_25lookback_scan_determinismE0ELb0ELb0ES3_PKS7_PS7_S7_ZZZN2at6native31launch_logcumsumexp_cuda_kernelERKNSE_10TensorBaseESI_lENKUlvE_clEvENKUlvE2_clEvEUlS7_S7_E_S7_EEDaPvRmT3_T4_T5_mT6_P12ihipStream_tbENKUlT_T0_E_clISt17integral_constantIbLb0EESY_IbLb1EEEEDaSU_SV_EUlSU_E0_NS1_11comp_targetILNS1_3genE2ELNS1_11target_archE906ELNS1_3gpuE6ELNS1_3repE0EEENS1_30default_config_static_selectorELNS0_4arch9wavefront6targetE1EEEvT1_, .Lfunc_end342-_ZN7rocprim17ROCPRIM_400000_NS6detail17trampoline_kernelINS0_14default_configENS1_20scan_config_selectorIN3c107complexIfEEEEZZNS1_9scan_implILNS1_25lookback_scan_determinismE0ELb0ELb0ES3_PKS7_PS7_S7_ZZZN2at6native31launch_logcumsumexp_cuda_kernelERKNSE_10TensorBaseESI_lENKUlvE_clEvENKUlvE2_clEvEUlS7_S7_E_S7_EEDaPvRmT3_T4_T5_mT6_P12ihipStream_tbENKUlT_T0_E_clISt17integral_constantIbLb0EESY_IbLb1EEEEDaSU_SV_EUlSU_E0_NS1_11comp_targetILNS1_3genE2ELNS1_11target_archE906ELNS1_3gpuE6ELNS1_3repE0EEENS1_30default_config_static_selectorELNS0_4arch9wavefront6targetE1EEEvT1_
                                        ; -- End function
	.section	.AMDGPU.csdata,"",@progbits
; Kernel info:
; codeLenInByte = 0
; NumSgprs: 4
; NumVgprs: 0
; NumAgprs: 0
; TotalNumVgprs: 0
; ScratchSize: 0
; MemoryBound: 0
; FloatMode: 240
; IeeeMode: 1
; LDSByteSize: 0 bytes/workgroup (compile time only)
; SGPRBlocks: 0
; VGPRBlocks: 0
; NumSGPRsForWavesPerEU: 4
; NumVGPRsForWavesPerEU: 1
; AccumOffset: 4
; Occupancy: 8
; WaveLimiterHint : 0
; COMPUTE_PGM_RSRC2:SCRATCH_EN: 0
; COMPUTE_PGM_RSRC2:USER_SGPR: 6
; COMPUTE_PGM_RSRC2:TRAP_HANDLER: 0
; COMPUTE_PGM_RSRC2:TGID_X_EN: 1
; COMPUTE_PGM_RSRC2:TGID_Y_EN: 0
; COMPUTE_PGM_RSRC2:TGID_Z_EN: 0
; COMPUTE_PGM_RSRC2:TIDIG_COMP_CNT: 0
; COMPUTE_PGM_RSRC3_GFX90A:ACCUM_OFFSET: 0
; COMPUTE_PGM_RSRC3_GFX90A:TG_SPLIT: 0
	.section	.text._ZN7rocprim17ROCPRIM_400000_NS6detail17trampoline_kernelINS0_14default_configENS1_20scan_config_selectorIN3c107complexIfEEEEZZNS1_9scan_implILNS1_25lookback_scan_determinismE0ELb0ELb0ES3_PKS7_PS7_S7_ZZZN2at6native31launch_logcumsumexp_cuda_kernelERKNSE_10TensorBaseESI_lENKUlvE_clEvENKUlvE2_clEvEUlS7_S7_E_S7_EEDaPvRmT3_T4_T5_mT6_P12ihipStream_tbENKUlT_T0_E_clISt17integral_constantIbLb0EESY_IbLb1EEEEDaSU_SV_EUlSU_E0_NS1_11comp_targetILNS1_3genE10ELNS1_11target_archE1201ELNS1_3gpuE5ELNS1_3repE0EEENS1_30default_config_static_selectorELNS0_4arch9wavefront6targetE1EEEvT1_,"axG",@progbits,_ZN7rocprim17ROCPRIM_400000_NS6detail17trampoline_kernelINS0_14default_configENS1_20scan_config_selectorIN3c107complexIfEEEEZZNS1_9scan_implILNS1_25lookback_scan_determinismE0ELb0ELb0ES3_PKS7_PS7_S7_ZZZN2at6native31launch_logcumsumexp_cuda_kernelERKNSE_10TensorBaseESI_lENKUlvE_clEvENKUlvE2_clEvEUlS7_S7_E_S7_EEDaPvRmT3_T4_T5_mT6_P12ihipStream_tbENKUlT_T0_E_clISt17integral_constantIbLb0EESY_IbLb1EEEEDaSU_SV_EUlSU_E0_NS1_11comp_targetILNS1_3genE10ELNS1_11target_archE1201ELNS1_3gpuE5ELNS1_3repE0EEENS1_30default_config_static_selectorELNS0_4arch9wavefront6targetE1EEEvT1_,comdat
	.globl	_ZN7rocprim17ROCPRIM_400000_NS6detail17trampoline_kernelINS0_14default_configENS1_20scan_config_selectorIN3c107complexIfEEEEZZNS1_9scan_implILNS1_25lookback_scan_determinismE0ELb0ELb0ES3_PKS7_PS7_S7_ZZZN2at6native31launch_logcumsumexp_cuda_kernelERKNSE_10TensorBaseESI_lENKUlvE_clEvENKUlvE2_clEvEUlS7_S7_E_S7_EEDaPvRmT3_T4_T5_mT6_P12ihipStream_tbENKUlT_T0_E_clISt17integral_constantIbLb0EESY_IbLb1EEEEDaSU_SV_EUlSU_E0_NS1_11comp_targetILNS1_3genE10ELNS1_11target_archE1201ELNS1_3gpuE5ELNS1_3repE0EEENS1_30default_config_static_selectorELNS0_4arch9wavefront6targetE1EEEvT1_ ; -- Begin function _ZN7rocprim17ROCPRIM_400000_NS6detail17trampoline_kernelINS0_14default_configENS1_20scan_config_selectorIN3c107complexIfEEEEZZNS1_9scan_implILNS1_25lookback_scan_determinismE0ELb0ELb0ES3_PKS7_PS7_S7_ZZZN2at6native31launch_logcumsumexp_cuda_kernelERKNSE_10TensorBaseESI_lENKUlvE_clEvENKUlvE2_clEvEUlS7_S7_E_S7_EEDaPvRmT3_T4_T5_mT6_P12ihipStream_tbENKUlT_T0_E_clISt17integral_constantIbLb0EESY_IbLb1EEEEDaSU_SV_EUlSU_E0_NS1_11comp_targetILNS1_3genE10ELNS1_11target_archE1201ELNS1_3gpuE5ELNS1_3repE0EEENS1_30default_config_static_selectorELNS0_4arch9wavefront6targetE1EEEvT1_
	.p2align	8
	.type	_ZN7rocprim17ROCPRIM_400000_NS6detail17trampoline_kernelINS0_14default_configENS1_20scan_config_selectorIN3c107complexIfEEEEZZNS1_9scan_implILNS1_25lookback_scan_determinismE0ELb0ELb0ES3_PKS7_PS7_S7_ZZZN2at6native31launch_logcumsumexp_cuda_kernelERKNSE_10TensorBaseESI_lENKUlvE_clEvENKUlvE2_clEvEUlS7_S7_E_S7_EEDaPvRmT3_T4_T5_mT6_P12ihipStream_tbENKUlT_T0_E_clISt17integral_constantIbLb0EESY_IbLb1EEEEDaSU_SV_EUlSU_E0_NS1_11comp_targetILNS1_3genE10ELNS1_11target_archE1201ELNS1_3gpuE5ELNS1_3repE0EEENS1_30default_config_static_selectorELNS0_4arch9wavefront6targetE1EEEvT1_,@function
_ZN7rocprim17ROCPRIM_400000_NS6detail17trampoline_kernelINS0_14default_configENS1_20scan_config_selectorIN3c107complexIfEEEEZZNS1_9scan_implILNS1_25lookback_scan_determinismE0ELb0ELb0ES3_PKS7_PS7_S7_ZZZN2at6native31launch_logcumsumexp_cuda_kernelERKNSE_10TensorBaseESI_lENKUlvE_clEvENKUlvE2_clEvEUlS7_S7_E_S7_EEDaPvRmT3_T4_T5_mT6_P12ihipStream_tbENKUlT_T0_E_clISt17integral_constantIbLb0EESY_IbLb1EEEEDaSU_SV_EUlSU_E0_NS1_11comp_targetILNS1_3genE10ELNS1_11target_archE1201ELNS1_3gpuE5ELNS1_3repE0EEENS1_30default_config_static_selectorELNS0_4arch9wavefront6targetE1EEEvT1_: ; @_ZN7rocprim17ROCPRIM_400000_NS6detail17trampoline_kernelINS0_14default_configENS1_20scan_config_selectorIN3c107complexIfEEEEZZNS1_9scan_implILNS1_25lookback_scan_determinismE0ELb0ELb0ES3_PKS7_PS7_S7_ZZZN2at6native31launch_logcumsumexp_cuda_kernelERKNSE_10TensorBaseESI_lENKUlvE_clEvENKUlvE2_clEvEUlS7_S7_E_S7_EEDaPvRmT3_T4_T5_mT6_P12ihipStream_tbENKUlT_T0_E_clISt17integral_constantIbLb0EESY_IbLb1EEEEDaSU_SV_EUlSU_E0_NS1_11comp_targetILNS1_3genE10ELNS1_11target_archE1201ELNS1_3gpuE5ELNS1_3repE0EEENS1_30default_config_static_selectorELNS0_4arch9wavefront6targetE1EEEvT1_
; %bb.0:
	.section	.rodata,"a",@progbits
	.p2align	6, 0x0
	.amdhsa_kernel _ZN7rocprim17ROCPRIM_400000_NS6detail17trampoline_kernelINS0_14default_configENS1_20scan_config_selectorIN3c107complexIfEEEEZZNS1_9scan_implILNS1_25lookback_scan_determinismE0ELb0ELb0ES3_PKS7_PS7_S7_ZZZN2at6native31launch_logcumsumexp_cuda_kernelERKNSE_10TensorBaseESI_lENKUlvE_clEvENKUlvE2_clEvEUlS7_S7_E_S7_EEDaPvRmT3_T4_T5_mT6_P12ihipStream_tbENKUlT_T0_E_clISt17integral_constantIbLb0EESY_IbLb1EEEEDaSU_SV_EUlSU_E0_NS1_11comp_targetILNS1_3genE10ELNS1_11target_archE1201ELNS1_3gpuE5ELNS1_3repE0EEENS1_30default_config_static_selectorELNS0_4arch9wavefront6targetE1EEEvT1_
		.amdhsa_group_segment_fixed_size 0
		.amdhsa_private_segment_fixed_size 0
		.amdhsa_kernarg_size 40
		.amdhsa_user_sgpr_count 6
		.amdhsa_user_sgpr_private_segment_buffer 1
		.amdhsa_user_sgpr_dispatch_ptr 0
		.amdhsa_user_sgpr_queue_ptr 0
		.amdhsa_user_sgpr_kernarg_segment_ptr 1
		.amdhsa_user_sgpr_dispatch_id 0
		.amdhsa_user_sgpr_flat_scratch_init 0
		.amdhsa_user_sgpr_kernarg_preload_length 0
		.amdhsa_user_sgpr_kernarg_preload_offset 0
		.amdhsa_user_sgpr_private_segment_size 0
		.amdhsa_uses_dynamic_stack 0
		.amdhsa_system_sgpr_private_segment_wavefront_offset 0
		.amdhsa_system_sgpr_workgroup_id_x 1
		.amdhsa_system_sgpr_workgroup_id_y 0
		.amdhsa_system_sgpr_workgroup_id_z 0
		.amdhsa_system_sgpr_workgroup_info 0
		.amdhsa_system_vgpr_workitem_id 0
		.amdhsa_next_free_vgpr 1
		.amdhsa_next_free_sgpr 0
		.amdhsa_accum_offset 4
		.amdhsa_reserve_vcc 0
		.amdhsa_reserve_flat_scratch 0
		.amdhsa_float_round_mode_32 0
		.amdhsa_float_round_mode_16_64 0
		.amdhsa_float_denorm_mode_32 3
		.amdhsa_float_denorm_mode_16_64 3
		.amdhsa_dx10_clamp 1
		.amdhsa_ieee_mode 1
		.amdhsa_fp16_overflow 0
		.amdhsa_tg_split 0
		.amdhsa_exception_fp_ieee_invalid_op 0
		.amdhsa_exception_fp_denorm_src 0
		.amdhsa_exception_fp_ieee_div_zero 0
		.amdhsa_exception_fp_ieee_overflow 0
		.amdhsa_exception_fp_ieee_underflow 0
		.amdhsa_exception_fp_ieee_inexact 0
		.amdhsa_exception_int_div_zero 0
	.end_amdhsa_kernel
	.section	.text._ZN7rocprim17ROCPRIM_400000_NS6detail17trampoline_kernelINS0_14default_configENS1_20scan_config_selectorIN3c107complexIfEEEEZZNS1_9scan_implILNS1_25lookback_scan_determinismE0ELb0ELb0ES3_PKS7_PS7_S7_ZZZN2at6native31launch_logcumsumexp_cuda_kernelERKNSE_10TensorBaseESI_lENKUlvE_clEvENKUlvE2_clEvEUlS7_S7_E_S7_EEDaPvRmT3_T4_T5_mT6_P12ihipStream_tbENKUlT_T0_E_clISt17integral_constantIbLb0EESY_IbLb1EEEEDaSU_SV_EUlSU_E0_NS1_11comp_targetILNS1_3genE10ELNS1_11target_archE1201ELNS1_3gpuE5ELNS1_3repE0EEENS1_30default_config_static_selectorELNS0_4arch9wavefront6targetE1EEEvT1_,"axG",@progbits,_ZN7rocprim17ROCPRIM_400000_NS6detail17trampoline_kernelINS0_14default_configENS1_20scan_config_selectorIN3c107complexIfEEEEZZNS1_9scan_implILNS1_25lookback_scan_determinismE0ELb0ELb0ES3_PKS7_PS7_S7_ZZZN2at6native31launch_logcumsumexp_cuda_kernelERKNSE_10TensorBaseESI_lENKUlvE_clEvENKUlvE2_clEvEUlS7_S7_E_S7_EEDaPvRmT3_T4_T5_mT6_P12ihipStream_tbENKUlT_T0_E_clISt17integral_constantIbLb0EESY_IbLb1EEEEDaSU_SV_EUlSU_E0_NS1_11comp_targetILNS1_3genE10ELNS1_11target_archE1201ELNS1_3gpuE5ELNS1_3repE0EEENS1_30default_config_static_selectorELNS0_4arch9wavefront6targetE1EEEvT1_,comdat
.Lfunc_end343:
	.size	_ZN7rocprim17ROCPRIM_400000_NS6detail17trampoline_kernelINS0_14default_configENS1_20scan_config_selectorIN3c107complexIfEEEEZZNS1_9scan_implILNS1_25lookback_scan_determinismE0ELb0ELb0ES3_PKS7_PS7_S7_ZZZN2at6native31launch_logcumsumexp_cuda_kernelERKNSE_10TensorBaseESI_lENKUlvE_clEvENKUlvE2_clEvEUlS7_S7_E_S7_EEDaPvRmT3_T4_T5_mT6_P12ihipStream_tbENKUlT_T0_E_clISt17integral_constantIbLb0EESY_IbLb1EEEEDaSU_SV_EUlSU_E0_NS1_11comp_targetILNS1_3genE10ELNS1_11target_archE1201ELNS1_3gpuE5ELNS1_3repE0EEENS1_30default_config_static_selectorELNS0_4arch9wavefront6targetE1EEEvT1_, .Lfunc_end343-_ZN7rocprim17ROCPRIM_400000_NS6detail17trampoline_kernelINS0_14default_configENS1_20scan_config_selectorIN3c107complexIfEEEEZZNS1_9scan_implILNS1_25lookback_scan_determinismE0ELb0ELb0ES3_PKS7_PS7_S7_ZZZN2at6native31launch_logcumsumexp_cuda_kernelERKNSE_10TensorBaseESI_lENKUlvE_clEvENKUlvE2_clEvEUlS7_S7_E_S7_EEDaPvRmT3_T4_T5_mT6_P12ihipStream_tbENKUlT_T0_E_clISt17integral_constantIbLb0EESY_IbLb1EEEEDaSU_SV_EUlSU_E0_NS1_11comp_targetILNS1_3genE10ELNS1_11target_archE1201ELNS1_3gpuE5ELNS1_3repE0EEENS1_30default_config_static_selectorELNS0_4arch9wavefront6targetE1EEEvT1_
                                        ; -- End function
	.section	.AMDGPU.csdata,"",@progbits
; Kernel info:
; codeLenInByte = 0
; NumSgprs: 4
; NumVgprs: 0
; NumAgprs: 0
; TotalNumVgprs: 0
; ScratchSize: 0
; MemoryBound: 0
; FloatMode: 240
; IeeeMode: 1
; LDSByteSize: 0 bytes/workgroup (compile time only)
; SGPRBlocks: 0
; VGPRBlocks: 0
; NumSGPRsForWavesPerEU: 4
; NumVGPRsForWavesPerEU: 1
; AccumOffset: 4
; Occupancy: 8
; WaveLimiterHint : 0
; COMPUTE_PGM_RSRC2:SCRATCH_EN: 0
; COMPUTE_PGM_RSRC2:USER_SGPR: 6
; COMPUTE_PGM_RSRC2:TRAP_HANDLER: 0
; COMPUTE_PGM_RSRC2:TGID_X_EN: 1
; COMPUTE_PGM_RSRC2:TGID_Y_EN: 0
; COMPUTE_PGM_RSRC2:TGID_Z_EN: 0
; COMPUTE_PGM_RSRC2:TIDIG_COMP_CNT: 0
; COMPUTE_PGM_RSRC3_GFX90A:ACCUM_OFFSET: 0
; COMPUTE_PGM_RSRC3_GFX90A:TG_SPLIT: 0
	.section	.text._ZN7rocprim17ROCPRIM_400000_NS6detail17trampoline_kernelINS0_14default_configENS1_20scan_config_selectorIN3c107complexIfEEEEZZNS1_9scan_implILNS1_25lookback_scan_determinismE0ELb0ELb0ES3_PKS7_PS7_S7_ZZZN2at6native31launch_logcumsumexp_cuda_kernelERKNSE_10TensorBaseESI_lENKUlvE_clEvENKUlvE2_clEvEUlS7_S7_E_S7_EEDaPvRmT3_T4_T5_mT6_P12ihipStream_tbENKUlT_T0_E_clISt17integral_constantIbLb0EESY_IbLb1EEEEDaSU_SV_EUlSU_E0_NS1_11comp_targetILNS1_3genE10ELNS1_11target_archE1200ELNS1_3gpuE4ELNS1_3repE0EEENS1_30default_config_static_selectorELNS0_4arch9wavefront6targetE1EEEvT1_,"axG",@progbits,_ZN7rocprim17ROCPRIM_400000_NS6detail17trampoline_kernelINS0_14default_configENS1_20scan_config_selectorIN3c107complexIfEEEEZZNS1_9scan_implILNS1_25lookback_scan_determinismE0ELb0ELb0ES3_PKS7_PS7_S7_ZZZN2at6native31launch_logcumsumexp_cuda_kernelERKNSE_10TensorBaseESI_lENKUlvE_clEvENKUlvE2_clEvEUlS7_S7_E_S7_EEDaPvRmT3_T4_T5_mT6_P12ihipStream_tbENKUlT_T0_E_clISt17integral_constantIbLb0EESY_IbLb1EEEEDaSU_SV_EUlSU_E0_NS1_11comp_targetILNS1_3genE10ELNS1_11target_archE1200ELNS1_3gpuE4ELNS1_3repE0EEENS1_30default_config_static_selectorELNS0_4arch9wavefront6targetE1EEEvT1_,comdat
	.globl	_ZN7rocprim17ROCPRIM_400000_NS6detail17trampoline_kernelINS0_14default_configENS1_20scan_config_selectorIN3c107complexIfEEEEZZNS1_9scan_implILNS1_25lookback_scan_determinismE0ELb0ELb0ES3_PKS7_PS7_S7_ZZZN2at6native31launch_logcumsumexp_cuda_kernelERKNSE_10TensorBaseESI_lENKUlvE_clEvENKUlvE2_clEvEUlS7_S7_E_S7_EEDaPvRmT3_T4_T5_mT6_P12ihipStream_tbENKUlT_T0_E_clISt17integral_constantIbLb0EESY_IbLb1EEEEDaSU_SV_EUlSU_E0_NS1_11comp_targetILNS1_3genE10ELNS1_11target_archE1200ELNS1_3gpuE4ELNS1_3repE0EEENS1_30default_config_static_selectorELNS0_4arch9wavefront6targetE1EEEvT1_ ; -- Begin function _ZN7rocprim17ROCPRIM_400000_NS6detail17trampoline_kernelINS0_14default_configENS1_20scan_config_selectorIN3c107complexIfEEEEZZNS1_9scan_implILNS1_25lookback_scan_determinismE0ELb0ELb0ES3_PKS7_PS7_S7_ZZZN2at6native31launch_logcumsumexp_cuda_kernelERKNSE_10TensorBaseESI_lENKUlvE_clEvENKUlvE2_clEvEUlS7_S7_E_S7_EEDaPvRmT3_T4_T5_mT6_P12ihipStream_tbENKUlT_T0_E_clISt17integral_constantIbLb0EESY_IbLb1EEEEDaSU_SV_EUlSU_E0_NS1_11comp_targetILNS1_3genE10ELNS1_11target_archE1200ELNS1_3gpuE4ELNS1_3repE0EEENS1_30default_config_static_selectorELNS0_4arch9wavefront6targetE1EEEvT1_
	.p2align	8
	.type	_ZN7rocprim17ROCPRIM_400000_NS6detail17trampoline_kernelINS0_14default_configENS1_20scan_config_selectorIN3c107complexIfEEEEZZNS1_9scan_implILNS1_25lookback_scan_determinismE0ELb0ELb0ES3_PKS7_PS7_S7_ZZZN2at6native31launch_logcumsumexp_cuda_kernelERKNSE_10TensorBaseESI_lENKUlvE_clEvENKUlvE2_clEvEUlS7_S7_E_S7_EEDaPvRmT3_T4_T5_mT6_P12ihipStream_tbENKUlT_T0_E_clISt17integral_constantIbLb0EESY_IbLb1EEEEDaSU_SV_EUlSU_E0_NS1_11comp_targetILNS1_3genE10ELNS1_11target_archE1200ELNS1_3gpuE4ELNS1_3repE0EEENS1_30default_config_static_selectorELNS0_4arch9wavefront6targetE1EEEvT1_,@function
_ZN7rocprim17ROCPRIM_400000_NS6detail17trampoline_kernelINS0_14default_configENS1_20scan_config_selectorIN3c107complexIfEEEEZZNS1_9scan_implILNS1_25lookback_scan_determinismE0ELb0ELb0ES3_PKS7_PS7_S7_ZZZN2at6native31launch_logcumsumexp_cuda_kernelERKNSE_10TensorBaseESI_lENKUlvE_clEvENKUlvE2_clEvEUlS7_S7_E_S7_EEDaPvRmT3_T4_T5_mT6_P12ihipStream_tbENKUlT_T0_E_clISt17integral_constantIbLb0EESY_IbLb1EEEEDaSU_SV_EUlSU_E0_NS1_11comp_targetILNS1_3genE10ELNS1_11target_archE1200ELNS1_3gpuE4ELNS1_3repE0EEENS1_30default_config_static_selectorELNS0_4arch9wavefront6targetE1EEEvT1_: ; @_ZN7rocprim17ROCPRIM_400000_NS6detail17trampoline_kernelINS0_14default_configENS1_20scan_config_selectorIN3c107complexIfEEEEZZNS1_9scan_implILNS1_25lookback_scan_determinismE0ELb0ELb0ES3_PKS7_PS7_S7_ZZZN2at6native31launch_logcumsumexp_cuda_kernelERKNSE_10TensorBaseESI_lENKUlvE_clEvENKUlvE2_clEvEUlS7_S7_E_S7_EEDaPvRmT3_T4_T5_mT6_P12ihipStream_tbENKUlT_T0_E_clISt17integral_constantIbLb0EESY_IbLb1EEEEDaSU_SV_EUlSU_E0_NS1_11comp_targetILNS1_3genE10ELNS1_11target_archE1200ELNS1_3gpuE4ELNS1_3repE0EEENS1_30default_config_static_selectorELNS0_4arch9wavefront6targetE1EEEvT1_
; %bb.0:
	.section	.rodata,"a",@progbits
	.p2align	6, 0x0
	.amdhsa_kernel _ZN7rocprim17ROCPRIM_400000_NS6detail17trampoline_kernelINS0_14default_configENS1_20scan_config_selectorIN3c107complexIfEEEEZZNS1_9scan_implILNS1_25lookback_scan_determinismE0ELb0ELb0ES3_PKS7_PS7_S7_ZZZN2at6native31launch_logcumsumexp_cuda_kernelERKNSE_10TensorBaseESI_lENKUlvE_clEvENKUlvE2_clEvEUlS7_S7_E_S7_EEDaPvRmT3_T4_T5_mT6_P12ihipStream_tbENKUlT_T0_E_clISt17integral_constantIbLb0EESY_IbLb1EEEEDaSU_SV_EUlSU_E0_NS1_11comp_targetILNS1_3genE10ELNS1_11target_archE1200ELNS1_3gpuE4ELNS1_3repE0EEENS1_30default_config_static_selectorELNS0_4arch9wavefront6targetE1EEEvT1_
		.amdhsa_group_segment_fixed_size 0
		.amdhsa_private_segment_fixed_size 0
		.amdhsa_kernarg_size 40
		.amdhsa_user_sgpr_count 6
		.amdhsa_user_sgpr_private_segment_buffer 1
		.amdhsa_user_sgpr_dispatch_ptr 0
		.amdhsa_user_sgpr_queue_ptr 0
		.amdhsa_user_sgpr_kernarg_segment_ptr 1
		.amdhsa_user_sgpr_dispatch_id 0
		.amdhsa_user_sgpr_flat_scratch_init 0
		.amdhsa_user_sgpr_kernarg_preload_length 0
		.amdhsa_user_sgpr_kernarg_preload_offset 0
		.amdhsa_user_sgpr_private_segment_size 0
		.amdhsa_uses_dynamic_stack 0
		.amdhsa_system_sgpr_private_segment_wavefront_offset 0
		.amdhsa_system_sgpr_workgroup_id_x 1
		.amdhsa_system_sgpr_workgroup_id_y 0
		.amdhsa_system_sgpr_workgroup_id_z 0
		.amdhsa_system_sgpr_workgroup_info 0
		.amdhsa_system_vgpr_workitem_id 0
		.amdhsa_next_free_vgpr 1
		.amdhsa_next_free_sgpr 0
		.amdhsa_accum_offset 4
		.amdhsa_reserve_vcc 0
		.amdhsa_reserve_flat_scratch 0
		.amdhsa_float_round_mode_32 0
		.amdhsa_float_round_mode_16_64 0
		.amdhsa_float_denorm_mode_32 3
		.amdhsa_float_denorm_mode_16_64 3
		.amdhsa_dx10_clamp 1
		.amdhsa_ieee_mode 1
		.amdhsa_fp16_overflow 0
		.amdhsa_tg_split 0
		.amdhsa_exception_fp_ieee_invalid_op 0
		.amdhsa_exception_fp_denorm_src 0
		.amdhsa_exception_fp_ieee_div_zero 0
		.amdhsa_exception_fp_ieee_overflow 0
		.amdhsa_exception_fp_ieee_underflow 0
		.amdhsa_exception_fp_ieee_inexact 0
		.amdhsa_exception_int_div_zero 0
	.end_amdhsa_kernel
	.section	.text._ZN7rocprim17ROCPRIM_400000_NS6detail17trampoline_kernelINS0_14default_configENS1_20scan_config_selectorIN3c107complexIfEEEEZZNS1_9scan_implILNS1_25lookback_scan_determinismE0ELb0ELb0ES3_PKS7_PS7_S7_ZZZN2at6native31launch_logcumsumexp_cuda_kernelERKNSE_10TensorBaseESI_lENKUlvE_clEvENKUlvE2_clEvEUlS7_S7_E_S7_EEDaPvRmT3_T4_T5_mT6_P12ihipStream_tbENKUlT_T0_E_clISt17integral_constantIbLb0EESY_IbLb1EEEEDaSU_SV_EUlSU_E0_NS1_11comp_targetILNS1_3genE10ELNS1_11target_archE1200ELNS1_3gpuE4ELNS1_3repE0EEENS1_30default_config_static_selectorELNS0_4arch9wavefront6targetE1EEEvT1_,"axG",@progbits,_ZN7rocprim17ROCPRIM_400000_NS6detail17trampoline_kernelINS0_14default_configENS1_20scan_config_selectorIN3c107complexIfEEEEZZNS1_9scan_implILNS1_25lookback_scan_determinismE0ELb0ELb0ES3_PKS7_PS7_S7_ZZZN2at6native31launch_logcumsumexp_cuda_kernelERKNSE_10TensorBaseESI_lENKUlvE_clEvENKUlvE2_clEvEUlS7_S7_E_S7_EEDaPvRmT3_T4_T5_mT6_P12ihipStream_tbENKUlT_T0_E_clISt17integral_constantIbLb0EESY_IbLb1EEEEDaSU_SV_EUlSU_E0_NS1_11comp_targetILNS1_3genE10ELNS1_11target_archE1200ELNS1_3gpuE4ELNS1_3repE0EEENS1_30default_config_static_selectorELNS0_4arch9wavefront6targetE1EEEvT1_,comdat
.Lfunc_end344:
	.size	_ZN7rocprim17ROCPRIM_400000_NS6detail17trampoline_kernelINS0_14default_configENS1_20scan_config_selectorIN3c107complexIfEEEEZZNS1_9scan_implILNS1_25lookback_scan_determinismE0ELb0ELb0ES3_PKS7_PS7_S7_ZZZN2at6native31launch_logcumsumexp_cuda_kernelERKNSE_10TensorBaseESI_lENKUlvE_clEvENKUlvE2_clEvEUlS7_S7_E_S7_EEDaPvRmT3_T4_T5_mT6_P12ihipStream_tbENKUlT_T0_E_clISt17integral_constantIbLb0EESY_IbLb1EEEEDaSU_SV_EUlSU_E0_NS1_11comp_targetILNS1_3genE10ELNS1_11target_archE1200ELNS1_3gpuE4ELNS1_3repE0EEENS1_30default_config_static_selectorELNS0_4arch9wavefront6targetE1EEEvT1_, .Lfunc_end344-_ZN7rocprim17ROCPRIM_400000_NS6detail17trampoline_kernelINS0_14default_configENS1_20scan_config_selectorIN3c107complexIfEEEEZZNS1_9scan_implILNS1_25lookback_scan_determinismE0ELb0ELb0ES3_PKS7_PS7_S7_ZZZN2at6native31launch_logcumsumexp_cuda_kernelERKNSE_10TensorBaseESI_lENKUlvE_clEvENKUlvE2_clEvEUlS7_S7_E_S7_EEDaPvRmT3_T4_T5_mT6_P12ihipStream_tbENKUlT_T0_E_clISt17integral_constantIbLb0EESY_IbLb1EEEEDaSU_SV_EUlSU_E0_NS1_11comp_targetILNS1_3genE10ELNS1_11target_archE1200ELNS1_3gpuE4ELNS1_3repE0EEENS1_30default_config_static_selectorELNS0_4arch9wavefront6targetE1EEEvT1_
                                        ; -- End function
	.section	.AMDGPU.csdata,"",@progbits
; Kernel info:
; codeLenInByte = 0
; NumSgprs: 4
; NumVgprs: 0
; NumAgprs: 0
; TotalNumVgprs: 0
; ScratchSize: 0
; MemoryBound: 0
; FloatMode: 240
; IeeeMode: 1
; LDSByteSize: 0 bytes/workgroup (compile time only)
; SGPRBlocks: 0
; VGPRBlocks: 0
; NumSGPRsForWavesPerEU: 4
; NumVGPRsForWavesPerEU: 1
; AccumOffset: 4
; Occupancy: 8
; WaveLimiterHint : 0
; COMPUTE_PGM_RSRC2:SCRATCH_EN: 0
; COMPUTE_PGM_RSRC2:USER_SGPR: 6
; COMPUTE_PGM_RSRC2:TRAP_HANDLER: 0
; COMPUTE_PGM_RSRC2:TGID_X_EN: 1
; COMPUTE_PGM_RSRC2:TGID_Y_EN: 0
; COMPUTE_PGM_RSRC2:TGID_Z_EN: 0
; COMPUTE_PGM_RSRC2:TIDIG_COMP_CNT: 0
; COMPUTE_PGM_RSRC3_GFX90A:ACCUM_OFFSET: 0
; COMPUTE_PGM_RSRC3_GFX90A:TG_SPLIT: 0
	.section	.text._ZN7rocprim17ROCPRIM_400000_NS6detail17trampoline_kernelINS0_14default_configENS1_20scan_config_selectorIN3c107complexIfEEEEZZNS1_9scan_implILNS1_25lookback_scan_determinismE0ELb0ELb0ES3_PKS7_PS7_S7_ZZZN2at6native31launch_logcumsumexp_cuda_kernelERKNSE_10TensorBaseESI_lENKUlvE_clEvENKUlvE2_clEvEUlS7_S7_E_S7_EEDaPvRmT3_T4_T5_mT6_P12ihipStream_tbENKUlT_T0_E_clISt17integral_constantIbLb0EESY_IbLb1EEEEDaSU_SV_EUlSU_E0_NS1_11comp_targetILNS1_3genE9ELNS1_11target_archE1100ELNS1_3gpuE3ELNS1_3repE0EEENS1_30default_config_static_selectorELNS0_4arch9wavefront6targetE1EEEvT1_,"axG",@progbits,_ZN7rocprim17ROCPRIM_400000_NS6detail17trampoline_kernelINS0_14default_configENS1_20scan_config_selectorIN3c107complexIfEEEEZZNS1_9scan_implILNS1_25lookback_scan_determinismE0ELb0ELb0ES3_PKS7_PS7_S7_ZZZN2at6native31launch_logcumsumexp_cuda_kernelERKNSE_10TensorBaseESI_lENKUlvE_clEvENKUlvE2_clEvEUlS7_S7_E_S7_EEDaPvRmT3_T4_T5_mT6_P12ihipStream_tbENKUlT_T0_E_clISt17integral_constantIbLb0EESY_IbLb1EEEEDaSU_SV_EUlSU_E0_NS1_11comp_targetILNS1_3genE9ELNS1_11target_archE1100ELNS1_3gpuE3ELNS1_3repE0EEENS1_30default_config_static_selectorELNS0_4arch9wavefront6targetE1EEEvT1_,comdat
	.globl	_ZN7rocprim17ROCPRIM_400000_NS6detail17trampoline_kernelINS0_14default_configENS1_20scan_config_selectorIN3c107complexIfEEEEZZNS1_9scan_implILNS1_25lookback_scan_determinismE0ELb0ELb0ES3_PKS7_PS7_S7_ZZZN2at6native31launch_logcumsumexp_cuda_kernelERKNSE_10TensorBaseESI_lENKUlvE_clEvENKUlvE2_clEvEUlS7_S7_E_S7_EEDaPvRmT3_T4_T5_mT6_P12ihipStream_tbENKUlT_T0_E_clISt17integral_constantIbLb0EESY_IbLb1EEEEDaSU_SV_EUlSU_E0_NS1_11comp_targetILNS1_3genE9ELNS1_11target_archE1100ELNS1_3gpuE3ELNS1_3repE0EEENS1_30default_config_static_selectorELNS0_4arch9wavefront6targetE1EEEvT1_ ; -- Begin function _ZN7rocprim17ROCPRIM_400000_NS6detail17trampoline_kernelINS0_14default_configENS1_20scan_config_selectorIN3c107complexIfEEEEZZNS1_9scan_implILNS1_25lookback_scan_determinismE0ELb0ELb0ES3_PKS7_PS7_S7_ZZZN2at6native31launch_logcumsumexp_cuda_kernelERKNSE_10TensorBaseESI_lENKUlvE_clEvENKUlvE2_clEvEUlS7_S7_E_S7_EEDaPvRmT3_T4_T5_mT6_P12ihipStream_tbENKUlT_T0_E_clISt17integral_constantIbLb0EESY_IbLb1EEEEDaSU_SV_EUlSU_E0_NS1_11comp_targetILNS1_3genE9ELNS1_11target_archE1100ELNS1_3gpuE3ELNS1_3repE0EEENS1_30default_config_static_selectorELNS0_4arch9wavefront6targetE1EEEvT1_
	.p2align	8
	.type	_ZN7rocprim17ROCPRIM_400000_NS6detail17trampoline_kernelINS0_14default_configENS1_20scan_config_selectorIN3c107complexIfEEEEZZNS1_9scan_implILNS1_25lookback_scan_determinismE0ELb0ELb0ES3_PKS7_PS7_S7_ZZZN2at6native31launch_logcumsumexp_cuda_kernelERKNSE_10TensorBaseESI_lENKUlvE_clEvENKUlvE2_clEvEUlS7_S7_E_S7_EEDaPvRmT3_T4_T5_mT6_P12ihipStream_tbENKUlT_T0_E_clISt17integral_constantIbLb0EESY_IbLb1EEEEDaSU_SV_EUlSU_E0_NS1_11comp_targetILNS1_3genE9ELNS1_11target_archE1100ELNS1_3gpuE3ELNS1_3repE0EEENS1_30default_config_static_selectorELNS0_4arch9wavefront6targetE1EEEvT1_,@function
_ZN7rocprim17ROCPRIM_400000_NS6detail17trampoline_kernelINS0_14default_configENS1_20scan_config_selectorIN3c107complexIfEEEEZZNS1_9scan_implILNS1_25lookback_scan_determinismE0ELb0ELb0ES3_PKS7_PS7_S7_ZZZN2at6native31launch_logcumsumexp_cuda_kernelERKNSE_10TensorBaseESI_lENKUlvE_clEvENKUlvE2_clEvEUlS7_S7_E_S7_EEDaPvRmT3_T4_T5_mT6_P12ihipStream_tbENKUlT_T0_E_clISt17integral_constantIbLb0EESY_IbLb1EEEEDaSU_SV_EUlSU_E0_NS1_11comp_targetILNS1_3genE9ELNS1_11target_archE1100ELNS1_3gpuE3ELNS1_3repE0EEENS1_30default_config_static_selectorELNS0_4arch9wavefront6targetE1EEEvT1_: ; @_ZN7rocprim17ROCPRIM_400000_NS6detail17trampoline_kernelINS0_14default_configENS1_20scan_config_selectorIN3c107complexIfEEEEZZNS1_9scan_implILNS1_25lookback_scan_determinismE0ELb0ELb0ES3_PKS7_PS7_S7_ZZZN2at6native31launch_logcumsumexp_cuda_kernelERKNSE_10TensorBaseESI_lENKUlvE_clEvENKUlvE2_clEvEUlS7_S7_E_S7_EEDaPvRmT3_T4_T5_mT6_P12ihipStream_tbENKUlT_T0_E_clISt17integral_constantIbLb0EESY_IbLb1EEEEDaSU_SV_EUlSU_E0_NS1_11comp_targetILNS1_3genE9ELNS1_11target_archE1100ELNS1_3gpuE3ELNS1_3repE0EEENS1_30default_config_static_selectorELNS0_4arch9wavefront6targetE1EEEvT1_
; %bb.0:
	.section	.rodata,"a",@progbits
	.p2align	6, 0x0
	.amdhsa_kernel _ZN7rocprim17ROCPRIM_400000_NS6detail17trampoline_kernelINS0_14default_configENS1_20scan_config_selectorIN3c107complexIfEEEEZZNS1_9scan_implILNS1_25lookback_scan_determinismE0ELb0ELb0ES3_PKS7_PS7_S7_ZZZN2at6native31launch_logcumsumexp_cuda_kernelERKNSE_10TensorBaseESI_lENKUlvE_clEvENKUlvE2_clEvEUlS7_S7_E_S7_EEDaPvRmT3_T4_T5_mT6_P12ihipStream_tbENKUlT_T0_E_clISt17integral_constantIbLb0EESY_IbLb1EEEEDaSU_SV_EUlSU_E0_NS1_11comp_targetILNS1_3genE9ELNS1_11target_archE1100ELNS1_3gpuE3ELNS1_3repE0EEENS1_30default_config_static_selectorELNS0_4arch9wavefront6targetE1EEEvT1_
		.amdhsa_group_segment_fixed_size 0
		.amdhsa_private_segment_fixed_size 0
		.amdhsa_kernarg_size 40
		.amdhsa_user_sgpr_count 6
		.amdhsa_user_sgpr_private_segment_buffer 1
		.amdhsa_user_sgpr_dispatch_ptr 0
		.amdhsa_user_sgpr_queue_ptr 0
		.amdhsa_user_sgpr_kernarg_segment_ptr 1
		.amdhsa_user_sgpr_dispatch_id 0
		.amdhsa_user_sgpr_flat_scratch_init 0
		.amdhsa_user_sgpr_kernarg_preload_length 0
		.amdhsa_user_sgpr_kernarg_preload_offset 0
		.amdhsa_user_sgpr_private_segment_size 0
		.amdhsa_uses_dynamic_stack 0
		.amdhsa_system_sgpr_private_segment_wavefront_offset 0
		.amdhsa_system_sgpr_workgroup_id_x 1
		.amdhsa_system_sgpr_workgroup_id_y 0
		.amdhsa_system_sgpr_workgroup_id_z 0
		.amdhsa_system_sgpr_workgroup_info 0
		.amdhsa_system_vgpr_workitem_id 0
		.amdhsa_next_free_vgpr 1
		.amdhsa_next_free_sgpr 0
		.amdhsa_accum_offset 4
		.amdhsa_reserve_vcc 0
		.amdhsa_reserve_flat_scratch 0
		.amdhsa_float_round_mode_32 0
		.amdhsa_float_round_mode_16_64 0
		.amdhsa_float_denorm_mode_32 3
		.amdhsa_float_denorm_mode_16_64 3
		.amdhsa_dx10_clamp 1
		.amdhsa_ieee_mode 1
		.amdhsa_fp16_overflow 0
		.amdhsa_tg_split 0
		.amdhsa_exception_fp_ieee_invalid_op 0
		.amdhsa_exception_fp_denorm_src 0
		.amdhsa_exception_fp_ieee_div_zero 0
		.amdhsa_exception_fp_ieee_overflow 0
		.amdhsa_exception_fp_ieee_underflow 0
		.amdhsa_exception_fp_ieee_inexact 0
		.amdhsa_exception_int_div_zero 0
	.end_amdhsa_kernel
	.section	.text._ZN7rocprim17ROCPRIM_400000_NS6detail17trampoline_kernelINS0_14default_configENS1_20scan_config_selectorIN3c107complexIfEEEEZZNS1_9scan_implILNS1_25lookback_scan_determinismE0ELb0ELb0ES3_PKS7_PS7_S7_ZZZN2at6native31launch_logcumsumexp_cuda_kernelERKNSE_10TensorBaseESI_lENKUlvE_clEvENKUlvE2_clEvEUlS7_S7_E_S7_EEDaPvRmT3_T4_T5_mT6_P12ihipStream_tbENKUlT_T0_E_clISt17integral_constantIbLb0EESY_IbLb1EEEEDaSU_SV_EUlSU_E0_NS1_11comp_targetILNS1_3genE9ELNS1_11target_archE1100ELNS1_3gpuE3ELNS1_3repE0EEENS1_30default_config_static_selectorELNS0_4arch9wavefront6targetE1EEEvT1_,"axG",@progbits,_ZN7rocprim17ROCPRIM_400000_NS6detail17trampoline_kernelINS0_14default_configENS1_20scan_config_selectorIN3c107complexIfEEEEZZNS1_9scan_implILNS1_25lookback_scan_determinismE0ELb0ELb0ES3_PKS7_PS7_S7_ZZZN2at6native31launch_logcumsumexp_cuda_kernelERKNSE_10TensorBaseESI_lENKUlvE_clEvENKUlvE2_clEvEUlS7_S7_E_S7_EEDaPvRmT3_T4_T5_mT6_P12ihipStream_tbENKUlT_T0_E_clISt17integral_constantIbLb0EESY_IbLb1EEEEDaSU_SV_EUlSU_E0_NS1_11comp_targetILNS1_3genE9ELNS1_11target_archE1100ELNS1_3gpuE3ELNS1_3repE0EEENS1_30default_config_static_selectorELNS0_4arch9wavefront6targetE1EEEvT1_,comdat
.Lfunc_end345:
	.size	_ZN7rocprim17ROCPRIM_400000_NS6detail17trampoline_kernelINS0_14default_configENS1_20scan_config_selectorIN3c107complexIfEEEEZZNS1_9scan_implILNS1_25lookback_scan_determinismE0ELb0ELb0ES3_PKS7_PS7_S7_ZZZN2at6native31launch_logcumsumexp_cuda_kernelERKNSE_10TensorBaseESI_lENKUlvE_clEvENKUlvE2_clEvEUlS7_S7_E_S7_EEDaPvRmT3_T4_T5_mT6_P12ihipStream_tbENKUlT_T0_E_clISt17integral_constantIbLb0EESY_IbLb1EEEEDaSU_SV_EUlSU_E0_NS1_11comp_targetILNS1_3genE9ELNS1_11target_archE1100ELNS1_3gpuE3ELNS1_3repE0EEENS1_30default_config_static_selectorELNS0_4arch9wavefront6targetE1EEEvT1_, .Lfunc_end345-_ZN7rocprim17ROCPRIM_400000_NS6detail17trampoline_kernelINS0_14default_configENS1_20scan_config_selectorIN3c107complexIfEEEEZZNS1_9scan_implILNS1_25lookback_scan_determinismE0ELb0ELb0ES3_PKS7_PS7_S7_ZZZN2at6native31launch_logcumsumexp_cuda_kernelERKNSE_10TensorBaseESI_lENKUlvE_clEvENKUlvE2_clEvEUlS7_S7_E_S7_EEDaPvRmT3_T4_T5_mT6_P12ihipStream_tbENKUlT_T0_E_clISt17integral_constantIbLb0EESY_IbLb1EEEEDaSU_SV_EUlSU_E0_NS1_11comp_targetILNS1_3genE9ELNS1_11target_archE1100ELNS1_3gpuE3ELNS1_3repE0EEENS1_30default_config_static_selectorELNS0_4arch9wavefront6targetE1EEEvT1_
                                        ; -- End function
	.section	.AMDGPU.csdata,"",@progbits
; Kernel info:
; codeLenInByte = 0
; NumSgprs: 4
; NumVgprs: 0
; NumAgprs: 0
; TotalNumVgprs: 0
; ScratchSize: 0
; MemoryBound: 0
; FloatMode: 240
; IeeeMode: 1
; LDSByteSize: 0 bytes/workgroup (compile time only)
; SGPRBlocks: 0
; VGPRBlocks: 0
; NumSGPRsForWavesPerEU: 4
; NumVGPRsForWavesPerEU: 1
; AccumOffset: 4
; Occupancy: 8
; WaveLimiterHint : 0
; COMPUTE_PGM_RSRC2:SCRATCH_EN: 0
; COMPUTE_PGM_RSRC2:USER_SGPR: 6
; COMPUTE_PGM_RSRC2:TRAP_HANDLER: 0
; COMPUTE_PGM_RSRC2:TGID_X_EN: 1
; COMPUTE_PGM_RSRC2:TGID_Y_EN: 0
; COMPUTE_PGM_RSRC2:TGID_Z_EN: 0
; COMPUTE_PGM_RSRC2:TIDIG_COMP_CNT: 0
; COMPUTE_PGM_RSRC3_GFX90A:ACCUM_OFFSET: 0
; COMPUTE_PGM_RSRC3_GFX90A:TG_SPLIT: 0
	.section	.text._ZN7rocprim17ROCPRIM_400000_NS6detail17trampoline_kernelINS0_14default_configENS1_20scan_config_selectorIN3c107complexIfEEEEZZNS1_9scan_implILNS1_25lookback_scan_determinismE0ELb0ELb0ES3_PKS7_PS7_S7_ZZZN2at6native31launch_logcumsumexp_cuda_kernelERKNSE_10TensorBaseESI_lENKUlvE_clEvENKUlvE2_clEvEUlS7_S7_E_S7_EEDaPvRmT3_T4_T5_mT6_P12ihipStream_tbENKUlT_T0_E_clISt17integral_constantIbLb0EESY_IbLb1EEEEDaSU_SV_EUlSU_E0_NS1_11comp_targetILNS1_3genE8ELNS1_11target_archE1030ELNS1_3gpuE2ELNS1_3repE0EEENS1_30default_config_static_selectorELNS0_4arch9wavefront6targetE1EEEvT1_,"axG",@progbits,_ZN7rocprim17ROCPRIM_400000_NS6detail17trampoline_kernelINS0_14default_configENS1_20scan_config_selectorIN3c107complexIfEEEEZZNS1_9scan_implILNS1_25lookback_scan_determinismE0ELb0ELb0ES3_PKS7_PS7_S7_ZZZN2at6native31launch_logcumsumexp_cuda_kernelERKNSE_10TensorBaseESI_lENKUlvE_clEvENKUlvE2_clEvEUlS7_S7_E_S7_EEDaPvRmT3_T4_T5_mT6_P12ihipStream_tbENKUlT_T0_E_clISt17integral_constantIbLb0EESY_IbLb1EEEEDaSU_SV_EUlSU_E0_NS1_11comp_targetILNS1_3genE8ELNS1_11target_archE1030ELNS1_3gpuE2ELNS1_3repE0EEENS1_30default_config_static_selectorELNS0_4arch9wavefront6targetE1EEEvT1_,comdat
	.globl	_ZN7rocprim17ROCPRIM_400000_NS6detail17trampoline_kernelINS0_14default_configENS1_20scan_config_selectorIN3c107complexIfEEEEZZNS1_9scan_implILNS1_25lookback_scan_determinismE0ELb0ELb0ES3_PKS7_PS7_S7_ZZZN2at6native31launch_logcumsumexp_cuda_kernelERKNSE_10TensorBaseESI_lENKUlvE_clEvENKUlvE2_clEvEUlS7_S7_E_S7_EEDaPvRmT3_T4_T5_mT6_P12ihipStream_tbENKUlT_T0_E_clISt17integral_constantIbLb0EESY_IbLb1EEEEDaSU_SV_EUlSU_E0_NS1_11comp_targetILNS1_3genE8ELNS1_11target_archE1030ELNS1_3gpuE2ELNS1_3repE0EEENS1_30default_config_static_selectorELNS0_4arch9wavefront6targetE1EEEvT1_ ; -- Begin function _ZN7rocprim17ROCPRIM_400000_NS6detail17trampoline_kernelINS0_14default_configENS1_20scan_config_selectorIN3c107complexIfEEEEZZNS1_9scan_implILNS1_25lookback_scan_determinismE0ELb0ELb0ES3_PKS7_PS7_S7_ZZZN2at6native31launch_logcumsumexp_cuda_kernelERKNSE_10TensorBaseESI_lENKUlvE_clEvENKUlvE2_clEvEUlS7_S7_E_S7_EEDaPvRmT3_T4_T5_mT6_P12ihipStream_tbENKUlT_T0_E_clISt17integral_constantIbLb0EESY_IbLb1EEEEDaSU_SV_EUlSU_E0_NS1_11comp_targetILNS1_3genE8ELNS1_11target_archE1030ELNS1_3gpuE2ELNS1_3repE0EEENS1_30default_config_static_selectorELNS0_4arch9wavefront6targetE1EEEvT1_
	.p2align	8
	.type	_ZN7rocprim17ROCPRIM_400000_NS6detail17trampoline_kernelINS0_14default_configENS1_20scan_config_selectorIN3c107complexIfEEEEZZNS1_9scan_implILNS1_25lookback_scan_determinismE0ELb0ELb0ES3_PKS7_PS7_S7_ZZZN2at6native31launch_logcumsumexp_cuda_kernelERKNSE_10TensorBaseESI_lENKUlvE_clEvENKUlvE2_clEvEUlS7_S7_E_S7_EEDaPvRmT3_T4_T5_mT6_P12ihipStream_tbENKUlT_T0_E_clISt17integral_constantIbLb0EESY_IbLb1EEEEDaSU_SV_EUlSU_E0_NS1_11comp_targetILNS1_3genE8ELNS1_11target_archE1030ELNS1_3gpuE2ELNS1_3repE0EEENS1_30default_config_static_selectorELNS0_4arch9wavefront6targetE1EEEvT1_,@function
_ZN7rocprim17ROCPRIM_400000_NS6detail17trampoline_kernelINS0_14default_configENS1_20scan_config_selectorIN3c107complexIfEEEEZZNS1_9scan_implILNS1_25lookback_scan_determinismE0ELb0ELb0ES3_PKS7_PS7_S7_ZZZN2at6native31launch_logcumsumexp_cuda_kernelERKNSE_10TensorBaseESI_lENKUlvE_clEvENKUlvE2_clEvEUlS7_S7_E_S7_EEDaPvRmT3_T4_T5_mT6_P12ihipStream_tbENKUlT_T0_E_clISt17integral_constantIbLb0EESY_IbLb1EEEEDaSU_SV_EUlSU_E0_NS1_11comp_targetILNS1_3genE8ELNS1_11target_archE1030ELNS1_3gpuE2ELNS1_3repE0EEENS1_30default_config_static_selectorELNS0_4arch9wavefront6targetE1EEEvT1_: ; @_ZN7rocprim17ROCPRIM_400000_NS6detail17trampoline_kernelINS0_14default_configENS1_20scan_config_selectorIN3c107complexIfEEEEZZNS1_9scan_implILNS1_25lookback_scan_determinismE0ELb0ELb0ES3_PKS7_PS7_S7_ZZZN2at6native31launch_logcumsumexp_cuda_kernelERKNSE_10TensorBaseESI_lENKUlvE_clEvENKUlvE2_clEvEUlS7_S7_E_S7_EEDaPvRmT3_T4_T5_mT6_P12ihipStream_tbENKUlT_T0_E_clISt17integral_constantIbLb0EESY_IbLb1EEEEDaSU_SV_EUlSU_E0_NS1_11comp_targetILNS1_3genE8ELNS1_11target_archE1030ELNS1_3gpuE2ELNS1_3repE0EEENS1_30default_config_static_selectorELNS0_4arch9wavefront6targetE1EEEvT1_
; %bb.0:
	.section	.rodata,"a",@progbits
	.p2align	6, 0x0
	.amdhsa_kernel _ZN7rocprim17ROCPRIM_400000_NS6detail17trampoline_kernelINS0_14default_configENS1_20scan_config_selectorIN3c107complexIfEEEEZZNS1_9scan_implILNS1_25lookback_scan_determinismE0ELb0ELb0ES3_PKS7_PS7_S7_ZZZN2at6native31launch_logcumsumexp_cuda_kernelERKNSE_10TensorBaseESI_lENKUlvE_clEvENKUlvE2_clEvEUlS7_S7_E_S7_EEDaPvRmT3_T4_T5_mT6_P12ihipStream_tbENKUlT_T0_E_clISt17integral_constantIbLb0EESY_IbLb1EEEEDaSU_SV_EUlSU_E0_NS1_11comp_targetILNS1_3genE8ELNS1_11target_archE1030ELNS1_3gpuE2ELNS1_3repE0EEENS1_30default_config_static_selectorELNS0_4arch9wavefront6targetE1EEEvT1_
		.amdhsa_group_segment_fixed_size 0
		.amdhsa_private_segment_fixed_size 0
		.amdhsa_kernarg_size 40
		.amdhsa_user_sgpr_count 6
		.amdhsa_user_sgpr_private_segment_buffer 1
		.amdhsa_user_sgpr_dispatch_ptr 0
		.amdhsa_user_sgpr_queue_ptr 0
		.amdhsa_user_sgpr_kernarg_segment_ptr 1
		.amdhsa_user_sgpr_dispatch_id 0
		.amdhsa_user_sgpr_flat_scratch_init 0
		.amdhsa_user_sgpr_kernarg_preload_length 0
		.amdhsa_user_sgpr_kernarg_preload_offset 0
		.amdhsa_user_sgpr_private_segment_size 0
		.amdhsa_uses_dynamic_stack 0
		.amdhsa_system_sgpr_private_segment_wavefront_offset 0
		.amdhsa_system_sgpr_workgroup_id_x 1
		.amdhsa_system_sgpr_workgroup_id_y 0
		.amdhsa_system_sgpr_workgroup_id_z 0
		.amdhsa_system_sgpr_workgroup_info 0
		.amdhsa_system_vgpr_workitem_id 0
		.amdhsa_next_free_vgpr 1
		.amdhsa_next_free_sgpr 0
		.amdhsa_accum_offset 4
		.amdhsa_reserve_vcc 0
		.amdhsa_reserve_flat_scratch 0
		.amdhsa_float_round_mode_32 0
		.amdhsa_float_round_mode_16_64 0
		.amdhsa_float_denorm_mode_32 3
		.amdhsa_float_denorm_mode_16_64 3
		.amdhsa_dx10_clamp 1
		.amdhsa_ieee_mode 1
		.amdhsa_fp16_overflow 0
		.amdhsa_tg_split 0
		.amdhsa_exception_fp_ieee_invalid_op 0
		.amdhsa_exception_fp_denorm_src 0
		.amdhsa_exception_fp_ieee_div_zero 0
		.amdhsa_exception_fp_ieee_overflow 0
		.amdhsa_exception_fp_ieee_underflow 0
		.amdhsa_exception_fp_ieee_inexact 0
		.amdhsa_exception_int_div_zero 0
	.end_amdhsa_kernel
	.section	.text._ZN7rocprim17ROCPRIM_400000_NS6detail17trampoline_kernelINS0_14default_configENS1_20scan_config_selectorIN3c107complexIfEEEEZZNS1_9scan_implILNS1_25lookback_scan_determinismE0ELb0ELb0ES3_PKS7_PS7_S7_ZZZN2at6native31launch_logcumsumexp_cuda_kernelERKNSE_10TensorBaseESI_lENKUlvE_clEvENKUlvE2_clEvEUlS7_S7_E_S7_EEDaPvRmT3_T4_T5_mT6_P12ihipStream_tbENKUlT_T0_E_clISt17integral_constantIbLb0EESY_IbLb1EEEEDaSU_SV_EUlSU_E0_NS1_11comp_targetILNS1_3genE8ELNS1_11target_archE1030ELNS1_3gpuE2ELNS1_3repE0EEENS1_30default_config_static_selectorELNS0_4arch9wavefront6targetE1EEEvT1_,"axG",@progbits,_ZN7rocprim17ROCPRIM_400000_NS6detail17trampoline_kernelINS0_14default_configENS1_20scan_config_selectorIN3c107complexIfEEEEZZNS1_9scan_implILNS1_25lookback_scan_determinismE0ELb0ELb0ES3_PKS7_PS7_S7_ZZZN2at6native31launch_logcumsumexp_cuda_kernelERKNSE_10TensorBaseESI_lENKUlvE_clEvENKUlvE2_clEvEUlS7_S7_E_S7_EEDaPvRmT3_T4_T5_mT6_P12ihipStream_tbENKUlT_T0_E_clISt17integral_constantIbLb0EESY_IbLb1EEEEDaSU_SV_EUlSU_E0_NS1_11comp_targetILNS1_3genE8ELNS1_11target_archE1030ELNS1_3gpuE2ELNS1_3repE0EEENS1_30default_config_static_selectorELNS0_4arch9wavefront6targetE1EEEvT1_,comdat
.Lfunc_end346:
	.size	_ZN7rocprim17ROCPRIM_400000_NS6detail17trampoline_kernelINS0_14default_configENS1_20scan_config_selectorIN3c107complexIfEEEEZZNS1_9scan_implILNS1_25lookback_scan_determinismE0ELb0ELb0ES3_PKS7_PS7_S7_ZZZN2at6native31launch_logcumsumexp_cuda_kernelERKNSE_10TensorBaseESI_lENKUlvE_clEvENKUlvE2_clEvEUlS7_S7_E_S7_EEDaPvRmT3_T4_T5_mT6_P12ihipStream_tbENKUlT_T0_E_clISt17integral_constantIbLb0EESY_IbLb1EEEEDaSU_SV_EUlSU_E0_NS1_11comp_targetILNS1_3genE8ELNS1_11target_archE1030ELNS1_3gpuE2ELNS1_3repE0EEENS1_30default_config_static_selectorELNS0_4arch9wavefront6targetE1EEEvT1_, .Lfunc_end346-_ZN7rocprim17ROCPRIM_400000_NS6detail17trampoline_kernelINS0_14default_configENS1_20scan_config_selectorIN3c107complexIfEEEEZZNS1_9scan_implILNS1_25lookback_scan_determinismE0ELb0ELb0ES3_PKS7_PS7_S7_ZZZN2at6native31launch_logcumsumexp_cuda_kernelERKNSE_10TensorBaseESI_lENKUlvE_clEvENKUlvE2_clEvEUlS7_S7_E_S7_EEDaPvRmT3_T4_T5_mT6_P12ihipStream_tbENKUlT_T0_E_clISt17integral_constantIbLb0EESY_IbLb1EEEEDaSU_SV_EUlSU_E0_NS1_11comp_targetILNS1_3genE8ELNS1_11target_archE1030ELNS1_3gpuE2ELNS1_3repE0EEENS1_30default_config_static_selectorELNS0_4arch9wavefront6targetE1EEEvT1_
                                        ; -- End function
	.section	.AMDGPU.csdata,"",@progbits
; Kernel info:
; codeLenInByte = 0
; NumSgprs: 4
; NumVgprs: 0
; NumAgprs: 0
; TotalNumVgprs: 0
; ScratchSize: 0
; MemoryBound: 0
; FloatMode: 240
; IeeeMode: 1
; LDSByteSize: 0 bytes/workgroup (compile time only)
; SGPRBlocks: 0
; VGPRBlocks: 0
; NumSGPRsForWavesPerEU: 4
; NumVGPRsForWavesPerEU: 1
; AccumOffset: 4
; Occupancy: 8
; WaveLimiterHint : 0
; COMPUTE_PGM_RSRC2:SCRATCH_EN: 0
; COMPUTE_PGM_RSRC2:USER_SGPR: 6
; COMPUTE_PGM_RSRC2:TRAP_HANDLER: 0
; COMPUTE_PGM_RSRC2:TGID_X_EN: 1
; COMPUTE_PGM_RSRC2:TGID_Y_EN: 0
; COMPUTE_PGM_RSRC2:TGID_Z_EN: 0
; COMPUTE_PGM_RSRC2:TIDIG_COMP_CNT: 0
; COMPUTE_PGM_RSRC3_GFX90A:ACCUM_OFFSET: 0
; COMPUTE_PGM_RSRC3_GFX90A:TG_SPLIT: 0
	.section	.text._ZN2at6native32tensor_kernel_scan_innermost_dimIN3c107complexIfEEZZZNS0_31launch_logcumsumexp_cuda_kernelERKNS_10TensorBaseES7_lENKUlvE_clEvENKUlvE2_clEvEUlS4_S4_E_EEvPT_PKSB_jjjSB_T0_,"axG",@progbits,_ZN2at6native32tensor_kernel_scan_innermost_dimIN3c107complexIfEEZZZNS0_31launch_logcumsumexp_cuda_kernelERKNS_10TensorBaseES7_lENKUlvE_clEvENKUlvE2_clEvEUlS4_S4_E_EEvPT_PKSB_jjjSB_T0_,comdat
	.globl	_ZN2at6native32tensor_kernel_scan_innermost_dimIN3c107complexIfEEZZZNS0_31launch_logcumsumexp_cuda_kernelERKNS_10TensorBaseES7_lENKUlvE_clEvENKUlvE2_clEvEUlS4_S4_E_EEvPT_PKSB_jjjSB_T0_ ; -- Begin function _ZN2at6native32tensor_kernel_scan_innermost_dimIN3c107complexIfEEZZZNS0_31launch_logcumsumexp_cuda_kernelERKNS_10TensorBaseES7_lENKUlvE_clEvENKUlvE2_clEvEUlS4_S4_E_EEvPT_PKSB_jjjSB_T0_
	.p2align	8
	.type	_ZN2at6native32tensor_kernel_scan_innermost_dimIN3c107complexIfEEZZZNS0_31launch_logcumsumexp_cuda_kernelERKNS_10TensorBaseES7_lENKUlvE_clEvENKUlvE2_clEvEUlS4_S4_E_EEvPT_PKSB_jjjSB_T0_,@function
_ZN2at6native32tensor_kernel_scan_innermost_dimIN3c107complexIfEEZZZNS0_31launch_logcumsumexp_cuda_kernelERKNS_10TensorBaseES7_lENKUlvE_clEvENKUlvE2_clEvEUlS4_S4_E_EEvPT_PKSB_jjjSB_T0_: ; @_ZN2at6native32tensor_kernel_scan_innermost_dimIN3c107complexIfEEZZZNS0_31launch_logcumsumexp_cuda_kernelERKNS_10TensorBaseES7_lENKUlvE_clEvENKUlvE2_clEvEUlS4_S4_E_EEvPT_PKSB_jjjSB_T0_
; %bb.0:
	s_load_dwordx8 s[20:27], s[4:5], 0x0
	s_load_dwordx2 s[18:19], s[4:5], 0x20
	v_bfe_u32 v2, v0, 10, 10
	s_waitcnt lgkmcnt(0)
	s_lshl_b32 s7, 2, s26
	v_mul_lo_u32 v1, s7, v2
	s_mul_hi_u32 s0, s24, s25
	s_mov_b32 s28, s24
	v_lshl_add_u32 v3, v1, 3, 0
	s_cmp_lg_u32 s0, 0
	s_mov_b64 s[0:1], -1
	s_cbranch_scc1 .LBB347_122
; %bb.1:
	s_load_dword s2, s[4:5], 0x3c
	s_add_u32 s0, s4, 48
	s_addc_u32 s1, s5, 0
	s_waitcnt lgkmcnt(0)
	s_lshr_b32 s2, s2, 16
	s_mul_i32 s27, s6, s2
	s_cmp_ge_u32 s27, s24
	s_cbranch_scc1 .LBB347_121
; %bb.2:
	s_load_dword s33, s[0:1], 0x0
	s_lshl_b32 s29, 1, s26
	s_cmp_lg_u32 s25, 0
	v_and_b32_e32 v1, 0x3ff, v0
	s_cselect_b64 s[8:9], -1, 0
	v_lshl_add_u32 v22, v1, 3, v3
	s_lshl_b32 s3, s7, 3
	v_cndmask_b32_e64 v4, 0, 1, s[8:9]
	v_lshl_add_u32 v23, s29, 3, v22
	v_cmp_eq_u32_e64 s[0:1], 0, v1
	v_add3_u32 v24, v3, s3, -8
	s_waitcnt lgkmcnt(0)
	s_mul_i32 s33, s33, s2
	s_add_i32 s48, s26, 1
	v_cmp_ne_u32_e64 s[2:3], 1, v4
	v_mov_b32_e32 v5, 0
	s_mov_b32 s30, 0x7fc00000
	s_movk_i32 s49, 0x1f8
	s_brev_b32 s50, -2
	s_brev_b32 s51, 18
	s_mov_b32 s52, 0x800000
	s_mov_b32 s53, 0xfe5163ab
	;; [unrolled: 1-line block ×16, first 2 shown]
	v_mov_b32_e32 v25, 0xbe2aaa9d
	v_mov_b32_e32 v26, 0x3d2aabf7
	;; [unrolled: 1-line block ×3, first 2 shown]
	v_mov_b32_e32 v6, 1.0
	s_mov_b32 s68, 0x3f317217
	s_mov_b32 s69, 0x3f2aaaab
	v_mov_b32_e32 v28, 0x3f2aaada
	s_mov_b32 s70, 0x3f317218
	s_movk_i32 s71, 0x204
	v_mov_b32_e32 v29, 0x3d29fb3f
	v_mov_b32_e32 v30, 0xbd97d4d7
	;; [unrolled: 1-line block ×6, first 2 shown]
	v_not_b32_e32 v35, 63
	v_not_b32_e32 v36, 31
	v_mov_b32_e32 v37, 0x7f800000
	v_mov_b32_e32 v38, 0x7fc00000
	v_mov_b32_e32 v39, 0x4f800000
	v_mov_b32_e32 v40, 0x41b17218
	v_mov_b32_e32 v8, 0x3f317218
	v_mov_b32_e32 v41, 0xff800000
	v_mov_b32_e32 v42, 0x3f490fdb
	v_mov_b32_e32 v43, 0x4016cbe4
	v_mov_b32_e32 v44, 0x40490fdb
	s_branch .LBB347_4
.LBB347_3:                              ;   in Loop: Header=BB347_4 Depth=1
	s_add_i32 s27, s27, s33
	s_cmp_ge_u32 s27, s24
	s_cbranch_scc1 .LBB347_121
.LBB347_4:                              ; =>This Loop Header: Depth=1
                                        ;     Child Loop BB347_7 Depth 2
                                        ;       Child Loop BB347_69 Depth 3
	s_and_b64 vcc, exec, s[2:3]
	s_cbranch_vccnz .LBB347_3
; %bb.5:                                ;   in Loop: Header=BB347_4 Depth=1
	v_add_u32_e32 v7, s27, v2
	v_mul_lo_u32 v4, v7, s25
	v_lshlrev_b64 v[10:11], 3, v[4:5]
	v_mov_b32_e32 v4, s23
	v_add_co_u32_e32 v45, vcc, s22, v10
	v_addc_co_u32_e32 v46, vcc, v4, v11, vcc
	v_mov_b32_e32 v4, s21
	v_add_co_u32_e32 v47, vcc, s20, v10
	v_addc_co_u32_e32 v48, vcc, v4, v11, vcc
	v_cmp_gt_u32_e32 vcc, s24, v7
	v_cmp_le_u32_e64 s[8:9], s24, v7
	s_mov_b32 s72, 0
	v_pk_mov_b32 v[14:15], s[18:19], s[18:19] op_sel:[0,1]
	s_branch .LBB347_7
.LBB347_6:                              ;   in Loop: Header=BB347_7 Depth=2
	s_or_b64 exec, exec, s[12:13]
	ds_read_b64 v[14:15], v24
	s_add_i32 s72, s72, s7
	s_cmp_ge_u32 s72, s25
	s_waitcnt lgkmcnt(0)
	s_barrier
	s_cbranch_scc1 .LBB347_3
.LBB347_7:                              ;   Parent Loop BB347_4 Depth=1
                                        ; =>  This Loop Header: Depth=2
                                        ;       Child Loop BB347_69 Depth 3
	v_add_u32_e32 v12, s72, v1
	v_add_u32_e32 v10, s29, v12
	s_and_saveexec_b64 s[34:35], vcc
	s_cbranch_execz .LBB347_62
; %bb.8:                                ;   in Loop: Header=BB347_7 Depth=2
	v_cmp_gt_u32_e64 s[10:11], s25, v12
	v_pk_mov_b32 v[16:17], s[18:19], s[18:19] op_sel:[0,1]
	s_and_saveexec_b64 s[12:13], s[10:11]
	s_cbranch_execz .LBB347_10
; %bb.9:                                ;   in Loop: Header=BB347_7 Depth=2
	v_mov_b32_e32 v13, v5
	v_lshlrev_b64 v[16:17], 3, v[12:13]
	v_add_co_u32_e64 v16, s[10:11], v45, v16
	v_addc_co_u32_e64 v17, s[10:11], v46, v17, s[10:11]
	global_load_dwordx2 v[16:17], v[16:17], off
.LBB347_10:                             ;   in Loop: Header=BB347_7 Depth=2
	s_or_b64 exec, exec, s[12:13]
	s_waitcnt vmcnt(0)
	ds_write_b64 v22, v[16:17]
	v_cmp_gt_u32_e64 s[10:11], s25, v10
	v_pk_mov_b32 v[16:17], s[18:19], s[18:19] op_sel:[0,1]
	s_and_saveexec_b64 s[12:13], s[10:11]
	s_cbranch_execz .LBB347_12
; %bb.11:                               ;   in Loop: Header=BB347_7 Depth=2
	v_mov_b32_e32 v11, v5
	v_lshlrev_b64 v[16:17], 3, v[10:11]
	v_add_co_u32_e64 v16, s[10:11], v45, v16
	v_addc_co_u32_e64 v17, s[10:11], v46, v17, s[10:11]
	global_load_dwordx2 v[16:17], v[16:17], off
.LBB347_12:                             ;   in Loop: Header=BB347_7 Depth=2
	s_or_b64 exec, exec, s[12:13]
	s_waitcnt vmcnt(0)
	ds_write_b64 v23, v[16:17]
	s_and_b64 exec, exec, s[0:1]
	s_cbranch_execz .LBB347_62
; %bb.13:                               ;   in Loop: Header=BB347_7 Depth=2
	ds_read_b64 v[20:21], v3
	v_cmp_o_f32_e64 s[10:11], v14, v14
	v_cmp_o_f32_e64 s[12:13], v15, v15
	s_and_b64 s[14:15], s[10:11], s[12:13]
	v_mov_b32_e32 v19, v15
	v_pk_mov_b32 v[16:17], v[14:15], v[14:15] op_sel:[0,1]
	s_and_saveexec_b64 s[16:17], s[14:15]
	s_cbranch_execz .LBB347_15
; %bb.14:                               ;   in Loop: Header=BB347_7 Depth=2
	s_waitcnt lgkmcnt(0)
	v_cmp_u_f32_e64 s[10:11], v20, v20
	v_cmp_u_f32_e64 s[12:13], v21, v21
	s_or_b64 s[12:13], s[10:11], s[12:13]
	v_cmp_lt_f32_e64 s[10:11], v20, v14
	s_or_b64 s[10:11], s[10:11], s[12:13]
	v_cndmask_b32_e64 v19, v15, v21, s[10:11]
	v_cndmask_b32_e64 v18, v14, v20, s[10:11]
	v_pk_mov_b32 v[16:17], v[18:19], v[18:19] op_sel:[0,1]
.LBB347_15:                             ;   in Loop: Header=BB347_7 Depth=2
	s_or_b64 exec, exec, s[16:17]
	s_and_saveexec_b64 s[10:11], s[14:15]
	s_xor_b64 s[14:15], exec, s[10:11]
	s_cbranch_execz .LBB347_17
; %bb.16:                               ;   in Loop: Header=BB347_7 Depth=2
	s_waitcnt lgkmcnt(0)
	v_cmp_u_f32_e64 s[10:11], v20, v20
	v_cmp_u_f32_e64 s[12:13], v21, v21
	s_or_b64 s[12:13], s[10:11], s[12:13]
	v_cmp_ge_f32_e64 s[10:11], v20, v14
	s_or_b64 s[10:11], s[10:11], s[12:13]
	v_cndmask_b32_e64 v15, v15, v21, s[10:11]
	v_cndmask_b32_e64 v14, v14, v20, s[10:11]
.LBB347_17:                             ;   in Loop: Header=BB347_7 Depth=2
	s_andn2_saveexec_b64 s[10:11], s[14:15]
	s_or_b64 exec, exec, s[10:11]
	v_cmp_o_f32_e64 s[10:11], v16, v16
	v_cmp_o_f32_e64 s[12:13], v17, v17
	s_mov_b32 s31, s30
	s_and_b64 s[10:11], s[10:11], s[12:13]
	s_waitcnt lgkmcnt(0)
	v_pk_mov_b32 v[20:21], s[30:31], s[30:31] op_sel:[0,1]
	s_and_saveexec_b64 s[36:37], s[10:11]
	s_cbranch_execz .LBB347_61
; %bb.18:                               ;   in Loop: Header=BB347_7 Depth=2
	v_cmp_class_f32_e64 s[12:13], v16, s49
	v_cmp_neq_f32_e64 s[10:11], v14, v16
	s_or_b64 s[10:11], s[12:13], s[10:11]
	s_and_saveexec_b64 s[12:13], s[10:11]
	s_xor_b64 s[38:39], exec, s[12:13]
	s_cbranch_execz .LBB347_34
; %bb.19:                               ;   in Loop: Header=BB347_7 Depth=2
	v_pk_add_f32 v[16:17], v[16:17], v[14:15] neg_lo:[0,1] neg_hi:[0,1]
	v_and_b32_e32 v7, 0x7fffffff, v17
	v_lshrrev_b32_e32 v4, 23, v7
	v_and_b32_e32 v9, 0x7fffff, v7
	v_cmp_nlt_f32_e64 s[40:41], |v17|, s51
	v_add_u32_e32 v13, 0xffffff88, v4
	v_or_b32_e32 v11, 0x800000, v9
                                        ; implicit-def: $vgpr9
                                        ; implicit-def: $vgpr18
	s_and_saveexec_b64 s[10:11], s[40:41]
	s_xor_b64 s[42:43], exec, s[10:11]
	s_cbranch_execz .LBB347_21
; %bb.20:                               ;   in Loop: Header=BB347_7 Depth=2
	v_cmp_lt_u32_e64 s[10:11], 63, v13
	v_cndmask_b32_e64 v4, 0, v35, s[10:11]
	v_add_u32_e32 v4, v4, v13
	v_cmp_lt_u32_e64 s[12:13], 31, v4
	v_cndmask_b32_e64 v9, 0, v36, s[12:13]
	v_add_u32_e32 v4, v9, v4
	v_cmp_lt_u32_e64 s[14:15], 31, v4
	v_cndmask_b32_e64 v9, 0, v36, s[14:15]
	v_mad_u64_u32 v[18:19], s[16:17], v11, s53, 0
	v_add_u32_e32 v9, v9, v4
	v_mov_b32_e32 v4, v19
	v_mad_u64_u32 v[20:21], s[16:17], v11, s54, v[4:5]
	v_mov_b32_e32 v4, v21
	v_mad_u64_u32 v[50:51], s[16:17], v11, s55, v[4:5]
	;; [unrolled: 2-line block ×6, first 2 shown]
	v_cndmask_b32_e64 v19, v56, v52, s[10:11]
	v_cndmask_b32_e64 v4, v58, v54, s[10:11]
	;; [unrolled: 1-line block ×7, first 2 shown]
	v_sub_u32_e32 v51, 32, v9
	v_cmp_eq_u32_e64 s[16:17], 0, v9
	v_cndmask_b32_e64 v9, v52, v20, s[10:11]
	v_cndmask_b32_e64 v4, v4, v21, s[14:15]
	;; [unrolled: 1-line block ×4, first 2 shown]
	v_alignbit_b32 v53, v4, v21, v51
	v_cndmask_b32_e64 v19, v19, v20, s[14:15]
	v_cndmask_b32_e64 v4, v53, v4, s[16:17]
	v_alignbit_b32 v49, v21, v19, v51
	v_cndmask_b32_e64 v21, v49, v21, s[16:17]
	v_bfe_u32 v53, v4, 29, 1
	v_cndmask_b32_e64 v18, v50, v18, s[10:11]
	v_alignbit_b32 v49, v4, v21, 30
	v_sub_u32_e32 v54, 0, v53
	v_cndmask_b32_e64 v9, v9, v18, s[12:13]
	v_xor_b32_e32 v55, v49, v54
	v_cndmask_b32_e64 v9, v20, v9, s[14:15]
	v_alignbit_b32 v18, v19, v9, v51
	v_ffbh_u32_e32 v20, v55
	v_cndmask_b32_e64 v18, v18, v19, s[16:17]
	v_add_u32_e32 v20, 1, v20
	v_cmp_ne_u32_e64 s[10:11], v49, v54
	v_alignbit_b32 v19, v21, v18, 30
	v_cndmask_b32_e64 v20, 33, v20, s[10:11]
	v_alignbit_b32 v9, v18, v9, 30
	v_xor_b32_e32 v19, v19, v54
	v_sub_u32_e32 v21, 32, v20
	v_xor_b32_e32 v9, v9, v54
	v_alignbit_b32 v49, v55, v19, v21
	v_alignbit_b32 v9, v19, v9, v21
	;; [unrolled: 1-line block ×3, first 2 shown]
	v_ffbh_u32_e32 v19, v18
	v_min_u32_e32 v19, 32, v19
	v_lshrrev_b32_e32 v52, 29, v4
	v_sub_u32_e32 v21, 31, v19
	v_alignbit_b32 v9, v18, v9, v21
	v_lshlrev_b32_e32 v18, 31, v52
	v_or_b32_e32 v21, 0x33800000, v18
	v_add_lshl_u32 v19, v19, v20, 23
	v_lshrrev_b32_e32 v9, 9, v9
	v_sub_u32_e32 v19, v21, v19
	v_or_b32_e32 v9, v19, v9
	v_alignbit_b32 v19, v20, v49, 9
	v_or_b32_e32 v18, v19, v18
	v_xor_b32_e32 v18, 1.0, v18
	v_mul_f32_e32 v19, 0x3fc90fda, v18
	v_fma_f32 v20, v18, s61, -v19
	v_fmac_f32_e32 v20, 0x33a22168, v18
	v_fmac_f32_e32 v20, 0x3fc90fda, v9
	v_lshrrev_b32_e32 v4, 30, v4
	v_add_f32_e32 v18, v19, v20
	v_add_u32_e32 v9, v53, v4
.LBB347_21:                             ;   in Loop: Header=BB347_7 Depth=2
	s_or_saveexec_b64 s[10:11], s[42:43]
	v_mul_f32_e64 v4, |v17|, s62
	v_rndne_f32_e32 v19, v4
	s_xor_b64 exec, exec, s[10:11]
; %bb.22:                               ;   in Loop: Header=BB347_7 Depth=2
	v_cvt_i32_f32_e32 v9, v19
	v_fma_f32 v18, v19, s63, |v17|
	v_fmac_f32_e32 v18, 0xb3a22168, v19
	v_fmac_f32_e32 v18, 0xa7c234c4, v19
; %bb.23:                               ;   in Loop: Header=BB347_7 Depth=2
	s_or_b64 exec, exec, s[10:11]
                                        ; implicit-def: $vgpr4
                                        ; implicit-def: $vgpr21
	s_and_saveexec_b64 s[10:11], s[40:41]
	s_xor_b64 s[40:41], exec, s[10:11]
	s_cbranch_execz .LBB347_25
; %bb.24:                               ;   in Loop: Header=BB347_7 Depth=2
	v_cmp_lt_u32_e64 s[10:11], 63, v13
	v_cndmask_b32_e64 v4, 0, v35, s[10:11]
	v_add_u32_e32 v4, v4, v13
	v_cmp_lt_u32_e64 s[12:13], 31, v4
	v_cndmask_b32_e64 v13, 0, v36, s[12:13]
	v_add_u32_e32 v4, v13, v4
	v_cmp_lt_u32_e64 s[14:15], 31, v4
	v_cndmask_b32_e64 v13, 0, v36, s[14:15]
	v_mad_u64_u32 v[20:21], s[16:17], v11, s53, 0
	v_add_u32_e32 v13, v13, v4
	v_mov_b32_e32 v4, v21
	v_mad_u64_u32 v[50:51], s[16:17], v11, s54, v[4:5]
	v_mov_b32_e32 v4, v51
	v_mad_u64_u32 v[52:53], s[16:17], v11, s55, v[4:5]
	;; [unrolled: 2-line block ×6, first 2 shown]
	v_cndmask_b32_e64 v19, v58, v54, s[10:11]
	v_cndmask_b32_e64 v4, v60, v56, s[10:11]
	;; [unrolled: 1-line block ×7, first 2 shown]
	v_sub_u32_e32 v49, 32, v13
	v_cmp_eq_u32_e64 s[16:17], 0, v13
	v_cndmask_b32_e64 v13, v54, v50, s[10:11]
	v_cndmask_b32_e64 v4, v4, v11, s[14:15]
	;; [unrolled: 1-line block ×4, first 2 shown]
	v_alignbit_b32 v51, v4, v11, v49
	v_cndmask_b32_e64 v19, v19, v21, s[14:15]
	v_cndmask_b32_e64 v4, v51, v4, s[16:17]
	v_alignbit_b32 v50, v11, v19, v49
	v_cndmask_b32_e64 v20, v52, v20, s[10:11]
	v_cndmask_b32_e64 v11, v50, v11, s[16:17]
	v_bfe_u32 v53, v4, 29, 1
	v_cndmask_b32_e64 v13, v13, v20, s[12:13]
	v_alignbit_b32 v50, v4, v11, 30
	v_sub_u32_e32 v54, 0, v53
	v_cndmask_b32_e64 v13, v21, v13, s[14:15]
	v_xor_b32_e32 v55, v50, v54
	v_alignbit_b32 v20, v19, v13, v49
	v_cndmask_b32_e64 v19, v20, v19, s[16:17]
	v_ffbh_u32_e32 v20, v55
	v_add_u32_e32 v20, 1, v20
	v_cmp_ne_u32_e64 s[10:11], v50, v54
	v_alignbit_b32 v11, v11, v19, 30
	v_cndmask_b32_e64 v20, 33, v20, s[10:11]
	v_alignbit_b32 v13, v19, v13, 30
	v_xor_b32_e32 v11, v11, v54
	v_sub_u32_e32 v21, 32, v20
	v_xor_b32_e32 v13, v13, v54
	v_alignbit_b32 v49, v55, v11, v21
	v_alignbit_b32 v11, v11, v13, v21
	;; [unrolled: 1-line block ×3, first 2 shown]
	v_ffbh_u32_e32 v19, v13
	v_min_u32_e32 v19, 32, v19
	v_lshrrev_b32_e32 v51, 29, v4
	v_sub_u32_e32 v21, 31, v19
	v_alignbit_b32 v11, v13, v11, v21
	v_lshlrev_b32_e32 v13, 31, v51
	v_or_b32_e32 v21, 0x33800000, v13
	v_add_lshl_u32 v19, v19, v20, 23
	v_lshrrev_b32_e32 v11, 9, v11
	v_sub_u32_e32 v19, v21, v19
	v_or_b32_e32 v11, v19, v11
	v_alignbit_b32 v19, v20, v49, 9
	v_or_b32_e32 v13, v19, v13
	v_xor_b32_e32 v13, 1.0, v13
	v_mul_f32_e32 v19, 0x3fc90fda, v13
	v_fma_f32 v20, v13, s61, -v19
	v_fmac_f32_e32 v20, 0x33a22168, v13
	v_fmac_f32_e32 v20, 0x3fc90fda, v11
	v_lshrrev_b32_e32 v4, 30, v4
	v_add_f32_e32 v21, v19, v20
	v_add_u32_e32 v4, v53, v4
                                        ; implicit-def: $vgpr19
	s_andn2_saveexec_b64 s[10:11], s[40:41]
	s_cbranch_execnz .LBB347_26
	s_branch .LBB347_27
.LBB347_25:                             ;   in Loop: Header=BB347_7 Depth=2
	s_andn2_saveexec_b64 s[10:11], s[40:41]
.LBB347_26:                             ;   in Loop: Header=BB347_7 Depth=2
	v_cvt_i32_f32_e32 v4, v19
	v_fma_f32 v21, v19, s63, |v17|
	v_fmac_f32_e32 v21, 0xb3a22168, v19
	v_fmac_f32_e32 v21, 0xa7c234c4, v19
.LBB347_27:                             ;   in Loop: Header=BB347_7 Depth=2
	s_or_b64 exec, exec, s[10:11]
	v_mul_f32_e32 v11, 0x3fb8aa3b, v16
	v_rndne_f32_e32 v13, v11
	v_sub_f32_e32 v19, v11, v13
	v_fma_f32 v11, v16, s64, -v11
	v_fmac_f32_e32 v11, 0x32a5705f, v16
	v_add_f32_e32 v11, v19, v11
	v_cvt_i32_f32_e32 v13, v13
	v_exp_f32_e32 v11, v11
	v_mul_f32_e32 v19, v21, v21
	v_mov_b32_e32 v20, 0x3c0881c4
	v_fmac_f32_e32 v20, 0xb94c1982, v19
	v_ldexp_f32 v11, v11, v13
	v_and_b32_e32 v13, 1, v4
	v_lshlrev_b32_e32 v4, 30, v4
	v_fma_f32 v51, v19, v20, v25
	v_mov_b32_e32 v20, 0xbab64f3b
	v_and_b32_e32 v4, 0x80000000, v4
	v_xor_b32_e32 v7, v7, v17
	v_mov_b32_e32 v50, v18
	v_fmac_f32_e32 v20, 0x37d75334, v19
	v_xor_b32_e32 v4, v7, v4
	v_pk_mul_f32 v[50:51], v[18:19], v[50:51]
	v_mov_b32_e32 v7, 0xbab64f3b
	v_fma_f32 v20, v19, v20, v26
	v_fmac_f32_e32 v7, 0x37d75334, v50
	v_fma_f32 v20, v19, v20, v27
	v_fma_f32 v7, v50, v7, v26
	v_fma_f32 v49, v19, v20, 1.0
	v_fma_f32 v20, v50, v7, v27
	v_mov_b32_e32 v7, 0x3c0881c4
	v_fmac_f32_e32 v7, 0xb94c1982, v50
	v_fma_f32 v7, v50, v7, v25
	v_cmp_ngt_f32_e64 s[10:11], s65, v16
	v_mul_f32_e32 v7, v50, v7
	v_cndmask_b32_e64 v11, 0, v11, s[10:11]
	v_cmp_nlt_f32_e64 s[10:11], s66, v16
	v_fmac_f32_e32 v18, v18, v7
	v_mov_b32_e32 v7, v21
	v_cndmask_b32_e64 v16, v37, v11, s[10:11]
	v_lshlrev_b32_e32 v11, 30, v9
	v_and_b32_e32 v9, 1, v9
	v_pk_fma_f32 v[20:21], v[50:51], v[20:21], v[6:7]
	v_cmp_eq_u32_e64 s[10:11], 0, v13
	v_cndmask_b32_e64 v7, v49, v21, s[10:11]
	v_cmp_eq_u32_e64 s[10:11], 0, v9
	v_and_b32_e32 v11, 0x80000000, v11
	v_cndmask_b32_e64 v9, -v18, v20, s[10:11]
	v_xor_b32_e32 v9, v11, v9
	v_xor_b32_e32 v4, v4, v7
	v_cmp_class_f32_e64 s[10:11], v17, s49
	v_cndmask_b32_e64 v19, v38, v4, s[10:11]
	v_cndmask_b32_e64 v18, v38, v9, s[10:11]
	v_pk_mul_f32 v[16:17], v[16:17], v[18:19] op_sel_hi:[0,1]
	v_max_f32_e64 v4, |v16|, |v17|
	v_cvt_f64_f32_e32 v[18:19], v4
	v_frexp_exp_i32_f64_e32 v7, v[18:19]
	v_sub_u32_e32 v9, 0, v7
	v_ldexp_f32 v11, |v16|, v9
	v_ldexp_f32 v9, |v17|, v9
	v_mul_f32_e32 v9, v9, v9
	v_fmac_f32_e32 v9, v11, v11
	v_sqrt_f32_e32 v9, v9
	v_cmp_eq_f32_e64 s[10:11], s67, v4
	v_add_f32_e32 v4, 1.0, v16
                                        ; implicit-def: $vgpr18
	v_ldexp_f32 v7, v9, v7
	v_cmp_ngt_f32_e64 s[12:13], 0.5, v7
	v_max_f32_e64 v7, |v4|, |v17|
	s_or_b64 s[10:11], s[10:11], s[12:13]
	s_and_saveexec_b64 s[12:13], s[10:11]
	s_xor_b64 s[14:15], exec, s[12:13]
	s_cbranch_execz .LBB347_29
; %bb.28:                               ;   in Loop: Header=BB347_7 Depth=2
	v_cvt_f64_f32_e32 v[18:19], v7
	v_frexp_exp_i32_f64_e32 v9, v[18:19]
	v_sub_u32_e32 v11, 0, v9
	v_ldexp_f32 v13, |v4|, v11
	v_ldexp_f32 v11, |v17|, v11
	v_mul_f32_e32 v11, v11, v11
	v_fmac_f32_e32 v11, v13, v13
	v_sqrt_f32_e32 v11, v11
	v_cmp_neq_f32_e64 s[10:11], s67, v7
	v_ldexp_f32 v9, v11, v9
	v_cndmask_b32_e64 v9, v37, v9, s[10:11]
	v_cmp_gt_f32_e64 s[10:11], s52, v9
	v_cndmask_b32_e64 v11, 1.0, v39, s[10:11]
	v_mul_f32_e32 v9, v9, v11
	v_log_f32_e32 v9, v9
	v_mul_f32_e32 v11, 0x3f317217, v9
	v_fma_f32 v13, v9, s68, -v11
	v_fmac_f32_e32 v13, 0x3377d1cf, v9
	v_add_f32_e32 v11, v11, v13
	v_cmp_lt_f32_e64 s[12:13], |v9|, s67
	v_cndmask_b32_e64 v9, v9, v11, s[12:13]
	v_cndmask_b32_e64 v11, 0, v40, s[10:11]
	v_sub_f32_e32 v18, v9, v11
.LBB347_29:                             ;   in Loop: Header=BB347_7 Depth=2
	s_andn2_saveexec_b64 s[12:13], s[14:15]
	s_cbranch_execz .LBB347_33
; %bb.30:                               ;   in Loop: Header=BB347_7 Depth=2
	v_add_f32_e32 v18, 2.0, v16
	v_mov_b32_e32 v19, v17
	v_pk_mul_f32 v[18:19], v[16:17], v[18:19]
	v_add_f32_e32 v11, v18, v19
	v_cmp_neq_f32_e64 s[10:11], 0, v11
	s_and_saveexec_b64 s[14:15], s[10:11]
	s_cbranch_execz .LBB347_32
; %bb.31:                               ;   in Loop: Header=BB347_7 Depth=2
	v_add_f32_e32 v9, 1.0, v11
	v_add_f32_e32 v13, -1.0, v9
	v_sub_f32_e32 v16, v13, v9
	v_add_f32_e32 v16, 1.0, v16
	v_sub_f32_e32 v13, v11, v13
	v_add_f32_e32 v13, v13, v16
	v_frexp_mant_f32_e32 v16, v9
	v_cvt_f64_f32_e32 v[18:19], v9
	v_frexp_exp_i32_f64_e32 v18, v[18:19]
	v_cmp_gt_f32_e64 s[10:11], s69, v16
	v_subbrev_co_u32_e64 v16, s[10:11], 0, v18, s[10:11]
	v_sub_u32_e32 v18, 0, v16
	v_ldexp_f32 v9, v9, v18
	v_ldexp_f32 v13, v13, v18
	v_add_f32_e32 v18, -1.0, v9
	v_add_f32_e32 v19, 1.0, v18
	v_sub_f32_e32 v19, v9, v19
	v_add_f32_e32 v20, v13, v19
	v_add_f32_e32 v19, 1.0, v9
	v_add_f32_e32 v21, -1.0, v19
	v_sub_f32_e32 v9, v9, v21
	v_add_f32_e32 v9, v13, v9
	v_add_f32_e32 v13, v19, v9
	v_rcp_f32_e32 v49, v13
	v_sub_f32_e32 v19, v13, v19
	v_sub_f32_e32 v9, v9, v19
	v_add_f32_e32 v19, v18, v20
	v_sub_f32_e32 v18, v19, v18
	v_mul_f32_e32 v55, v19, v49
	v_sub_f32_e32 v54, v20, v18
	v_mul_f32_e32 v20, v13, v55
	v_fma_f32 v50, v55, v13, -v20
	v_fmac_f32_e32 v50, v55, v9
	v_add_f32_e32 v18, v20, v50
	v_sub_f32_e32 v21, v19, v18
	v_pk_add_f32 v[52:53], v[18:19], v[20:21] neg_lo:[0,1] neg_hi:[0,1]
	v_mov_b32_e32 v51, v18
	v_pk_add_f32 v[18:19], v[52:53], v[50:51] neg_lo:[0,1] neg_hi:[0,1]
	v_add_f32_e32 v19, v54, v19
	v_add_f32_e32 v18, v18, v19
	;; [unrolled: 1-line block ×3, first 2 shown]
	v_mul_f32_e32 v54, v49, v19
	v_mul_f32_e32 v20, v13, v54
	v_fma_f32 v50, v54, v13, -v20
	v_fmac_f32_e32 v50, v54, v9
	v_sub_f32_e32 v9, v21, v19
	v_add_f32_e32 v9, v18, v9
	v_add_f32_e32 v18, v20, v50
	v_sub_f32_e32 v21, v19, v18
	v_pk_add_f32 v[52:53], v[18:19], v[20:21] neg_lo:[0,1] neg_hi:[0,1]
	v_mov_b32_e32 v51, v18
	v_pk_add_f32 v[18:19], v[52:53], v[50:51] neg_lo:[0,1] neg_hi:[0,1]
	v_add_f32_e32 v9, v9, v19
	v_add_f32_e32 v9, v18, v9
	;; [unrolled: 1-line block ×4, first 2 shown]
	v_sub_f32_e32 v18, v13, v55
	v_mul_f32_e32 v9, v49, v9
	v_sub_f32_e32 v18, v54, v18
	v_add_f32_e32 v19, v18, v9
	v_add_f32_e32 v20, v13, v19
	v_cvt_f32_i32_e32 v18, v16
	v_mul_f32_e32 v49, v20, v20
	v_mov_b32_e32 v9, 0x3ecc95a3
	v_fmac_f32_e32 v9, 0x3e9b6dac, v49
	v_sub_f32_e32 v13, v20, v13
	v_fma_f32 v9, v49, v9, v28
	v_sub_f32_e32 v13, v19, v13
	v_mul_f32_e32 v19, v20, v49
	v_pk_mul_f32 v[50:51], v[18:19], v[8:9]
	v_ldexp_f32 v21, v20, 1
	v_fma_f32 v20, v18, s70, -v50
	v_fmac_f32_e32 v20, 0xb102e308, v18
	v_pk_add_f32 v[18:19], v[50:51], v[20:21]
	v_sub_f32_e32 v9, v19, v21
	v_ldexp_f32 v13, v13, 1
	v_sub_f32_e32 v9, v51, v9
	v_add_f32_e32 v53, v13, v9
	v_mov_b32_e32 v52, v50
	v_pk_add_f32 v[50:51], v[18:19], v[50:51] neg_lo:[0,1] neg_hi:[0,1]
	v_pk_add_f32 v[54:55], v[18:19], v[52:53]
	v_mov_b32_e32 v51, v55
	v_mov_b32_e32 v21, v18
	v_pk_add_f32 v[56:57], v[20:21], v[50:51] neg_lo:[0,1] neg_hi:[0,1]
	v_pk_add_f32 v[20:21], v[20:21], v[50:51]
	v_mov_b32_e32 v16, v21
	v_pk_add_f32 v[50:51], v[16:17], v[18:19] neg_lo:[0,1] neg_hi:[0,1]
	v_mov_b32_e32 v9, v50
	v_pk_add_f32 v[58:59], v[54:55], v[8:9] neg_lo:[0,1] neg_hi:[0,1]
	v_mov_b32_e32 v20, v55
	v_mov_b32_e32 v54, v19
	v_mov_b32_e32 v55, v50
	v_mov_b32_e32 v57, v21
	v_pk_add_f32 v[20:21], v[20:21], v[54:55] neg_lo:[0,1] neg_hi:[0,1]
	v_mov_b32_e32 v50, v53
	v_mov_b32_e32 v51, v18
	v_pk_add_f32 v[18:19], v[50:51], v[20:21] neg_lo:[0,1] neg_hi:[0,1]
	v_mov_b32_e32 v58, v56
	v_pk_add_f32 v[20:21], v[58:59], v[18:19]
	v_mov_b32_e32 v50, v21
	v_pk_add_f32 v[50:51], v[20:21], v[50:51]
	v_pk_add_f32 v[52:53], v[16:17], v[50:51]
	v_mov_b32_e32 v21, v52
	v_pk_add_f32 v[54:55], v[20:21], v[56:57] neg_lo:[0,1] neg_hi:[0,1]
	v_mov_b32_e32 v19, v50
	v_sub_f32_e32 v9, v20, v54
	v_pk_add_f32 v[18:19], v[18:19], v[54:55] neg_lo:[0,1] neg_hi:[0,1]
	v_sub_f32_e32 v9, v56, v9
	v_add_f32_e32 v9, v18, v9
	v_add_f32_e32 v9, v9, v19
	;; [unrolled: 1-line block ×3, first 2 shown]
	v_cmp_eq_f32_e64 s[10:11], s67, v11
	v_cndmask_b32_e64 v9, v9, v11, s[10:11]
	v_cmp_ngt_f32_e64 s[10:11], -1.0, v11
	v_cndmask_b32_e64 v9, v38, v9, s[10:11]
	v_cmp_neq_f32_e64 s[10:11], -1.0, v11
	v_cndmask_b32_e64 v9, v41, v9, s[10:11]
	v_cmp_lt_f32_e64 s[10:11], |v11|, s60
	v_cndmask_b32_e64 v9, v9, v11, s[10:11]
	v_mul_f32_e32 v16, 0.5, v9
.LBB347_32:                             ;   in Loop: Header=BB347_7 Depth=2
	s_or_b64 exec, exec, s[14:15]
	v_mov_b32_e32 v18, v16
.LBB347_33:                             ;   in Loop: Header=BB347_7 Depth=2
	s_or_b64 exec, exec, s[12:13]
	v_max_f32_e64 v13, |v17|, |v17|
	v_max_f32_e64 v16, |v4|, |v4|
	v_min_f32_e32 v13, v16, v13
	v_frexp_mant_f32_e32 v16, v7
	v_rcp_f32_e32 v16, v16
	v_frexp_exp_i32_f32_e32 v7, v7
	v_frexp_exp_i32_f32_e32 v19, v13
	v_frexp_mant_f32_e32 v13, v13
	v_mul_f32_e32 v13, v13, v16
	v_sub_u32_e32 v7, v19, v7
	v_ldexp_f32 v7, v13, v7
	v_mul_f32_e32 v13, v7, v7
	v_mov_b32_e32 v16, 0xbc7a590c
	v_fmac_f32_e32 v16, 0x3b2d2a58, v13
	v_fma_f32 v16, v13, v16, v29
	v_fma_f32 v16, v13, v16, v30
	;; [unrolled: 1-line block ×6, first 2 shown]
	v_mul_f32_e32 v13, v13, v16
	v_cmp_gt_i32_e64 s[12:13], 0, v4
	v_fmac_f32_e32 v7, v7, v13
	v_cndmask_b32_e64 v11, 0, v44, s[12:13]
	v_sub_f32_e32 v13, 0x3fc90fdb, v7
	v_cmp_gt_f32_e64 s[12:13], |v17|, |v4|
	v_cndmask_b32_e64 v7, v7, v13, s[12:13]
	v_cmp_gt_f32_e64 s[10:11], 0, v4
	v_sub_f32_e32 v13, 0x40490fdb, v7
	v_cmp_class_f32_e64 s[14:15], v17, s71
	v_cmp_class_f32_e64 s[16:17], v4, s71
	v_cndmask_b32_e64 v9, v42, v43, s[10:11]
	v_cndmask_b32_e64 v7, v7, v13, s[10:11]
	v_cmp_eq_f32_e64 s[10:11], 0, v17
	v_cndmask_b32_e64 v7, v7, v11, s[10:11]
	s_and_b64 s[10:11], s[16:17], s[14:15]
	v_cndmask_b32_e64 v7, v7, v9, s[10:11]
	v_cmp_o_f32_e64 s[10:11], v4, v17
	v_cndmask_b32_e64 v4, v38, v7, s[10:11]
	v_bfi_b32 v19, s50, v4, v17
	v_pk_add_f32 v[16:17], v[14:15], v[18:19]
                                        ; implicit-def: $vgpr19
                                        ; implicit-def: $vgpr15
.LBB347_34:                             ;   in Loop: Header=BB347_7 Depth=2
	s_andn2_saveexec_b64 s[38:39], s[38:39]
	s_cbranch_execz .LBB347_60
; %bb.35:                               ;   in Loop: Header=BB347_7 Depth=2
	v_cmp_ngt_f32_e64 s[10:11], 0, v16
	s_and_saveexec_b64 s[40:41], s[10:11]
	s_cbranch_execz .LBB347_59
; %bb.36:                               ;   in Loop: Header=BB347_7 Depth=2
	v_and_b32_e32 v7, 0x7fffffff, v17
	v_lshrrev_b32_e32 v4, 23, v7
	v_and_b32_e32 v9, 0x7fffff, v7
	v_cmp_nlt_f32_e64 s[42:43], |v17|, s51
	v_add_u32_e32 v18, 0xffffff88, v4
	v_or_b32_e32 v16, 0x800000, v9
                                        ; implicit-def: $vgpr11
                                        ; implicit-def: $vgpr9
	s_and_saveexec_b64 s[10:11], s[42:43]
	s_xor_b64 s[44:45], exec, s[10:11]
	s_cbranch_execz .LBB347_38
; %bb.37:                               ;   in Loop: Header=BB347_7 Depth=2
	v_cmp_lt_u32_e64 s[10:11], 63, v18
	v_cndmask_b32_e64 v4, 0, v35, s[10:11]
	v_add_u32_e32 v4, v4, v18
	v_cmp_lt_u32_e64 s[12:13], 31, v4
	v_cndmask_b32_e64 v9, 0, v36, s[12:13]
	v_add_u32_e32 v4, v9, v4
	v_cmp_lt_u32_e64 s[14:15], 31, v4
	v_cndmask_b32_e64 v9, 0, v36, s[14:15]
	v_mad_u64_u32 v[20:21], s[16:17], v16, s53, 0
	v_add_u32_e32 v9, v9, v4
	v_mov_b32_e32 v4, v21
	v_mad_u64_u32 v[50:51], s[16:17], v16, s54, v[4:5]
	v_mov_b32_e32 v4, v51
	v_mad_u64_u32 v[52:53], s[16:17], v16, s55, v[4:5]
	;; [unrolled: 2-line block ×6, first 2 shown]
	v_cndmask_b32_e64 v11, v58, v54, s[10:11]
	v_cndmask_b32_e64 v4, v60, v56, s[10:11]
	;; [unrolled: 1-line block ×7, first 2 shown]
	v_sub_u32_e32 v21, 32, v9
	v_cmp_eq_u32_e64 s[16:17], 0, v9
	v_cndmask_b32_e64 v9, v54, v50, s[10:11]
	v_cndmask_b32_e64 v4, v4, v13, s[14:15]
	;; [unrolled: 1-line block ×4, first 2 shown]
	v_alignbit_b32 v49, v4, v13, v21
	v_cndmask_b32_e64 v11, v11, v14, s[14:15]
	v_cndmask_b32_e64 v4, v49, v4, s[16:17]
	v_alignbit_b32 v49, v13, v11, v21
	v_cndmask_b32_e64 v20, v52, v20, s[10:11]
	v_cndmask_b32_e64 v13, v49, v13, s[16:17]
	v_bfe_u32 v51, v4, 29, 1
	v_cndmask_b32_e64 v9, v9, v20, s[12:13]
	v_alignbit_b32 v49, v4, v13, 30
	v_sub_u32_e32 v53, 0, v51
	v_cndmask_b32_e64 v9, v14, v9, s[14:15]
	v_xor_b32_e32 v54, v49, v53
	v_alignbit_b32 v14, v11, v9, v21
	v_cndmask_b32_e64 v11, v14, v11, s[16:17]
	v_ffbh_u32_e32 v14, v54
	v_add_u32_e32 v14, 1, v14
	v_cmp_ne_u32_e64 s[10:11], v49, v53
	v_alignbit_b32 v13, v13, v11, 30
	v_cndmask_b32_e64 v14, 33, v14, s[10:11]
	v_alignbit_b32 v9, v11, v9, 30
	v_xor_b32_e32 v13, v13, v53
	v_sub_u32_e32 v20, 32, v14
	v_xor_b32_e32 v9, v9, v53
	v_alignbit_b32 v21, v54, v13, v20
	v_alignbit_b32 v9, v13, v9, v20
	;; [unrolled: 1-line block ×3, first 2 shown]
	v_ffbh_u32_e32 v13, v11
	v_min_u32_e32 v13, 32, v13
	v_lshrrev_b32_e32 v50, 29, v4
	v_sub_u32_e32 v20, 31, v13
	v_alignbit_b32 v9, v11, v9, v20
	v_lshlrev_b32_e32 v11, 31, v50
	v_or_b32_e32 v20, 0x33800000, v11
	v_add_lshl_u32 v13, v13, v14, 23
	v_lshrrev_b32_e32 v9, 9, v9
	v_sub_u32_e32 v13, v20, v13
	v_or_b32_e32 v9, v13, v9
	v_alignbit_b32 v13, v14, v21, 9
	v_or_b32_e32 v11, v13, v11
	v_xor_b32_e32 v11, 1.0, v11
	v_mul_f32_e32 v13, 0x3fc90fda, v11
	v_fma_f32 v14, v11, s61, -v13
	v_fmac_f32_e32 v14, 0x33a22168, v11
	v_fmac_f32_e32 v14, 0x3fc90fda, v9
	v_lshrrev_b32_e32 v4, 30, v4
	v_add_f32_e32 v9, v13, v14
	v_add_u32_e32 v11, v51, v4
.LBB347_38:                             ;   in Loop: Header=BB347_7 Depth=2
	s_or_saveexec_b64 s[10:11], s[44:45]
	v_mul_f32_e64 v4, |v17|, s62
	v_rndne_f32_e32 v4, v4
	s_xor_b64 exec, exec, s[10:11]
; %bb.39:                               ;   in Loop: Header=BB347_7 Depth=2
	v_cvt_i32_f32_e32 v11, v4
	v_fma_f32 v9, v4, s63, |v17|
	v_fmac_f32_e32 v9, 0xb3a22168, v4
	v_fmac_f32_e32 v9, 0xa7c234c4, v4
; %bb.40:                               ;   in Loop: Header=BB347_7 Depth=2
	s_or_b64 exec, exec, s[10:11]
                                        ; implicit-def: $vgpr13
                                        ; implicit-def: $vgpr14
	s_and_saveexec_b64 s[10:11], s[42:43]
	s_xor_b64 s[42:43], exec, s[10:11]
	s_cbranch_execz .LBB347_42
; %bb.41:                               ;   in Loop: Header=BB347_7 Depth=2
	v_cmp_lt_u32_e64 s[10:11], 63, v18
	v_cndmask_b32_e64 v4, 0, v35, s[10:11]
	v_add_u32_e32 v4, v4, v18
	v_cmp_lt_u32_e64 s[12:13], 31, v4
	v_cndmask_b32_e64 v13, 0, v36, s[12:13]
	v_add_u32_e32 v4, v13, v4
	v_cmp_lt_u32_e64 s[14:15], 31, v4
	v_cndmask_b32_e64 v13, 0, v36, s[14:15]
	v_mad_u64_u32 v[20:21], s[16:17], v16, s53, 0
	v_add_u32_e32 v13, v13, v4
	v_mov_b32_e32 v4, v21
	v_mad_u64_u32 v[50:51], s[16:17], v16, s54, v[4:5]
	v_mov_b32_e32 v4, v51
	v_mad_u64_u32 v[52:53], s[16:17], v16, s55, v[4:5]
	;; [unrolled: 2-line block ×6, first 2 shown]
	v_cndmask_b32_e64 v14, v58, v54, s[10:11]
	v_cndmask_b32_e64 v4, v60, v56, s[10:11]
	;; [unrolled: 1-line block ×7, first 2 shown]
	v_sub_u32_e32 v21, 32, v13
	v_cmp_eq_u32_e64 s[16:17], 0, v13
	v_cndmask_b32_e64 v13, v54, v50, s[10:11]
	v_cndmask_b32_e64 v4, v4, v16, s[14:15]
	;; [unrolled: 1-line block ×4, first 2 shown]
	v_alignbit_b32 v49, v4, v16, v21
	v_cndmask_b32_e64 v14, v14, v18, s[14:15]
	v_cndmask_b32_e64 v4, v49, v4, s[16:17]
	v_alignbit_b32 v49, v16, v14, v21
	v_cndmask_b32_e64 v20, v52, v20, s[10:11]
	v_cndmask_b32_e64 v16, v49, v16, s[16:17]
	v_bfe_u32 v51, v4, 29, 1
	v_cndmask_b32_e64 v13, v13, v20, s[12:13]
	v_alignbit_b32 v49, v4, v16, 30
	v_sub_u32_e32 v53, 0, v51
	v_cndmask_b32_e64 v13, v18, v13, s[14:15]
	v_xor_b32_e32 v54, v49, v53
	v_alignbit_b32 v18, v14, v13, v21
	v_cndmask_b32_e64 v14, v18, v14, s[16:17]
	v_ffbh_u32_e32 v18, v54
	v_add_u32_e32 v18, 1, v18
	v_cmp_ne_u32_e64 s[10:11], v49, v53
	v_alignbit_b32 v16, v16, v14, 30
	v_cndmask_b32_e64 v18, 33, v18, s[10:11]
	v_alignbit_b32 v13, v14, v13, 30
	v_xor_b32_e32 v16, v16, v53
	v_sub_u32_e32 v20, 32, v18
	v_xor_b32_e32 v13, v13, v53
	v_alignbit_b32 v21, v54, v16, v20
	v_alignbit_b32 v13, v16, v13, v20
	;; [unrolled: 1-line block ×3, first 2 shown]
	v_ffbh_u32_e32 v16, v14
	v_min_u32_e32 v16, 32, v16
	v_lshrrev_b32_e32 v50, 29, v4
	v_sub_u32_e32 v20, 31, v16
	v_alignbit_b32 v13, v14, v13, v20
	v_lshlrev_b32_e32 v14, 31, v50
	v_or_b32_e32 v20, 0x33800000, v14
	v_add_lshl_u32 v16, v16, v18, 23
	v_lshrrev_b32_e32 v13, 9, v13
	v_sub_u32_e32 v16, v20, v16
	v_or_b32_e32 v13, v16, v13
	v_alignbit_b32 v16, v18, v21, 9
	v_or_b32_e32 v14, v16, v14
	v_xor_b32_e32 v14, 1.0, v14
	v_mul_f32_e32 v16, 0x3fc90fda, v14
	v_fma_f32 v18, v14, s61, -v16
	v_fmac_f32_e32 v18, 0x33a22168, v14
	v_fmac_f32_e32 v18, 0x3fc90fda, v13
	v_lshrrev_b32_e32 v4, 30, v4
	v_add_f32_e32 v14, v16, v18
	v_add_u32_e32 v13, v51, v4
                                        ; implicit-def: $vgpr4
	s_andn2_saveexec_b64 s[10:11], s[42:43]
	s_cbranch_execnz .LBB347_43
	s_branch .LBB347_44
.LBB347_42:                             ;   in Loop: Header=BB347_7 Depth=2
	s_andn2_saveexec_b64 s[10:11], s[42:43]
.LBB347_43:                             ;   in Loop: Header=BB347_7 Depth=2
	v_cvt_i32_f32_e32 v13, v4
	v_fma_f32 v14, v4, s63, |v17|
	v_fmac_f32_e32 v14, 0xb3a22168, v4
	v_fmac_f32_e32 v14, 0xa7c234c4, v4
.LBB347_44:                             ;   in Loop: Header=BB347_7 Depth=2
	s_or_b64 exec, exec, s[10:11]
	v_and_b32_e32 v16, 0x7fffffff, v15
	v_lshrrev_b32_e32 v4, 23, v16
	v_and_b32_e32 v18, 0x7fffff, v16
	v_cmp_nlt_f32_e64 s[42:43], |v15|, s51
	v_add_u32_e32 v49, 0xffffff88, v4
	v_or_b32_e32 v21, 0x800000, v18
                                        ; implicit-def: $vgpr20
                                        ; implicit-def: $vgpr18
	s_and_saveexec_b64 s[10:11], s[42:43]
	s_xor_b64 s[44:45], exec, s[10:11]
	s_cbranch_execz .LBB347_46
; %bb.45:                               ;   in Loop: Header=BB347_7 Depth=2
	v_cmp_lt_u32_e64 s[10:11], 63, v49
	v_cndmask_b32_e64 v4, 0, v35, s[10:11]
	v_add_u32_e32 v4, v4, v49
	v_cmp_lt_u32_e64 s[12:13], 31, v4
	v_cndmask_b32_e64 v18, 0, v36, s[12:13]
	v_add_u32_e32 v4, v18, v4
	v_cmp_lt_u32_e64 s[14:15], 31, v4
	v_cndmask_b32_e64 v18, 0, v36, s[14:15]
	v_mad_u64_u32 v[50:51], s[16:17], v21, s53, 0
	v_add_u32_e32 v18, v18, v4
	v_mov_b32_e32 v4, v51
	v_mad_u64_u32 v[52:53], s[16:17], v21, s54, v[4:5]
	v_mov_b32_e32 v4, v53
	v_mad_u64_u32 v[54:55], s[16:17], v21, s55, v[4:5]
	v_mov_b32_e32 v4, v55
	v_mad_u64_u32 v[56:57], s[16:17], v21, s56, v[4:5]
	v_mov_b32_e32 v4, v57
	v_mad_u64_u32 v[58:59], s[16:17], v21, s57, v[4:5]
	v_mov_b32_e32 v4, v59
	v_mad_u64_u32 v[60:61], s[16:17], v21, s58, v[4:5]
	v_mov_b32_e32 v4, v61
	v_mad_u64_u32 v[62:63], s[16:17], v21, s59, v[4:5]
	v_cndmask_b32_e64 v20, v60, v56, s[10:11]
	v_cndmask_b32_e64 v4, v62, v58, s[10:11]
	;; [unrolled: 1-line block ×7, first 2 shown]
	v_sub_u32_e32 v55, 32, v18
	v_cmp_eq_u32_e64 s[16:17], 0, v18
	v_cndmask_b32_e64 v18, v56, v52, s[10:11]
	v_cndmask_b32_e64 v4, v4, v51, s[14:15]
	;; [unrolled: 1-line block ×4, first 2 shown]
	v_alignbit_b32 v57, v4, v51, v55
	v_cndmask_b32_e64 v20, v20, v52, s[14:15]
	v_cndmask_b32_e64 v50, v54, v50, s[10:11]
	;; [unrolled: 1-line block ×3, first 2 shown]
	v_alignbit_b32 v53, v51, v20, v55
	v_cndmask_b32_e64 v18, v18, v50, s[12:13]
	v_cndmask_b32_e64 v51, v53, v51, s[16:17]
	v_bfe_u32 v57, v4, 29, 1
	v_cndmask_b32_e64 v18, v52, v18, s[14:15]
	v_alignbit_b32 v53, v4, v51, 30
	v_sub_u32_e32 v58, 0, v57
	v_alignbit_b32 v50, v20, v18, v55
	v_xor_b32_e32 v59, v53, v58
	v_cndmask_b32_e64 v20, v50, v20, s[16:17]
	v_alignbit_b32 v50, v51, v20, 30
	v_ffbh_u32_e32 v51, v59
	v_add_u32_e32 v51, 1, v51
	v_cmp_ne_u32_e64 s[10:11], v53, v58
	v_cndmask_b32_e64 v51, 33, v51, s[10:11]
	v_alignbit_b32 v18, v20, v18, 30
	v_xor_b32_e32 v50, v50, v58
	v_sub_u32_e32 v52, 32, v51
	v_xor_b32_e32 v18, v18, v58
	v_alignbit_b32 v53, v59, v50, v52
	v_alignbit_b32 v18, v50, v18, v52
	;; [unrolled: 1-line block ×3, first 2 shown]
	v_ffbh_u32_e32 v50, v20
	v_min_u32_e32 v50, 32, v50
	v_lshrrev_b32_e32 v56, 29, v4
	v_sub_u32_e32 v52, 31, v50
	v_alignbit_b32 v18, v20, v18, v52
	v_lshlrev_b32_e32 v20, 31, v56
	v_or_b32_e32 v52, 0x33800000, v20
	v_add_lshl_u32 v50, v50, v51, 23
	v_lshrrev_b32_e32 v18, 9, v18
	v_sub_u32_e32 v50, v52, v50
	v_or_b32_e32 v18, v50, v18
	v_alignbit_b32 v50, v51, v53, 9
	v_or_b32_e32 v20, v50, v20
	v_xor_b32_e32 v20, 1.0, v20
	v_mul_f32_e32 v50, 0x3fc90fda, v20
	v_fma_f32 v51, v20, s61, -v50
	v_fmac_f32_e32 v51, 0x33a22168, v20
	v_fmac_f32_e32 v51, 0x3fc90fda, v18
	v_lshrrev_b32_e32 v4, 30, v4
	v_add_f32_e32 v18, v50, v51
	v_add_u32_e32 v20, v57, v4
.LBB347_46:                             ;   in Loop: Header=BB347_7 Depth=2
	s_or_saveexec_b64 s[10:11], s[44:45]
	v_mul_f32_e64 v4, |v15|, s62
	v_rndne_f32_e32 v51, v4
	s_xor_b64 exec, exec, s[10:11]
; %bb.47:                               ;   in Loop: Header=BB347_7 Depth=2
	v_cvt_i32_f32_e32 v20, v51
	v_fma_f32 v18, v51, s63, |v15|
	v_fmac_f32_e32 v18, 0xb3a22168, v51
	v_fmac_f32_e32 v18, 0xa7c234c4, v51
; %bb.48:                               ;   in Loop: Header=BB347_7 Depth=2
	s_or_b64 exec, exec, s[10:11]
                                        ; implicit-def: $vgpr4
                                        ; implicit-def: $vgpr50
	s_and_saveexec_b64 s[10:11], s[42:43]
	s_xor_b64 s[42:43], exec, s[10:11]
	s_cbranch_execz .LBB347_50
; %bb.49:                               ;   in Loop: Header=BB347_7 Depth=2
	v_cmp_lt_u32_e64 s[10:11], 63, v49
	v_cndmask_b32_e64 v4, 0, v35, s[10:11]
	v_add_u32_e32 v4, v4, v49
	v_cmp_lt_u32_e64 s[12:13], 31, v4
	v_cndmask_b32_e64 v49, 0, v36, s[12:13]
	v_add_u32_e32 v4, v49, v4
	v_cmp_lt_u32_e64 s[14:15], 31, v4
	v_cndmask_b32_e64 v49, 0, v36, s[14:15]
	v_mad_u64_u32 v[50:51], s[16:17], v21, s53, 0
	v_add_u32_e32 v49, v49, v4
	v_mov_b32_e32 v4, v51
	v_mad_u64_u32 v[52:53], s[16:17], v21, s54, v[4:5]
	v_mov_b32_e32 v4, v53
	v_mad_u64_u32 v[54:55], s[16:17], v21, s55, v[4:5]
	;; [unrolled: 2-line block ×6, first 2 shown]
	v_cndmask_b32_e64 v51, v60, v56, s[10:11]
	v_cndmask_b32_e64 v4, v62, v58, s[10:11]
	;; [unrolled: 1-line block ×7, first 2 shown]
	v_sub_u32_e32 v55, 32, v49
	v_cmp_eq_u32_e64 s[16:17], 0, v49
	v_cndmask_b32_e64 v49, v56, v52, s[10:11]
	v_cndmask_b32_e64 v4, v4, v21, s[14:15]
	;; [unrolled: 1-line block ×4, first 2 shown]
	v_alignbit_b32 v57, v4, v21, v55
	v_cndmask_b32_e64 v51, v51, v52, s[14:15]
	v_cndmask_b32_e64 v4, v57, v4, s[16:17]
	v_alignbit_b32 v53, v21, v51, v55
	v_cndmask_b32_e64 v50, v54, v50, s[10:11]
	v_cndmask_b32_e64 v21, v53, v21, s[16:17]
	v_bfe_u32 v57, v4, 29, 1
	v_cndmask_b32_e64 v49, v49, v50, s[12:13]
	v_alignbit_b32 v53, v4, v21, 30
	v_sub_u32_e32 v58, 0, v57
	v_cndmask_b32_e64 v49, v52, v49, s[14:15]
	v_xor_b32_e32 v59, v53, v58
	v_alignbit_b32 v50, v51, v49, v55
	v_cndmask_b32_e64 v50, v50, v51, s[16:17]
	v_ffbh_u32_e32 v51, v59
	v_add_u32_e32 v51, 1, v51
	v_cmp_ne_u32_e64 s[10:11], v53, v58
	v_alignbit_b32 v21, v21, v50, 30
	v_cndmask_b32_e64 v51, 33, v51, s[10:11]
	v_alignbit_b32 v49, v50, v49, 30
	v_xor_b32_e32 v21, v21, v58
	v_sub_u32_e32 v52, 32, v51
	v_xor_b32_e32 v49, v49, v58
	v_alignbit_b32 v53, v59, v21, v52
	v_alignbit_b32 v21, v21, v49, v52
	;; [unrolled: 1-line block ×3, first 2 shown]
	v_ffbh_u32_e32 v50, v49
	v_min_u32_e32 v50, 32, v50
	v_lshrrev_b32_e32 v56, 29, v4
	v_sub_u32_e32 v52, 31, v50
	v_alignbit_b32 v21, v49, v21, v52
	v_lshlrev_b32_e32 v49, 31, v56
	v_or_b32_e32 v52, 0x33800000, v49
	v_add_lshl_u32 v50, v50, v51, 23
	v_lshrrev_b32_e32 v21, 9, v21
	v_sub_u32_e32 v50, v52, v50
	v_or_b32_e32 v21, v50, v21
	v_alignbit_b32 v50, v51, v53, 9
	v_or_b32_e32 v49, v50, v49
	v_xor_b32_e32 v49, 1.0, v49
	v_mul_f32_e32 v50, 0x3fc90fda, v49
	v_fma_f32 v51, v49, s61, -v50
	v_fmac_f32_e32 v51, 0x33a22168, v49
	v_fmac_f32_e32 v51, 0x3fc90fda, v21
	v_lshrrev_b32_e32 v4, 30, v4
	v_add_f32_e32 v50, v50, v51
	v_add_u32_e32 v4, v57, v4
                                        ; implicit-def: $vgpr51
	s_andn2_saveexec_b64 s[10:11], s[42:43]
	s_cbranch_execnz .LBB347_51
	s_branch .LBB347_52
.LBB347_50:                             ;   in Loop: Header=BB347_7 Depth=2
	s_andn2_saveexec_b64 s[10:11], s[42:43]
.LBB347_51:                             ;   in Loop: Header=BB347_7 Depth=2
	v_cvt_i32_f32_e32 v4, v51
	v_fma_f32 v50, v51, s63, |v15|
	v_fmac_f32_e32 v50, 0xb3a22168, v51
	v_fmac_f32_e32 v50, 0xa7c234c4, v51
.LBB347_52:                             ;   in Loop: Header=BB347_7 Depth=2
	s_or_b64 exec, exec, s[10:11]
	v_mul_f32_e32 v49, v9, v9
	v_mov_b32_e32 v51, 0x3c0881c4
	v_fmac_f32_e32 v51, 0xb94c1982, v49
	v_fma_f32 v51, v49, v51, v25
	v_mul_f32_e32 v51, v49, v51
	v_fmac_f32_e32 v9, v9, v51
	v_mov_b32_e32 v51, 0xbab64f3b
	v_fmac_f32_e32 v51, 0x37d75334, v49
	v_fma_f32 v51, v49, v51, v26
	v_lshlrev_b32_e32 v21, 30, v11
	v_and_b32_e32 v11, 1, v11
	v_fma_f32 v51, v49, v51, v27
	v_and_b32_e32 v21, 0x80000000, v21
	v_fma_f32 v49, v49, v51, 1.0
	v_cmp_eq_u32_e64 s[10:11], 0, v11
	v_xor_b32_e32 v7, v7, v19
	v_cndmask_b32_e64 v9, v49, v9, s[10:11]
	v_xor_b32_e32 v7, v7, v21
	v_xor_b32_e32 v7, v7, v9
	v_mul_f32_e32 v9, v14, v14
	v_mov_b32_e32 v11, 0x3c0881c4
	v_fmac_f32_e32 v11, 0xb94c1982, v9
	v_fma_f32 v11, v9, v11, v25
	v_mul_f32_e32 v11, v9, v11
	v_fmac_f32_e32 v14, v14, v11
	v_mov_b32_e32 v11, 0xbab64f3b
	v_fmac_f32_e32 v11, 0x37d75334, v9
	v_fma_f32 v11, v9, v11, v26
	v_fma_f32 v11, v9, v11, v27
	v_fma_f32 v9, v9, v11, 1.0
	v_and_b32_e32 v11, 1, v13
	v_cmp_eq_u32_e64 s[12:13], 0, v11
	v_cmp_class_f32_e64 s[10:11], v17, s49
	v_cndmask_b32_e64 v9, -v14, v9, s[12:13]
	v_mul_f32_e32 v14, v18, v18
	v_mov_b32_e32 v17, 0x3c0881c4
	v_fmac_f32_e32 v17, 0xb94c1982, v14
	v_lshlrev_b32_e32 v11, 30, v13
	v_fma_f32 v17, v14, v17, v25
	v_and_b32_e32 v11, 0x80000000, v11
	v_mul_f32_e32 v17, v14, v17
	v_xor_b32_e32 v9, v11, v9
	v_fmac_f32_e32 v18, v18, v17
	v_mov_b32_e32 v17, 0xbab64f3b
	v_cndmask_b32_e64 v9, v38, v9, s[10:11]
	v_fmac_f32_e32 v17, 0x37d75334, v14
	v_cndmask_b32_e64 v7, v38, v7, s[10:11]
	v_mul_f32_e32 v11, 0x7f800000, v9
	v_cmp_neq_f32_e64 s[10:11], 0, v9
	v_fma_f32 v17, v14, v17, v26
	v_cndmask_b32_e64 v9, 0, v11, s[10:11]
	v_mul_f32_e32 v11, 0x7f800000, v7
	v_cmp_neq_f32_e64 s[10:11], 0, v7
	v_and_b32_e32 v13, 1, v20
	v_fma_f32 v17, v14, v17, v27
	v_cndmask_b32_e64 v7, 0, v11, s[10:11]
	v_lshlrev_b32_e32 v11, 30, v20
	v_fma_f32 v14, v14, v17, 1.0
	v_cmp_eq_u32_e64 s[10:11], 0, v13
	v_and_b32_e32 v11, 0x80000000, v11
	v_cndmask_b32_e64 v13, v14, v18, s[10:11]
	v_xor_b32_e32 v14, v16, v15
	v_xor_b32_e32 v11, v14, v11
	;; [unrolled: 1-line block ×3, first 2 shown]
	v_mul_f32_e32 v13, v50, v50
	v_mov_b32_e32 v14, 0x3c0881c4
	v_fmac_f32_e32 v14, 0xb94c1982, v13
	v_fma_f32 v14, v13, v14, v25
	v_mul_f32_e32 v14, v13, v14
	v_fmac_f32_e32 v50, v50, v14
	v_mov_b32_e32 v14, 0xbab64f3b
	v_fmac_f32_e32 v14, 0x37d75334, v13
	v_fma_f32 v14, v13, v14, v26
	v_fma_f32 v14, v13, v14, v27
	v_fma_f32 v13, v13, v14, 1.0
	v_and_b32_e32 v14, 1, v4
	v_cmp_eq_u32_e64 s[12:13], 0, v14
	v_lshlrev_b32_e32 v4, 30, v4
	v_cndmask_b32_e64 v13, -v50, v13, s[12:13]
	v_and_b32_e32 v4, 0x80000000, v4
	v_cmp_class_f32_e64 s[10:11], v15, s49
	v_xor_b32_e32 v4, v4, v13
	v_cndmask_b32_e64 v4, v38, v4, s[10:11]
	v_cndmask_b32_e64 v11, v38, v11, s[10:11]
	v_mul_f32_e32 v13, 0x7f800000, v4
	v_cmp_neq_f32_e64 s[10:11], 0, v4
	v_cndmask_b32_e64 v4, 0, v13, s[10:11]
	v_mul_f32_e32 v13, 0x7f800000, v11
	v_cmp_neq_f32_e64 s[10:11], 0, v11
	v_cndmask_b32_e64 v11, 0, v13, s[10:11]
	v_add_f32_e32 v9, v9, v4
	v_add_f32_e32 v4, v7, v11
	v_add_f32_e32 v16, -1.0, v9
	v_max_f32_e64 v7, |v16|, |v4|
	v_cvt_f64_f32_e32 v[14:15], v7
	v_frexp_exp_i32_f64_e32 v9, v[14:15]
	v_sub_u32_e32 v11, 0, v9
	v_ldexp_f32 v13, |v16|, v11
	v_ldexp_f32 v11, |v4|, v11
	v_mul_f32_e32 v11, v11, v11
	v_fmac_f32_e32 v11, v13, v13
	v_sqrt_f32_e32 v11, v11
	v_cmp_eq_f32_e64 s[10:11], s67, v7
	v_add_f32_e32 v7, 1.0, v16
	v_ldexp_f32 v9, v11, v9
	v_cmp_ngt_f32_e64 s[12:13], 0.5, v9
	v_max_f32_e64 v11, |v7|, |v4|
	s_or_b64 s[10:11], s[10:11], s[12:13]
	s_and_saveexec_b64 s[12:13], s[10:11]
	s_xor_b64 s[14:15], exec, s[12:13]
	s_cbranch_execz .LBB347_54
; %bb.53:                               ;   in Loop: Header=BB347_7 Depth=2
	v_cvt_f64_f32_e32 v[14:15], v11
	v_frexp_exp_i32_f64_e32 v9, v[14:15]
	v_sub_u32_e32 v13, 0, v9
	v_ldexp_f32 v14, |v7|, v13
	v_ldexp_f32 v13, |v4|, v13
	v_mul_f32_e32 v13, v13, v13
	v_fmac_f32_e32 v13, v14, v14
	v_sqrt_f32_e32 v13, v13
	v_cmp_neq_f32_e64 s[10:11], s67, v11
	v_ldexp_f32 v9, v13, v9
	v_cndmask_b32_e64 v9, v37, v9, s[10:11]
	v_cmp_gt_f32_e64 s[10:11], s52, v9
	v_cndmask_b32_e64 v13, 1.0, v39, s[10:11]
	v_mul_f32_e32 v9, v9, v13
	v_log_f32_e32 v9, v9
	v_mul_f32_e32 v13, 0x3f317217, v9
	v_fma_f32 v14, v9, s68, -v13
	v_fmac_f32_e32 v14, 0x3377d1cf, v9
	v_add_f32_e32 v13, v13, v14
	v_cmp_lt_f32_e64 s[12:13], |v9|, s67
	v_cndmask_b32_e64 v9, v9, v13, s[12:13]
	v_cndmask_b32_e64 v13, 0, v40, s[10:11]
	v_sub_f32_e32 v16, v9, v13
.LBB347_54:                             ;   in Loop: Header=BB347_7 Depth=2
	s_andn2_saveexec_b64 s[12:13], s[14:15]
	s_cbranch_execz .LBB347_58
; %bb.55:                               ;   in Loop: Header=BB347_7 Depth=2
	v_add_f32_e32 v9, 2.0, v16
	v_mul_f32_e32 v13, v16, v9
	v_fmac_f32_e32 v13, v4, v4
	v_cmp_neq_f32_e64 s[10:11], 0, v13
	s_and_saveexec_b64 s[14:15], s[10:11]
	s_cbranch_execz .LBB347_57
; %bb.56:                               ;   in Loop: Header=BB347_7 Depth=2
	v_add_f32_e32 v9, 1.0, v13
	v_add_f32_e32 v14, -1.0, v9
	v_sub_f32_e32 v15, v14, v9
	v_add_f32_e32 v15, 1.0, v15
	v_sub_f32_e32 v14, v13, v14
	v_add_f32_e32 v16, v14, v15
	v_frexp_mant_f32_e32 v17, v9
	v_cvt_f64_f32_e32 v[14:15], v9
	v_frexp_exp_i32_f64_e32 v14, v[14:15]
	v_cmp_gt_f32_e64 s[10:11], s69, v17
	v_subbrev_co_u32_e64 v49, s[10:11], 0, v14, s[10:11]
	v_sub_u32_e32 v14, 0, v49
	v_ldexp_f32 v9, v9, v14
	v_ldexp_f32 v14, v16, v14
	v_add_f32_e32 v16, -1.0, v9
	v_add_f32_e32 v15, 1.0, v16
	v_sub_f32_e32 v15, v9, v15
	v_add_f32_e32 v17, v14, v15
	v_add_f32_e32 v15, 1.0, v9
	v_add_f32_e32 v18, -1.0, v15
	v_sub_f32_e32 v9, v9, v18
	v_add_f32_e32 v9, v14, v9
	v_add_f32_e32 v50, v15, v9
	v_rcp_f32_e32 v51, v50
	v_sub_f32_e32 v14, v50, v15
	v_add_f32_e32 v15, v16, v17
	v_sub_f32_e32 v9, v9, v14
	v_mul_f32_e32 v53, v15, v51
	v_sub_f32_e32 v14, v15, v16
	v_mul_f32_e32 v16, v50, v53
	v_fma_f32 v18, v53, v50, -v16
	v_fmac_f32_e32 v18, v53, v9
	v_sub_f32_e32 v52, v17, v14
	v_add_f32_e32 v14, v16, v18
	v_sub_f32_e32 v17, v15, v14
	v_pk_add_f32 v[20:21], v[14:15], v[16:17] neg_lo:[0,1] neg_hi:[0,1]
	v_mov_b32_e32 v19, v14
	v_pk_add_f32 v[14:15], v[20:21], v[18:19] neg_lo:[0,1] neg_hi:[0,1]
	v_add_f32_e32 v15, v52, v15
	v_add_f32_e32 v14, v14, v15
	;; [unrolled: 1-line block ×3, first 2 shown]
	v_mul_f32_e32 v52, v51, v15
	v_mul_f32_e32 v16, v50, v52
	v_fma_f32 v18, v52, v50, -v16
	v_fmac_f32_e32 v18, v52, v9
	v_sub_f32_e32 v9, v17, v15
	v_add_f32_e32 v9, v14, v9
	v_add_f32_e32 v14, v16, v18
	v_sub_f32_e32 v17, v15, v14
	v_pk_add_f32 v[20:21], v[14:15], v[16:17] neg_lo:[0,1] neg_hi:[0,1]
	v_mov_b32_e32 v19, v14
	v_pk_add_f32 v[14:15], v[20:21], v[18:19] neg_lo:[0,1] neg_hi:[0,1]
	v_add_f32_e32 v9, v9, v15
	v_add_f32_e32 v9, v14, v9
	;; [unrolled: 1-line block ×4, first 2 shown]
	v_sub_f32_e32 v14, v15, v53
	v_mul_f32_e32 v9, v51, v9
	v_sub_f32_e32 v14, v52, v14
	v_add_f32_e32 v16, v14, v9
	v_add_f32_e32 v18, v15, v16
	v_cvt_f32_i32_e32 v14, v49
	v_mul_f32_e32 v19, v18, v18
	v_mov_b32_e32 v9, 0x3ecc95a3
	v_sub_f32_e32 v15, v18, v15
	v_fmac_f32_e32 v9, 0x3e9b6dac, v19
	v_sub_f32_e32 v15, v16, v15
	v_fma_f32 v9, v19, v9, v28
	v_ldexp_f32 v20, v15, 1
	v_mul_f32_e32 v15, v18, v19
	v_ldexp_f32 v17, v18, 1
	v_pk_mul_f32 v[18:19], v[14:15], v[8:9]
	v_fma_f32 v16, v14, s70, -v18
	v_fmac_f32_e32 v16, 0xb102e308, v14
	v_pk_add_f32 v[14:15], v[18:19], v[16:17]
	v_sub_f32_e32 v9, v15, v17
	v_sub_f32_e32 v9, v19, v9
	v_add_f32_e32 v21, v20, v9
	v_mov_b32_e32 v20, v18
	v_pk_add_f32 v[18:19], v[14:15], v[18:19] neg_lo:[0,1] neg_hi:[0,1]
	v_pk_add_f32 v[50:51], v[14:15], v[20:21]
	v_mov_b32_e32 v19, v51
	v_mov_b32_e32 v17, v14
	v_pk_add_f32 v[52:53], v[16:17], v[18:19] neg_lo:[0,1] neg_hi:[0,1]
	v_pk_add_f32 v[16:17], v[16:17], v[18:19]
	v_mov_b32_e32 v18, v17
	v_pk_add_f32 v[54:55], v[18:19], v[14:15] neg_lo:[0,1] neg_hi:[0,1]
	v_mov_b32_e32 v9, v54
	v_pk_add_f32 v[56:57], v[50:51], v[8:9] neg_lo:[0,1] neg_hi:[0,1]
	v_mov_b32_e32 v16, v51
	v_mov_b32_e32 v50, v15
	v_mov_b32_e32 v51, v54
	v_mov_b32_e32 v53, v17
	v_pk_add_f32 v[16:17], v[16:17], v[50:51] neg_lo:[0,1] neg_hi:[0,1]
	v_mov_b32_e32 v20, v21
	v_mov_b32_e32 v21, v14
	v_pk_add_f32 v[14:15], v[20:21], v[16:17] neg_lo:[0,1] neg_hi:[0,1]
	v_mov_b32_e32 v56, v52
	v_pk_add_f32 v[16:17], v[56:57], v[14:15]
	v_mov_b32_e32 v20, v17
	v_pk_add_f32 v[20:21], v[16:17], v[20:21]
	v_pk_add_f32 v[18:19], v[18:19], v[20:21]
	v_mov_b32_e32 v17, v18
	v_pk_add_f32 v[50:51], v[16:17], v[52:53] neg_lo:[0,1] neg_hi:[0,1]
	v_mov_b32_e32 v15, v20
	v_sub_f32_e32 v9, v16, v50
	v_pk_add_f32 v[14:15], v[14:15], v[50:51] neg_lo:[0,1] neg_hi:[0,1]
	v_sub_f32_e32 v9, v52, v9
	v_add_f32_e32 v9, v14, v9
	v_add_f32_e32 v9, v9, v15
	;; [unrolled: 1-line block ×3, first 2 shown]
	v_cmp_eq_f32_e64 s[10:11], s67, v13
	v_cndmask_b32_e64 v9, v9, v13, s[10:11]
	v_cmp_ngt_f32_e64 s[10:11], -1.0, v13
	v_cndmask_b32_e64 v9, v38, v9, s[10:11]
	v_cmp_neq_f32_e64 s[10:11], -1.0, v13
	v_cndmask_b32_e64 v9, v41, v9, s[10:11]
	v_cmp_lt_f32_e64 s[10:11], |v13|, s60
	v_cndmask_b32_e64 v9, v9, v13, s[10:11]
	v_mul_f32_e32 v16, 0.5, v9
.LBB347_57:                             ;   in Loop: Header=BB347_7 Depth=2
	s_or_b64 exec, exec, s[14:15]
.LBB347_58:                             ;   in Loop: Header=BB347_7 Depth=2
	s_or_b64 exec, exec, s[12:13]
	v_max_f32_e64 v14, |v4|, |v4|
	v_max_f32_e64 v15, |v7|, |v7|
	v_min_f32_e32 v14, v15, v14
	v_frexp_mant_f32_e32 v15, v11
	v_rcp_f32_e32 v15, v15
	v_frexp_exp_i32_f32_e32 v11, v11
	v_frexp_exp_i32_f32_e32 v17, v14
	v_frexp_mant_f32_e32 v14, v14
	v_mul_f32_e32 v14, v14, v15
	v_sub_u32_e32 v11, v17, v11
	v_ldexp_f32 v11, v14, v11
	v_mul_f32_e32 v14, v11, v11
	v_mov_b32_e32 v15, 0xbc7a590c
	v_fmac_f32_e32 v15, 0x3b2d2a58, v14
	v_fma_f32 v15, v14, v15, v29
	v_fma_f32 v15, v14, v15, v30
	;; [unrolled: 1-line block ×6, first 2 shown]
	v_mul_f32_e32 v14, v14, v15
	v_cmp_gt_i32_e64 s[12:13], 0, v7
	v_fmac_f32_e32 v11, v11, v14
	v_cndmask_b32_e64 v13, 0, v44, s[12:13]
	v_sub_f32_e32 v14, 0x3fc90fdb, v11
	v_cmp_gt_f32_e64 s[12:13], |v4|, |v7|
	v_cndmask_b32_e64 v11, v11, v14, s[12:13]
	v_cmp_gt_f32_e64 s[10:11], 0, v7
	v_sub_f32_e32 v14, 0x40490fdb, v11
	v_cmp_class_f32_e64 s[14:15], v4, s71
	v_cmp_class_f32_e64 s[16:17], v7, s71
	v_cndmask_b32_e64 v9, v42, v43, s[10:11]
	v_cndmask_b32_e64 v11, v11, v14, s[10:11]
	v_cmp_eq_f32_e64 s[10:11], 0, v4
	v_cndmask_b32_e64 v11, v11, v13, s[10:11]
	s_and_b64 s[10:11], s[14:15], s[16:17]
	v_cndmask_b32_e64 v9, v11, v9, s[10:11]
	v_cmp_o_f32_e64 s[10:11], v7, v4
	v_cndmask_b32_e64 v7, v38, v9, s[10:11]
	v_bfi_b32 v17, s50, v7, v4
.LBB347_59:                             ;   in Loop: Header=BB347_7 Depth=2
	s_or_b64 exec, exec, s[40:41]
.LBB347_60:                             ;   in Loop: Header=BB347_7 Depth=2
	s_or_b64 exec, exec, s[38:39]
	v_pk_mov_b32 v[20:21], v[16:17], v[16:17] op_sel:[0,1]
.LBB347_61:                             ;   in Loop: Header=BB347_7 Depth=2
	s_or_b64 exec, exec, s[36:37]
	ds_write_b64 v3, v[20:21]
.LBB347_62:                             ;   in Loop: Header=BB347_7 Depth=2
	s_or_b64 exec, exec, s[34:35]
	s_mov_b64 s[34:35], 0
	v_mov_b32_e32 v4, 0
	s_waitcnt lgkmcnt(0)
	s_barrier
	s_branch .LBB347_69
.LBB347_63:                             ;   in Loop: Header=BB347_69 Depth=3
	s_or_b64 exec, exec, s[14:15]
.LBB347_64:                             ;   in Loop: Header=BB347_69 Depth=3
	s_or_b64 exec, exec, s[12:13]
	v_max_f32_e64 v17, |v4|, |v4|
	v_max_f32_e64 v18, |v7|, |v7|
	v_min_f32_e32 v17, v18, v17
	v_frexp_mant_f32_e32 v18, v14
	v_rcp_f32_e32 v18, v18
	v_frexp_exp_i32_f32_e32 v14, v14
	v_frexp_exp_i32_f32_e32 v19, v17
	v_frexp_mant_f32_e32 v17, v17
	v_mul_f32_e32 v17, v17, v18
	v_sub_u32_e32 v14, v19, v14
	v_ldexp_f32 v14, v17, v14
	v_mul_f32_e32 v17, v14, v14
	v_mov_b32_e32 v18, 0xbc7a590c
	v_fmac_f32_e32 v18, 0x3b2d2a58, v17
	v_fma_f32 v18, v17, v18, v29
	v_fma_f32 v18, v17, v18, v30
	;; [unrolled: 1-line block ×6, first 2 shown]
	v_mul_f32_e32 v17, v17, v18
	v_cmp_gt_i32_e64 s[12:13], 0, v7
	v_fmac_f32_e32 v14, v14, v17
	v_cndmask_b32_e64 v15, 0, v44, s[12:13]
	v_sub_f32_e32 v17, 0x3fc90fdb, v14
	v_cmp_gt_f32_e64 s[12:13], |v4|, |v7|
	v_cndmask_b32_e64 v14, v14, v17, s[12:13]
	v_cmp_gt_f32_e64 s[10:11], 0, v7
	v_sub_f32_e32 v17, 0x40490fdb, v14
	v_cmp_class_f32_e64 s[14:15], v4, s71
	v_cmp_class_f32_e64 s[16:17], v7, s71
	v_cndmask_b32_e64 v9, v42, v43, s[10:11]
	v_cndmask_b32_e64 v14, v14, v17, s[10:11]
	v_cmp_eq_f32_e64 s[10:11], 0, v4
	v_cndmask_b32_e64 v14, v14, v15, s[10:11]
	s_and_b64 s[10:11], s[14:15], s[16:17]
	v_cndmask_b32_e64 v9, v14, v9, s[10:11]
	v_cmp_o_f32_e64 s[10:11], v7, v4
	v_cndmask_b32_e64 v7, v38, v9, s[10:11]
	v_bfi_b32 v17, s50, v7, v4
.LBB347_65:                             ;   in Loop: Header=BB347_69 Depth=3
	s_or_b64 exec, exec, s[42:43]
.LBB347_66:                             ;   in Loop: Header=BB347_69 Depth=3
	s_or_b64 exec, exec, s[40:41]
	v_pk_mov_b32 v[20:21], v[16:17], v[16:17] op_sel:[0,1]
.LBB347_67:                             ;   in Loop: Header=BB347_69 Depth=3
	s_or_b64 exec, exec, s[38:39]
	ds_write_b64 v13, v[20:21]
.LBB347_68:                             ;   in Loop: Header=BB347_69 Depth=3
	s_or_b64 exec, exec, s[36:37]
	v_cmp_eq_u32_e64 s[10:11], s48, v11
	s_or_b64 s[34:35], s[10:11], s[34:35]
	v_mov_b32_e32 v4, v11
	s_waitcnt lgkmcnt(0)
	s_barrier
	s_andn2_b64 exec, exec, s[34:35]
	s_cbranch_execz .LBB347_116
.LBB347_69:                             ;   Parent Loop BB347_4 Depth=1
                                        ;     Parent Loop BB347_7 Depth=2
                                        ; =>    This Inner Loop Header: Depth=3
	v_add_u32_e32 v11, 1, v4
	s_and_saveexec_b64 s[10:11], s[8:9]
	s_xor_b64 s[10:11], exec, s[10:11]
; %bb.70:                               ;   in Loop: Header=BB347_69 Depth=3
	v_add_u32_e32 v11, 1, v4
                                        ; implicit-def: $vgpr4
; %bb.71:                               ;   in Loop: Header=BB347_69 Depth=3
	s_andn2_saveexec_b64 s[36:37], s[10:11]
	s_cbranch_execz .LBB347_68
; %bb.72:                               ;   in Loop: Header=BB347_69 Depth=3
	v_lshlrev_b32_e64 v7, v4, 1
	v_lshrrev_b32_e32 v9, v4, v1
	v_lshl_or_b32 v7, v9, v11, v7
	v_lshl_add_u32 v7, v7, 3, v3
	v_add_u32_e32 v9, -8, v7
	v_bfm_b32 v4, v4, 0
	ds_read_b64 v[14:15], v9
	v_and_b32_e32 v4, v4, v1
	v_lshl_add_u32 v13, v4, 3, v7
	ds_read_b64 v[20:21], v13
	s_waitcnt lgkmcnt(1)
	v_cmp_o_f32_e64 s[10:11], v14, v14
	v_cmp_o_f32_e64 s[12:13], v15, v15
	s_and_b64 s[14:15], s[10:11], s[12:13]
	v_mov_b32_e32 v19, v15
	v_pk_mov_b32 v[16:17], v[14:15], v[14:15] op_sel:[0,1]
	s_and_saveexec_b64 s[16:17], s[14:15]
	s_cbranch_execz .LBB347_74
; %bb.73:                               ;   in Loop: Header=BB347_69 Depth=3
	s_waitcnt lgkmcnt(0)
	v_cmp_u_f32_e64 s[10:11], v20, v20
	v_cmp_u_f32_e64 s[12:13], v21, v21
	s_or_b64 s[12:13], s[10:11], s[12:13]
	v_cmp_lt_f32_e64 s[10:11], v20, v14
	s_or_b64 s[10:11], s[12:13], s[10:11]
	v_cndmask_b32_e64 v19, v15, v21, s[10:11]
	v_cndmask_b32_e64 v18, v14, v20, s[10:11]
	v_pk_mov_b32 v[16:17], v[18:19], v[18:19] op_sel:[0,1]
.LBB347_74:                             ;   in Loop: Header=BB347_69 Depth=3
	s_or_b64 exec, exec, s[16:17]
	s_and_saveexec_b64 s[10:11], s[14:15]
	s_xor_b64 s[14:15], exec, s[10:11]
	s_cbranch_execz .LBB347_76
; %bb.75:                               ;   in Loop: Header=BB347_69 Depth=3
	s_waitcnt lgkmcnt(0)
	v_cmp_u_f32_e64 s[10:11], v20, v20
	v_cmp_u_f32_e64 s[12:13], v21, v21
	s_or_b64 s[12:13], s[10:11], s[12:13]
	v_cmp_ge_f32_e64 s[10:11], v20, v14
	s_or_b64 s[10:11], s[12:13], s[10:11]
	v_cndmask_b32_e64 v15, v15, v21, s[10:11]
	v_cndmask_b32_e64 v14, v14, v20, s[10:11]
.LBB347_76:                             ;   in Loop: Header=BB347_69 Depth=3
	s_andn2_saveexec_b64 s[10:11], s[14:15]
	s_or_b64 exec, exec, s[10:11]
	v_cmp_o_f32_e64 s[10:11], v16, v16
	v_cmp_o_f32_e64 s[12:13], v17, v17
	s_mov_b32 s31, s30
	s_and_b64 s[10:11], s[10:11], s[12:13]
	s_waitcnt lgkmcnt(0)
	v_pk_mov_b32 v[20:21], s[30:31], s[30:31] op_sel:[0,1]
	s_and_saveexec_b64 s[38:39], s[10:11]
	s_cbranch_execz .LBB347_67
; %bb.77:                               ;   in Loop: Header=BB347_69 Depth=3
	v_cmp_class_f32_e64 s[12:13], v16, s49
	v_cmp_neq_f32_e64 s[10:11], v14, v16
	s_or_b64 s[10:11], s[12:13], s[10:11]
	s_and_saveexec_b64 s[12:13], s[10:11]
	s_xor_b64 s[40:41], exec, s[12:13]
	s_cbranch_execz .LBB347_93
; %bb.78:                               ;   in Loop: Header=BB347_69 Depth=3
	v_pk_add_f32 v[16:17], v[16:17], v[14:15] neg_lo:[0,1] neg_hi:[0,1]
	v_and_b32_e32 v7, 0x7fffffff, v17
	v_lshrrev_b32_e32 v4, 23, v7
	v_and_b32_e32 v9, 0x7fffff, v7
	v_cmp_nlt_f32_e64 s[42:43], |v17|, s51
	v_add_u32_e32 v20, 0xffffff88, v4
	v_or_b32_e32 v19, 0x800000, v9
                                        ; implicit-def: $vgpr9
                                        ; implicit-def: $vgpr18
	s_and_saveexec_b64 s[10:11], s[42:43]
	s_xor_b64 s[44:45], exec, s[10:11]
	s_cbranch_execz .LBB347_80
; %bb.79:                               ;   in Loop: Header=BB347_69 Depth=3
	v_cmp_lt_u32_e64 s[10:11], 63, v20
	v_cndmask_b32_e64 v4, 0, v35, s[10:11]
	v_add_u32_e32 v4, v4, v20
	v_cmp_lt_u32_e64 s[12:13], 31, v4
	v_cndmask_b32_e64 v9, 0, v36, s[12:13]
	v_add_u32_e32 v4, v9, v4
	v_cmp_lt_u32_e64 s[14:15], 31, v4
	v_cndmask_b32_e64 v9, 0, v36, s[14:15]
	v_mad_u64_u32 v[50:51], s[16:17], v19, s53, 0
	v_add_u32_e32 v9, v9, v4
	v_mov_b32_e32 v4, v51
	v_mad_u64_u32 v[52:53], s[16:17], v19, s54, v[4:5]
	v_mov_b32_e32 v4, v53
	v_mad_u64_u32 v[54:55], s[16:17], v19, s55, v[4:5]
	;; [unrolled: 2-line block ×6, first 2 shown]
	v_cndmask_b32_e64 v18, v60, v56, s[10:11]
	v_cndmask_b32_e64 v4, v62, v58, s[10:11]
	v_cndmask_b32_e64 v49, v63, v60, s[10:11]
	v_cndmask_b32_e64 v21, v4, v18, s[12:13]
	v_cndmask_b32_e64 v4, v49, v4, s[12:13]
	v_cndmask_b32_e64 v49, v58, v54, s[10:11]
	v_cndmask_b32_e64 v18, v18, v49, s[12:13]
	v_sub_u32_e32 v51, 32, v9
	v_cmp_eq_u32_e64 s[16:17], 0, v9
	v_cndmask_b32_e64 v9, v56, v52, s[10:11]
	v_cndmask_b32_e64 v4, v4, v21, s[14:15]
	;; [unrolled: 1-line block ×4, first 2 shown]
	v_alignbit_b32 v53, v4, v21, v51
	v_cndmask_b32_e64 v18, v18, v49, s[14:15]
	v_cndmask_b32_e64 v4, v53, v4, s[16:17]
	v_alignbit_b32 v52, v21, v18, v51
	v_cndmask_b32_e64 v50, v54, v50, s[10:11]
	v_cndmask_b32_e64 v21, v52, v21, s[16:17]
	v_bfe_u32 v55, v4, 29, 1
	v_cndmask_b32_e64 v9, v9, v50, s[12:13]
	v_alignbit_b32 v52, v4, v21, 30
	v_sub_u32_e32 v56, 0, v55
	v_cndmask_b32_e64 v9, v49, v9, s[14:15]
	v_xor_b32_e32 v57, v52, v56
	v_alignbit_b32 v49, v18, v9, v51
	v_cndmask_b32_e64 v18, v49, v18, s[16:17]
	v_ffbh_u32_e32 v49, v57
	v_add_u32_e32 v49, 1, v49
	v_cmp_ne_u32_e64 s[10:11], v52, v56
	v_alignbit_b32 v21, v21, v18, 30
	v_cndmask_b32_e64 v49, 33, v49, s[10:11]
	v_alignbit_b32 v9, v18, v9, 30
	v_xor_b32_e32 v21, v21, v56
	v_sub_u32_e32 v50, 32, v49
	v_xor_b32_e32 v9, v9, v56
	v_alignbit_b32 v51, v57, v21, v50
	v_alignbit_b32 v9, v21, v9, v50
	;; [unrolled: 1-line block ×3, first 2 shown]
	v_ffbh_u32_e32 v21, v18
	v_min_u32_e32 v21, 32, v21
	v_lshrrev_b32_e32 v53, 29, v4
	v_sub_u32_e32 v50, 31, v21
	v_alignbit_b32 v9, v18, v9, v50
	v_lshlrev_b32_e32 v18, 31, v53
	v_or_b32_e32 v50, 0x33800000, v18
	v_add_lshl_u32 v21, v21, v49, 23
	v_lshrrev_b32_e32 v9, 9, v9
	v_sub_u32_e32 v21, v50, v21
	v_or_b32_e32 v9, v21, v9
	v_alignbit_b32 v21, v49, v51, 9
	v_or_b32_e32 v18, v21, v18
	v_xor_b32_e32 v18, 1.0, v18
	v_mul_f32_e32 v21, 0x3fc90fda, v18
	v_fma_f32 v49, v18, s61, -v21
	v_fmac_f32_e32 v49, 0x33a22168, v18
	v_fmac_f32_e32 v49, 0x3fc90fda, v9
	v_lshrrev_b32_e32 v4, 30, v4
	v_add_f32_e32 v18, v21, v49
	v_add_u32_e32 v9, v55, v4
.LBB347_80:                             ;   in Loop: Header=BB347_69 Depth=3
	s_or_saveexec_b64 s[10:11], s[44:45]
	v_mul_f32_e64 v4, |v17|, s62
	v_rndne_f32_e32 v49, v4
	s_xor_b64 exec, exec, s[10:11]
; %bb.81:                               ;   in Loop: Header=BB347_69 Depth=3
	v_cvt_i32_f32_e32 v9, v49
	v_fma_f32 v18, v49, s63, |v17|
	v_fmac_f32_e32 v18, 0xb3a22168, v49
	v_fmac_f32_e32 v18, 0xa7c234c4, v49
; %bb.82:                               ;   in Loop: Header=BB347_69 Depth=3
	s_or_b64 exec, exec, s[10:11]
                                        ; implicit-def: $vgpr4
                                        ; implicit-def: $vgpr21
	s_and_saveexec_b64 s[10:11], s[42:43]
	s_xor_b64 s[42:43], exec, s[10:11]
	s_cbranch_execz .LBB347_84
; %bb.83:                               ;   in Loop: Header=BB347_69 Depth=3
	v_cmp_lt_u32_e64 s[10:11], 63, v20
	v_cndmask_b32_e64 v4, 0, v35, s[10:11]
	v_add_u32_e32 v4, v4, v20
	v_cmp_lt_u32_e64 s[12:13], 31, v4
	v_cndmask_b32_e64 v20, 0, v36, s[12:13]
	v_add_u32_e32 v4, v20, v4
	;; [unrolled: 3-line block ×3, first 2 shown]
	v_mad_u64_u32 v[20:21], s[16:17], v19, s53, 0
	v_mov_b32_e32 v4, v21
	v_mad_u64_u32 v[50:51], s[16:17], v19, s54, v[4:5]
	v_mov_b32_e32 v4, v51
	;; [unrolled: 2-line block ×6, first 2 shown]
	v_mad_u64_u32 v[60:61], s[16:17], v19, s59, v[4:5]
	v_cndmask_b32_e64 v21, v58, v54, s[10:11]
	v_cndmask_b32_e64 v4, v60, v56, s[10:11]
	;; [unrolled: 1-line block ×7, first 2 shown]
	v_sub_u32_e32 v53, 32, v49
	v_cmp_eq_u32_e64 s[16:17], 0, v49
	v_cndmask_b32_e64 v49, v54, v50, s[10:11]
	v_cndmask_b32_e64 v4, v4, v19, s[14:15]
	;; [unrolled: 1-line block ×4, first 2 shown]
	v_alignbit_b32 v55, v4, v19, v53
	v_cndmask_b32_e64 v21, v21, v50, s[14:15]
	v_cndmask_b32_e64 v4, v55, v4, s[16:17]
	v_alignbit_b32 v51, v19, v21, v53
	v_cndmask_b32_e64 v20, v52, v20, s[10:11]
	v_cndmask_b32_e64 v19, v51, v19, s[16:17]
	v_bfe_u32 v55, v4, 29, 1
	v_cndmask_b32_e64 v20, v49, v20, s[12:13]
	v_alignbit_b32 v51, v4, v19, 30
	v_sub_u32_e32 v56, 0, v55
	v_cndmask_b32_e64 v20, v50, v20, s[14:15]
	v_xor_b32_e32 v57, v51, v56
	v_alignbit_b32 v49, v21, v20, v53
	v_cndmask_b32_e64 v21, v49, v21, s[16:17]
	v_ffbh_u32_e32 v49, v57
	v_add_u32_e32 v49, 1, v49
	v_cmp_ne_u32_e64 s[10:11], v51, v56
	v_alignbit_b32 v19, v19, v21, 30
	v_cndmask_b32_e64 v49, 33, v49, s[10:11]
	v_alignbit_b32 v20, v21, v20, 30
	v_xor_b32_e32 v19, v19, v56
	v_sub_u32_e32 v50, 32, v49
	v_xor_b32_e32 v20, v20, v56
	v_alignbit_b32 v51, v57, v19, v50
	v_alignbit_b32 v19, v19, v20, v50
	v_alignbit_b32 v20, v51, v19, 9
	v_ffbh_u32_e32 v21, v20
	v_min_u32_e32 v21, 32, v21
	v_lshrrev_b32_e32 v54, 29, v4
	v_sub_u32_e32 v50, 31, v21
	v_alignbit_b32 v19, v20, v19, v50
	v_lshlrev_b32_e32 v20, 31, v54
	v_or_b32_e32 v50, 0x33800000, v20
	v_add_lshl_u32 v21, v21, v49, 23
	v_lshrrev_b32_e32 v19, 9, v19
	v_sub_u32_e32 v21, v50, v21
	v_or_b32_e32 v19, v21, v19
	v_alignbit_b32 v21, v49, v51, 9
	v_or_b32_e32 v20, v21, v20
	v_xor_b32_e32 v20, 1.0, v20
	v_mul_f32_e32 v21, 0x3fc90fda, v20
	v_fma_f32 v49, v20, s61, -v21
	v_fmac_f32_e32 v49, 0x33a22168, v20
	v_fmac_f32_e32 v49, 0x3fc90fda, v19
	v_lshrrev_b32_e32 v4, 30, v4
	v_add_f32_e32 v21, v21, v49
	v_add_u32_e32 v4, v55, v4
                                        ; implicit-def: $vgpr49
	s_andn2_saveexec_b64 s[10:11], s[42:43]
	s_cbranch_execnz .LBB347_85
	s_branch .LBB347_86
.LBB347_84:                             ;   in Loop: Header=BB347_69 Depth=3
	s_andn2_saveexec_b64 s[10:11], s[42:43]
.LBB347_85:                             ;   in Loop: Header=BB347_69 Depth=3
	v_cvt_i32_f32_e32 v4, v49
	v_fma_f32 v21, v49, s63, |v17|
	v_fmac_f32_e32 v21, 0xb3a22168, v49
	v_fmac_f32_e32 v21, 0xa7c234c4, v49
.LBB347_86:                             ;   in Loop: Header=BB347_69 Depth=3
	s_or_b64 exec, exec, s[10:11]
	v_mul_f32_e32 v19, 0x3fb8aa3b, v16
	v_rndne_f32_e32 v20, v19
	v_sub_f32_e32 v49, v19, v20
	v_fma_f32 v19, v16, s64, -v19
	v_fmac_f32_e32 v19, 0x32a5705f, v16
	v_add_f32_e32 v19, v49, v19
	v_cvt_i32_f32_e32 v20, v20
	v_exp_f32_e32 v19, v19
	v_cmp_ngt_f32_e64 s[10:11], s65, v16
	v_and_b32_e32 v52, 1, v4
	v_lshlrev_b32_e32 v4, 30, v4
	v_ldexp_f32 v19, v19, v20
	v_cndmask_b32_e64 v19, 0, v19, s[10:11]
	v_cmp_nlt_f32_e64 s[10:11], s66, v16
	v_cndmask_b32_e64 v16, v37, v19, s[10:11]
	v_lshlrev_b32_e32 v19, 30, v9
	v_and_b32_e32 v49, 0x80000000, v19
	v_mul_f32_e32 v19, v21, v21
	v_mov_b32_e32 v20, 0x3c0881c4
	v_fmac_f32_e32 v20, 0xb94c1982, v19
	v_fma_f32 v51, v19, v20, v25
	v_mov_b32_e32 v20, 0xbab64f3b
	v_and_b32_e32 v4, 0x80000000, v4
	v_xor_b32_e32 v7, v7, v17
	v_mov_b32_e32 v50, v18
	v_fmac_f32_e32 v20, 0x37d75334, v19
	v_xor_b32_e32 v4, v7, v4
	v_pk_mul_f32 v[50:51], v[18:19], v[50:51]
	v_mov_b32_e32 v7, 0xbab64f3b
	v_fma_f32 v20, v19, v20, v26
	v_fmac_f32_e32 v7, 0x37d75334, v50
	v_fma_f32 v20, v19, v20, v27
	v_fma_f32 v7, v50, v7, v26
	v_fma_f32 v53, v19, v20, 1.0
	v_fma_f32 v20, v50, v7, v27
	v_mov_b32_e32 v7, 0x3c0881c4
	v_fmac_f32_e32 v7, 0xb94c1982, v50
	v_fma_f32 v7, v50, v7, v25
	v_mul_f32_e32 v7, v50, v7
	v_fmac_f32_e32 v18, v18, v7
	v_mov_b32_e32 v7, v21
	v_and_b32_e32 v9, 1, v9
	v_pk_fma_f32 v[20:21], v[50:51], v[20:21], v[6:7]
	v_cmp_eq_u32_e64 s[10:11], 0, v52
	v_cndmask_b32_e64 v7, v53, v21, s[10:11]
	v_cmp_eq_u32_e64 s[10:11], 0, v9
	v_cndmask_b32_e64 v9, -v18, v20, s[10:11]
	v_xor_b32_e32 v9, v49, v9
	v_xor_b32_e32 v4, v4, v7
	v_cmp_class_f32_e64 s[10:11], v17, s49
	v_cndmask_b32_e64 v19, v38, v4, s[10:11]
	v_cndmask_b32_e64 v18, v38, v9, s[10:11]
	v_pk_mul_f32 v[16:17], v[16:17], v[18:19] op_sel_hi:[0,1]
	v_max_f32_e64 v4, |v16|, |v17|
	v_cvt_f64_f32_e32 v[18:19], v4
	v_frexp_exp_i32_f64_e32 v7, v[18:19]
	v_sub_u32_e32 v9, 0, v7
	v_ldexp_f32 v18, |v16|, v9
	v_ldexp_f32 v9, |v17|, v9
	v_mul_f32_e32 v9, v9, v9
	v_fmac_f32_e32 v9, v18, v18
	v_sqrt_f32_e32 v9, v9
	v_cmp_eq_f32_e64 s[10:11], s67, v4
	v_add_f32_e32 v4, 1.0, v16
                                        ; implicit-def: $vgpr18
	v_ldexp_f32 v7, v9, v7
	v_cmp_ngt_f32_e64 s[12:13], 0.5, v7
	v_max_f32_e64 v7, |v4|, |v17|
	s_or_b64 s[10:11], s[10:11], s[12:13]
	s_and_saveexec_b64 s[12:13], s[10:11]
	s_xor_b64 s[14:15], exec, s[12:13]
	s_cbranch_execz .LBB347_88
; %bb.87:                               ;   in Loop: Header=BB347_69 Depth=3
	v_cvt_f64_f32_e32 v[18:19], v7
	v_frexp_exp_i32_f64_e32 v9, v[18:19]
	v_sub_u32_e32 v18, 0, v9
	v_ldexp_f32 v19, |v4|, v18
	v_ldexp_f32 v18, |v17|, v18
	v_mul_f32_e32 v18, v18, v18
	v_fmac_f32_e32 v18, v19, v19
	v_sqrt_f32_e32 v18, v18
	v_cmp_neq_f32_e64 s[10:11], s67, v7
	v_ldexp_f32 v9, v18, v9
	v_cndmask_b32_e64 v9, v37, v9, s[10:11]
	v_cmp_gt_f32_e64 s[10:11], s52, v9
	v_cndmask_b32_e64 v18, 1.0, v39, s[10:11]
	v_mul_f32_e32 v9, v9, v18
	v_log_f32_e32 v9, v9
	v_mul_f32_e32 v18, 0x3f317217, v9
	v_fma_f32 v19, v9, s68, -v18
	v_fmac_f32_e32 v19, 0x3377d1cf, v9
	v_add_f32_e32 v18, v18, v19
	v_cmp_lt_f32_e64 s[12:13], |v9|, s67
	v_cndmask_b32_e64 v9, v9, v18, s[12:13]
	v_cndmask_b32_e64 v18, 0, v40, s[10:11]
	v_sub_f32_e32 v18, v9, v18
.LBB347_88:                             ;   in Loop: Header=BB347_69 Depth=3
	s_andn2_saveexec_b64 s[12:13], s[14:15]
	s_cbranch_execz .LBB347_92
; %bb.89:                               ;   in Loop: Header=BB347_69 Depth=3
	v_add_f32_e32 v18, 2.0, v16
	v_mov_b32_e32 v19, v17
	v_pk_mul_f32 v[18:19], v[16:17], v[18:19]
	v_add_f32_e32 v18, v18, v19
	v_cmp_neq_f32_e64 s[10:11], 0, v18
	s_and_saveexec_b64 s[14:15], s[10:11]
	s_cbranch_execz .LBB347_91
; %bb.90:                               ;   in Loop: Header=BB347_69 Depth=3
	v_add_f32_e32 v9, 1.0, v18
	v_add_f32_e32 v16, -1.0, v9
	v_sub_f32_e32 v19, v16, v9
	v_add_f32_e32 v19, 1.0, v19
	v_sub_f32_e32 v16, v18, v16
	v_add_f32_e32 v16, v16, v19
	v_frexp_mant_f32_e32 v19, v9
	v_cvt_f64_f32_e32 v[20:21], v9
	v_frexp_exp_i32_f64_e32 v20, v[20:21]
	v_cmp_gt_f32_e64 s[10:11], s69, v19
	v_subbrev_co_u32_e64 v19, s[10:11], 0, v20, s[10:11]
	v_sub_u32_e32 v20, 0, v19
	v_ldexp_f32 v9, v9, v20
	v_ldexp_f32 v16, v16, v20
	v_add_f32_e32 v20, -1.0, v9
	v_add_f32_e32 v21, 1.0, v20
	v_sub_f32_e32 v21, v9, v21
	v_add_f32_e32 v49, v16, v21
	v_add_f32_e32 v21, 1.0, v9
	v_add_f32_e32 v50, -1.0, v21
	v_sub_f32_e32 v9, v9, v50
	v_add_f32_e32 v9, v16, v9
	v_add_f32_e32 v16, v21, v9
	v_rcp_f32_e32 v56, v16
	v_sub_f32_e32 v21, v16, v21
	v_sub_f32_e32 v9, v9, v21
	v_add_f32_e32 v21, v20, v49
	v_mul_f32_e32 v57, v21, v56
	v_mul_f32_e32 v50, v16, v57
	v_fma_f32 v52, v57, v16, -v50
	v_sub_f32_e32 v20, v21, v20
	v_fmac_f32_e32 v52, v57, v9
	v_sub_f32_e32 v49, v49, v20
	v_add_f32_e32 v20, v50, v52
	v_sub_f32_e32 v51, v21, v20
	v_pk_add_f32 v[54:55], v[20:21], v[50:51] neg_lo:[0,1] neg_hi:[0,1]
	v_mov_b32_e32 v53, v20
	v_pk_add_f32 v[20:21], v[54:55], v[52:53] neg_lo:[0,1] neg_hi:[0,1]
	v_add_f32_e32 v21, v49, v21
	v_add_f32_e32 v20, v20, v21
	v_add_f32_e32 v21, v51, v20
	v_mul_f32_e32 v49, v56, v21
	v_mul_f32_e32 v50, v16, v49
	v_fma_f32 v52, v49, v16, -v50
	v_fmac_f32_e32 v52, v49, v9
	v_sub_f32_e32 v9, v51, v21
	v_add_f32_e32 v9, v20, v9
	v_add_f32_e32 v20, v50, v52
	v_sub_f32_e32 v51, v21, v20
	v_pk_add_f32 v[54:55], v[20:21], v[50:51] neg_lo:[0,1] neg_hi:[0,1]
	v_mov_b32_e32 v53, v20
	v_pk_add_f32 v[20:21], v[54:55], v[52:53] neg_lo:[0,1] neg_hi:[0,1]
	v_add_f32_e32 v9, v9, v21
	v_add_f32_e32 v9, v20, v9
	;; [unrolled: 1-line block ×4, first 2 shown]
	v_sub_f32_e32 v20, v16, v57
	v_mul_f32_e32 v9, v56, v9
	v_sub_f32_e32 v20, v49, v20
	v_add_f32_e32 v21, v20, v9
	v_add_f32_e32 v49, v16, v21
	v_cvt_f32_i32_e32 v20, v19
	v_mul_f32_e32 v50, v49, v49
	v_mov_b32_e32 v9, 0x3ecc95a3
	v_fmac_f32_e32 v9, 0x3e9b6dac, v50
	v_sub_f32_e32 v16, v49, v16
	v_fma_f32 v9, v50, v9, v28
	v_sub_f32_e32 v16, v21, v16
	v_mul_f32_e32 v21, v49, v50
	v_pk_mul_f32 v[52:53], v[20:21], v[8:9]
	v_fma_f32 v50, v20, s70, -v52
	v_ldexp_f32 v51, v49, 1
	v_fmac_f32_e32 v50, 0xb102e308, v20
	v_pk_add_f32 v[20:21], v[52:53], v[50:51]
	v_sub_f32_e32 v9, v21, v51
	v_ldexp_f32 v16, v16, 1
	v_sub_f32_e32 v9, v53, v9
	v_add_f32_e32 v55, v16, v9
	v_mov_b32_e32 v54, v52
	v_pk_add_f32 v[52:53], v[20:21], v[52:53] neg_lo:[0,1] neg_hi:[0,1]
	v_pk_add_f32 v[56:57], v[20:21], v[54:55]
	v_mov_b32_e32 v53, v57
	v_mov_b32_e32 v51, v20
	v_pk_add_f32 v[58:59], v[50:51], v[52:53] neg_lo:[0,1] neg_hi:[0,1]
	v_pk_add_f32 v[50:51], v[50:51], v[52:53]
	v_mov_b32_e32 v16, v51
	v_pk_add_f32 v[52:53], v[16:17], v[20:21] neg_lo:[0,1] neg_hi:[0,1]
	v_mov_b32_e32 v9, v52
	v_pk_add_f32 v[60:61], v[56:57], v[8:9] neg_lo:[0,1] neg_hi:[0,1]
	v_mov_b32_e32 v50, v57
	v_mov_b32_e32 v56, v21
	;; [unrolled: 1-line block ×4, first 2 shown]
	v_pk_add_f32 v[50:51], v[50:51], v[56:57] neg_lo:[0,1] neg_hi:[0,1]
	v_mov_b32_e32 v52, v55
	v_mov_b32_e32 v53, v20
	v_pk_add_f32 v[20:21], v[52:53], v[50:51] neg_lo:[0,1] neg_hi:[0,1]
	v_mov_b32_e32 v60, v58
	v_pk_add_f32 v[50:51], v[60:61], v[20:21]
	v_mov_b32_e32 v52, v51
	v_pk_add_f32 v[52:53], v[50:51], v[52:53]
	v_pk_add_f32 v[54:55], v[16:17], v[52:53]
	v_mov_b32_e32 v51, v54
	v_pk_add_f32 v[56:57], v[50:51], v[58:59] neg_lo:[0,1] neg_hi:[0,1]
	v_mov_b32_e32 v21, v52
	v_sub_f32_e32 v9, v50, v56
	v_pk_add_f32 v[20:21], v[20:21], v[56:57] neg_lo:[0,1] neg_hi:[0,1]
	v_sub_f32_e32 v9, v58, v9
	v_add_f32_e32 v9, v20, v9
	v_add_f32_e32 v9, v9, v21
	;; [unrolled: 1-line block ×3, first 2 shown]
	v_cmp_eq_f32_e64 s[10:11], s67, v18
	v_cndmask_b32_e64 v9, v9, v18, s[10:11]
	v_cmp_ngt_f32_e64 s[10:11], -1.0, v18
	v_cndmask_b32_e64 v9, v38, v9, s[10:11]
	v_cmp_neq_f32_e64 s[10:11], -1.0, v18
	v_cndmask_b32_e64 v9, v41, v9, s[10:11]
	v_cmp_lt_f32_e64 s[10:11], |v18|, s60
	v_cndmask_b32_e64 v9, v9, v18, s[10:11]
	v_mul_f32_e32 v16, 0.5, v9
.LBB347_91:                             ;   in Loop: Header=BB347_69 Depth=3
	s_or_b64 exec, exec, s[14:15]
	v_mov_b32_e32 v18, v16
.LBB347_92:                             ;   in Loop: Header=BB347_69 Depth=3
	s_or_b64 exec, exec, s[12:13]
	v_max_f32_e64 v19, |v17|, |v17|
	v_max_f32_e64 v20, |v4|, |v4|
	v_min_f32_e32 v19, v20, v19
	v_frexp_mant_f32_e32 v20, v7
	v_rcp_f32_e32 v20, v20
	v_frexp_exp_i32_f32_e32 v7, v7
	v_frexp_exp_i32_f32_e32 v21, v19
	v_frexp_mant_f32_e32 v19, v19
	v_mul_f32_e32 v19, v19, v20
	v_sub_u32_e32 v7, v21, v7
	v_ldexp_f32 v7, v19, v7
	v_mul_f32_e32 v19, v7, v7
	v_mov_b32_e32 v20, 0xbc7a590c
	v_fmac_f32_e32 v20, 0x3b2d2a58, v19
	v_fma_f32 v20, v19, v20, v29
	v_fma_f32 v20, v19, v20, v30
	;; [unrolled: 1-line block ×6, first 2 shown]
	v_mul_f32_e32 v19, v19, v20
	v_cmp_gt_i32_e64 s[12:13], 0, v4
	v_fmac_f32_e32 v7, v7, v19
	v_cndmask_b32_e64 v16, 0, v44, s[12:13]
	v_sub_f32_e32 v19, 0x3fc90fdb, v7
	v_cmp_gt_f32_e64 s[12:13], |v17|, |v4|
	v_cndmask_b32_e64 v7, v7, v19, s[12:13]
	v_cmp_gt_f32_e64 s[10:11], 0, v4
	v_sub_f32_e32 v19, 0x40490fdb, v7
	v_cmp_class_f32_e64 s[14:15], v17, s71
	v_cmp_class_f32_e64 s[16:17], v4, s71
	v_cndmask_b32_e64 v9, v42, v43, s[10:11]
	v_cndmask_b32_e64 v7, v7, v19, s[10:11]
	v_cmp_eq_f32_e64 s[10:11], 0, v17
	v_cndmask_b32_e64 v7, v7, v16, s[10:11]
	s_and_b64 s[10:11], s[16:17], s[14:15]
	v_cndmask_b32_e64 v7, v7, v9, s[10:11]
	v_cmp_o_f32_e64 s[10:11], v4, v17
	v_cndmask_b32_e64 v4, v38, v7, s[10:11]
	v_bfi_b32 v19, s50, v4, v17
	v_pk_add_f32 v[16:17], v[14:15], v[18:19]
                                        ; implicit-def: $vgpr19
                                        ; implicit-def: $vgpr15
.LBB347_93:                             ;   in Loop: Header=BB347_69 Depth=3
	s_andn2_saveexec_b64 s[40:41], s[40:41]
	s_cbranch_execz .LBB347_66
; %bb.94:                               ;   in Loop: Header=BB347_69 Depth=3
	v_cmp_ngt_f32_e64 s[10:11], 0, v16
	s_and_saveexec_b64 s[42:43], s[10:11]
	s_cbranch_execz .LBB347_65
; %bb.95:                               ;   in Loop: Header=BB347_69 Depth=3
	v_and_b32_e32 v7, 0x7fffffff, v17
	v_lshrrev_b32_e32 v4, 23, v7
	v_and_b32_e32 v9, 0x7fffff, v7
	v_cmp_nlt_f32_e64 s[44:45], |v17|, s51
	v_add_u32_e32 v21, 0xffffff88, v4
	v_or_b32_e32 v20, 0x800000, v9
                                        ; implicit-def: $vgpr14
                                        ; implicit-def: $vgpr9
	s_and_saveexec_b64 s[10:11], s[44:45]
	s_xor_b64 s[46:47], exec, s[10:11]
	s_cbranch_execz .LBB347_97
; %bb.96:                               ;   in Loop: Header=BB347_69 Depth=3
	v_cmp_lt_u32_e64 s[10:11], 63, v21
	v_cndmask_b32_e64 v4, 0, v35, s[10:11]
	v_add_u32_e32 v4, v4, v21
	v_cmp_lt_u32_e64 s[12:13], 31, v4
	v_cndmask_b32_e64 v9, 0, v36, s[12:13]
	v_add_u32_e32 v4, v9, v4
	v_cmp_lt_u32_e64 s[14:15], 31, v4
	v_cndmask_b32_e64 v9, 0, v36, s[14:15]
	v_mad_u64_u32 v[50:51], s[16:17], v20, s53, 0
	v_add_u32_e32 v9, v9, v4
	v_mov_b32_e32 v4, v51
	v_mad_u64_u32 v[52:53], s[16:17], v20, s54, v[4:5]
	v_mov_b32_e32 v4, v53
	v_mad_u64_u32 v[54:55], s[16:17], v20, s55, v[4:5]
	;; [unrolled: 2-line block ×6, first 2 shown]
	v_cndmask_b32_e64 v14, v60, v56, s[10:11]
	v_cndmask_b32_e64 v4, v62, v58, s[10:11]
	;; [unrolled: 1-line block ×7, first 2 shown]
	v_sub_u32_e32 v49, 32, v9
	v_cmp_eq_u32_e64 s[16:17], 0, v9
	v_cndmask_b32_e64 v9, v56, v52, s[10:11]
	v_cndmask_b32_e64 v4, v4, v16, s[14:15]
	;; [unrolled: 1-line block ×4, first 2 shown]
	v_alignbit_b32 v51, v4, v16, v49
	v_cndmask_b32_e64 v14, v14, v18, s[14:15]
	v_cndmask_b32_e64 v4, v51, v4, s[16:17]
	v_alignbit_b32 v51, v16, v14, v49
	v_cndmask_b32_e64 v50, v54, v50, s[10:11]
	v_cndmask_b32_e64 v16, v51, v16, s[16:17]
	v_bfe_u32 v53, v4, 29, 1
	v_cndmask_b32_e64 v9, v9, v50, s[12:13]
	v_alignbit_b32 v51, v4, v16, 30
	v_sub_u32_e32 v55, 0, v53
	v_cndmask_b32_e64 v9, v18, v9, s[14:15]
	v_xor_b32_e32 v56, v51, v55
	v_alignbit_b32 v18, v14, v9, v49
	v_cndmask_b32_e64 v14, v18, v14, s[16:17]
	v_ffbh_u32_e32 v18, v56
	v_add_u32_e32 v18, 1, v18
	v_cmp_ne_u32_e64 s[10:11], v51, v55
	v_alignbit_b32 v16, v16, v14, 30
	v_cndmask_b32_e64 v18, 33, v18, s[10:11]
	v_alignbit_b32 v9, v14, v9, 30
	v_xor_b32_e32 v16, v16, v55
	v_sub_u32_e32 v49, 32, v18
	v_xor_b32_e32 v9, v9, v55
	v_alignbit_b32 v50, v56, v16, v49
	v_alignbit_b32 v9, v16, v9, v49
	;; [unrolled: 1-line block ×3, first 2 shown]
	v_ffbh_u32_e32 v16, v14
	v_min_u32_e32 v16, 32, v16
	v_lshrrev_b32_e32 v52, 29, v4
	v_sub_u32_e32 v49, 31, v16
	v_alignbit_b32 v9, v14, v9, v49
	v_lshlrev_b32_e32 v14, 31, v52
	v_or_b32_e32 v49, 0x33800000, v14
	v_add_lshl_u32 v16, v16, v18, 23
	v_lshrrev_b32_e32 v9, 9, v9
	v_sub_u32_e32 v16, v49, v16
	v_or_b32_e32 v9, v16, v9
	v_alignbit_b32 v16, v18, v50, 9
	v_or_b32_e32 v14, v16, v14
	v_xor_b32_e32 v14, 1.0, v14
	v_mul_f32_e32 v16, 0x3fc90fda, v14
	v_fma_f32 v18, v14, s61, -v16
	v_fmac_f32_e32 v18, 0x33a22168, v14
	v_fmac_f32_e32 v18, 0x3fc90fda, v9
	v_lshrrev_b32_e32 v4, 30, v4
	v_add_f32_e32 v9, v16, v18
	v_add_u32_e32 v14, v53, v4
.LBB347_97:                             ;   in Loop: Header=BB347_69 Depth=3
	s_or_saveexec_b64 s[10:11], s[46:47]
	v_mul_f32_e64 v4, |v17|, s62
	v_rndne_f32_e32 v4, v4
	s_xor_b64 exec, exec, s[10:11]
; %bb.98:                               ;   in Loop: Header=BB347_69 Depth=3
	v_cvt_i32_f32_e32 v14, v4
	v_fma_f32 v9, v4, s63, |v17|
	v_fmac_f32_e32 v9, 0xb3a22168, v4
	v_fmac_f32_e32 v9, 0xa7c234c4, v4
; %bb.99:                               ;   in Loop: Header=BB347_69 Depth=3
	s_or_b64 exec, exec, s[10:11]
                                        ; implicit-def: $vgpr16
                                        ; implicit-def: $vgpr18
	s_and_saveexec_b64 s[10:11], s[44:45]
	s_xor_b64 s[44:45], exec, s[10:11]
	s_cbranch_execz .LBB347_101
; %bb.100:                              ;   in Loop: Header=BB347_69 Depth=3
	v_cmp_lt_u32_e64 s[10:11], 63, v21
	v_cndmask_b32_e64 v4, 0, v35, s[10:11]
	v_add_u32_e32 v4, v4, v21
	v_cmp_lt_u32_e64 s[12:13], 31, v4
	v_cndmask_b32_e64 v16, 0, v36, s[12:13]
	v_add_u32_e32 v4, v16, v4
	v_cmp_lt_u32_e64 s[14:15], 31, v4
	v_cndmask_b32_e64 v16, 0, v36, s[14:15]
	v_mad_u64_u32 v[50:51], s[16:17], v20, s53, 0
	v_add_u32_e32 v16, v16, v4
	v_mov_b32_e32 v4, v51
	v_mad_u64_u32 v[52:53], s[16:17], v20, s54, v[4:5]
	v_mov_b32_e32 v4, v53
	v_mad_u64_u32 v[54:55], s[16:17], v20, s55, v[4:5]
	;; [unrolled: 2-line block ×6, first 2 shown]
	v_cndmask_b32_e64 v18, v60, v56, s[10:11]
	v_cndmask_b32_e64 v4, v20, v58, s[10:11]
	;; [unrolled: 1-line block ×7, first 2 shown]
	v_sub_u32_e32 v49, 32, v16
	v_cmp_eq_u32_e64 s[16:17], 0, v16
	v_cndmask_b32_e64 v16, v56, v52, s[10:11]
	v_cndmask_b32_e64 v4, v4, v20, s[14:15]
	;; [unrolled: 1-line block ×4, first 2 shown]
	v_alignbit_b32 v51, v4, v20, v49
	v_cndmask_b32_e64 v18, v18, v21, s[14:15]
	v_cndmask_b32_e64 v4, v51, v4, s[16:17]
	v_alignbit_b32 v51, v20, v18, v49
	v_cndmask_b32_e64 v50, v54, v50, s[10:11]
	v_cndmask_b32_e64 v20, v51, v20, s[16:17]
	v_bfe_u32 v53, v4, 29, 1
	v_cndmask_b32_e64 v16, v16, v50, s[12:13]
	v_alignbit_b32 v51, v4, v20, 30
	v_sub_u32_e32 v55, 0, v53
	v_cndmask_b32_e64 v16, v21, v16, s[14:15]
	v_xor_b32_e32 v56, v51, v55
	v_alignbit_b32 v21, v18, v16, v49
	v_cndmask_b32_e64 v18, v21, v18, s[16:17]
	v_ffbh_u32_e32 v21, v56
	v_add_u32_e32 v21, 1, v21
	v_cmp_ne_u32_e64 s[10:11], v51, v55
	v_alignbit_b32 v20, v20, v18, 30
	v_cndmask_b32_e64 v21, 33, v21, s[10:11]
	v_alignbit_b32 v16, v18, v16, 30
	v_xor_b32_e32 v20, v20, v55
	v_sub_u32_e32 v49, 32, v21
	v_xor_b32_e32 v16, v16, v55
	v_alignbit_b32 v50, v56, v20, v49
	v_alignbit_b32 v16, v20, v16, v49
	;; [unrolled: 1-line block ×3, first 2 shown]
	v_ffbh_u32_e32 v20, v18
	v_min_u32_e32 v20, 32, v20
	v_lshrrev_b32_e32 v52, 29, v4
	v_sub_u32_e32 v49, 31, v20
	v_alignbit_b32 v16, v18, v16, v49
	v_lshlrev_b32_e32 v18, 31, v52
	v_or_b32_e32 v49, 0x33800000, v18
	v_add_lshl_u32 v20, v20, v21, 23
	v_lshrrev_b32_e32 v16, 9, v16
	v_sub_u32_e32 v20, v49, v20
	v_or_b32_e32 v16, v20, v16
	v_alignbit_b32 v20, v21, v50, 9
	v_or_b32_e32 v18, v20, v18
	v_xor_b32_e32 v18, 1.0, v18
	v_mul_f32_e32 v20, 0x3fc90fda, v18
	v_fma_f32 v21, v18, s61, -v20
	v_fmac_f32_e32 v21, 0x33a22168, v18
	v_fmac_f32_e32 v21, 0x3fc90fda, v16
	v_lshrrev_b32_e32 v4, 30, v4
	v_add_f32_e32 v18, v20, v21
	v_add_u32_e32 v16, v53, v4
                                        ; implicit-def: $vgpr4
	s_andn2_saveexec_b64 s[10:11], s[44:45]
	s_cbranch_execnz .LBB347_102
	s_branch .LBB347_103
.LBB347_101:                            ;   in Loop: Header=BB347_69 Depth=3
	s_andn2_saveexec_b64 s[10:11], s[44:45]
.LBB347_102:                            ;   in Loop: Header=BB347_69 Depth=3
	v_cvt_i32_f32_e32 v16, v4
	v_fma_f32 v18, v4, s63, |v17|
	v_fmac_f32_e32 v18, 0xb3a22168, v4
	v_fmac_f32_e32 v18, 0xa7c234c4, v4
.LBB347_103:                            ;   in Loop: Header=BB347_69 Depth=3
	s_or_b64 exec, exec, s[10:11]
	v_and_b32_e32 v20, 0x7fffffff, v15
	v_lshrrev_b32_e32 v4, 23, v20
	v_and_b32_e32 v21, 0x7fffff, v20
	v_cmp_nlt_f32_e64 s[44:45], |v15|, s51
	v_add_u32_e32 v51, 0xffffff88, v4
	v_or_b32_e32 v50, 0x800000, v21
                                        ; implicit-def: $vgpr49
                                        ; implicit-def: $vgpr21
	s_and_saveexec_b64 s[10:11], s[44:45]
	s_xor_b64 s[46:47], exec, s[10:11]
	s_cbranch_execz .LBB347_105
; %bb.104:                              ;   in Loop: Header=BB347_69 Depth=3
	v_cmp_lt_u32_e64 s[10:11], 63, v51
	v_cndmask_b32_e64 v4, 0, v35, s[10:11]
	v_add_u32_e32 v4, v4, v51
	v_cmp_lt_u32_e64 s[12:13], 31, v4
	v_cndmask_b32_e64 v21, 0, v36, s[12:13]
	v_add_u32_e32 v4, v21, v4
	v_cmp_lt_u32_e64 s[14:15], 31, v4
	v_cndmask_b32_e64 v21, 0, v36, s[14:15]
	v_mad_u64_u32 v[52:53], s[16:17], v50, s53, 0
	v_add_u32_e32 v21, v21, v4
	v_mov_b32_e32 v4, v53
	v_mad_u64_u32 v[54:55], s[16:17], v50, s54, v[4:5]
	v_mov_b32_e32 v4, v55
	v_mad_u64_u32 v[56:57], s[16:17], v50, s55, v[4:5]
	;; [unrolled: 2-line block ×6, first 2 shown]
	v_cndmask_b32_e64 v49, v62, v58, s[10:11]
	v_cndmask_b32_e64 v4, v64, v60, s[10:11]
	v_cndmask_b32_e64 v55, v65, v62, s[10:11]
	v_cndmask_b32_e64 v53, v4, v49, s[12:13]
	v_cndmask_b32_e64 v4, v55, v4, s[12:13]
	v_cndmask_b32_e64 v55, v60, v56, s[10:11]
	v_cndmask_b32_e64 v49, v49, v55, s[12:13]
	v_sub_u32_e32 v57, 32, v21
	v_cmp_eq_u32_e64 s[16:17], 0, v21
	v_cndmask_b32_e64 v21, v58, v54, s[10:11]
	v_cndmask_b32_e64 v4, v4, v53, s[14:15]
	v_cndmask_b32_e64 v53, v53, v49, s[14:15]
	v_cndmask_b32_e64 v54, v55, v21, s[12:13]
	v_alignbit_b32 v59, v4, v53, v57
	v_cndmask_b32_e64 v49, v49, v54, s[14:15]
	v_cndmask_b32_e64 v52, v56, v52, s[10:11]
	;; [unrolled: 1-line block ×3, first 2 shown]
	v_alignbit_b32 v55, v53, v49, v57
	v_cndmask_b32_e64 v21, v21, v52, s[12:13]
	v_cndmask_b32_e64 v53, v55, v53, s[16:17]
	v_bfe_u32 v59, v4, 29, 1
	v_cndmask_b32_e64 v21, v54, v21, s[14:15]
	v_alignbit_b32 v55, v4, v53, 30
	v_sub_u32_e32 v60, 0, v59
	v_alignbit_b32 v52, v49, v21, v57
	v_xor_b32_e32 v61, v55, v60
	v_cndmask_b32_e64 v49, v52, v49, s[16:17]
	v_alignbit_b32 v52, v53, v49, 30
	v_ffbh_u32_e32 v53, v61
	v_add_u32_e32 v53, 1, v53
	v_cmp_ne_u32_e64 s[10:11], v55, v60
	v_cndmask_b32_e64 v53, 33, v53, s[10:11]
	v_alignbit_b32 v21, v49, v21, 30
	v_xor_b32_e32 v52, v52, v60
	v_sub_u32_e32 v54, 32, v53
	v_xor_b32_e32 v21, v21, v60
	v_alignbit_b32 v55, v61, v52, v54
	v_alignbit_b32 v21, v52, v21, v54
	;; [unrolled: 1-line block ×3, first 2 shown]
	v_ffbh_u32_e32 v52, v49
	v_min_u32_e32 v52, 32, v52
	v_lshrrev_b32_e32 v58, 29, v4
	v_sub_u32_e32 v54, 31, v52
	v_alignbit_b32 v21, v49, v21, v54
	v_lshlrev_b32_e32 v49, 31, v58
	v_or_b32_e32 v54, 0x33800000, v49
	v_add_lshl_u32 v52, v52, v53, 23
	v_lshrrev_b32_e32 v21, 9, v21
	v_sub_u32_e32 v52, v54, v52
	v_or_b32_e32 v21, v52, v21
	v_alignbit_b32 v52, v53, v55, 9
	v_or_b32_e32 v49, v52, v49
	v_xor_b32_e32 v49, 1.0, v49
	v_mul_f32_e32 v52, 0x3fc90fda, v49
	v_fma_f32 v53, v49, s61, -v52
	v_fmac_f32_e32 v53, 0x33a22168, v49
	v_fmac_f32_e32 v53, 0x3fc90fda, v21
	v_lshrrev_b32_e32 v4, 30, v4
	v_add_f32_e32 v21, v52, v53
	v_add_u32_e32 v49, v59, v4
.LBB347_105:                            ;   in Loop: Header=BB347_69 Depth=3
	s_or_saveexec_b64 s[10:11], s[46:47]
	v_mul_f32_e64 v4, |v15|, s62
	v_rndne_f32_e32 v53, v4
	s_xor_b64 exec, exec, s[10:11]
; %bb.106:                              ;   in Loop: Header=BB347_69 Depth=3
	v_cvt_i32_f32_e32 v49, v53
	v_fma_f32 v21, v53, s63, |v15|
	v_fmac_f32_e32 v21, 0xb3a22168, v53
	v_fmac_f32_e32 v21, 0xa7c234c4, v53
; %bb.107:                              ;   in Loop: Header=BB347_69 Depth=3
	s_or_b64 exec, exec, s[10:11]
                                        ; implicit-def: $vgpr4
                                        ; implicit-def: $vgpr52
	s_and_saveexec_b64 s[10:11], s[44:45]
	s_xor_b64 s[44:45], exec, s[10:11]
	s_cbranch_execz .LBB347_109
; %bb.108:                              ;   in Loop: Header=BB347_69 Depth=3
	v_cmp_lt_u32_e64 s[10:11], 63, v51
	v_cndmask_b32_e64 v4, 0, v35, s[10:11]
	v_add_u32_e32 v4, v4, v51
	v_cmp_lt_u32_e64 s[12:13], 31, v4
	v_cndmask_b32_e64 v51, 0, v36, s[12:13]
	v_add_u32_e32 v4, v51, v4
	v_cmp_lt_u32_e64 s[14:15], 31, v4
	v_cndmask_b32_e64 v51, 0, v36, s[14:15]
	v_mad_u64_u32 v[52:53], s[16:17], v50, s53, 0
	v_add_u32_e32 v64, v51, v4
	v_mov_b32_e32 v4, v53
	v_mad_u64_u32 v[54:55], s[16:17], v50, s54, v[4:5]
	v_mov_b32_e32 v4, v55
	v_mad_u64_u32 v[56:57], s[16:17], v50, s55, v[4:5]
	;; [unrolled: 2-line block ×6, first 2 shown]
	v_cndmask_b32_e64 v53, v62, v58, s[10:11]
	v_cndmask_b32_e64 v4, v50, v60, s[10:11]
	;; [unrolled: 1-line block ×10, first 2 shown]
	v_sub_u32_e32 v55, 32, v64
	v_cndmask_b32_e64 v51, v51, v54, s[12:13]
	v_alignbit_b32 v57, v4, v50, v55
	v_cmp_eq_u32_e64 s[16:17], 0, v64
	v_cndmask_b32_e64 v53, v53, v51, s[14:15]
	v_cndmask_b32_e64 v4, v57, v4, s[16:17]
	v_alignbit_b32 v57, v50, v53, v55
	v_cndmask_b32_e64 v52, v56, v52, s[10:11]
	v_cndmask_b32_e64 v50, v57, v50, s[16:17]
	v_bfe_u32 v59, v4, 29, 1
	v_cndmask_b32_e64 v52, v54, v52, s[12:13]
	v_alignbit_b32 v57, v4, v50, 30
	v_sub_u32_e32 v60, 0, v59
	v_cndmask_b32_e64 v51, v51, v52, s[14:15]
	v_xor_b32_e32 v61, v57, v60
	v_alignbit_b32 v52, v53, v51, v55
	v_cndmask_b32_e64 v52, v52, v53, s[16:17]
	v_ffbh_u32_e32 v53, v61
	v_add_u32_e32 v53, 1, v53
	v_cmp_ne_u32_e64 s[10:11], v57, v60
	v_alignbit_b32 v50, v50, v52, 30
	v_cndmask_b32_e64 v53, 33, v53, s[10:11]
	v_alignbit_b32 v51, v52, v51, 30
	v_xor_b32_e32 v50, v50, v60
	v_sub_u32_e32 v54, 32, v53
	v_xor_b32_e32 v51, v51, v60
	v_alignbit_b32 v55, v61, v50, v54
	v_alignbit_b32 v50, v50, v51, v54
	;; [unrolled: 1-line block ×3, first 2 shown]
	v_ffbh_u32_e32 v52, v51
	v_min_u32_e32 v52, 32, v52
	v_lshrrev_b32_e32 v58, 29, v4
	v_sub_u32_e32 v54, 31, v52
	v_alignbit_b32 v50, v51, v50, v54
	v_lshlrev_b32_e32 v51, 31, v58
	v_or_b32_e32 v54, 0x33800000, v51
	v_add_lshl_u32 v52, v52, v53, 23
	v_lshrrev_b32_e32 v50, 9, v50
	v_sub_u32_e32 v52, v54, v52
	v_or_b32_e32 v50, v52, v50
	v_alignbit_b32 v52, v53, v55, 9
	v_or_b32_e32 v51, v52, v51
	v_xor_b32_e32 v51, 1.0, v51
	v_mul_f32_e32 v52, 0x3fc90fda, v51
	v_fma_f32 v53, v51, s61, -v52
	v_fmac_f32_e32 v53, 0x33a22168, v51
	v_fmac_f32_e32 v53, 0x3fc90fda, v50
	v_lshrrev_b32_e32 v4, 30, v4
	v_add_f32_e32 v52, v52, v53
	v_add_u32_e32 v4, v59, v4
                                        ; implicit-def: $vgpr53
	s_andn2_saveexec_b64 s[10:11], s[44:45]
	s_cbranch_execnz .LBB347_110
	s_branch .LBB347_111
.LBB347_109:                            ;   in Loop: Header=BB347_69 Depth=3
	s_andn2_saveexec_b64 s[10:11], s[44:45]
.LBB347_110:                            ;   in Loop: Header=BB347_69 Depth=3
	v_cvt_i32_f32_e32 v4, v53
	v_fma_f32 v52, v53, s63, |v15|
	v_fmac_f32_e32 v52, 0xb3a22168, v53
	v_fmac_f32_e32 v52, 0xa7c234c4, v53
.LBB347_111:                            ;   in Loop: Header=BB347_69 Depth=3
	s_or_b64 exec, exec, s[10:11]
	v_mul_f32_e32 v51, v9, v9
	v_mov_b32_e32 v53, 0x3c0881c4
	v_fmac_f32_e32 v53, 0xb94c1982, v51
	v_fma_f32 v53, v51, v53, v25
	v_mul_f32_e32 v53, v51, v53
	v_fmac_f32_e32 v9, v9, v53
	v_mov_b32_e32 v53, 0xbab64f3b
	v_fmac_f32_e32 v53, 0x37d75334, v51
	v_fma_f32 v53, v51, v53, v26
	v_lshlrev_b32_e32 v50, 30, v14
	v_and_b32_e32 v14, 1, v14
	v_fma_f32 v53, v51, v53, v27
	v_and_b32_e32 v50, 0x80000000, v50
	v_fma_f32 v51, v51, v53, 1.0
	v_cmp_eq_u32_e64 s[10:11], 0, v14
	v_xor_b32_e32 v7, v7, v19
	v_cndmask_b32_e64 v9, v51, v9, s[10:11]
	v_xor_b32_e32 v7, v7, v50
	v_xor_b32_e32 v7, v7, v9
	v_mul_f32_e32 v9, v18, v18
	v_mov_b32_e32 v14, 0x3c0881c4
	v_fmac_f32_e32 v14, 0xb94c1982, v9
	v_fma_f32 v14, v9, v14, v25
	v_mul_f32_e32 v14, v9, v14
	v_fmac_f32_e32 v18, v18, v14
	v_mov_b32_e32 v14, 0xbab64f3b
	v_fmac_f32_e32 v14, 0x37d75334, v9
	v_fma_f32 v14, v9, v14, v26
	v_fma_f32 v14, v9, v14, v27
	v_fma_f32 v9, v9, v14, 1.0
	v_and_b32_e32 v14, 1, v16
	v_cmp_eq_u32_e64 s[12:13], 0, v14
	v_cmp_class_f32_e64 s[10:11], v17, s49
	v_cndmask_b32_e64 v9, -v18, v9, s[12:13]
	v_mul_f32_e32 v17, v21, v21
	v_mov_b32_e32 v18, 0x3c0881c4
	v_fmac_f32_e32 v18, 0xb94c1982, v17
	v_lshlrev_b32_e32 v14, 30, v16
	v_fma_f32 v18, v17, v18, v25
	v_and_b32_e32 v14, 0x80000000, v14
	v_mul_f32_e32 v18, v17, v18
	v_xor_b32_e32 v9, v14, v9
	v_fmac_f32_e32 v21, v21, v18
	v_mov_b32_e32 v18, 0xbab64f3b
	v_cndmask_b32_e64 v9, v38, v9, s[10:11]
	v_fmac_f32_e32 v18, 0x37d75334, v17
	v_cndmask_b32_e64 v7, v38, v7, s[10:11]
	v_mul_f32_e32 v14, 0x7f800000, v9
	v_cmp_neq_f32_e64 s[10:11], 0, v9
	v_fma_f32 v18, v17, v18, v26
	v_cndmask_b32_e64 v9, 0, v14, s[10:11]
	v_mul_f32_e32 v14, 0x7f800000, v7
	v_cmp_neq_f32_e64 s[10:11], 0, v7
	v_and_b32_e32 v16, 1, v49
	v_fma_f32 v18, v17, v18, v27
	v_cndmask_b32_e64 v7, 0, v14, s[10:11]
	v_lshlrev_b32_e32 v14, 30, v49
	v_fma_f32 v17, v17, v18, 1.0
	v_cmp_eq_u32_e64 s[10:11], 0, v16
	v_and_b32_e32 v14, 0x80000000, v14
	v_cndmask_b32_e64 v16, v17, v21, s[10:11]
	v_xor_b32_e32 v17, v20, v15
	v_xor_b32_e32 v14, v17, v14
	;; [unrolled: 1-line block ×3, first 2 shown]
	v_cmp_class_f32_e64 s[10:11], v15, s49
	v_mul_f32_e32 v15, v52, v52
	v_mov_b32_e32 v16, 0x3c0881c4
	v_fmac_f32_e32 v16, 0xb94c1982, v15
	v_fma_f32 v16, v15, v16, v25
	v_mul_f32_e32 v16, v15, v16
	v_fmac_f32_e32 v52, v52, v16
	v_mov_b32_e32 v16, 0xbab64f3b
	v_fmac_f32_e32 v16, 0x37d75334, v15
	v_fma_f32 v16, v15, v16, v26
	v_fma_f32 v16, v15, v16, v27
	v_fma_f32 v15, v15, v16, 1.0
	v_and_b32_e32 v16, 1, v4
	v_cmp_eq_u32_e64 s[12:13], 0, v16
	v_lshlrev_b32_e32 v4, 30, v4
	v_cndmask_b32_e64 v15, -v52, v15, s[12:13]
	v_and_b32_e32 v4, 0x80000000, v4
	v_xor_b32_e32 v4, v4, v15
	v_cndmask_b32_e64 v4, v38, v4, s[10:11]
	v_cndmask_b32_e64 v14, v38, v14, s[10:11]
	v_mul_f32_e32 v15, 0x7f800000, v4
	v_cmp_neq_f32_e64 s[10:11], 0, v4
	v_cndmask_b32_e64 v4, 0, v15, s[10:11]
	v_mul_f32_e32 v15, 0x7f800000, v14
	v_cmp_neq_f32_e64 s[10:11], 0, v14
	v_cndmask_b32_e64 v14, 0, v15, s[10:11]
	v_add_f32_e32 v9, v9, v4
	v_add_f32_e32 v4, v7, v14
	v_add_f32_e32 v16, -1.0, v9
	v_max_f32_e64 v7, |v16|, |v4|
	v_cvt_f64_f32_e32 v[14:15], v7
	v_frexp_exp_i32_f64_e32 v9, v[14:15]
	v_sub_u32_e32 v14, 0, v9
	v_ldexp_f32 v15, |v16|, v14
	v_ldexp_f32 v14, |v4|, v14
	v_mul_f32_e32 v14, v14, v14
	v_fmac_f32_e32 v14, v15, v15
	v_sqrt_f32_e32 v14, v14
	v_cmp_eq_f32_e64 s[10:11], s67, v7
	v_add_f32_e32 v7, 1.0, v16
	v_ldexp_f32 v9, v14, v9
	v_cmp_ngt_f32_e64 s[12:13], 0.5, v9
	v_max_f32_e64 v14, |v7|, |v4|
	s_or_b64 s[10:11], s[10:11], s[12:13]
	s_and_saveexec_b64 s[12:13], s[10:11]
	s_xor_b64 s[14:15], exec, s[12:13]
	s_cbranch_execz .LBB347_113
; %bb.112:                              ;   in Loop: Header=BB347_69 Depth=3
	v_cvt_f64_f32_e32 v[16:17], v14
	v_frexp_exp_i32_f64_e32 v9, v[16:17]
	v_sub_u32_e32 v15, 0, v9
	v_ldexp_f32 v16, |v7|, v15
	v_ldexp_f32 v15, |v4|, v15
	v_mul_f32_e32 v15, v15, v15
	v_fmac_f32_e32 v15, v16, v16
	v_sqrt_f32_e32 v15, v15
	v_cmp_neq_f32_e64 s[10:11], s67, v14
	v_ldexp_f32 v9, v15, v9
	v_cndmask_b32_e64 v9, v37, v9, s[10:11]
	v_cmp_gt_f32_e64 s[10:11], s52, v9
	v_cndmask_b32_e64 v15, 1.0, v39, s[10:11]
	v_mul_f32_e32 v9, v9, v15
	v_log_f32_e32 v9, v9
	v_mul_f32_e32 v15, 0x3f317217, v9
	v_fma_f32 v16, v9, s68, -v15
	v_fmac_f32_e32 v16, 0x3377d1cf, v9
	v_add_f32_e32 v15, v15, v16
	v_cmp_lt_f32_e64 s[12:13], |v9|, s67
	v_cndmask_b32_e64 v9, v9, v15, s[12:13]
	v_cndmask_b32_e64 v15, 0, v40, s[10:11]
	v_sub_f32_e32 v16, v9, v15
.LBB347_113:                            ;   in Loop: Header=BB347_69 Depth=3
	s_andn2_saveexec_b64 s[12:13], s[14:15]
	s_cbranch_execz .LBB347_64
; %bb.114:                              ;   in Loop: Header=BB347_69 Depth=3
	v_add_f32_e32 v9, 2.0, v16
	v_mul_f32_e32 v15, v16, v9
	v_fmac_f32_e32 v15, v4, v4
	v_cmp_neq_f32_e64 s[10:11], 0, v15
	s_and_saveexec_b64 s[14:15], s[10:11]
	s_cbranch_execz .LBB347_63
; %bb.115:                              ;   in Loop: Header=BB347_69 Depth=3
	v_add_f32_e32 v9, 1.0, v15
	v_add_f32_e32 v16, -1.0, v9
	v_sub_f32_e32 v17, v16, v9
	v_add_f32_e32 v17, 1.0, v17
	v_sub_f32_e32 v16, v15, v16
	v_add_f32_e32 v18, v16, v17
	v_frexp_mant_f32_e32 v19, v9
	v_cvt_f64_f32_e32 v[16:17], v9
	v_frexp_exp_i32_f64_e32 v16, v[16:17]
	v_cmp_gt_f32_e64 s[10:11], s69, v19
	v_subbrev_co_u32_e64 v49, s[10:11], 0, v16, s[10:11]
	v_sub_u32_e32 v16, 0, v49
	v_ldexp_f32 v9, v9, v16
	v_ldexp_f32 v16, v18, v16
	v_add_f32_e32 v18, -1.0, v9
	v_add_f32_e32 v17, 1.0, v18
	v_sub_f32_e32 v17, v9, v17
	v_add_f32_e32 v19, v16, v17
	v_add_f32_e32 v17, 1.0, v9
	v_add_f32_e32 v20, -1.0, v17
	v_sub_f32_e32 v9, v9, v20
	v_add_f32_e32 v9, v16, v9
	v_add_f32_e32 v52, v17, v9
	v_rcp_f32_e32 v53, v52
	v_sub_f32_e32 v16, v52, v17
	v_add_f32_e32 v17, v18, v19
	v_sub_f32_e32 v9, v9, v16
	v_mul_f32_e32 v55, v17, v53
	v_sub_f32_e32 v16, v17, v18
	v_mul_f32_e32 v18, v52, v55
	v_fma_f32 v20, v55, v52, -v18
	v_fmac_f32_e32 v20, v55, v9
	v_sub_f32_e32 v54, v19, v16
	v_add_f32_e32 v16, v18, v20
	v_sub_f32_e32 v19, v17, v16
	v_pk_add_f32 v[50:51], v[16:17], v[18:19] neg_lo:[0,1] neg_hi:[0,1]
	v_mov_b32_e32 v21, v16
	v_pk_add_f32 v[16:17], v[50:51], v[20:21] neg_lo:[0,1] neg_hi:[0,1]
	v_add_f32_e32 v17, v54, v17
	v_add_f32_e32 v16, v16, v17
	v_add_f32_e32 v17, v19, v16
	v_mul_f32_e32 v54, v53, v17
	v_mul_f32_e32 v18, v52, v54
	v_fma_f32 v20, v54, v52, -v18
	v_fmac_f32_e32 v20, v54, v9
	v_sub_f32_e32 v9, v19, v17
	v_add_f32_e32 v9, v16, v9
	v_add_f32_e32 v16, v18, v20
	v_sub_f32_e32 v19, v17, v16
	v_pk_add_f32 v[50:51], v[16:17], v[18:19] neg_lo:[0,1] neg_hi:[0,1]
	v_mov_b32_e32 v21, v16
	v_pk_add_f32 v[16:17], v[50:51], v[20:21] neg_lo:[0,1] neg_hi:[0,1]
	v_add_f32_e32 v9, v9, v17
	v_add_f32_e32 v9, v16, v9
	;; [unrolled: 1-line block ×4, first 2 shown]
	v_sub_f32_e32 v16, v17, v55
	v_mul_f32_e32 v9, v53, v9
	v_sub_f32_e32 v16, v54, v16
	v_add_f32_e32 v18, v16, v9
	v_add_f32_e32 v20, v17, v18
	v_cvt_f32_i32_e32 v16, v49
	v_mul_f32_e32 v21, v20, v20
	v_mov_b32_e32 v9, 0x3ecc95a3
	v_sub_f32_e32 v17, v20, v17
	v_fmac_f32_e32 v9, 0x3e9b6dac, v21
	v_sub_f32_e32 v17, v18, v17
	v_fma_f32 v9, v21, v9, v28
	v_ldexp_f32 v49, v17, 1
	v_mul_f32_e32 v17, v20, v21
	v_ldexp_f32 v19, v20, 1
	v_pk_mul_f32 v[20:21], v[16:17], v[8:9]
	v_fma_f32 v18, v16, s70, -v20
	v_fmac_f32_e32 v18, 0xb102e308, v16
	v_pk_add_f32 v[16:17], v[20:21], v[18:19]
	v_sub_f32_e32 v9, v17, v19
	v_sub_f32_e32 v9, v21, v9
	v_add_f32_e32 v51, v49, v9
	v_mov_b32_e32 v50, v20
	v_pk_add_f32 v[20:21], v[16:17], v[20:21] neg_lo:[0,1] neg_hi:[0,1]
	v_pk_add_f32 v[52:53], v[16:17], v[50:51]
	v_mov_b32_e32 v21, v53
	v_mov_b32_e32 v19, v16
	v_pk_add_f32 v[54:55], v[18:19], v[20:21] neg_lo:[0,1] neg_hi:[0,1]
	v_pk_add_f32 v[18:19], v[18:19], v[20:21]
	v_mov_b32_e32 v20, v19
	v_pk_add_f32 v[56:57], v[20:21], v[16:17] neg_lo:[0,1] neg_hi:[0,1]
	v_mov_b32_e32 v9, v56
	v_pk_add_f32 v[58:59], v[52:53], v[8:9] neg_lo:[0,1] neg_hi:[0,1]
	v_mov_b32_e32 v18, v53
	v_mov_b32_e32 v52, v17
	;; [unrolled: 1-line block ×4, first 2 shown]
	v_pk_add_f32 v[18:19], v[18:19], v[52:53] neg_lo:[0,1] neg_hi:[0,1]
	v_mov_b32_e32 v50, v51
	v_mov_b32_e32 v51, v16
	v_pk_add_f32 v[16:17], v[50:51], v[18:19] neg_lo:[0,1] neg_hi:[0,1]
	v_mov_b32_e32 v58, v54
	v_pk_add_f32 v[18:19], v[58:59], v[16:17]
	v_mov_b32_e32 v50, v19
	v_pk_add_f32 v[50:51], v[18:19], v[50:51]
	v_pk_add_f32 v[20:21], v[20:21], v[50:51]
	v_mov_b32_e32 v19, v20
	v_pk_add_f32 v[52:53], v[18:19], v[54:55] neg_lo:[0,1] neg_hi:[0,1]
	v_mov_b32_e32 v17, v50
	v_sub_f32_e32 v9, v18, v52
	v_pk_add_f32 v[16:17], v[16:17], v[52:53] neg_lo:[0,1] neg_hi:[0,1]
	v_sub_f32_e32 v9, v54, v9
	v_add_f32_e32 v9, v16, v9
	v_add_f32_e32 v9, v9, v17
	;; [unrolled: 1-line block ×3, first 2 shown]
	v_cmp_eq_f32_e64 s[10:11], s67, v15
	v_cndmask_b32_e64 v9, v9, v15, s[10:11]
	v_cmp_ngt_f32_e64 s[10:11], -1.0, v15
	v_cndmask_b32_e64 v9, v38, v9, s[10:11]
	v_cmp_neq_f32_e64 s[10:11], -1.0, v15
	v_cndmask_b32_e64 v9, v41, v9, s[10:11]
	v_cmp_lt_f32_e64 s[10:11], |v15|, s60
	v_cndmask_b32_e64 v9, v9, v15, s[10:11]
	v_mul_f32_e32 v16, 0.5, v9
	s_branch .LBB347_63
.LBB347_116:                            ;   in Loop: Header=BB347_7 Depth=2
	s_or_b64 exec, exec, s[34:35]
	s_and_saveexec_b64 s[12:13], vcc
	s_cbranch_execz .LBB347_6
; %bb.117:                              ;   in Loop: Header=BB347_7 Depth=2
	v_cmp_gt_u32_e64 s[10:11], s25, v12
	s_and_saveexec_b64 s[14:15], s[10:11]
	s_cbranch_execz .LBB347_119
; %bb.118:                              ;   in Loop: Header=BB347_7 Depth=2
	ds_read_b64 v[14:15], v22
	v_mov_b32_e32 v13, v5
	v_lshlrev_b64 v[12:13], 3, v[12:13]
	v_add_co_u32_e64 v12, s[10:11], v47, v12
	v_addc_co_u32_e64 v13, s[10:11], v48, v13, s[10:11]
	s_waitcnt lgkmcnt(0)
	global_store_dwordx2 v[12:13], v[14:15], off
.LBB347_119:                            ;   in Loop: Header=BB347_7 Depth=2
	s_or_b64 exec, exec, s[14:15]
	v_cmp_gt_u32_e64 s[10:11], s25, v10
	s_and_b64 exec, exec, s[10:11]
	s_cbranch_execz .LBB347_6
; %bb.120:                              ;   in Loop: Header=BB347_7 Depth=2
	ds_read_b64 v[12:13], v23
	v_mov_b32_e32 v11, v5
	v_lshlrev_b64 v[10:11], 3, v[10:11]
	v_add_co_u32_e64 v10, s[10:11], v47, v10
	v_addc_co_u32_e64 v11, s[10:11], v48, v11, s[10:11]
	s_waitcnt lgkmcnt(0)
	global_store_dwordx2 v[10:11], v[12:13], off
	s_branch .LBB347_6
.LBB347_121:
	s_mov_b64 s[0:1], 0
.LBB347_122:
	s_andn2_b64 vcc, exec, s[0:1]
	s_cbranch_vccnz .LBB347_245
; %bb.123:
	s_load_dword s0, s[4:5], 0x3c
	s_add_u32 s2, s4, 48
	s_mov_b32 s29, 0
	s_addc_u32 s3, s5, 0
	v_pk_mov_b32 v[4:5], s[28:29], s[28:29] op_sel:[0,1]
	s_waitcnt lgkmcnt(0)
	s_lshr_b32 s0, s0, 16
	s_mul_hi_u32 s15, s0, s6
	s_mul_i32 s14, s0, s6
	v_cmp_ge_u64_e32 vcc, s[14:15], v[4:5]
	s_cbranch_vccnz .LBB347_245
; %bb.124:
	s_lshl_b32 s16, 1, s26
	s_load_dword s5, s[2:3], 0x0
	s_and_b32 s4, 0xffff, s0
	s_ashr_i32 s17, s16, 31
	s_cmp_lg_u32 s25, 0
	s_mov_b32 s30, s25
	v_and_b32_e32 v4, 0x3ff, v0
	s_cselect_b64 s[2:3], -1, 0
	s_lshl_b64 s[24:25], s[16:17], 1
	v_mov_b32_e32 v1, 0
	v_lshl_add_u32 v22, v4, 3, v3
	s_lshl_b32 s6, s24, 3
	v_cndmask_b32_e64 v0, 0, 1, s[2:3]
	s_mov_b32 s31, s29
	v_mov_b32_e32 v5, v1
	v_lshl_add_u32 v23, s16, 3, v22
	v_cmp_eq_u32_e64 s[0:1], 0, v4
	v_add3_u32 v24, v3, s6, -8
	s_waitcnt lgkmcnt(0)
	s_mul_i32 s33, s5, s4
	s_add_i32 s50, s26, 1
	v_cmp_ne_u32_e64 s[2:3], 1, v0
	s_mov_b32 s26, 0x7fc00000
	s_movk_i32 s51, 0x1f8
	s_brev_b32 s52, -2
	s_brev_b32 s53, 18
	s_mov_b32 s54, 0x800000
	s_mov_b32 s55, 0xfe5163ab
	;; [unrolled: 1-line block ×16, first 2 shown]
	v_mov_b32_e32 v25, 0xbe2aaa9d
	v_mov_b32_e32 v26, 0x3d2aabf7
	;; [unrolled: 1-line block ×3, first 2 shown]
	v_mov_b32_e32 v6, 1.0
	s_mov_b32 s70, 0x3f317217
	s_mov_b32 s71, 0x3f2aaaab
	v_mov_b32_e32 v28, 0x3f2aaada
	s_mov_b32 s72, 0x3f317218
	s_movk_i32 s73, 0x204
	v_mov_b32_e32 v29, 0x3d29fb3f
	v_mov_b32_e32 v30, 0xbd97d4d7
	v_mov_b32_e32 v31, 0x3dd931b2
	v_mov_b32_e32 v32, 0xbe1160e6
	v_mov_b32_e32 v33, 0x3e4cb8bf
	v_mov_b32_e32 v34, 0xbeaaaa62
	v_not_b32_e32 v35, 63
	v_not_b32_e32 v36, 31
	v_mov_b32_e32 v37, 0x7f800000
	v_mov_b32_e32 v38, 0x7fc00000
	;; [unrolled: 1-line block ×9, first 2 shown]
	s_branch .LBB347_126
.LBB347_125:                            ;   in Loop: Header=BB347_126 Depth=1
	s_add_u32 s14, s14, s33
	s_addc_u32 s15, s15, 0
	v_pk_mov_b32 v[10:11], s[28:29], s[28:29] op_sel:[0,1]
	v_cmp_ge_u64_e32 vcc, s[14:15], v[10:11]
	s_cbranch_vccnz .LBB347_245
.LBB347_126:                            ; =>This Loop Header: Depth=1
                                        ;     Child Loop BB347_129 Depth 2
                                        ;       Child Loop BB347_191 Depth 3
	s_and_b64 vcc, exec, s[2:3]
	s_cbranch_vccnz .LBB347_125
; %bb.127:                              ;   in Loop: Header=BB347_126 Depth=1
	v_add_co_u32_e32 v10, vcc, s14, v2
	v_mov_b32_e32 v0, s15
	v_mad_u64_u32 v[12:13], s[4:5], v10, s30, 0
	v_addc_co_u32_e32 v11, vcc, 0, v0, vcc
	v_mov_b32_e32 v0, v13
	v_mad_u64_u32 v[14:15], s[4:5], v11, s30, v[0:1]
	v_mov_b32_e32 v13, v14
	v_lshlrev_b64 v[12:13], 3, v[12:13]
	v_mov_b32_e32 v0, s23
	v_add_co_u32_e32 v45, vcc, s22, v12
	v_addc_co_u32_e32 v46, vcc, v0, v13, vcc
	v_mov_b32_e32 v0, s21
	v_add_co_u32_e32 v47, vcc, s20, v12
	v_addc_co_u32_e32 v48, vcc, v0, v13, vcc
	v_cmp_gt_u64_e64 s[4:5], s[28:29], v[10:11]
	v_cmp_le_u64_e64 s[6:7], s[28:29], v[10:11]
	s_mov_b64 s[34:35], 0
	v_pk_mov_b32 v[14:15], s[18:19], s[18:19] op_sel:[0,1]
	s_branch .LBB347_129
.LBB347_128:                            ;   in Loop: Header=BB347_129 Depth=2
	s_or_b64 exec, exec, s[8:9]
	ds_read_b64 v[14:15], v24
	s_add_u32 s34, s34, s24
	s_addc_u32 s35, s35, s25
	v_pk_mov_b32 v[10:11], s[30:31], s[30:31] op_sel:[0,1]
	v_cmp_ge_u64_e32 vcc, s[34:35], v[10:11]
	s_waitcnt lgkmcnt(0)
	s_barrier
	s_cbranch_vccnz .LBB347_125
.LBB347_129:                            ;   Parent Loop BB347_126 Depth=1
                                        ; =>  This Loop Header: Depth=2
                                        ;       Child Loop BB347_191 Depth 3
	v_mov_b32_e32 v0, s35
	v_add_co_u32_e32 v12, vcc, s34, v4
	v_addc_co_u32_e32 v13, vcc, 0, v0, vcc
	v_mov_b32_e32 v0, s17
	v_add_co_u32_e32 v10, vcc, s16, v12
	v_addc_co_u32_e32 v11, vcc, v13, v0, vcc
	s_and_saveexec_b64 s[36:37], s[4:5]
	s_cbranch_execz .LBB347_184
; %bb.130:                              ;   in Loop: Header=BB347_129 Depth=2
	v_cmp_gt_u64_e32 vcc, s[30:31], v[12:13]
	v_pk_mov_b32 v[16:17], s[18:19], s[18:19] op_sel:[0,1]
	s_and_saveexec_b64 s[8:9], vcc
	s_cbranch_execz .LBB347_132
; %bb.131:                              ;   in Loop: Header=BB347_129 Depth=2
	v_lshlrev_b64 v[16:17], 3, v[12:13]
	v_add_co_u32_e32 v16, vcc, v45, v16
	v_addc_co_u32_e32 v17, vcc, v46, v17, vcc
	global_load_dwordx2 v[16:17], v[16:17], off
.LBB347_132:                            ;   in Loop: Header=BB347_129 Depth=2
	s_or_b64 exec, exec, s[8:9]
	s_waitcnt vmcnt(0)
	ds_write_b64 v22, v[16:17]
	v_cmp_gt_u64_e32 vcc, s[30:31], v[10:11]
	v_pk_mov_b32 v[16:17], s[18:19], s[18:19] op_sel:[0,1]
	s_and_saveexec_b64 s[8:9], vcc
	s_cbranch_execz .LBB347_134
; %bb.133:                              ;   in Loop: Header=BB347_129 Depth=2
	v_lshlrev_b64 v[16:17], 3, v[10:11]
	v_add_co_u32_e32 v16, vcc, v45, v16
	v_addc_co_u32_e32 v17, vcc, v46, v17, vcc
	global_load_dwordx2 v[16:17], v[16:17], off
.LBB347_134:                            ;   in Loop: Header=BB347_129 Depth=2
	s_or_b64 exec, exec, s[8:9]
	s_waitcnt vmcnt(0)
	ds_write_b64 v23, v[16:17]
	s_and_b64 exec, exec, s[0:1]
	s_cbranch_execz .LBB347_184
; %bb.135:                              ;   in Loop: Header=BB347_129 Depth=2
	ds_read_b64 v[20:21], v3
	v_cmp_o_f32_e32 vcc, v14, v14
	v_cmp_o_f32_e64 s[8:9], v15, v15
	s_and_b64 s[10:11], vcc, s[8:9]
	v_mov_b32_e32 v19, v15
	v_pk_mov_b32 v[16:17], v[14:15], v[14:15] op_sel:[0,1]
	s_and_saveexec_b64 s[12:13], s[10:11]
	s_cbranch_execz .LBB347_137
; %bb.136:                              ;   in Loop: Header=BB347_129 Depth=2
	s_waitcnt lgkmcnt(0)
	v_cmp_u_f32_e32 vcc, v20, v20
	v_cmp_u_f32_e64 s[8:9], v21, v21
	s_or_b64 s[8:9], vcc, s[8:9]
	v_cmp_lt_f32_e32 vcc, v20, v14
	s_or_b64 vcc, vcc, s[8:9]
	v_cndmask_b32_e32 v19, v15, v21, vcc
	v_cndmask_b32_e32 v18, v14, v20, vcc
	v_pk_mov_b32 v[16:17], v[18:19], v[18:19] op_sel:[0,1]
.LBB347_137:                            ;   in Loop: Header=BB347_129 Depth=2
	s_or_b64 exec, exec, s[12:13]
	s_and_saveexec_b64 s[8:9], s[10:11]
	s_xor_b64 s[10:11], exec, s[8:9]
	s_cbranch_execz .LBB347_139
; %bb.138:                              ;   in Loop: Header=BB347_129 Depth=2
	s_waitcnt lgkmcnt(0)
	v_cmp_u_f32_e32 vcc, v20, v20
	v_cmp_u_f32_e64 s[8:9], v21, v21
	s_or_b64 s[8:9], vcc, s[8:9]
	v_cmp_ge_f32_e32 vcc, v20, v14
	s_or_b64 vcc, vcc, s[8:9]
	v_cndmask_b32_e32 v15, v15, v21, vcc
	v_cndmask_b32_e32 v14, v14, v20, vcc
.LBB347_139:                            ;   in Loop: Header=BB347_129 Depth=2
	s_andn2_saveexec_b64 s[8:9], s[10:11]
	s_or_b64 exec, exec, s[8:9]
	v_cmp_o_f32_e32 vcc, v16, v16
	v_cmp_o_f32_e64 s[8:9], v17, v17
	s_mov_b32 s27, s26
	s_and_b64 s[8:9], vcc, s[8:9]
	s_waitcnt lgkmcnt(0)
	v_pk_mov_b32 v[20:21], s[26:27], s[26:27] op_sel:[0,1]
	s_and_saveexec_b64 s[38:39], s[8:9]
	s_cbranch_execz .LBB347_183
; %bb.140:                              ;   in Loop: Header=BB347_129 Depth=2
	v_cmp_class_f32_e64 s[8:9], v16, s51
	v_cmp_neq_f32_e32 vcc, v14, v16
	s_or_b64 s[8:9], s[8:9], vcc
	s_and_saveexec_b64 s[10:11], s[8:9]
	s_xor_b64 s[40:41], exec, s[10:11]
	s_cbranch_execz .LBB347_156
; %bb.141:                              ;   in Loop: Header=BB347_129 Depth=2
	v_pk_add_f32 v[16:17], v[16:17], v[14:15] neg_lo:[0,1] neg_hi:[0,1]
	v_and_b32_e32 v7, 0x7fffffff, v17
	v_lshrrev_b32_e32 v0, 23, v7
	v_and_b32_e32 v9, 0x7fffff, v7
	v_cmp_nlt_f32_e64 s[42:43], |v17|, s53
	v_add_u32_e32 v20, 0xffffff88, v0
	v_or_b32_e32 v19, 0x800000, v9
                                        ; implicit-def: $vgpr9
                                        ; implicit-def: $vgpr18
	s_and_saveexec_b64 s[8:9], s[42:43]
	s_xor_b64 s[44:45], exec, s[8:9]
	s_cbranch_execz .LBB347_143
; %bb.142:                              ;   in Loop: Header=BB347_129 Depth=2
	v_cmp_lt_u32_e32 vcc, 63, v20
	v_cndmask_b32_e32 v0, 0, v35, vcc
	v_add_u32_e32 v0, v0, v20
	v_cmp_lt_u32_e64 s[8:9], 31, v0
	v_cndmask_b32_e64 v9, 0, v36, s[8:9]
	v_add_u32_e32 v0, v9, v0
	v_cmp_lt_u32_e64 s[10:11], 31, v0
	v_cndmask_b32_e64 v9, 0, v36, s[10:11]
	v_mad_u64_u32 v[50:51], s[12:13], v19, s55, 0
	v_add_u32_e32 v9, v9, v0
	v_mov_b32_e32 v0, v51
	v_mad_u64_u32 v[52:53], s[12:13], v19, s56, v[0:1]
	v_mov_b32_e32 v0, v53
	v_mad_u64_u32 v[54:55], s[12:13], v19, s57, v[0:1]
	;; [unrolled: 2-line block ×6, first 2 shown]
	v_cndmask_b32_e32 v18, v60, v56, vcc
	v_cndmask_b32_e32 v0, v62, v58, vcc
	;; [unrolled: 1-line block ×3, first 2 shown]
	v_cndmask_b32_e64 v21, v0, v18, s[8:9]
	v_cndmask_b32_e64 v0, v49, v0, s[8:9]
	v_cndmask_b32_e32 v49, v58, v54, vcc
	v_cndmask_b32_e64 v18, v18, v49, s[8:9]
	v_sub_u32_e32 v51, 32, v9
	v_cmp_eq_u32_e64 s[12:13], 0, v9
	v_cndmask_b32_e32 v9, v56, v52, vcc
	v_cndmask_b32_e64 v0, v0, v21, s[10:11]
	v_cndmask_b32_e64 v21, v21, v18, s[10:11]
	;; [unrolled: 1-line block ×3, first 2 shown]
	v_alignbit_b32 v53, v0, v21, v51
	v_cndmask_b32_e64 v18, v18, v49, s[10:11]
	v_cndmask_b32_e64 v0, v53, v0, s[12:13]
	v_alignbit_b32 v52, v21, v18, v51
	v_cndmask_b32_e32 v50, v54, v50, vcc
	v_cndmask_b32_e64 v21, v52, v21, s[12:13]
	v_bfe_u32 v55, v0, 29, 1
	v_cndmask_b32_e64 v9, v9, v50, s[8:9]
	v_alignbit_b32 v52, v0, v21, 30
	v_sub_u32_e32 v56, 0, v55
	v_cndmask_b32_e64 v9, v49, v9, s[10:11]
	v_xor_b32_e32 v57, v52, v56
	v_alignbit_b32 v49, v18, v9, v51
	v_cndmask_b32_e64 v18, v49, v18, s[12:13]
	v_ffbh_u32_e32 v49, v57
	v_add_u32_e32 v49, 1, v49
	v_cmp_ne_u32_e32 vcc, v52, v56
	v_alignbit_b32 v21, v21, v18, 30
	v_cndmask_b32_e32 v49, 33, v49, vcc
	v_alignbit_b32 v9, v18, v9, 30
	v_xor_b32_e32 v21, v21, v56
	v_sub_u32_e32 v50, 32, v49
	v_xor_b32_e32 v9, v9, v56
	v_alignbit_b32 v51, v57, v21, v50
	v_alignbit_b32 v9, v21, v9, v50
	v_alignbit_b32 v18, v51, v9, 9
	v_ffbh_u32_e32 v21, v18
	v_min_u32_e32 v21, 32, v21
	v_lshrrev_b32_e32 v53, 29, v0
	v_sub_u32_e32 v50, 31, v21
	v_alignbit_b32 v9, v18, v9, v50
	v_lshlrev_b32_e32 v18, 31, v53
	v_or_b32_e32 v50, 0x33800000, v18
	v_add_lshl_u32 v21, v21, v49, 23
	v_lshrrev_b32_e32 v9, 9, v9
	v_sub_u32_e32 v21, v50, v21
	v_or_b32_e32 v9, v21, v9
	v_alignbit_b32 v21, v49, v51, 9
	v_or_b32_e32 v18, v21, v18
	v_xor_b32_e32 v18, 1.0, v18
	v_mul_f32_e32 v21, 0x3fc90fda, v18
	v_fma_f32 v49, v18, s63, -v21
	v_fmac_f32_e32 v49, 0x33a22168, v18
	v_fmac_f32_e32 v49, 0x3fc90fda, v9
	v_lshrrev_b32_e32 v0, 30, v0
	v_add_f32_e32 v18, v21, v49
	v_add_u32_e32 v9, v55, v0
.LBB347_143:                            ;   in Loop: Header=BB347_129 Depth=2
	s_or_saveexec_b64 s[8:9], s[44:45]
	v_mul_f32_e64 v0, |v17|, s64
	v_rndne_f32_e32 v49, v0
	s_xor_b64 exec, exec, s[8:9]
; %bb.144:                              ;   in Loop: Header=BB347_129 Depth=2
	v_cvt_i32_f32_e32 v9, v49
	v_fma_f32 v18, v49, s65, |v17|
	v_fmac_f32_e32 v18, 0xb3a22168, v49
	v_fmac_f32_e32 v18, 0xa7c234c4, v49
; %bb.145:                              ;   in Loop: Header=BB347_129 Depth=2
	s_or_b64 exec, exec, s[8:9]
                                        ; implicit-def: $vgpr0
                                        ; implicit-def: $vgpr21
	s_and_saveexec_b64 s[8:9], s[42:43]
	s_xor_b64 s[42:43], exec, s[8:9]
	s_cbranch_execz .LBB347_147
; %bb.146:                              ;   in Loop: Header=BB347_129 Depth=2
	v_cmp_lt_u32_e32 vcc, 63, v20
	v_cndmask_b32_e32 v0, 0, v35, vcc
	v_add_u32_e32 v0, v0, v20
	v_cmp_lt_u32_e64 s[8:9], 31, v0
	v_cndmask_b32_e64 v20, 0, v36, s[8:9]
	v_add_u32_e32 v0, v20, v0
	v_cmp_lt_u32_e64 s[10:11], 31, v0
	v_cndmask_b32_e64 v20, 0, v36, s[10:11]
	v_add_u32_e32 v49, v20, v0
	v_mad_u64_u32 v[20:21], s[12:13], v19, s55, 0
	v_mov_b32_e32 v0, v21
	v_mad_u64_u32 v[50:51], s[12:13], v19, s56, v[0:1]
	v_mov_b32_e32 v0, v51
	;; [unrolled: 2-line block ×6, first 2 shown]
	v_mad_u64_u32 v[60:61], s[12:13], v19, s61, v[0:1]
	v_cndmask_b32_e32 v21, v58, v54, vcc
	v_cndmask_b32_e32 v0, v60, v56, vcc
	;; [unrolled: 1-line block ×3, first 2 shown]
	v_cndmask_b32_e64 v19, v0, v21, s[8:9]
	v_cndmask_b32_e64 v0, v51, v0, s[8:9]
	v_cndmask_b32_e32 v51, v56, v52, vcc
	v_cndmask_b32_e64 v21, v21, v51, s[8:9]
	v_sub_u32_e32 v53, 32, v49
	v_cmp_eq_u32_e64 s[12:13], 0, v49
	v_cndmask_b32_e32 v49, v54, v50, vcc
	v_cndmask_b32_e64 v0, v0, v19, s[10:11]
	v_cndmask_b32_e64 v19, v19, v21, s[10:11]
	;; [unrolled: 1-line block ×3, first 2 shown]
	v_alignbit_b32 v55, v0, v19, v53
	v_cndmask_b32_e64 v21, v21, v50, s[10:11]
	v_cndmask_b32_e64 v0, v55, v0, s[12:13]
	v_alignbit_b32 v51, v19, v21, v53
	v_cndmask_b32_e32 v20, v52, v20, vcc
	v_cndmask_b32_e64 v19, v51, v19, s[12:13]
	v_bfe_u32 v55, v0, 29, 1
	v_cndmask_b32_e64 v20, v49, v20, s[8:9]
	v_alignbit_b32 v51, v0, v19, 30
	v_sub_u32_e32 v56, 0, v55
	v_cndmask_b32_e64 v20, v50, v20, s[10:11]
	v_xor_b32_e32 v57, v51, v56
	v_alignbit_b32 v49, v21, v20, v53
	v_cndmask_b32_e64 v21, v49, v21, s[12:13]
	v_ffbh_u32_e32 v49, v57
	v_add_u32_e32 v49, 1, v49
	v_cmp_ne_u32_e32 vcc, v51, v56
	v_alignbit_b32 v19, v19, v21, 30
	v_cndmask_b32_e32 v49, 33, v49, vcc
	v_alignbit_b32 v20, v21, v20, 30
	v_xor_b32_e32 v19, v19, v56
	v_sub_u32_e32 v50, 32, v49
	v_xor_b32_e32 v20, v20, v56
	v_alignbit_b32 v51, v57, v19, v50
	v_alignbit_b32 v19, v19, v20, v50
	;; [unrolled: 1-line block ×3, first 2 shown]
	v_ffbh_u32_e32 v21, v20
	v_min_u32_e32 v21, 32, v21
	v_lshrrev_b32_e32 v54, 29, v0
	v_sub_u32_e32 v50, 31, v21
	v_alignbit_b32 v19, v20, v19, v50
	v_lshlrev_b32_e32 v20, 31, v54
	v_or_b32_e32 v50, 0x33800000, v20
	v_add_lshl_u32 v21, v21, v49, 23
	v_lshrrev_b32_e32 v19, 9, v19
	v_sub_u32_e32 v21, v50, v21
	v_or_b32_e32 v19, v21, v19
	v_alignbit_b32 v21, v49, v51, 9
	v_or_b32_e32 v20, v21, v20
	v_xor_b32_e32 v20, 1.0, v20
	v_mul_f32_e32 v21, 0x3fc90fda, v20
	v_fma_f32 v49, v20, s63, -v21
	v_fmac_f32_e32 v49, 0x33a22168, v20
	v_fmac_f32_e32 v49, 0x3fc90fda, v19
	v_lshrrev_b32_e32 v0, 30, v0
	v_add_f32_e32 v21, v21, v49
	v_add_u32_e32 v0, v55, v0
                                        ; implicit-def: $vgpr49
	s_andn2_saveexec_b64 s[8:9], s[42:43]
	s_cbranch_execnz .LBB347_148
	s_branch .LBB347_149
.LBB347_147:                            ;   in Loop: Header=BB347_129 Depth=2
	s_andn2_saveexec_b64 s[8:9], s[42:43]
.LBB347_148:                            ;   in Loop: Header=BB347_129 Depth=2
	v_cvt_i32_f32_e32 v0, v49
	v_fma_f32 v21, v49, s65, |v17|
	v_fmac_f32_e32 v21, 0xb3a22168, v49
	v_fmac_f32_e32 v21, 0xa7c234c4, v49
.LBB347_149:                            ;   in Loop: Header=BB347_129 Depth=2
	s_or_b64 exec, exec, s[8:9]
	v_mul_f32_e32 v19, 0x3fb8aa3b, v16
	v_rndne_f32_e32 v20, v19
	v_sub_f32_e32 v49, v19, v20
	v_fma_f32 v19, v16, s66, -v19
	v_fmac_f32_e32 v19, 0x32a5705f, v16
	v_add_f32_e32 v19, v49, v19
	v_cvt_i32_f32_e32 v20, v20
	v_exp_f32_e32 v19, v19
	v_cmp_ngt_f32_e32 vcc, s67, v16
	v_and_b32_e32 v52, 1, v0
	v_lshlrev_b32_e32 v0, 30, v0
	v_ldexp_f32 v19, v19, v20
	v_cndmask_b32_e32 v19, 0, v19, vcc
	v_cmp_nlt_f32_e32 vcc, s68, v16
	v_cndmask_b32_e32 v16, v37, v19, vcc
	v_lshlrev_b32_e32 v19, 30, v9
	v_and_b32_e32 v49, 0x80000000, v19
	v_mul_f32_e32 v19, v21, v21
	v_mov_b32_e32 v20, 0x3c0881c4
	v_fmac_f32_e32 v20, 0xb94c1982, v19
	v_fma_f32 v51, v19, v20, v25
	v_mov_b32_e32 v20, 0xbab64f3b
	v_and_b32_e32 v0, 0x80000000, v0
	v_xor_b32_e32 v7, v7, v17
	v_mov_b32_e32 v50, v18
	v_fmac_f32_e32 v20, 0x37d75334, v19
	v_xor_b32_e32 v0, v7, v0
	v_pk_mul_f32 v[50:51], v[18:19], v[50:51]
	v_mov_b32_e32 v7, 0xbab64f3b
	v_fma_f32 v20, v19, v20, v26
	v_fmac_f32_e32 v7, 0x37d75334, v50
	v_fma_f32 v20, v19, v20, v27
	v_fma_f32 v7, v50, v7, v26
	v_fma_f32 v53, v19, v20, 1.0
	v_fma_f32 v20, v50, v7, v27
	v_mov_b32_e32 v7, 0x3c0881c4
	v_fmac_f32_e32 v7, 0xb94c1982, v50
	v_fma_f32 v7, v50, v7, v25
	v_mul_f32_e32 v7, v50, v7
	v_fmac_f32_e32 v18, v18, v7
	v_mov_b32_e32 v7, v21
	v_and_b32_e32 v9, 1, v9
	v_pk_fma_f32 v[20:21], v[50:51], v[20:21], v[6:7]
	v_cmp_eq_u32_e32 vcc, 0, v52
	v_cndmask_b32_e32 v7, v53, v21, vcc
	v_cmp_eq_u32_e32 vcc, 0, v9
	v_cndmask_b32_e64 v9, -v18, v20, vcc
	v_xor_b32_e32 v9, v49, v9
	v_xor_b32_e32 v0, v0, v7
	v_cmp_class_f32_e64 vcc, v17, s51
	v_cndmask_b32_e32 v19, v38, v0, vcc
	v_cndmask_b32_e32 v18, v38, v9, vcc
	v_pk_mul_f32 v[16:17], v[16:17], v[18:19] op_sel_hi:[0,1]
	v_max_f32_e64 v0, |v16|, |v17|
	v_cvt_f64_f32_e32 v[18:19], v0
	v_frexp_exp_i32_f64_e32 v7, v[18:19]
	v_sub_u32_e32 v9, 0, v7
	v_ldexp_f32 v18, |v16|, v9
	v_ldexp_f32 v9, |v17|, v9
	v_mul_f32_e32 v9, v9, v9
	v_fmac_f32_e32 v9, v18, v18
	v_sqrt_f32_e32 v9, v9
	v_cmp_eq_f32_e32 vcc, s69, v0
	v_add_f32_e32 v0, 1.0, v16
                                        ; implicit-def: $vgpr18
	v_ldexp_f32 v7, v9, v7
	v_cmp_ngt_f32_e64 s[8:9], 0.5, v7
	v_max_f32_e64 v7, |v0|, |v17|
	s_or_b64 s[8:9], vcc, s[8:9]
	s_and_saveexec_b64 s[10:11], s[8:9]
	s_xor_b64 s[10:11], exec, s[10:11]
	s_cbranch_execz .LBB347_151
; %bb.150:                              ;   in Loop: Header=BB347_129 Depth=2
	v_cvt_f64_f32_e32 v[18:19], v7
	v_frexp_exp_i32_f64_e32 v9, v[18:19]
	v_sub_u32_e32 v18, 0, v9
	v_ldexp_f32 v19, |v0|, v18
	v_ldexp_f32 v18, |v17|, v18
	v_mul_f32_e32 v18, v18, v18
	v_fmac_f32_e32 v18, v19, v19
	v_sqrt_f32_e32 v18, v18
	v_cmp_neq_f32_e32 vcc, s69, v7
	v_ldexp_f32 v9, v18, v9
	v_cndmask_b32_e32 v9, v37, v9, vcc
	v_cmp_gt_f32_e32 vcc, s54, v9
	v_cndmask_b32_e32 v18, 1.0, v39, vcc
	v_mul_f32_e32 v9, v9, v18
	v_log_f32_e32 v9, v9
	v_mul_f32_e32 v18, 0x3f317217, v9
	v_fma_f32 v19, v9, s70, -v18
	v_fmac_f32_e32 v19, 0x3377d1cf, v9
	v_add_f32_e32 v18, v18, v19
	v_cmp_lt_f32_e64 s[8:9], |v9|, s69
	v_cndmask_b32_e64 v9, v9, v18, s[8:9]
	v_cndmask_b32_e32 v18, 0, v40, vcc
	v_sub_f32_e32 v18, v9, v18
.LBB347_151:                            ;   in Loop: Header=BB347_129 Depth=2
	s_andn2_saveexec_b64 s[8:9], s[10:11]
	s_cbranch_execz .LBB347_155
; %bb.152:                              ;   in Loop: Header=BB347_129 Depth=2
	v_add_f32_e32 v18, 2.0, v16
	v_mov_b32_e32 v19, v17
	v_pk_mul_f32 v[18:19], v[16:17], v[18:19]
	v_add_f32_e32 v18, v18, v19
	v_cmp_neq_f32_e32 vcc, 0, v18
	s_and_saveexec_b64 s[10:11], vcc
	s_cbranch_execz .LBB347_154
; %bb.153:                              ;   in Loop: Header=BB347_129 Depth=2
	v_add_f32_e32 v9, 1.0, v18
	v_add_f32_e32 v16, -1.0, v9
	v_sub_f32_e32 v19, v16, v9
	v_add_f32_e32 v19, 1.0, v19
	v_sub_f32_e32 v16, v18, v16
	v_add_f32_e32 v16, v16, v19
	v_frexp_mant_f32_e32 v19, v9
	v_cvt_f64_f32_e32 v[20:21], v9
	v_frexp_exp_i32_f64_e32 v20, v[20:21]
	v_cmp_gt_f32_e32 vcc, s71, v19
	v_subbrev_co_u32_e32 v19, vcc, 0, v20, vcc
	v_sub_u32_e32 v20, 0, v19
	v_ldexp_f32 v9, v9, v20
	v_ldexp_f32 v16, v16, v20
	v_add_f32_e32 v20, -1.0, v9
	v_add_f32_e32 v21, 1.0, v20
	v_sub_f32_e32 v21, v9, v21
	v_add_f32_e32 v49, v16, v21
	v_add_f32_e32 v21, 1.0, v9
	v_add_f32_e32 v50, -1.0, v21
	v_sub_f32_e32 v9, v9, v50
	v_add_f32_e32 v9, v16, v9
	v_add_f32_e32 v16, v21, v9
	v_rcp_f32_e32 v56, v16
	v_sub_f32_e32 v21, v16, v21
	v_sub_f32_e32 v9, v9, v21
	v_add_f32_e32 v21, v20, v49
	v_mul_f32_e32 v57, v21, v56
	v_mul_f32_e32 v50, v16, v57
	v_fma_f32 v52, v57, v16, -v50
	v_sub_f32_e32 v20, v21, v20
	v_fmac_f32_e32 v52, v57, v9
	v_sub_f32_e32 v49, v49, v20
	v_add_f32_e32 v20, v50, v52
	v_sub_f32_e32 v51, v21, v20
	v_pk_add_f32 v[54:55], v[20:21], v[50:51] neg_lo:[0,1] neg_hi:[0,1]
	v_mov_b32_e32 v53, v20
	v_pk_add_f32 v[20:21], v[54:55], v[52:53] neg_lo:[0,1] neg_hi:[0,1]
	v_add_f32_e32 v21, v49, v21
	v_add_f32_e32 v20, v20, v21
	;; [unrolled: 1-line block ×3, first 2 shown]
	v_mul_f32_e32 v49, v56, v21
	v_mul_f32_e32 v50, v16, v49
	v_fma_f32 v52, v49, v16, -v50
	v_fmac_f32_e32 v52, v49, v9
	v_sub_f32_e32 v9, v51, v21
	v_add_f32_e32 v9, v20, v9
	v_add_f32_e32 v20, v50, v52
	v_sub_f32_e32 v51, v21, v20
	v_pk_add_f32 v[54:55], v[20:21], v[50:51] neg_lo:[0,1] neg_hi:[0,1]
	v_mov_b32_e32 v53, v20
	v_pk_add_f32 v[20:21], v[54:55], v[52:53] neg_lo:[0,1] neg_hi:[0,1]
	v_add_f32_e32 v9, v9, v21
	v_add_f32_e32 v9, v20, v9
	;; [unrolled: 1-line block ×4, first 2 shown]
	v_sub_f32_e32 v20, v16, v57
	v_mul_f32_e32 v9, v56, v9
	v_sub_f32_e32 v20, v49, v20
	v_add_f32_e32 v21, v20, v9
	v_add_f32_e32 v49, v16, v21
	v_cvt_f32_i32_e32 v20, v19
	v_mul_f32_e32 v50, v49, v49
	v_mov_b32_e32 v9, 0x3ecc95a3
	v_fmac_f32_e32 v9, 0x3e9b6dac, v50
	v_sub_f32_e32 v16, v49, v16
	v_fma_f32 v9, v50, v9, v28
	v_sub_f32_e32 v16, v21, v16
	v_mul_f32_e32 v21, v49, v50
	v_pk_mul_f32 v[52:53], v[20:21], v[8:9]
	v_fma_f32 v50, v20, s72, -v52
	v_ldexp_f32 v51, v49, 1
	v_fmac_f32_e32 v50, 0xb102e308, v20
	v_pk_add_f32 v[20:21], v[52:53], v[50:51]
	v_sub_f32_e32 v9, v21, v51
	v_ldexp_f32 v16, v16, 1
	v_sub_f32_e32 v9, v53, v9
	v_add_f32_e32 v55, v16, v9
	v_mov_b32_e32 v54, v52
	v_pk_add_f32 v[52:53], v[20:21], v[52:53] neg_lo:[0,1] neg_hi:[0,1]
	v_pk_add_f32 v[56:57], v[20:21], v[54:55]
	v_mov_b32_e32 v53, v57
	v_mov_b32_e32 v51, v20
	v_pk_add_f32 v[58:59], v[50:51], v[52:53] neg_lo:[0,1] neg_hi:[0,1]
	v_pk_add_f32 v[50:51], v[50:51], v[52:53]
	v_mov_b32_e32 v16, v51
	v_pk_add_f32 v[52:53], v[16:17], v[20:21] neg_lo:[0,1] neg_hi:[0,1]
	v_mov_b32_e32 v9, v52
	v_pk_add_f32 v[60:61], v[56:57], v[8:9] neg_lo:[0,1] neg_hi:[0,1]
	v_mov_b32_e32 v50, v57
	v_mov_b32_e32 v56, v21
	;; [unrolled: 1-line block ×4, first 2 shown]
	v_pk_add_f32 v[50:51], v[50:51], v[56:57] neg_lo:[0,1] neg_hi:[0,1]
	v_mov_b32_e32 v52, v55
	v_mov_b32_e32 v53, v20
	v_pk_add_f32 v[20:21], v[52:53], v[50:51] neg_lo:[0,1] neg_hi:[0,1]
	v_mov_b32_e32 v60, v58
	v_pk_add_f32 v[50:51], v[60:61], v[20:21]
	v_mov_b32_e32 v52, v51
	v_pk_add_f32 v[52:53], v[50:51], v[52:53]
	v_pk_add_f32 v[54:55], v[16:17], v[52:53]
	v_mov_b32_e32 v51, v54
	v_pk_add_f32 v[56:57], v[50:51], v[58:59] neg_lo:[0,1] neg_hi:[0,1]
	v_mov_b32_e32 v21, v52
	v_sub_f32_e32 v9, v50, v56
	v_pk_add_f32 v[20:21], v[20:21], v[56:57] neg_lo:[0,1] neg_hi:[0,1]
	v_sub_f32_e32 v9, v58, v9
	v_add_f32_e32 v9, v20, v9
	v_add_f32_e32 v9, v9, v21
	;; [unrolled: 1-line block ×3, first 2 shown]
	v_cmp_eq_f32_e32 vcc, s69, v18
	v_cndmask_b32_e32 v9, v9, v18, vcc
	v_cmp_ngt_f32_e32 vcc, -1.0, v18
	v_cndmask_b32_e32 v9, v38, v9, vcc
	v_cmp_neq_f32_e32 vcc, -1.0, v18
	v_cndmask_b32_e32 v9, v41, v9, vcc
	v_cmp_lt_f32_e64 vcc, |v18|, s62
	v_cndmask_b32_e32 v9, v9, v18, vcc
	v_mul_f32_e32 v16, 0.5, v9
.LBB347_154:                            ;   in Loop: Header=BB347_129 Depth=2
	s_or_b64 exec, exec, s[10:11]
	v_mov_b32_e32 v18, v16
.LBB347_155:                            ;   in Loop: Header=BB347_129 Depth=2
	s_or_b64 exec, exec, s[8:9]
	v_max_f32_e64 v19, |v17|, |v17|
	v_max_f32_e64 v20, |v0|, |v0|
	v_min_f32_e32 v19, v20, v19
	v_frexp_mant_f32_e32 v20, v7
	v_rcp_f32_e32 v20, v20
	v_frexp_exp_i32_f32_e32 v7, v7
	v_frexp_exp_i32_f32_e32 v21, v19
	v_frexp_mant_f32_e32 v19, v19
	v_mul_f32_e32 v19, v19, v20
	v_sub_u32_e32 v7, v21, v7
	v_ldexp_f32 v7, v19, v7
	v_mul_f32_e32 v19, v7, v7
	v_mov_b32_e32 v20, 0xbc7a590c
	v_fmac_f32_e32 v20, 0x3b2d2a58, v19
	v_fma_f32 v20, v19, v20, v29
	v_fma_f32 v20, v19, v20, v30
	;; [unrolled: 1-line block ×6, first 2 shown]
	v_mul_f32_e32 v19, v19, v20
	v_cmp_gt_i32_e64 s[8:9], 0, v0
	v_fmac_f32_e32 v7, v7, v19
	v_cndmask_b32_e64 v16, 0, v44, s[8:9]
	v_sub_f32_e32 v19, 0x3fc90fdb, v7
	v_cmp_gt_f32_e64 s[8:9], |v17|, |v0|
	v_cndmask_b32_e64 v7, v7, v19, s[8:9]
	v_cmp_gt_f32_e32 vcc, 0, v0
	v_sub_f32_e32 v19, 0x40490fdb, v7
	v_cmp_class_f32_e64 s[10:11], v17, s73
	v_cmp_class_f32_e64 s[12:13], v0, s73
	v_cndmask_b32_e32 v9, v42, v43, vcc
	v_cndmask_b32_e32 v7, v7, v19, vcc
	v_cmp_eq_f32_e32 vcc, 0, v17
	v_cndmask_b32_e32 v7, v7, v16, vcc
	s_and_b64 vcc, s[12:13], s[10:11]
	v_cndmask_b32_e32 v7, v7, v9, vcc
	v_cmp_o_f32_e32 vcc, v0, v17
	v_cndmask_b32_e32 v0, v38, v7, vcc
	v_bfi_b32 v19, s52, v0, v17
	v_pk_add_f32 v[16:17], v[14:15], v[18:19]
                                        ; implicit-def: $vgpr19
                                        ; implicit-def: $vgpr15
.LBB347_156:                            ;   in Loop: Header=BB347_129 Depth=2
	s_andn2_saveexec_b64 s[40:41], s[40:41]
	s_cbranch_execz .LBB347_182
; %bb.157:                              ;   in Loop: Header=BB347_129 Depth=2
	v_cmp_ngt_f32_e32 vcc, 0, v16
	s_and_saveexec_b64 s[42:43], vcc
	s_cbranch_execz .LBB347_181
; %bb.158:                              ;   in Loop: Header=BB347_129 Depth=2
	v_and_b32_e32 v7, 0x7fffffff, v17
	v_lshrrev_b32_e32 v0, 23, v7
	v_and_b32_e32 v9, 0x7fffff, v7
	v_cmp_nlt_f32_e64 s[44:45], |v17|, s53
	v_add_u32_e32 v21, 0xffffff88, v0
	v_or_b32_e32 v20, 0x800000, v9
                                        ; implicit-def: $vgpr14
                                        ; implicit-def: $vgpr9
	s_and_saveexec_b64 s[8:9], s[44:45]
	s_xor_b64 s[46:47], exec, s[8:9]
	s_cbranch_execz .LBB347_160
; %bb.159:                              ;   in Loop: Header=BB347_129 Depth=2
	v_cmp_lt_u32_e32 vcc, 63, v21
	v_cndmask_b32_e32 v0, 0, v35, vcc
	v_add_u32_e32 v0, v0, v21
	v_cmp_lt_u32_e64 s[8:9], 31, v0
	v_cndmask_b32_e64 v9, 0, v36, s[8:9]
	v_add_u32_e32 v0, v9, v0
	v_cmp_lt_u32_e64 s[10:11], 31, v0
	v_cndmask_b32_e64 v9, 0, v36, s[10:11]
	v_mad_u64_u32 v[50:51], s[12:13], v20, s55, 0
	v_add_u32_e32 v9, v9, v0
	v_mov_b32_e32 v0, v51
	v_mad_u64_u32 v[52:53], s[12:13], v20, s56, v[0:1]
	v_mov_b32_e32 v0, v53
	v_mad_u64_u32 v[54:55], s[12:13], v20, s57, v[0:1]
	;; [unrolled: 2-line block ×6, first 2 shown]
	v_cndmask_b32_e32 v14, v60, v56, vcc
	v_cndmask_b32_e32 v0, v62, v58, vcc
	v_cndmask_b32_e32 v18, v63, v60, vcc
	v_cndmask_b32_e64 v16, v0, v14, s[8:9]
	v_cndmask_b32_e64 v0, v18, v0, s[8:9]
	v_cndmask_b32_e32 v18, v58, v54, vcc
	v_cndmask_b32_e64 v14, v14, v18, s[8:9]
	v_sub_u32_e32 v49, 32, v9
	v_cmp_eq_u32_e64 s[12:13], 0, v9
	v_cndmask_b32_e32 v9, v56, v52, vcc
	v_cndmask_b32_e64 v0, v0, v16, s[10:11]
	v_cndmask_b32_e64 v16, v16, v14, s[10:11]
	;; [unrolled: 1-line block ×3, first 2 shown]
	v_alignbit_b32 v51, v0, v16, v49
	v_cndmask_b32_e64 v14, v14, v18, s[10:11]
	v_cndmask_b32_e64 v0, v51, v0, s[12:13]
	v_alignbit_b32 v51, v16, v14, v49
	v_cndmask_b32_e32 v50, v54, v50, vcc
	v_cndmask_b32_e64 v16, v51, v16, s[12:13]
	v_bfe_u32 v53, v0, 29, 1
	v_cndmask_b32_e64 v9, v9, v50, s[8:9]
	v_alignbit_b32 v51, v0, v16, 30
	v_sub_u32_e32 v55, 0, v53
	v_cndmask_b32_e64 v9, v18, v9, s[10:11]
	v_xor_b32_e32 v56, v51, v55
	v_alignbit_b32 v18, v14, v9, v49
	v_cndmask_b32_e64 v14, v18, v14, s[12:13]
	v_ffbh_u32_e32 v18, v56
	v_add_u32_e32 v18, 1, v18
	v_cmp_ne_u32_e32 vcc, v51, v55
	v_alignbit_b32 v16, v16, v14, 30
	v_cndmask_b32_e32 v18, 33, v18, vcc
	v_alignbit_b32 v9, v14, v9, 30
	v_xor_b32_e32 v16, v16, v55
	v_sub_u32_e32 v49, 32, v18
	v_xor_b32_e32 v9, v9, v55
	v_alignbit_b32 v50, v56, v16, v49
	v_alignbit_b32 v9, v16, v9, v49
	;; [unrolled: 1-line block ×3, first 2 shown]
	v_ffbh_u32_e32 v16, v14
	v_min_u32_e32 v16, 32, v16
	v_lshrrev_b32_e32 v52, 29, v0
	v_sub_u32_e32 v49, 31, v16
	v_alignbit_b32 v9, v14, v9, v49
	v_lshlrev_b32_e32 v14, 31, v52
	v_or_b32_e32 v49, 0x33800000, v14
	v_add_lshl_u32 v16, v16, v18, 23
	v_lshrrev_b32_e32 v9, 9, v9
	v_sub_u32_e32 v16, v49, v16
	v_or_b32_e32 v9, v16, v9
	v_alignbit_b32 v16, v18, v50, 9
	v_or_b32_e32 v14, v16, v14
	v_xor_b32_e32 v14, 1.0, v14
	v_mul_f32_e32 v16, 0x3fc90fda, v14
	v_fma_f32 v18, v14, s63, -v16
	v_fmac_f32_e32 v18, 0x33a22168, v14
	v_fmac_f32_e32 v18, 0x3fc90fda, v9
	v_lshrrev_b32_e32 v0, 30, v0
	v_add_f32_e32 v9, v16, v18
	v_add_u32_e32 v14, v53, v0
.LBB347_160:                            ;   in Loop: Header=BB347_129 Depth=2
	s_or_saveexec_b64 s[8:9], s[46:47]
	v_mul_f32_e64 v0, |v17|, s64
	v_rndne_f32_e32 v0, v0
	s_xor_b64 exec, exec, s[8:9]
; %bb.161:                              ;   in Loop: Header=BB347_129 Depth=2
	v_cvt_i32_f32_e32 v14, v0
	v_fma_f32 v9, v0, s65, |v17|
	v_fmac_f32_e32 v9, 0xb3a22168, v0
	v_fmac_f32_e32 v9, 0xa7c234c4, v0
; %bb.162:                              ;   in Loop: Header=BB347_129 Depth=2
	s_or_b64 exec, exec, s[8:9]
                                        ; implicit-def: $vgpr16
                                        ; implicit-def: $vgpr18
	s_and_saveexec_b64 s[8:9], s[44:45]
	s_xor_b64 s[44:45], exec, s[8:9]
	s_cbranch_execz .LBB347_164
; %bb.163:                              ;   in Loop: Header=BB347_129 Depth=2
	v_cmp_lt_u32_e32 vcc, 63, v21
	v_cndmask_b32_e32 v0, 0, v35, vcc
	v_add_u32_e32 v0, v0, v21
	v_cmp_lt_u32_e64 s[8:9], 31, v0
	v_cndmask_b32_e64 v16, 0, v36, s[8:9]
	v_add_u32_e32 v0, v16, v0
	v_cmp_lt_u32_e64 s[10:11], 31, v0
	v_cndmask_b32_e64 v16, 0, v36, s[10:11]
	v_mad_u64_u32 v[50:51], s[12:13], v20, s55, 0
	v_add_u32_e32 v16, v16, v0
	v_mov_b32_e32 v0, v51
	v_mad_u64_u32 v[52:53], s[12:13], v20, s56, v[0:1]
	v_mov_b32_e32 v0, v53
	v_mad_u64_u32 v[54:55], s[12:13], v20, s57, v[0:1]
	;; [unrolled: 2-line block ×6, first 2 shown]
	v_cndmask_b32_e32 v18, v60, v56, vcc
	v_cndmask_b32_e32 v0, v20, v58, vcc
	;; [unrolled: 1-line block ×3, first 2 shown]
	v_cndmask_b32_e64 v20, v0, v18, s[8:9]
	v_cndmask_b32_e64 v0, v21, v0, s[8:9]
	v_cndmask_b32_e32 v21, v58, v54, vcc
	v_cndmask_b32_e64 v18, v18, v21, s[8:9]
	v_sub_u32_e32 v49, 32, v16
	v_cmp_eq_u32_e64 s[12:13], 0, v16
	v_cndmask_b32_e32 v16, v56, v52, vcc
	v_cndmask_b32_e64 v0, v0, v20, s[10:11]
	v_cndmask_b32_e64 v20, v20, v18, s[10:11]
	;; [unrolled: 1-line block ×3, first 2 shown]
	v_alignbit_b32 v51, v0, v20, v49
	v_cndmask_b32_e64 v18, v18, v21, s[10:11]
	v_cndmask_b32_e64 v0, v51, v0, s[12:13]
	v_alignbit_b32 v51, v20, v18, v49
	v_cndmask_b32_e32 v50, v54, v50, vcc
	v_cndmask_b32_e64 v20, v51, v20, s[12:13]
	v_bfe_u32 v53, v0, 29, 1
	v_cndmask_b32_e64 v16, v16, v50, s[8:9]
	v_alignbit_b32 v51, v0, v20, 30
	v_sub_u32_e32 v55, 0, v53
	v_cndmask_b32_e64 v16, v21, v16, s[10:11]
	v_xor_b32_e32 v56, v51, v55
	v_alignbit_b32 v21, v18, v16, v49
	v_cndmask_b32_e64 v18, v21, v18, s[12:13]
	v_ffbh_u32_e32 v21, v56
	v_add_u32_e32 v21, 1, v21
	v_cmp_ne_u32_e32 vcc, v51, v55
	v_alignbit_b32 v20, v20, v18, 30
	v_cndmask_b32_e32 v21, 33, v21, vcc
	v_alignbit_b32 v16, v18, v16, 30
	v_xor_b32_e32 v20, v20, v55
	v_sub_u32_e32 v49, 32, v21
	v_xor_b32_e32 v16, v16, v55
	v_alignbit_b32 v50, v56, v20, v49
	v_alignbit_b32 v16, v20, v16, v49
	v_alignbit_b32 v18, v50, v16, 9
	v_ffbh_u32_e32 v20, v18
	v_min_u32_e32 v20, 32, v20
	v_lshrrev_b32_e32 v52, 29, v0
	v_sub_u32_e32 v49, 31, v20
	v_alignbit_b32 v16, v18, v16, v49
	v_lshlrev_b32_e32 v18, 31, v52
	v_or_b32_e32 v49, 0x33800000, v18
	v_add_lshl_u32 v20, v20, v21, 23
	v_lshrrev_b32_e32 v16, 9, v16
	v_sub_u32_e32 v20, v49, v20
	v_or_b32_e32 v16, v20, v16
	v_alignbit_b32 v20, v21, v50, 9
	v_or_b32_e32 v18, v20, v18
	v_xor_b32_e32 v18, 1.0, v18
	v_mul_f32_e32 v20, 0x3fc90fda, v18
	v_fma_f32 v21, v18, s63, -v20
	v_fmac_f32_e32 v21, 0x33a22168, v18
	v_fmac_f32_e32 v21, 0x3fc90fda, v16
	v_lshrrev_b32_e32 v0, 30, v0
	v_add_f32_e32 v18, v20, v21
	v_add_u32_e32 v16, v53, v0
                                        ; implicit-def: $vgpr0
	s_andn2_saveexec_b64 s[8:9], s[44:45]
	s_cbranch_execnz .LBB347_165
	s_branch .LBB347_166
.LBB347_164:                            ;   in Loop: Header=BB347_129 Depth=2
	s_andn2_saveexec_b64 s[8:9], s[44:45]
.LBB347_165:                            ;   in Loop: Header=BB347_129 Depth=2
	v_cvt_i32_f32_e32 v16, v0
	v_fma_f32 v18, v0, s65, |v17|
	v_fmac_f32_e32 v18, 0xb3a22168, v0
	v_fmac_f32_e32 v18, 0xa7c234c4, v0
.LBB347_166:                            ;   in Loop: Header=BB347_129 Depth=2
	s_or_b64 exec, exec, s[8:9]
	v_and_b32_e32 v20, 0x7fffffff, v15
	v_lshrrev_b32_e32 v0, 23, v20
	v_and_b32_e32 v21, 0x7fffff, v20
	v_cmp_nlt_f32_e64 s[44:45], |v15|, s53
	v_add_u32_e32 v51, 0xffffff88, v0
	v_or_b32_e32 v50, 0x800000, v21
                                        ; implicit-def: $vgpr49
                                        ; implicit-def: $vgpr21
	s_and_saveexec_b64 s[8:9], s[44:45]
	s_xor_b64 s[46:47], exec, s[8:9]
	s_cbranch_execz .LBB347_168
; %bb.167:                              ;   in Loop: Header=BB347_129 Depth=2
	v_cmp_lt_u32_e32 vcc, 63, v51
	v_cndmask_b32_e32 v0, 0, v35, vcc
	v_add_u32_e32 v0, v0, v51
	v_cmp_lt_u32_e64 s[8:9], 31, v0
	v_cndmask_b32_e64 v21, 0, v36, s[8:9]
	v_add_u32_e32 v0, v21, v0
	v_cmp_lt_u32_e64 s[10:11], 31, v0
	v_cndmask_b32_e64 v21, 0, v36, s[10:11]
	v_mad_u64_u32 v[52:53], s[12:13], v50, s55, 0
	v_add_u32_e32 v21, v21, v0
	v_mov_b32_e32 v0, v53
	v_mad_u64_u32 v[54:55], s[12:13], v50, s56, v[0:1]
	v_mov_b32_e32 v0, v55
	v_mad_u64_u32 v[56:57], s[12:13], v50, s57, v[0:1]
	;; [unrolled: 2-line block ×6, first 2 shown]
	v_cndmask_b32_e32 v49, v62, v58, vcc
	v_cndmask_b32_e32 v0, v64, v60, vcc
	;; [unrolled: 1-line block ×3, first 2 shown]
	v_cndmask_b32_e64 v53, v0, v49, s[8:9]
	v_cndmask_b32_e64 v0, v55, v0, s[8:9]
	v_cndmask_b32_e32 v55, v60, v56, vcc
	v_cndmask_b32_e64 v49, v49, v55, s[8:9]
	v_sub_u32_e32 v57, 32, v21
	v_cmp_eq_u32_e64 s[12:13], 0, v21
	v_cndmask_b32_e32 v21, v58, v54, vcc
	v_cndmask_b32_e64 v0, v0, v53, s[10:11]
	v_cndmask_b32_e64 v53, v53, v49, s[10:11]
	;; [unrolled: 1-line block ×3, first 2 shown]
	v_alignbit_b32 v59, v0, v53, v57
	v_cndmask_b32_e64 v49, v49, v54, s[10:11]
	v_cndmask_b32_e32 v52, v56, v52, vcc
	v_cndmask_b32_e64 v0, v59, v0, s[12:13]
	v_alignbit_b32 v55, v53, v49, v57
	v_cndmask_b32_e64 v21, v21, v52, s[8:9]
	v_cndmask_b32_e64 v53, v55, v53, s[12:13]
	v_bfe_u32 v59, v0, 29, 1
	v_cndmask_b32_e64 v21, v54, v21, s[10:11]
	v_alignbit_b32 v55, v0, v53, 30
	v_sub_u32_e32 v60, 0, v59
	v_alignbit_b32 v52, v49, v21, v57
	v_xor_b32_e32 v61, v55, v60
	v_cndmask_b32_e64 v49, v52, v49, s[12:13]
	v_alignbit_b32 v52, v53, v49, 30
	v_ffbh_u32_e32 v53, v61
	v_add_u32_e32 v53, 1, v53
	v_cmp_ne_u32_e32 vcc, v55, v60
	v_cndmask_b32_e32 v53, 33, v53, vcc
	v_alignbit_b32 v21, v49, v21, 30
	v_xor_b32_e32 v52, v52, v60
	v_sub_u32_e32 v54, 32, v53
	v_xor_b32_e32 v21, v21, v60
	v_alignbit_b32 v55, v61, v52, v54
	v_alignbit_b32 v21, v52, v21, v54
	;; [unrolled: 1-line block ×3, first 2 shown]
	v_ffbh_u32_e32 v52, v49
	v_min_u32_e32 v52, 32, v52
	v_lshrrev_b32_e32 v58, 29, v0
	v_sub_u32_e32 v54, 31, v52
	v_alignbit_b32 v21, v49, v21, v54
	v_lshlrev_b32_e32 v49, 31, v58
	v_or_b32_e32 v54, 0x33800000, v49
	v_add_lshl_u32 v52, v52, v53, 23
	v_lshrrev_b32_e32 v21, 9, v21
	v_sub_u32_e32 v52, v54, v52
	v_or_b32_e32 v21, v52, v21
	v_alignbit_b32 v52, v53, v55, 9
	v_or_b32_e32 v49, v52, v49
	v_xor_b32_e32 v49, 1.0, v49
	v_mul_f32_e32 v52, 0x3fc90fda, v49
	v_fma_f32 v53, v49, s63, -v52
	v_fmac_f32_e32 v53, 0x33a22168, v49
	v_fmac_f32_e32 v53, 0x3fc90fda, v21
	v_lshrrev_b32_e32 v0, 30, v0
	v_add_f32_e32 v21, v52, v53
	v_add_u32_e32 v49, v59, v0
.LBB347_168:                            ;   in Loop: Header=BB347_129 Depth=2
	s_or_saveexec_b64 s[8:9], s[46:47]
	v_mul_f32_e64 v0, |v15|, s64
	v_rndne_f32_e32 v53, v0
	s_xor_b64 exec, exec, s[8:9]
; %bb.169:                              ;   in Loop: Header=BB347_129 Depth=2
	v_cvt_i32_f32_e32 v49, v53
	v_fma_f32 v21, v53, s65, |v15|
	v_fmac_f32_e32 v21, 0xb3a22168, v53
	v_fmac_f32_e32 v21, 0xa7c234c4, v53
; %bb.170:                              ;   in Loop: Header=BB347_129 Depth=2
	s_or_b64 exec, exec, s[8:9]
                                        ; implicit-def: $vgpr0
                                        ; implicit-def: $vgpr52
	s_and_saveexec_b64 s[8:9], s[44:45]
	s_xor_b64 s[44:45], exec, s[8:9]
	s_cbranch_execz .LBB347_172
; %bb.171:                              ;   in Loop: Header=BB347_129 Depth=2
	v_cmp_lt_u32_e32 vcc, 63, v51
	v_cndmask_b32_e32 v0, 0, v35, vcc
	v_add_u32_e32 v0, v0, v51
	v_cmp_lt_u32_e64 s[8:9], 31, v0
	v_cndmask_b32_e64 v51, 0, v36, s[8:9]
	v_add_u32_e32 v0, v51, v0
	v_cmp_lt_u32_e64 s[10:11], 31, v0
	v_cndmask_b32_e64 v51, 0, v36, s[10:11]
	v_mad_u64_u32 v[52:53], s[12:13], v50, s55, 0
	v_add_u32_e32 v64, v51, v0
	v_mov_b32_e32 v0, v53
	v_mad_u64_u32 v[54:55], s[12:13], v50, s56, v[0:1]
	v_mov_b32_e32 v0, v55
	v_mad_u64_u32 v[56:57], s[12:13], v50, s57, v[0:1]
	;; [unrolled: 2-line block ×6, first 2 shown]
	v_cndmask_b32_e32 v53, v62, v58, vcc
	v_cndmask_b32_e32 v0, v50, v60, vcc
	;; [unrolled: 1-line block ×3, first 2 shown]
	v_cndmask_b32_e64 v50, v0, v53, s[8:9]
	v_cndmask_b32_e64 v0, v51, v0, s[8:9]
	v_cndmask_b32_e32 v51, v60, v56, vcc
	v_cndmask_b32_e64 v53, v53, v51, s[8:9]
	v_cndmask_b32_e32 v54, v58, v54, vcc
	v_cndmask_b32_e64 v0, v0, v50, s[10:11]
	v_cndmask_b32_e64 v50, v50, v53, s[10:11]
	v_sub_u32_e32 v55, 32, v64
	v_cndmask_b32_e64 v51, v51, v54, s[8:9]
	v_alignbit_b32 v57, v0, v50, v55
	v_cmp_eq_u32_e64 s[12:13], 0, v64
	v_cndmask_b32_e64 v53, v53, v51, s[10:11]
	v_cndmask_b32_e64 v0, v57, v0, s[12:13]
	v_alignbit_b32 v57, v50, v53, v55
	v_cndmask_b32_e32 v52, v56, v52, vcc
	v_cndmask_b32_e64 v50, v57, v50, s[12:13]
	v_bfe_u32 v59, v0, 29, 1
	v_cndmask_b32_e64 v52, v54, v52, s[8:9]
	v_alignbit_b32 v57, v0, v50, 30
	v_sub_u32_e32 v60, 0, v59
	v_cndmask_b32_e64 v51, v51, v52, s[10:11]
	v_xor_b32_e32 v61, v57, v60
	v_alignbit_b32 v52, v53, v51, v55
	v_cndmask_b32_e64 v52, v52, v53, s[12:13]
	v_ffbh_u32_e32 v53, v61
	v_add_u32_e32 v53, 1, v53
	v_cmp_ne_u32_e32 vcc, v57, v60
	v_alignbit_b32 v50, v50, v52, 30
	v_cndmask_b32_e32 v53, 33, v53, vcc
	v_alignbit_b32 v51, v52, v51, 30
	v_xor_b32_e32 v50, v50, v60
	v_sub_u32_e32 v54, 32, v53
	v_xor_b32_e32 v51, v51, v60
	v_alignbit_b32 v55, v61, v50, v54
	v_alignbit_b32 v50, v50, v51, v54
	v_alignbit_b32 v51, v55, v50, 9
	v_ffbh_u32_e32 v52, v51
	v_min_u32_e32 v52, 32, v52
	v_lshrrev_b32_e32 v58, 29, v0
	v_sub_u32_e32 v54, 31, v52
	v_alignbit_b32 v50, v51, v50, v54
	v_lshlrev_b32_e32 v51, 31, v58
	v_or_b32_e32 v54, 0x33800000, v51
	v_add_lshl_u32 v52, v52, v53, 23
	v_lshrrev_b32_e32 v50, 9, v50
	v_sub_u32_e32 v52, v54, v52
	v_or_b32_e32 v50, v52, v50
	v_alignbit_b32 v52, v53, v55, 9
	v_or_b32_e32 v51, v52, v51
	v_xor_b32_e32 v51, 1.0, v51
	v_mul_f32_e32 v52, 0x3fc90fda, v51
	v_fma_f32 v53, v51, s63, -v52
	v_fmac_f32_e32 v53, 0x33a22168, v51
	v_fmac_f32_e32 v53, 0x3fc90fda, v50
	v_lshrrev_b32_e32 v0, 30, v0
	v_add_f32_e32 v52, v52, v53
	v_add_u32_e32 v0, v59, v0
                                        ; implicit-def: $vgpr53
	s_andn2_saveexec_b64 s[8:9], s[44:45]
	s_cbranch_execnz .LBB347_173
	s_branch .LBB347_174
.LBB347_172:                            ;   in Loop: Header=BB347_129 Depth=2
	s_andn2_saveexec_b64 s[8:9], s[44:45]
.LBB347_173:                            ;   in Loop: Header=BB347_129 Depth=2
	v_cvt_i32_f32_e32 v0, v53
	v_fma_f32 v52, v53, s65, |v15|
	v_fmac_f32_e32 v52, 0xb3a22168, v53
	v_fmac_f32_e32 v52, 0xa7c234c4, v53
.LBB347_174:                            ;   in Loop: Header=BB347_129 Depth=2
	s_or_b64 exec, exec, s[8:9]
	v_mul_f32_e32 v51, v9, v9
	v_mov_b32_e32 v53, 0x3c0881c4
	v_fmac_f32_e32 v53, 0xb94c1982, v51
	v_fma_f32 v53, v51, v53, v25
	v_mul_f32_e32 v53, v51, v53
	v_fmac_f32_e32 v9, v9, v53
	v_mov_b32_e32 v53, 0xbab64f3b
	v_fmac_f32_e32 v53, 0x37d75334, v51
	v_fma_f32 v53, v51, v53, v26
	v_lshlrev_b32_e32 v50, 30, v14
	v_and_b32_e32 v14, 1, v14
	v_fma_f32 v53, v51, v53, v27
	v_and_b32_e32 v50, 0x80000000, v50
	v_fma_f32 v51, v51, v53, 1.0
	v_cmp_eq_u32_e32 vcc, 0, v14
	v_xor_b32_e32 v7, v7, v19
	v_cndmask_b32_e32 v9, v51, v9, vcc
	v_xor_b32_e32 v7, v7, v50
	v_xor_b32_e32 v7, v7, v9
	v_mul_f32_e32 v9, v18, v18
	v_mov_b32_e32 v14, 0x3c0881c4
	v_fmac_f32_e32 v14, 0xb94c1982, v9
	v_fma_f32 v14, v9, v14, v25
	v_mul_f32_e32 v14, v9, v14
	v_fmac_f32_e32 v18, v18, v14
	v_mov_b32_e32 v14, 0xbab64f3b
	v_fmac_f32_e32 v14, 0x37d75334, v9
	v_fma_f32 v14, v9, v14, v26
	v_fma_f32 v14, v9, v14, v27
	v_fma_f32 v9, v9, v14, 1.0
	v_and_b32_e32 v14, 1, v16
	v_cmp_eq_u32_e64 s[8:9], 0, v14
	v_cmp_class_f32_e64 vcc, v17, s51
	v_cndmask_b32_e64 v9, -v18, v9, s[8:9]
	v_mul_f32_e32 v17, v21, v21
	v_mov_b32_e32 v18, 0x3c0881c4
	v_fmac_f32_e32 v18, 0xb94c1982, v17
	v_lshlrev_b32_e32 v14, 30, v16
	v_fma_f32 v18, v17, v18, v25
	v_and_b32_e32 v14, 0x80000000, v14
	v_mul_f32_e32 v18, v17, v18
	v_xor_b32_e32 v9, v14, v9
	v_fmac_f32_e32 v21, v21, v18
	v_mov_b32_e32 v18, 0xbab64f3b
	v_cndmask_b32_e32 v9, v38, v9, vcc
	v_fmac_f32_e32 v18, 0x37d75334, v17
	v_cndmask_b32_e32 v7, v38, v7, vcc
	v_mul_f32_e32 v14, 0x7f800000, v9
	v_cmp_neq_f32_e32 vcc, 0, v9
	v_fma_f32 v18, v17, v18, v26
	v_cndmask_b32_e32 v9, 0, v14, vcc
	v_mul_f32_e32 v14, 0x7f800000, v7
	v_cmp_neq_f32_e32 vcc, 0, v7
	v_and_b32_e32 v16, 1, v49
	v_fma_f32 v18, v17, v18, v27
	v_cndmask_b32_e32 v7, 0, v14, vcc
	v_lshlrev_b32_e32 v14, 30, v49
	v_fma_f32 v17, v17, v18, 1.0
	v_cmp_eq_u32_e32 vcc, 0, v16
	v_and_b32_e32 v14, 0x80000000, v14
	v_cndmask_b32_e32 v16, v17, v21, vcc
	v_xor_b32_e32 v17, v20, v15
	v_xor_b32_e32 v14, v17, v14
	;; [unrolled: 1-line block ×3, first 2 shown]
	v_cmp_class_f32_e64 vcc, v15, s51
	v_mul_f32_e32 v15, v52, v52
	v_mov_b32_e32 v16, 0x3c0881c4
	v_fmac_f32_e32 v16, 0xb94c1982, v15
	v_fma_f32 v16, v15, v16, v25
	v_mul_f32_e32 v16, v15, v16
	v_fmac_f32_e32 v52, v52, v16
	v_mov_b32_e32 v16, 0xbab64f3b
	v_fmac_f32_e32 v16, 0x37d75334, v15
	v_fma_f32 v16, v15, v16, v26
	v_fma_f32 v16, v15, v16, v27
	v_fma_f32 v15, v15, v16, 1.0
	v_and_b32_e32 v16, 1, v0
	v_cmp_eq_u32_e64 s[8:9], 0, v16
	v_lshlrev_b32_e32 v0, 30, v0
	v_cndmask_b32_e64 v15, -v52, v15, s[8:9]
	v_and_b32_e32 v0, 0x80000000, v0
	v_xor_b32_e32 v0, v0, v15
	v_cndmask_b32_e32 v0, v38, v0, vcc
	v_cndmask_b32_e32 v14, v38, v14, vcc
	v_mul_f32_e32 v15, 0x7f800000, v0
	v_cmp_neq_f32_e32 vcc, 0, v0
	v_cndmask_b32_e32 v0, 0, v15, vcc
	v_mul_f32_e32 v15, 0x7f800000, v14
	v_cmp_neq_f32_e32 vcc, 0, v14
	v_cndmask_b32_e32 v14, 0, v15, vcc
	v_add_f32_e32 v9, v9, v0
	v_add_f32_e32 v0, v7, v14
	v_add_f32_e32 v16, -1.0, v9
	v_max_f32_e64 v7, |v16|, |v0|
	v_cvt_f64_f32_e32 v[14:15], v7
	v_frexp_exp_i32_f64_e32 v9, v[14:15]
	v_sub_u32_e32 v14, 0, v9
	v_ldexp_f32 v15, |v16|, v14
	v_ldexp_f32 v14, |v0|, v14
	v_mul_f32_e32 v14, v14, v14
	v_fmac_f32_e32 v14, v15, v15
	v_sqrt_f32_e32 v14, v14
	v_cmp_eq_f32_e32 vcc, s69, v7
	v_add_f32_e32 v7, 1.0, v16
	v_ldexp_f32 v9, v14, v9
	v_cmp_ngt_f32_e64 s[8:9], 0.5, v9
	v_max_f32_e64 v14, |v7|, |v0|
	s_or_b64 s[8:9], vcc, s[8:9]
	s_and_saveexec_b64 s[10:11], s[8:9]
	s_xor_b64 s[10:11], exec, s[10:11]
	s_cbranch_execz .LBB347_176
; %bb.175:                              ;   in Loop: Header=BB347_129 Depth=2
	v_cvt_f64_f32_e32 v[16:17], v14
	v_frexp_exp_i32_f64_e32 v9, v[16:17]
	v_sub_u32_e32 v15, 0, v9
	v_ldexp_f32 v16, |v7|, v15
	v_ldexp_f32 v15, |v0|, v15
	v_mul_f32_e32 v15, v15, v15
	v_fmac_f32_e32 v15, v16, v16
	v_sqrt_f32_e32 v15, v15
	v_cmp_neq_f32_e32 vcc, s69, v14
	v_ldexp_f32 v9, v15, v9
	v_cndmask_b32_e32 v9, v37, v9, vcc
	v_cmp_gt_f32_e32 vcc, s54, v9
	v_cndmask_b32_e32 v15, 1.0, v39, vcc
	v_mul_f32_e32 v9, v9, v15
	v_log_f32_e32 v9, v9
	v_mul_f32_e32 v15, 0x3f317217, v9
	v_fma_f32 v16, v9, s70, -v15
	v_fmac_f32_e32 v16, 0x3377d1cf, v9
	v_add_f32_e32 v15, v15, v16
	v_cmp_lt_f32_e64 s[8:9], |v9|, s69
	v_cndmask_b32_e64 v9, v9, v15, s[8:9]
	v_cndmask_b32_e32 v15, 0, v40, vcc
	v_sub_f32_e32 v16, v9, v15
.LBB347_176:                            ;   in Loop: Header=BB347_129 Depth=2
	s_andn2_saveexec_b64 s[8:9], s[10:11]
	s_cbranch_execz .LBB347_180
; %bb.177:                              ;   in Loop: Header=BB347_129 Depth=2
	v_add_f32_e32 v9, 2.0, v16
	v_mul_f32_e32 v15, v16, v9
	v_fmac_f32_e32 v15, v0, v0
	v_cmp_neq_f32_e32 vcc, 0, v15
	s_and_saveexec_b64 s[10:11], vcc
	s_cbranch_execz .LBB347_179
; %bb.178:                              ;   in Loop: Header=BB347_129 Depth=2
	v_add_f32_e32 v9, 1.0, v15
	v_add_f32_e32 v16, -1.0, v9
	v_sub_f32_e32 v17, v16, v9
	v_add_f32_e32 v17, 1.0, v17
	v_sub_f32_e32 v16, v15, v16
	v_add_f32_e32 v18, v16, v17
	v_frexp_mant_f32_e32 v19, v9
	v_cvt_f64_f32_e32 v[16:17], v9
	v_frexp_exp_i32_f64_e32 v16, v[16:17]
	v_cmp_gt_f32_e32 vcc, s71, v19
	v_subbrev_co_u32_e32 v49, vcc, 0, v16, vcc
	v_sub_u32_e32 v16, 0, v49
	v_ldexp_f32 v9, v9, v16
	v_ldexp_f32 v16, v18, v16
	v_add_f32_e32 v18, -1.0, v9
	v_add_f32_e32 v17, 1.0, v18
	v_sub_f32_e32 v17, v9, v17
	v_add_f32_e32 v19, v16, v17
	v_add_f32_e32 v17, 1.0, v9
	v_add_f32_e32 v20, -1.0, v17
	v_sub_f32_e32 v9, v9, v20
	v_add_f32_e32 v9, v16, v9
	v_add_f32_e32 v52, v17, v9
	v_rcp_f32_e32 v53, v52
	v_sub_f32_e32 v16, v52, v17
	v_add_f32_e32 v17, v18, v19
	v_sub_f32_e32 v9, v9, v16
	v_mul_f32_e32 v55, v17, v53
	v_sub_f32_e32 v16, v17, v18
	v_mul_f32_e32 v18, v52, v55
	v_fma_f32 v20, v55, v52, -v18
	v_fmac_f32_e32 v20, v55, v9
	v_sub_f32_e32 v54, v19, v16
	v_add_f32_e32 v16, v18, v20
	v_sub_f32_e32 v19, v17, v16
	v_pk_add_f32 v[50:51], v[16:17], v[18:19] neg_lo:[0,1] neg_hi:[0,1]
	v_mov_b32_e32 v21, v16
	v_pk_add_f32 v[16:17], v[50:51], v[20:21] neg_lo:[0,1] neg_hi:[0,1]
	v_add_f32_e32 v17, v54, v17
	v_add_f32_e32 v16, v16, v17
	;; [unrolled: 1-line block ×3, first 2 shown]
	v_mul_f32_e32 v54, v53, v17
	v_mul_f32_e32 v18, v52, v54
	v_fma_f32 v20, v54, v52, -v18
	v_fmac_f32_e32 v20, v54, v9
	v_sub_f32_e32 v9, v19, v17
	v_add_f32_e32 v9, v16, v9
	v_add_f32_e32 v16, v18, v20
	v_sub_f32_e32 v19, v17, v16
	v_pk_add_f32 v[50:51], v[16:17], v[18:19] neg_lo:[0,1] neg_hi:[0,1]
	v_mov_b32_e32 v21, v16
	v_pk_add_f32 v[16:17], v[50:51], v[20:21] neg_lo:[0,1] neg_hi:[0,1]
	v_add_f32_e32 v9, v9, v17
	v_add_f32_e32 v9, v16, v9
	;; [unrolled: 1-line block ×4, first 2 shown]
	v_sub_f32_e32 v16, v17, v55
	v_mul_f32_e32 v9, v53, v9
	v_sub_f32_e32 v16, v54, v16
	v_add_f32_e32 v18, v16, v9
	v_add_f32_e32 v20, v17, v18
	v_cvt_f32_i32_e32 v16, v49
	v_mul_f32_e32 v21, v20, v20
	v_mov_b32_e32 v9, 0x3ecc95a3
	v_sub_f32_e32 v17, v20, v17
	v_fmac_f32_e32 v9, 0x3e9b6dac, v21
	v_sub_f32_e32 v17, v18, v17
	v_fma_f32 v9, v21, v9, v28
	v_ldexp_f32 v49, v17, 1
	v_mul_f32_e32 v17, v20, v21
	v_ldexp_f32 v19, v20, 1
	v_pk_mul_f32 v[20:21], v[16:17], v[8:9]
	v_fma_f32 v18, v16, s72, -v20
	v_fmac_f32_e32 v18, 0xb102e308, v16
	v_pk_add_f32 v[16:17], v[20:21], v[18:19]
	v_sub_f32_e32 v9, v17, v19
	v_sub_f32_e32 v9, v21, v9
	v_add_f32_e32 v51, v49, v9
	v_mov_b32_e32 v50, v20
	v_pk_add_f32 v[20:21], v[16:17], v[20:21] neg_lo:[0,1] neg_hi:[0,1]
	v_pk_add_f32 v[52:53], v[16:17], v[50:51]
	v_mov_b32_e32 v21, v53
	v_mov_b32_e32 v19, v16
	v_pk_add_f32 v[54:55], v[18:19], v[20:21] neg_lo:[0,1] neg_hi:[0,1]
	v_pk_add_f32 v[18:19], v[18:19], v[20:21]
	v_mov_b32_e32 v20, v19
	v_pk_add_f32 v[56:57], v[20:21], v[16:17] neg_lo:[0,1] neg_hi:[0,1]
	v_mov_b32_e32 v9, v56
	v_pk_add_f32 v[58:59], v[52:53], v[8:9] neg_lo:[0,1] neg_hi:[0,1]
	v_mov_b32_e32 v18, v53
	v_mov_b32_e32 v52, v17
	;; [unrolled: 1-line block ×4, first 2 shown]
	v_pk_add_f32 v[18:19], v[18:19], v[52:53] neg_lo:[0,1] neg_hi:[0,1]
	v_mov_b32_e32 v50, v51
	v_mov_b32_e32 v51, v16
	v_pk_add_f32 v[16:17], v[50:51], v[18:19] neg_lo:[0,1] neg_hi:[0,1]
	v_mov_b32_e32 v58, v54
	v_pk_add_f32 v[18:19], v[58:59], v[16:17]
	v_mov_b32_e32 v50, v19
	v_pk_add_f32 v[50:51], v[18:19], v[50:51]
	v_pk_add_f32 v[20:21], v[20:21], v[50:51]
	v_mov_b32_e32 v19, v20
	v_pk_add_f32 v[52:53], v[18:19], v[54:55] neg_lo:[0,1] neg_hi:[0,1]
	v_mov_b32_e32 v17, v50
	v_sub_f32_e32 v9, v18, v52
	v_pk_add_f32 v[16:17], v[16:17], v[52:53] neg_lo:[0,1] neg_hi:[0,1]
	v_sub_f32_e32 v9, v54, v9
	v_add_f32_e32 v9, v16, v9
	v_add_f32_e32 v9, v9, v17
	;; [unrolled: 1-line block ×3, first 2 shown]
	v_cmp_eq_f32_e32 vcc, s69, v15
	v_cndmask_b32_e32 v9, v9, v15, vcc
	v_cmp_ngt_f32_e32 vcc, -1.0, v15
	v_cndmask_b32_e32 v9, v38, v9, vcc
	v_cmp_neq_f32_e32 vcc, -1.0, v15
	v_cndmask_b32_e32 v9, v41, v9, vcc
	v_cmp_lt_f32_e64 vcc, |v15|, s62
	v_cndmask_b32_e32 v9, v9, v15, vcc
	v_mul_f32_e32 v16, 0.5, v9
.LBB347_179:                            ;   in Loop: Header=BB347_129 Depth=2
	s_or_b64 exec, exec, s[10:11]
.LBB347_180:                            ;   in Loop: Header=BB347_129 Depth=2
	s_or_b64 exec, exec, s[8:9]
	v_max_f32_e64 v17, |v0|, |v0|
	v_max_f32_e64 v18, |v7|, |v7|
	v_min_f32_e32 v17, v18, v17
	v_frexp_mant_f32_e32 v18, v14
	v_rcp_f32_e32 v18, v18
	v_frexp_exp_i32_f32_e32 v14, v14
	v_frexp_exp_i32_f32_e32 v19, v17
	v_frexp_mant_f32_e32 v17, v17
	v_mul_f32_e32 v17, v17, v18
	v_sub_u32_e32 v14, v19, v14
	v_ldexp_f32 v14, v17, v14
	v_mul_f32_e32 v17, v14, v14
	v_mov_b32_e32 v18, 0xbc7a590c
	v_fmac_f32_e32 v18, 0x3b2d2a58, v17
	v_fma_f32 v18, v17, v18, v29
	v_fma_f32 v18, v17, v18, v30
	;; [unrolled: 1-line block ×6, first 2 shown]
	v_mul_f32_e32 v17, v17, v18
	v_cmp_gt_i32_e64 s[8:9], 0, v7
	v_fmac_f32_e32 v14, v14, v17
	v_cndmask_b32_e64 v15, 0, v44, s[8:9]
	v_sub_f32_e32 v17, 0x3fc90fdb, v14
	v_cmp_gt_f32_e64 s[8:9], |v0|, |v7|
	v_cndmask_b32_e64 v14, v14, v17, s[8:9]
	v_cmp_gt_f32_e32 vcc, 0, v7
	v_sub_f32_e32 v17, 0x40490fdb, v14
	v_cmp_class_f32_e64 s[10:11], v0, s73
	v_cmp_class_f32_e64 s[12:13], v7, s73
	v_cndmask_b32_e32 v9, v42, v43, vcc
	v_cndmask_b32_e32 v14, v14, v17, vcc
	v_cmp_eq_f32_e32 vcc, 0, v0
	v_cndmask_b32_e32 v14, v14, v15, vcc
	s_and_b64 vcc, s[10:11], s[12:13]
	v_cndmask_b32_e32 v9, v14, v9, vcc
	v_cmp_o_f32_e32 vcc, v7, v0
	v_cndmask_b32_e32 v7, v38, v9, vcc
	v_bfi_b32 v17, s52, v7, v0
.LBB347_181:                            ;   in Loop: Header=BB347_129 Depth=2
	s_or_b64 exec, exec, s[42:43]
.LBB347_182:                            ;   in Loop: Header=BB347_129 Depth=2
	s_or_b64 exec, exec, s[40:41]
	v_pk_mov_b32 v[20:21], v[16:17], v[16:17] op_sel:[0,1]
.LBB347_183:                            ;   in Loop: Header=BB347_129 Depth=2
	s_or_b64 exec, exec, s[38:39]
	ds_write_b64 v3, v[20:21]
.LBB347_184:                            ;   in Loop: Header=BB347_129 Depth=2
	s_or_b64 exec, exec, s[36:37]
	s_mov_b64 s[36:37], 0
	v_mov_b32_e32 v0, 0
	s_waitcnt lgkmcnt(0)
	s_barrier
	s_branch .LBB347_191
.LBB347_185:                            ;   in Loop: Header=BB347_191 Depth=3
	s_or_b64 exec, exec, s[10:11]
.LBB347_186:                            ;   in Loop: Header=BB347_191 Depth=3
	s_or_b64 exec, exec, s[8:9]
	v_max_f32_e64 v17, |v0|, |v0|
	v_max_f32_e64 v18, |v7|, |v7|
	v_min_f32_e32 v17, v18, v17
	v_frexp_mant_f32_e32 v18, v14
	v_rcp_f32_e32 v18, v18
	v_frexp_exp_i32_f32_e32 v14, v14
	v_frexp_exp_i32_f32_e32 v19, v17
	v_frexp_mant_f32_e32 v17, v17
	v_mul_f32_e32 v17, v17, v18
	v_sub_u32_e32 v14, v19, v14
	v_ldexp_f32 v14, v17, v14
	v_mul_f32_e32 v17, v14, v14
	v_mov_b32_e32 v18, 0xbc7a590c
	v_fmac_f32_e32 v18, 0x3b2d2a58, v17
	v_fma_f32 v18, v17, v18, v29
	v_fma_f32 v18, v17, v18, v30
	;; [unrolled: 1-line block ×6, first 2 shown]
	v_mul_f32_e32 v17, v17, v18
	v_cmp_gt_i32_e64 s[8:9], 0, v7
	v_fmac_f32_e32 v14, v14, v17
	v_cndmask_b32_e64 v15, 0, v44, s[8:9]
	v_sub_f32_e32 v17, 0x3fc90fdb, v14
	v_cmp_gt_f32_e64 s[8:9], |v0|, |v7|
	v_cndmask_b32_e64 v14, v14, v17, s[8:9]
	v_cmp_gt_f32_e32 vcc, 0, v7
	v_sub_f32_e32 v17, 0x40490fdb, v14
	v_cmp_class_f32_e64 s[10:11], v0, s73
	v_cmp_class_f32_e64 s[12:13], v7, s73
	v_cndmask_b32_e32 v9, v42, v43, vcc
	v_cndmask_b32_e32 v14, v14, v17, vcc
	v_cmp_eq_f32_e32 vcc, 0, v0
	v_cndmask_b32_e32 v14, v14, v15, vcc
	s_and_b64 vcc, s[10:11], s[12:13]
	v_cndmask_b32_e32 v9, v14, v9, vcc
	v_cmp_o_f32_e32 vcc, v7, v0
	v_cndmask_b32_e32 v7, v38, v9, vcc
	v_bfi_b32 v17, s52, v7, v0
.LBB347_187:                            ;   in Loop: Header=BB347_191 Depth=3
	s_or_b64 exec, exec, s[44:45]
.LBB347_188:                            ;   in Loop: Header=BB347_191 Depth=3
	s_or_b64 exec, exec, s[42:43]
	v_pk_mov_b32 v[20:21], v[16:17], v[16:17] op_sel:[0,1]
.LBB347_189:                            ;   in Loop: Header=BB347_191 Depth=3
	s_or_b64 exec, exec, s[40:41]
	ds_write_b64 v50, v[20:21]
.LBB347_190:                            ;   in Loop: Header=BB347_191 Depth=3
	s_or_b64 exec, exec, s[38:39]
	v_cmp_eq_u32_e32 vcc, s50, v49
	s_or_b64 s[36:37], vcc, s[36:37]
	v_mov_b32_e32 v0, v49
	s_waitcnt lgkmcnt(0)
	s_barrier
	s_andn2_b64 exec, exec, s[36:37]
	s_cbranch_execz .LBB347_240
.LBB347_191:                            ;   Parent Loop BB347_126 Depth=1
                                        ;     Parent Loop BB347_129 Depth=2
                                        ; =>    This Inner Loop Header: Depth=3
	v_add_u32_e32 v49, 1, v0
	s_and_saveexec_b64 s[8:9], s[6:7]
	s_xor_b64 s[8:9], exec, s[8:9]
; %bb.192:                              ;   in Loop: Header=BB347_191 Depth=3
	v_add_u32_e32 v49, 1, v0
                                        ; implicit-def: $vgpr0
; %bb.193:                              ;   in Loop: Header=BB347_191 Depth=3
	s_andn2_saveexec_b64 s[38:39], s[8:9]
	s_cbranch_execz .LBB347_190
; %bb.194:                              ;   in Loop: Header=BB347_191 Depth=3
	v_lshlrev_b32_e64 v14, v0, 1
	v_ashrrev_i32_e32 v15, 31, v14
	v_cmp_ge_u64_e32 vcc, v[4:5], v[14:15]
	v_pk_mov_b32 v[16:17], v[4:5], v[4:5] op_sel:[0,1]
	s_and_saveexec_b64 s[8:9], vcc
	s_cbranch_execz .LBB347_196
; %bb.195:                              ;   in Loop: Header=BB347_191 Depth=3
	v_cvt_f32_u32_e32 v7, v14
	v_sub_u32_e32 v9, 0, v14
	v_rcp_iflag_f32_e32 v7, v7
	v_mul_f32_e32 v7, 0x4f7ffffe, v7
	v_cvt_u32_f32_e32 v7, v7
	v_mul_lo_u32 v9, v9, v7
	v_mul_hi_u32 v9, v7, v9
	v_add_u32_e32 v7, v7, v9
	v_mul_hi_u32 v7, v4, v7
	v_mul_lo_u32 v7, v7, v14
	v_sub_u32_e32 v7, v4, v7
	v_sub_u32_e32 v9, v7, v14
	v_cmp_ge_u32_e32 vcc, v7, v14
	v_cndmask_b32_e32 v7, v7, v9, vcc
	v_sub_u32_e32 v9, v7, v14
	v_cmp_ge_u32_e32 vcc, v7, v14
	v_cndmask_b32_e32 v16, v7, v9, vcc
.LBB347_196:                            ;   in Loop: Header=BB347_191 Depth=3
	s_or_b64 exec, exec, s[8:9]
	v_lshrrev_b32_e32 v0, v0, v4
	v_lshl_or_b32 v0, v0, v49, v14
	v_lshl_add_u32 v0, v0, 3, v3
	v_add_u32_e32 v7, -8, v0
	ds_read_b64 v[14:15], v7
	v_lshl_add_u32 v50, v16, 3, v0
	ds_read_b64 v[20:21], v50
	s_waitcnt lgkmcnt(1)
	v_cmp_o_f32_e32 vcc, v14, v14
	v_cmp_o_f32_e64 s[8:9], v15, v15
	v_mov_b32_e32 v19, v15
	s_and_b64 s[10:11], vcc, s[8:9]
	v_pk_mov_b32 v[16:17], v[14:15], v[14:15] op_sel:[0,1]
	s_and_saveexec_b64 s[12:13], s[10:11]
	s_cbranch_execz .LBB347_198
; %bb.197:                              ;   in Loop: Header=BB347_191 Depth=3
	s_waitcnt lgkmcnt(0)
	v_cmp_u_f32_e32 vcc, v20, v20
	v_cmp_u_f32_e64 s[8:9], v21, v21
	s_or_b64 s[8:9], vcc, s[8:9]
	v_cmp_lt_f32_e32 vcc, v20, v14
	s_or_b64 vcc, s[8:9], vcc
	v_cndmask_b32_e32 v19, v15, v21, vcc
	v_cndmask_b32_e32 v18, v14, v20, vcc
	v_pk_mov_b32 v[16:17], v[18:19], v[18:19] op_sel:[0,1]
.LBB347_198:                            ;   in Loop: Header=BB347_191 Depth=3
	s_or_b64 exec, exec, s[12:13]
	s_and_saveexec_b64 s[8:9], s[10:11]
	s_xor_b64 s[10:11], exec, s[8:9]
	s_cbranch_execz .LBB347_200
; %bb.199:                              ;   in Loop: Header=BB347_191 Depth=3
	s_waitcnt lgkmcnt(0)
	v_cmp_u_f32_e32 vcc, v20, v20
	v_cmp_u_f32_e64 s[8:9], v21, v21
	s_or_b64 s[8:9], vcc, s[8:9]
	v_cmp_ge_f32_e32 vcc, v20, v14
	s_or_b64 vcc, s[8:9], vcc
	v_cndmask_b32_e32 v15, v15, v21, vcc
	v_cndmask_b32_e32 v14, v14, v20, vcc
.LBB347_200:                            ;   in Loop: Header=BB347_191 Depth=3
	s_andn2_saveexec_b64 s[8:9], s[10:11]
	s_or_b64 exec, exec, s[8:9]
	v_cmp_o_f32_e32 vcc, v16, v16
	v_cmp_o_f32_e64 s[8:9], v17, v17
	s_mov_b32 s27, s26
	s_and_b64 s[8:9], vcc, s[8:9]
	s_waitcnt lgkmcnt(0)
	v_pk_mov_b32 v[20:21], s[26:27], s[26:27] op_sel:[0,1]
	s_and_saveexec_b64 s[40:41], s[8:9]
	s_cbranch_execz .LBB347_189
; %bb.201:                              ;   in Loop: Header=BB347_191 Depth=3
	v_cmp_class_f32_e64 s[8:9], v16, s51
	v_cmp_neq_f32_e32 vcc, v14, v16
	s_or_b64 s[8:9], s[8:9], vcc
	s_and_saveexec_b64 s[10:11], s[8:9]
	s_xor_b64 s[42:43], exec, s[10:11]
	s_cbranch_execz .LBB347_217
; %bb.202:                              ;   in Loop: Header=BB347_191 Depth=3
	v_pk_add_f32 v[16:17], v[16:17], v[14:15] neg_lo:[0,1] neg_hi:[0,1]
	v_and_b32_e32 v7, 0x7fffffff, v17
	v_lshrrev_b32_e32 v0, 23, v7
	v_and_b32_e32 v9, 0x7fffff, v7
	v_cmp_nlt_f32_e64 s[44:45], |v17|, s53
	v_add_u32_e32 v20, 0xffffff88, v0
	v_or_b32_e32 v19, 0x800000, v9
                                        ; implicit-def: $vgpr9
                                        ; implicit-def: $vgpr18
	s_and_saveexec_b64 s[8:9], s[44:45]
	s_xor_b64 s[46:47], exec, s[8:9]
	s_cbranch_execz .LBB347_204
; %bb.203:                              ;   in Loop: Header=BB347_191 Depth=3
	v_cmp_lt_u32_e32 vcc, 63, v20
	v_cndmask_b32_e32 v0, 0, v35, vcc
	v_add_u32_e32 v0, v0, v20
	v_cmp_lt_u32_e64 s[8:9], 31, v0
	v_cndmask_b32_e64 v9, 0, v36, s[8:9]
	v_add_u32_e32 v0, v9, v0
	v_cmp_lt_u32_e64 s[10:11], 31, v0
	v_cndmask_b32_e64 v9, 0, v36, s[10:11]
	v_mad_u64_u32 v[52:53], s[12:13], v19, s55, 0
	v_add_u32_e32 v9, v9, v0
	v_mov_b32_e32 v0, v53
	v_mad_u64_u32 v[54:55], s[12:13], v19, s56, v[0:1]
	v_mov_b32_e32 v0, v55
	v_mad_u64_u32 v[56:57], s[12:13], v19, s57, v[0:1]
	;; [unrolled: 2-line block ×6, first 2 shown]
	v_cndmask_b32_e32 v18, v62, v58, vcc
	v_cndmask_b32_e32 v0, v64, v60, vcc
	;; [unrolled: 1-line block ×3, first 2 shown]
	v_cndmask_b32_e64 v21, v0, v18, s[8:9]
	v_cndmask_b32_e64 v0, v51, v0, s[8:9]
	v_cndmask_b32_e32 v51, v60, v56, vcc
	v_cndmask_b32_e64 v18, v18, v51, s[8:9]
	v_sub_u32_e32 v53, 32, v9
	v_cmp_eq_u32_e64 s[12:13], 0, v9
	v_cndmask_b32_e32 v9, v58, v54, vcc
	v_cndmask_b32_e64 v0, v0, v21, s[10:11]
	v_cndmask_b32_e64 v21, v21, v18, s[10:11]
	;; [unrolled: 1-line block ×3, first 2 shown]
	v_alignbit_b32 v55, v0, v21, v53
	v_cndmask_b32_e64 v18, v18, v51, s[10:11]
	v_cndmask_b32_e64 v0, v55, v0, s[12:13]
	v_alignbit_b32 v54, v21, v18, v53
	v_cndmask_b32_e32 v52, v56, v52, vcc
	v_cndmask_b32_e64 v21, v54, v21, s[12:13]
	v_bfe_u32 v57, v0, 29, 1
	v_cndmask_b32_e64 v9, v9, v52, s[8:9]
	v_alignbit_b32 v54, v0, v21, 30
	v_sub_u32_e32 v58, 0, v57
	v_cndmask_b32_e64 v9, v51, v9, s[10:11]
	v_xor_b32_e32 v59, v54, v58
	v_alignbit_b32 v51, v18, v9, v53
	v_cndmask_b32_e64 v18, v51, v18, s[12:13]
	v_ffbh_u32_e32 v51, v59
	v_add_u32_e32 v51, 1, v51
	v_cmp_ne_u32_e32 vcc, v54, v58
	v_alignbit_b32 v21, v21, v18, 30
	v_cndmask_b32_e32 v51, 33, v51, vcc
	v_alignbit_b32 v9, v18, v9, 30
	v_xor_b32_e32 v21, v21, v58
	v_sub_u32_e32 v52, 32, v51
	v_xor_b32_e32 v9, v9, v58
	v_alignbit_b32 v53, v59, v21, v52
	v_alignbit_b32 v9, v21, v9, v52
	;; [unrolled: 1-line block ×3, first 2 shown]
	v_ffbh_u32_e32 v21, v18
	v_min_u32_e32 v21, 32, v21
	v_lshrrev_b32_e32 v55, 29, v0
	v_sub_u32_e32 v52, 31, v21
	v_alignbit_b32 v9, v18, v9, v52
	v_lshlrev_b32_e32 v18, 31, v55
	v_or_b32_e32 v52, 0x33800000, v18
	v_add_lshl_u32 v21, v21, v51, 23
	v_lshrrev_b32_e32 v9, 9, v9
	v_sub_u32_e32 v21, v52, v21
	v_or_b32_e32 v9, v21, v9
	v_alignbit_b32 v21, v51, v53, 9
	v_or_b32_e32 v18, v21, v18
	v_xor_b32_e32 v18, 1.0, v18
	v_mul_f32_e32 v21, 0x3fc90fda, v18
	v_fma_f32 v51, v18, s63, -v21
	v_fmac_f32_e32 v51, 0x33a22168, v18
	v_fmac_f32_e32 v51, 0x3fc90fda, v9
	v_lshrrev_b32_e32 v0, 30, v0
	v_add_f32_e32 v18, v21, v51
	v_add_u32_e32 v9, v57, v0
.LBB347_204:                            ;   in Loop: Header=BB347_191 Depth=3
	s_or_saveexec_b64 s[8:9], s[46:47]
	v_mul_f32_e64 v0, |v17|, s64
	v_rndne_f32_e32 v51, v0
	s_xor_b64 exec, exec, s[8:9]
; %bb.205:                              ;   in Loop: Header=BB347_191 Depth=3
	v_cvt_i32_f32_e32 v9, v51
	v_fma_f32 v18, v51, s65, |v17|
	v_fmac_f32_e32 v18, 0xb3a22168, v51
	v_fmac_f32_e32 v18, 0xa7c234c4, v51
; %bb.206:                              ;   in Loop: Header=BB347_191 Depth=3
	s_or_b64 exec, exec, s[8:9]
                                        ; implicit-def: $vgpr0
                                        ; implicit-def: $vgpr21
	s_and_saveexec_b64 s[8:9], s[44:45]
	s_xor_b64 s[44:45], exec, s[8:9]
	s_cbranch_execz .LBB347_208
; %bb.207:                              ;   in Loop: Header=BB347_191 Depth=3
	v_cmp_lt_u32_e32 vcc, 63, v20
	v_cndmask_b32_e32 v0, 0, v35, vcc
	v_add_u32_e32 v0, v0, v20
	v_cmp_lt_u32_e64 s[8:9], 31, v0
	v_cndmask_b32_e64 v20, 0, v36, s[8:9]
	v_add_u32_e32 v0, v20, v0
	v_cmp_lt_u32_e64 s[10:11], 31, v0
	v_cndmask_b32_e64 v20, 0, v36, s[10:11]
	v_add_u32_e32 v51, v20, v0
	v_mad_u64_u32 v[20:21], s[12:13], v19, s55, 0
	v_mov_b32_e32 v0, v21
	v_mad_u64_u32 v[52:53], s[12:13], v19, s56, v[0:1]
	v_mov_b32_e32 v0, v53
	;; [unrolled: 2-line block ×6, first 2 shown]
	v_mad_u64_u32 v[62:63], s[12:13], v19, s61, v[0:1]
	v_cndmask_b32_e32 v21, v60, v56, vcc
	v_cndmask_b32_e32 v0, v62, v58, vcc
	;; [unrolled: 1-line block ×3, first 2 shown]
	v_cndmask_b32_e64 v19, v0, v21, s[8:9]
	v_cndmask_b32_e64 v0, v53, v0, s[8:9]
	v_cndmask_b32_e32 v53, v58, v54, vcc
	v_cndmask_b32_e64 v21, v21, v53, s[8:9]
	v_sub_u32_e32 v55, 32, v51
	v_cmp_eq_u32_e64 s[12:13], 0, v51
	v_cndmask_b32_e32 v51, v56, v52, vcc
	v_cndmask_b32_e64 v0, v0, v19, s[10:11]
	v_cndmask_b32_e64 v19, v19, v21, s[10:11]
	;; [unrolled: 1-line block ×3, first 2 shown]
	v_alignbit_b32 v57, v0, v19, v55
	v_cndmask_b32_e64 v21, v21, v52, s[10:11]
	v_cndmask_b32_e64 v0, v57, v0, s[12:13]
	v_alignbit_b32 v53, v19, v21, v55
	v_cndmask_b32_e32 v20, v54, v20, vcc
	v_cndmask_b32_e64 v19, v53, v19, s[12:13]
	v_bfe_u32 v57, v0, 29, 1
	v_cndmask_b32_e64 v20, v51, v20, s[8:9]
	v_alignbit_b32 v53, v0, v19, 30
	v_sub_u32_e32 v58, 0, v57
	v_cndmask_b32_e64 v20, v52, v20, s[10:11]
	v_xor_b32_e32 v59, v53, v58
	v_alignbit_b32 v51, v21, v20, v55
	v_cndmask_b32_e64 v21, v51, v21, s[12:13]
	v_ffbh_u32_e32 v51, v59
	v_add_u32_e32 v51, 1, v51
	v_cmp_ne_u32_e32 vcc, v53, v58
	v_alignbit_b32 v19, v19, v21, 30
	v_cndmask_b32_e32 v51, 33, v51, vcc
	v_alignbit_b32 v20, v21, v20, 30
	v_xor_b32_e32 v19, v19, v58
	v_sub_u32_e32 v52, 32, v51
	v_xor_b32_e32 v20, v20, v58
	v_alignbit_b32 v53, v59, v19, v52
	v_alignbit_b32 v19, v19, v20, v52
	;; [unrolled: 1-line block ×3, first 2 shown]
	v_ffbh_u32_e32 v21, v20
	v_min_u32_e32 v21, 32, v21
	v_lshrrev_b32_e32 v56, 29, v0
	v_sub_u32_e32 v52, 31, v21
	v_alignbit_b32 v19, v20, v19, v52
	v_lshlrev_b32_e32 v20, 31, v56
	v_or_b32_e32 v52, 0x33800000, v20
	v_add_lshl_u32 v21, v21, v51, 23
	v_lshrrev_b32_e32 v19, 9, v19
	v_sub_u32_e32 v21, v52, v21
	v_or_b32_e32 v19, v21, v19
	v_alignbit_b32 v21, v51, v53, 9
	v_or_b32_e32 v20, v21, v20
	v_xor_b32_e32 v20, 1.0, v20
	v_mul_f32_e32 v21, 0x3fc90fda, v20
	v_fma_f32 v51, v20, s63, -v21
	v_fmac_f32_e32 v51, 0x33a22168, v20
	v_fmac_f32_e32 v51, 0x3fc90fda, v19
	v_lshrrev_b32_e32 v0, 30, v0
	v_add_f32_e32 v21, v21, v51
	v_add_u32_e32 v0, v57, v0
                                        ; implicit-def: $vgpr51
	s_andn2_saveexec_b64 s[8:9], s[44:45]
	s_cbranch_execnz .LBB347_209
	s_branch .LBB347_210
.LBB347_208:                            ;   in Loop: Header=BB347_191 Depth=3
	s_andn2_saveexec_b64 s[8:9], s[44:45]
.LBB347_209:                            ;   in Loop: Header=BB347_191 Depth=3
	v_cvt_i32_f32_e32 v0, v51
	v_fma_f32 v21, v51, s65, |v17|
	v_fmac_f32_e32 v21, 0xb3a22168, v51
	v_fmac_f32_e32 v21, 0xa7c234c4, v51
.LBB347_210:                            ;   in Loop: Header=BB347_191 Depth=3
	s_or_b64 exec, exec, s[8:9]
	v_mul_f32_e32 v19, 0x3fb8aa3b, v16
	v_rndne_f32_e32 v20, v19
	v_sub_f32_e32 v51, v19, v20
	v_fma_f32 v19, v16, s66, -v19
	v_fmac_f32_e32 v19, 0x32a5705f, v16
	v_add_f32_e32 v19, v51, v19
	v_cvt_i32_f32_e32 v20, v20
	v_exp_f32_e32 v19, v19
	v_cmp_ngt_f32_e32 vcc, s67, v16
	v_and_b32_e32 v54, 1, v0
	v_lshlrev_b32_e32 v0, 30, v0
	v_ldexp_f32 v19, v19, v20
	v_cndmask_b32_e32 v19, 0, v19, vcc
	v_cmp_nlt_f32_e32 vcc, s68, v16
	v_cndmask_b32_e32 v16, v37, v19, vcc
	v_lshlrev_b32_e32 v19, 30, v9
	v_and_b32_e32 v51, 0x80000000, v19
	v_mul_f32_e32 v19, v21, v21
	v_mov_b32_e32 v20, 0x3c0881c4
	v_fmac_f32_e32 v20, 0xb94c1982, v19
	v_fma_f32 v53, v19, v20, v25
	v_mov_b32_e32 v20, 0xbab64f3b
	v_and_b32_e32 v0, 0x80000000, v0
	v_xor_b32_e32 v7, v7, v17
	v_mov_b32_e32 v52, v18
	v_fmac_f32_e32 v20, 0x37d75334, v19
	v_xor_b32_e32 v0, v7, v0
	v_pk_mul_f32 v[52:53], v[18:19], v[52:53]
	v_mov_b32_e32 v7, 0xbab64f3b
	v_fma_f32 v20, v19, v20, v26
	v_fmac_f32_e32 v7, 0x37d75334, v52
	v_fma_f32 v20, v19, v20, v27
	v_fma_f32 v7, v52, v7, v26
	v_fma_f32 v55, v19, v20, 1.0
	v_fma_f32 v20, v52, v7, v27
	v_mov_b32_e32 v7, 0x3c0881c4
	v_fmac_f32_e32 v7, 0xb94c1982, v52
	v_fma_f32 v7, v52, v7, v25
	v_mul_f32_e32 v7, v52, v7
	v_fmac_f32_e32 v18, v18, v7
	v_mov_b32_e32 v7, v21
	v_and_b32_e32 v9, 1, v9
	v_pk_fma_f32 v[20:21], v[52:53], v[20:21], v[6:7]
	v_cmp_eq_u32_e32 vcc, 0, v54
	v_cndmask_b32_e32 v7, v55, v21, vcc
	v_cmp_eq_u32_e32 vcc, 0, v9
	v_cndmask_b32_e64 v9, -v18, v20, vcc
	v_xor_b32_e32 v9, v51, v9
	v_xor_b32_e32 v0, v0, v7
	v_cmp_class_f32_e64 vcc, v17, s51
	v_cndmask_b32_e32 v19, v38, v0, vcc
	v_cndmask_b32_e32 v18, v38, v9, vcc
	v_pk_mul_f32 v[16:17], v[16:17], v[18:19] op_sel_hi:[0,1]
	v_max_f32_e64 v0, |v16|, |v17|
	v_cvt_f64_f32_e32 v[18:19], v0
	v_frexp_exp_i32_f64_e32 v7, v[18:19]
	v_sub_u32_e32 v9, 0, v7
	v_ldexp_f32 v18, |v16|, v9
	v_ldexp_f32 v9, |v17|, v9
	v_mul_f32_e32 v9, v9, v9
	v_fmac_f32_e32 v9, v18, v18
	v_sqrt_f32_e32 v9, v9
	v_cmp_eq_f32_e32 vcc, s69, v0
	v_add_f32_e32 v0, 1.0, v16
                                        ; implicit-def: $vgpr18
	v_ldexp_f32 v7, v9, v7
	v_cmp_ngt_f32_e64 s[8:9], 0.5, v7
	v_max_f32_e64 v7, |v0|, |v17|
	s_or_b64 s[8:9], vcc, s[8:9]
	s_and_saveexec_b64 s[10:11], s[8:9]
	s_xor_b64 s[10:11], exec, s[10:11]
	s_cbranch_execz .LBB347_212
; %bb.211:                              ;   in Loop: Header=BB347_191 Depth=3
	v_cvt_f64_f32_e32 v[18:19], v7
	v_frexp_exp_i32_f64_e32 v9, v[18:19]
	v_sub_u32_e32 v18, 0, v9
	v_ldexp_f32 v19, |v0|, v18
	v_ldexp_f32 v18, |v17|, v18
	v_mul_f32_e32 v18, v18, v18
	v_fmac_f32_e32 v18, v19, v19
	v_sqrt_f32_e32 v18, v18
	v_cmp_neq_f32_e32 vcc, s69, v7
	v_ldexp_f32 v9, v18, v9
	v_cndmask_b32_e32 v9, v37, v9, vcc
	v_cmp_gt_f32_e32 vcc, s54, v9
	v_cndmask_b32_e32 v18, 1.0, v39, vcc
	v_mul_f32_e32 v9, v9, v18
	v_log_f32_e32 v9, v9
	v_mul_f32_e32 v18, 0x3f317217, v9
	v_fma_f32 v19, v9, s70, -v18
	v_fmac_f32_e32 v19, 0x3377d1cf, v9
	v_add_f32_e32 v18, v18, v19
	v_cmp_lt_f32_e64 s[8:9], |v9|, s69
	v_cndmask_b32_e64 v9, v9, v18, s[8:9]
	v_cndmask_b32_e32 v18, 0, v40, vcc
	v_sub_f32_e32 v18, v9, v18
.LBB347_212:                            ;   in Loop: Header=BB347_191 Depth=3
	s_andn2_saveexec_b64 s[8:9], s[10:11]
	s_cbranch_execz .LBB347_216
; %bb.213:                              ;   in Loop: Header=BB347_191 Depth=3
	v_add_f32_e32 v18, 2.0, v16
	v_mov_b32_e32 v19, v17
	v_pk_mul_f32 v[18:19], v[16:17], v[18:19]
	v_add_f32_e32 v18, v18, v19
	v_cmp_neq_f32_e32 vcc, 0, v18
	s_and_saveexec_b64 s[10:11], vcc
	s_cbranch_execz .LBB347_215
; %bb.214:                              ;   in Loop: Header=BB347_191 Depth=3
	v_add_f32_e32 v9, 1.0, v18
	v_add_f32_e32 v16, -1.0, v9
	v_sub_f32_e32 v19, v16, v9
	v_add_f32_e32 v19, 1.0, v19
	v_sub_f32_e32 v16, v18, v16
	v_add_f32_e32 v16, v16, v19
	v_frexp_mant_f32_e32 v19, v9
	v_cvt_f64_f32_e32 v[20:21], v9
	v_frexp_exp_i32_f64_e32 v20, v[20:21]
	v_cmp_gt_f32_e32 vcc, s71, v19
	v_subbrev_co_u32_e32 v19, vcc, 0, v20, vcc
	v_sub_u32_e32 v20, 0, v19
	v_ldexp_f32 v9, v9, v20
	v_ldexp_f32 v16, v16, v20
	v_add_f32_e32 v20, -1.0, v9
	v_add_f32_e32 v21, 1.0, v20
	v_sub_f32_e32 v21, v9, v21
	v_add_f32_e32 v51, v16, v21
	v_add_f32_e32 v21, 1.0, v9
	v_add_f32_e32 v52, -1.0, v21
	v_sub_f32_e32 v9, v9, v52
	v_add_f32_e32 v9, v16, v9
	v_add_f32_e32 v16, v21, v9
	v_rcp_f32_e32 v58, v16
	v_sub_f32_e32 v21, v16, v21
	v_sub_f32_e32 v9, v9, v21
	v_add_f32_e32 v21, v20, v51
	v_mul_f32_e32 v59, v21, v58
	v_mul_f32_e32 v52, v16, v59
	v_fma_f32 v54, v59, v16, -v52
	v_sub_f32_e32 v20, v21, v20
	v_fmac_f32_e32 v54, v59, v9
	v_sub_f32_e32 v51, v51, v20
	v_add_f32_e32 v20, v52, v54
	v_sub_f32_e32 v53, v21, v20
	v_pk_add_f32 v[56:57], v[20:21], v[52:53] neg_lo:[0,1] neg_hi:[0,1]
	v_mov_b32_e32 v55, v20
	v_pk_add_f32 v[20:21], v[56:57], v[54:55] neg_lo:[0,1] neg_hi:[0,1]
	v_add_f32_e32 v21, v51, v21
	v_add_f32_e32 v20, v20, v21
	;; [unrolled: 1-line block ×3, first 2 shown]
	v_mul_f32_e32 v51, v58, v21
	v_mul_f32_e32 v52, v16, v51
	v_fma_f32 v54, v51, v16, -v52
	v_fmac_f32_e32 v54, v51, v9
	v_sub_f32_e32 v9, v53, v21
	v_add_f32_e32 v9, v20, v9
	v_add_f32_e32 v20, v52, v54
	v_sub_f32_e32 v53, v21, v20
	v_pk_add_f32 v[56:57], v[20:21], v[52:53] neg_lo:[0,1] neg_hi:[0,1]
	v_mov_b32_e32 v55, v20
	v_pk_add_f32 v[20:21], v[56:57], v[54:55] neg_lo:[0,1] neg_hi:[0,1]
	v_add_f32_e32 v9, v9, v21
	v_add_f32_e32 v9, v20, v9
	;; [unrolled: 1-line block ×4, first 2 shown]
	v_sub_f32_e32 v20, v16, v59
	v_mul_f32_e32 v9, v58, v9
	v_sub_f32_e32 v20, v51, v20
	v_add_f32_e32 v21, v20, v9
	v_add_f32_e32 v51, v16, v21
	v_cvt_f32_i32_e32 v20, v19
	v_mul_f32_e32 v52, v51, v51
	v_mov_b32_e32 v9, 0x3ecc95a3
	v_fmac_f32_e32 v9, 0x3e9b6dac, v52
	v_sub_f32_e32 v16, v51, v16
	v_fma_f32 v9, v52, v9, v28
	v_sub_f32_e32 v16, v21, v16
	v_mul_f32_e32 v21, v51, v52
	v_pk_mul_f32 v[54:55], v[20:21], v[8:9]
	v_fma_f32 v52, v20, s72, -v54
	v_ldexp_f32 v53, v51, 1
	v_fmac_f32_e32 v52, 0xb102e308, v20
	v_pk_add_f32 v[20:21], v[54:55], v[52:53]
	v_sub_f32_e32 v9, v21, v53
	v_ldexp_f32 v16, v16, 1
	v_sub_f32_e32 v9, v55, v9
	v_add_f32_e32 v57, v16, v9
	v_mov_b32_e32 v56, v54
	v_pk_add_f32 v[54:55], v[20:21], v[54:55] neg_lo:[0,1] neg_hi:[0,1]
	v_pk_add_f32 v[58:59], v[20:21], v[56:57]
	v_mov_b32_e32 v55, v59
	v_mov_b32_e32 v53, v20
	v_pk_add_f32 v[60:61], v[52:53], v[54:55] neg_lo:[0,1] neg_hi:[0,1]
	v_pk_add_f32 v[52:53], v[52:53], v[54:55]
	v_mov_b32_e32 v16, v53
	v_pk_add_f32 v[54:55], v[16:17], v[20:21] neg_lo:[0,1] neg_hi:[0,1]
	v_mov_b32_e32 v9, v54
	v_pk_add_f32 v[62:63], v[58:59], v[8:9] neg_lo:[0,1] neg_hi:[0,1]
	v_mov_b32_e32 v52, v59
	v_mov_b32_e32 v58, v21
	;; [unrolled: 1-line block ×4, first 2 shown]
	v_pk_add_f32 v[52:53], v[52:53], v[58:59] neg_lo:[0,1] neg_hi:[0,1]
	v_mov_b32_e32 v54, v57
	v_mov_b32_e32 v55, v20
	v_pk_add_f32 v[20:21], v[54:55], v[52:53] neg_lo:[0,1] neg_hi:[0,1]
	v_mov_b32_e32 v62, v60
	v_pk_add_f32 v[52:53], v[62:63], v[20:21]
	v_mov_b32_e32 v54, v53
	v_pk_add_f32 v[54:55], v[52:53], v[54:55]
	v_pk_add_f32 v[56:57], v[16:17], v[54:55]
	v_mov_b32_e32 v53, v56
	v_pk_add_f32 v[58:59], v[52:53], v[60:61] neg_lo:[0,1] neg_hi:[0,1]
	v_mov_b32_e32 v21, v54
	v_sub_f32_e32 v9, v52, v58
	v_pk_add_f32 v[20:21], v[20:21], v[58:59] neg_lo:[0,1] neg_hi:[0,1]
	v_sub_f32_e32 v9, v60, v9
	v_add_f32_e32 v9, v20, v9
	v_add_f32_e32 v9, v9, v21
	;; [unrolled: 1-line block ×3, first 2 shown]
	v_cmp_eq_f32_e32 vcc, s69, v18
	v_cndmask_b32_e32 v9, v9, v18, vcc
	v_cmp_ngt_f32_e32 vcc, -1.0, v18
	v_cndmask_b32_e32 v9, v38, v9, vcc
	v_cmp_neq_f32_e32 vcc, -1.0, v18
	v_cndmask_b32_e32 v9, v41, v9, vcc
	v_cmp_lt_f32_e64 vcc, |v18|, s62
	v_cndmask_b32_e32 v9, v9, v18, vcc
	v_mul_f32_e32 v16, 0.5, v9
.LBB347_215:                            ;   in Loop: Header=BB347_191 Depth=3
	s_or_b64 exec, exec, s[10:11]
	v_mov_b32_e32 v18, v16
.LBB347_216:                            ;   in Loop: Header=BB347_191 Depth=3
	s_or_b64 exec, exec, s[8:9]
	v_max_f32_e64 v19, |v17|, |v17|
	v_max_f32_e64 v20, |v0|, |v0|
	v_min_f32_e32 v19, v20, v19
	v_frexp_mant_f32_e32 v20, v7
	v_rcp_f32_e32 v20, v20
	v_frexp_exp_i32_f32_e32 v7, v7
	v_frexp_exp_i32_f32_e32 v21, v19
	v_frexp_mant_f32_e32 v19, v19
	v_mul_f32_e32 v19, v19, v20
	v_sub_u32_e32 v7, v21, v7
	v_ldexp_f32 v7, v19, v7
	v_mul_f32_e32 v19, v7, v7
	v_mov_b32_e32 v20, 0xbc7a590c
	v_fmac_f32_e32 v20, 0x3b2d2a58, v19
	v_fma_f32 v20, v19, v20, v29
	v_fma_f32 v20, v19, v20, v30
	;; [unrolled: 1-line block ×6, first 2 shown]
	v_mul_f32_e32 v19, v19, v20
	v_cmp_gt_i32_e64 s[8:9], 0, v0
	v_fmac_f32_e32 v7, v7, v19
	v_cndmask_b32_e64 v16, 0, v44, s[8:9]
	v_sub_f32_e32 v19, 0x3fc90fdb, v7
	v_cmp_gt_f32_e64 s[8:9], |v17|, |v0|
	v_cndmask_b32_e64 v7, v7, v19, s[8:9]
	v_cmp_gt_f32_e32 vcc, 0, v0
	v_sub_f32_e32 v19, 0x40490fdb, v7
	v_cmp_class_f32_e64 s[10:11], v17, s73
	v_cmp_class_f32_e64 s[12:13], v0, s73
	v_cndmask_b32_e32 v9, v42, v43, vcc
	v_cndmask_b32_e32 v7, v7, v19, vcc
	v_cmp_eq_f32_e32 vcc, 0, v17
	v_cndmask_b32_e32 v7, v7, v16, vcc
	s_and_b64 vcc, s[12:13], s[10:11]
	v_cndmask_b32_e32 v7, v7, v9, vcc
	v_cmp_o_f32_e32 vcc, v0, v17
	v_cndmask_b32_e32 v0, v38, v7, vcc
	v_bfi_b32 v19, s52, v0, v17
	v_pk_add_f32 v[16:17], v[14:15], v[18:19]
                                        ; implicit-def: $vgpr19
                                        ; implicit-def: $vgpr15
.LBB347_217:                            ;   in Loop: Header=BB347_191 Depth=3
	s_andn2_saveexec_b64 s[42:43], s[42:43]
	s_cbranch_execz .LBB347_188
; %bb.218:                              ;   in Loop: Header=BB347_191 Depth=3
	v_cmp_ngt_f32_e32 vcc, 0, v16
	s_and_saveexec_b64 s[44:45], vcc
	s_cbranch_execz .LBB347_187
; %bb.219:                              ;   in Loop: Header=BB347_191 Depth=3
	v_and_b32_e32 v7, 0x7fffffff, v17
	v_lshrrev_b32_e32 v0, 23, v7
	v_and_b32_e32 v9, 0x7fffff, v7
	v_cmp_nlt_f32_e64 s[46:47], |v17|, s53
	v_add_u32_e32 v21, 0xffffff88, v0
	v_or_b32_e32 v20, 0x800000, v9
                                        ; implicit-def: $vgpr14
                                        ; implicit-def: $vgpr9
	s_and_saveexec_b64 s[8:9], s[46:47]
	s_xor_b64 s[48:49], exec, s[8:9]
	s_cbranch_execz .LBB347_221
; %bb.220:                              ;   in Loop: Header=BB347_191 Depth=3
	v_cmp_lt_u32_e32 vcc, 63, v21
	v_cndmask_b32_e32 v0, 0, v35, vcc
	v_add_u32_e32 v0, v0, v21
	v_cmp_lt_u32_e64 s[8:9], 31, v0
	v_cndmask_b32_e64 v9, 0, v36, s[8:9]
	v_add_u32_e32 v0, v9, v0
	v_cmp_lt_u32_e64 s[10:11], 31, v0
	v_cndmask_b32_e64 v9, 0, v36, s[10:11]
	v_mad_u64_u32 v[52:53], s[12:13], v20, s55, 0
	v_add_u32_e32 v9, v9, v0
	v_mov_b32_e32 v0, v53
	v_mad_u64_u32 v[54:55], s[12:13], v20, s56, v[0:1]
	v_mov_b32_e32 v0, v55
	v_mad_u64_u32 v[56:57], s[12:13], v20, s57, v[0:1]
	;; [unrolled: 2-line block ×6, first 2 shown]
	v_cndmask_b32_e32 v14, v62, v58, vcc
	v_cndmask_b32_e32 v0, v64, v60, vcc
	;; [unrolled: 1-line block ×3, first 2 shown]
	v_cndmask_b32_e64 v16, v0, v14, s[8:9]
	v_cndmask_b32_e64 v0, v18, v0, s[8:9]
	v_cndmask_b32_e32 v18, v60, v56, vcc
	v_cndmask_b32_e64 v14, v14, v18, s[8:9]
	v_sub_u32_e32 v51, 32, v9
	v_cmp_eq_u32_e64 s[12:13], 0, v9
	v_cndmask_b32_e32 v9, v58, v54, vcc
	v_cndmask_b32_e64 v0, v0, v16, s[10:11]
	v_cndmask_b32_e64 v16, v16, v14, s[10:11]
	;; [unrolled: 1-line block ×3, first 2 shown]
	v_alignbit_b32 v53, v0, v16, v51
	v_cndmask_b32_e64 v14, v14, v18, s[10:11]
	v_cndmask_b32_e64 v0, v53, v0, s[12:13]
	v_alignbit_b32 v53, v16, v14, v51
	v_cndmask_b32_e32 v52, v56, v52, vcc
	v_cndmask_b32_e64 v16, v53, v16, s[12:13]
	v_bfe_u32 v55, v0, 29, 1
	v_cndmask_b32_e64 v9, v9, v52, s[8:9]
	v_alignbit_b32 v53, v0, v16, 30
	v_sub_u32_e32 v57, 0, v55
	v_cndmask_b32_e64 v9, v18, v9, s[10:11]
	v_xor_b32_e32 v58, v53, v57
	v_alignbit_b32 v18, v14, v9, v51
	v_cndmask_b32_e64 v14, v18, v14, s[12:13]
	v_ffbh_u32_e32 v18, v58
	v_add_u32_e32 v18, 1, v18
	v_cmp_ne_u32_e32 vcc, v53, v57
	v_alignbit_b32 v16, v16, v14, 30
	v_cndmask_b32_e32 v18, 33, v18, vcc
	v_alignbit_b32 v9, v14, v9, 30
	v_xor_b32_e32 v16, v16, v57
	v_sub_u32_e32 v51, 32, v18
	v_xor_b32_e32 v9, v9, v57
	v_alignbit_b32 v52, v58, v16, v51
	v_alignbit_b32 v9, v16, v9, v51
	;; [unrolled: 1-line block ×3, first 2 shown]
	v_ffbh_u32_e32 v16, v14
	v_min_u32_e32 v16, 32, v16
	v_lshrrev_b32_e32 v54, 29, v0
	v_sub_u32_e32 v51, 31, v16
	v_alignbit_b32 v9, v14, v9, v51
	v_lshlrev_b32_e32 v14, 31, v54
	v_or_b32_e32 v51, 0x33800000, v14
	v_add_lshl_u32 v16, v16, v18, 23
	v_lshrrev_b32_e32 v9, 9, v9
	v_sub_u32_e32 v16, v51, v16
	v_or_b32_e32 v9, v16, v9
	v_alignbit_b32 v16, v18, v52, 9
	v_or_b32_e32 v14, v16, v14
	v_xor_b32_e32 v14, 1.0, v14
	v_mul_f32_e32 v16, 0x3fc90fda, v14
	v_fma_f32 v18, v14, s63, -v16
	v_fmac_f32_e32 v18, 0x33a22168, v14
	v_fmac_f32_e32 v18, 0x3fc90fda, v9
	v_lshrrev_b32_e32 v0, 30, v0
	v_add_f32_e32 v9, v16, v18
	v_add_u32_e32 v14, v55, v0
.LBB347_221:                            ;   in Loop: Header=BB347_191 Depth=3
	s_or_saveexec_b64 s[8:9], s[48:49]
	v_mul_f32_e64 v0, |v17|, s64
	v_rndne_f32_e32 v0, v0
	s_xor_b64 exec, exec, s[8:9]
; %bb.222:                              ;   in Loop: Header=BB347_191 Depth=3
	v_cvt_i32_f32_e32 v14, v0
	v_fma_f32 v9, v0, s65, |v17|
	v_fmac_f32_e32 v9, 0xb3a22168, v0
	v_fmac_f32_e32 v9, 0xa7c234c4, v0
; %bb.223:                              ;   in Loop: Header=BB347_191 Depth=3
	s_or_b64 exec, exec, s[8:9]
                                        ; implicit-def: $vgpr16
                                        ; implicit-def: $vgpr18
	s_and_saveexec_b64 s[8:9], s[46:47]
	s_xor_b64 s[46:47], exec, s[8:9]
	s_cbranch_execz .LBB347_225
; %bb.224:                              ;   in Loop: Header=BB347_191 Depth=3
	v_cmp_lt_u32_e32 vcc, 63, v21
	v_cndmask_b32_e32 v0, 0, v35, vcc
	v_add_u32_e32 v0, v0, v21
	v_cmp_lt_u32_e64 s[8:9], 31, v0
	v_cndmask_b32_e64 v16, 0, v36, s[8:9]
	v_add_u32_e32 v0, v16, v0
	v_cmp_lt_u32_e64 s[10:11], 31, v0
	v_cndmask_b32_e64 v16, 0, v36, s[10:11]
	v_mad_u64_u32 v[52:53], s[12:13], v20, s55, 0
	v_add_u32_e32 v16, v16, v0
	v_mov_b32_e32 v0, v53
	v_mad_u64_u32 v[54:55], s[12:13], v20, s56, v[0:1]
	v_mov_b32_e32 v0, v55
	v_mad_u64_u32 v[56:57], s[12:13], v20, s57, v[0:1]
	;; [unrolled: 2-line block ×6, first 2 shown]
	v_cndmask_b32_e32 v18, v62, v58, vcc
	v_cndmask_b32_e32 v0, v20, v60, vcc
	;; [unrolled: 1-line block ×3, first 2 shown]
	v_cndmask_b32_e64 v20, v0, v18, s[8:9]
	v_cndmask_b32_e64 v0, v21, v0, s[8:9]
	v_cndmask_b32_e32 v21, v60, v56, vcc
	v_cndmask_b32_e64 v18, v18, v21, s[8:9]
	v_sub_u32_e32 v51, 32, v16
	v_cmp_eq_u32_e64 s[12:13], 0, v16
	v_cndmask_b32_e32 v16, v58, v54, vcc
	v_cndmask_b32_e64 v0, v0, v20, s[10:11]
	v_cndmask_b32_e64 v20, v20, v18, s[10:11]
	;; [unrolled: 1-line block ×3, first 2 shown]
	v_alignbit_b32 v53, v0, v20, v51
	v_cndmask_b32_e64 v18, v18, v21, s[10:11]
	v_cndmask_b32_e64 v0, v53, v0, s[12:13]
	v_alignbit_b32 v53, v20, v18, v51
	v_cndmask_b32_e32 v52, v56, v52, vcc
	v_cndmask_b32_e64 v20, v53, v20, s[12:13]
	v_bfe_u32 v55, v0, 29, 1
	v_cndmask_b32_e64 v16, v16, v52, s[8:9]
	v_alignbit_b32 v53, v0, v20, 30
	v_sub_u32_e32 v57, 0, v55
	v_cndmask_b32_e64 v16, v21, v16, s[10:11]
	v_xor_b32_e32 v58, v53, v57
	v_alignbit_b32 v21, v18, v16, v51
	v_cndmask_b32_e64 v18, v21, v18, s[12:13]
	v_ffbh_u32_e32 v21, v58
	v_add_u32_e32 v21, 1, v21
	v_cmp_ne_u32_e32 vcc, v53, v57
	v_alignbit_b32 v20, v20, v18, 30
	v_cndmask_b32_e32 v21, 33, v21, vcc
	v_alignbit_b32 v16, v18, v16, 30
	v_xor_b32_e32 v20, v20, v57
	v_sub_u32_e32 v51, 32, v21
	v_xor_b32_e32 v16, v16, v57
	v_alignbit_b32 v52, v58, v20, v51
	v_alignbit_b32 v16, v20, v16, v51
	v_alignbit_b32 v18, v52, v16, 9
	v_ffbh_u32_e32 v20, v18
	v_min_u32_e32 v20, 32, v20
	v_lshrrev_b32_e32 v54, 29, v0
	v_sub_u32_e32 v51, 31, v20
	v_alignbit_b32 v16, v18, v16, v51
	v_lshlrev_b32_e32 v18, 31, v54
	v_or_b32_e32 v51, 0x33800000, v18
	v_add_lshl_u32 v20, v20, v21, 23
	v_lshrrev_b32_e32 v16, 9, v16
	v_sub_u32_e32 v20, v51, v20
	v_or_b32_e32 v16, v20, v16
	v_alignbit_b32 v20, v21, v52, 9
	v_or_b32_e32 v18, v20, v18
	v_xor_b32_e32 v18, 1.0, v18
	v_mul_f32_e32 v20, 0x3fc90fda, v18
	v_fma_f32 v21, v18, s63, -v20
	v_fmac_f32_e32 v21, 0x33a22168, v18
	v_fmac_f32_e32 v21, 0x3fc90fda, v16
	v_lshrrev_b32_e32 v0, 30, v0
	v_add_f32_e32 v18, v20, v21
	v_add_u32_e32 v16, v55, v0
                                        ; implicit-def: $vgpr0
	s_andn2_saveexec_b64 s[8:9], s[46:47]
	s_cbranch_execnz .LBB347_226
	s_branch .LBB347_227
.LBB347_225:                            ;   in Loop: Header=BB347_191 Depth=3
	s_andn2_saveexec_b64 s[8:9], s[46:47]
.LBB347_226:                            ;   in Loop: Header=BB347_191 Depth=3
	v_cvt_i32_f32_e32 v16, v0
	v_fma_f32 v18, v0, s65, |v17|
	v_fmac_f32_e32 v18, 0xb3a22168, v0
	v_fmac_f32_e32 v18, 0xa7c234c4, v0
.LBB347_227:                            ;   in Loop: Header=BB347_191 Depth=3
	s_or_b64 exec, exec, s[8:9]
	v_and_b32_e32 v20, 0x7fffffff, v15
	v_lshrrev_b32_e32 v0, 23, v20
	v_and_b32_e32 v21, 0x7fffff, v20
	v_cmp_nlt_f32_e64 s[46:47], |v15|, s53
	v_add_u32_e32 v53, 0xffffff88, v0
	v_or_b32_e32 v52, 0x800000, v21
                                        ; implicit-def: $vgpr51
                                        ; implicit-def: $vgpr21
	s_and_saveexec_b64 s[8:9], s[46:47]
	s_xor_b64 s[48:49], exec, s[8:9]
	s_cbranch_execz .LBB347_229
; %bb.228:                              ;   in Loop: Header=BB347_191 Depth=3
	v_cmp_lt_u32_e32 vcc, 63, v53
	v_cndmask_b32_e32 v0, 0, v35, vcc
	v_add_u32_e32 v0, v0, v53
	v_cmp_lt_u32_e64 s[8:9], 31, v0
	v_cndmask_b32_e64 v21, 0, v36, s[8:9]
	v_add_u32_e32 v0, v21, v0
	v_cmp_lt_u32_e64 s[10:11], 31, v0
	v_cndmask_b32_e64 v21, 0, v36, s[10:11]
	v_mad_u64_u32 v[54:55], s[12:13], v52, s55, 0
	v_add_u32_e32 v21, v21, v0
	v_mov_b32_e32 v0, v55
	v_mad_u64_u32 v[56:57], s[12:13], v52, s56, v[0:1]
	v_mov_b32_e32 v0, v57
	v_mad_u64_u32 v[58:59], s[12:13], v52, s57, v[0:1]
	;; [unrolled: 2-line block ×6, first 2 shown]
	v_cndmask_b32_e32 v51, v64, v60, vcc
	v_cndmask_b32_e32 v0, v66, v62, vcc
	;; [unrolled: 1-line block ×3, first 2 shown]
	v_cndmask_b32_e64 v55, v0, v51, s[8:9]
	v_cndmask_b32_e64 v0, v57, v0, s[8:9]
	v_cndmask_b32_e32 v57, v62, v58, vcc
	v_cndmask_b32_e64 v51, v51, v57, s[8:9]
	v_sub_u32_e32 v59, 32, v21
	v_cmp_eq_u32_e64 s[12:13], 0, v21
	v_cndmask_b32_e32 v21, v60, v56, vcc
	v_cndmask_b32_e64 v0, v0, v55, s[10:11]
	v_cndmask_b32_e64 v55, v55, v51, s[10:11]
	;; [unrolled: 1-line block ×3, first 2 shown]
	v_alignbit_b32 v61, v0, v55, v59
	v_cndmask_b32_e64 v51, v51, v56, s[10:11]
	v_cndmask_b32_e32 v54, v58, v54, vcc
	v_cndmask_b32_e64 v0, v61, v0, s[12:13]
	v_alignbit_b32 v57, v55, v51, v59
	v_cndmask_b32_e64 v21, v21, v54, s[8:9]
	v_cndmask_b32_e64 v55, v57, v55, s[12:13]
	v_bfe_u32 v61, v0, 29, 1
	v_cndmask_b32_e64 v21, v56, v21, s[10:11]
	v_alignbit_b32 v57, v0, v55, 30
	v_sub_u32_e32 v62, 0, v61
	v_alignbit_b32 v54, v51, v21, v59
	v_xor_b32_e32 v63, v57, v62
	v_cndmask_b32_e64 v51, v54, v51, s[12:13]
	v_alignbit_b32 v54, v55, v51, 30
	v_ffbh_u32_e32 v55, v63
	v_add_u32_e32 v55, 1, v55
	v_cmp_ne_u32_e32 vcc, v57, v62
	v_cndmask_b32_e32 v55, 33, v55, vcc
	v_alignbit_b32 v21, v51, v21, 30
	v_xor_b32_e32 v54, v54, v62
	v_sub_u32_e32 v56, 32, v55
	v_xor_b32_e32 v21, v21, v62
	v_alignbit_b32 v57, v63, v54, v56
	v_alignbit_b32 v21, v54, v21, v56
	;; [unrolled: 1-line block ×3, first 2 shown]
	v_ffbh_u32_e32 v54, v51
	v_min_u32_e32 v54, 32, v54
	v_lshrrev_b32_e32 v60, 29, v0
	v_sub_u32_e32 v56, 31, v54
	v_alignbit_b32 v21, v51, v21, v56
	v_lshlrev_b32_e32 v51, 31, v60
	v_or_b32_e32 v56, 0x33800000, v51
	v_add_lshl_u32 v54, v54, v55, 23
	v_lshrrev_b32_e32 v21, 9, v21
	v_sub_u32_e32 v54, v56, v54
	v_or_b32_e32 v21, v54, v21
	v_alignbit_b32 v54, v55, v57, 9
	v_or_b32_e32 v51, v54, v51
	v_xor_b32_e32 v51, 1.0, v51
	v_mul_f32_e32 v54, 0x3fc90fda, v51
	v_fma_f32 v55, v51, s63, -v54
	v_fmac_f32_e32 v55, 0x33a22168, v51
	v_fmac_f32_e32 v55, 0x3fc90fda, v21
	v_lshrrev_b32_e32 v0, 30, v0
	v_add_f32_e32 v21, v54, v55
	v_add_u32_e32 v51, v61, v0
.LBB347_229:                            ;   in Loop: Header=BB347_191 Depth=3
	s_or_saveexec_b64 s[8:9], s[48:49]
	v_mul_f32_e64 v0, |v15|, s64
	v_rndne_f32_e32 v55, v0
	s_xor_b64 exec, exec, s[8:9]
; %bb.230:                              ;   in Loop: Header=BB347_191 Depth=3
	v_cvt_i32_f32_e32 v51, v55
	v_fma_f32 v21, v55, s65, |v15|
	v_fmac_f32_e32 v21, 0xb3a22168, v55
	v_fmac_f32_e32 v21, 0xa7c234c4, v55
; %bb.231:                              ;   in Loop: Header=BB347_191 Depth=3
	s_or_b64 exec, exec, s[8:9]
                                        ; implicit-def: $vgpr0
                                        ; implicit-def: $vgpr54
	s_and_saveexec_b64 s[8:9], s[46:47]
	s_xor_b64 s[46:47], exec, s[8:9]
	s_cbranch_execz .LBB347_233
; %bb.232:                              ;   in Loop: Header=BB347_191 Depth=3
	v_cmp_lt_u32_e32 vcc, 63, v53
	v_cndmask_b32_e32 v0, 0, v35, vcc
	v_add_u32_e32 v0, v0, v53
	v_cmp_lt_u32_e64 s[8:9], 31, v0
	v_cndmask_b32_e64 v53, 0, v36, s[8:9]
	v_add_u32_e32 v0, v53, v0
	v_cmp_lt_u32_e64 s[10:11], 31, v0
	v_cndmask_b32_e64 v53, 0, v36, s[10:11]
	v_mad_u64_u32 v[54:55], s[12:13], v52, s55, 0
	v_add_u32_e32 v66, v53, v0
	v_mov_b32_e32 v0, v55
	v_mad_u64_u32 v[56:57], s[12:13], v52, s56, v[0:1]
	v_mov_b32_e32 v0, v57
	v_mad_u64_u32 v[58:59], s[12:13], v52, s57, v[0:1]
	;; [unrolled: 2-line block ×6, first 2 shown]
	v_cndmask_b32_e32 v55, v64, v60, vcc
	v_cndmask_b32_e32 v0, v52, v62, vcc
	;; [unrolled: 1-line block ×3, first 2 shown]
	v_cndmask_b32_e64 v52, v0, v55, s[8:9]
	v_cndmask_b32_e64 v0, v53, v0, s[8:9]
	v_cndmask_b32_e32 v53, v62, v58, vcc
	v_cndmask_b32_e64 v55, v55, v53, s[8:9]
	v_cndmask_b32_e32 v56, v60, v56, vcc
	v_cndmask_b32_e64 v0, v0, v52, s[10:11]
	v_cndmask_b32_e64 v52, v52, v55, s[10:11]
	v_sub_u32_e32 v57, 32, v66
	v_cndmask_b32_e64 v53, v53, v56, s[8:9]
	v_alignbit_b32 v59, v0, v52, v57
	v_cmp_eq_u32_e64 s[12:13], 0, v66
	v_cndmask_b32_e64 v55, v55, v53, s[10:11]
	v_cndmask_b32_e64 v0, v59, v0, s[12:13]
	v_alignbit_b32 v59, v52, v55, v57
	v_cndmask_b32_e32 v54, v58, v54, vcc
	v_cndmask_b32_e64 v52, v59, v52, s[12:13]
	v_bfe_u32 v61, v0, 29, 1
	v_cndmask_b32_e64 v54, v56, v54, s[8:9]
	v_alignbit_b32 v59, v0, v52, 30
	v_sub_u32_e32 v62, 0, v61
	v_cndmask_b32_e64 v53, v53, v54, s[10:11]
	v_xor_b32_e32 v63, v59, v62
	v_alignbit_b32 v54, v55, v53, v57
	v_cndmask_b32_e64 v54, v54, v55, s[12:13]
	v_ffbh_u32_e32 v55, v63
	v_add_u32_e32 v55, 1, v55
	v_cmp_ne_u32_e32 vcc, v59, v62
	v_alignbit_b32 v52, v52, v54, 30
	v_cndmask_b32_e32 v55, 33, v55, vcc
	v_alignbit_b32 v53, v54, v53, 30
	v_xor_b32_e32 v52, v52, v62
	v_sub_u32_e32 v56, 32, v55
	v_xor_b32_e32 v53, v53, v62
	v_alignbit_b32 v57, v63, v52, v56
	v_alignbit_b32 v52, v52, v53, v56
	;; [unrolled: 1-line block ×3, first 2 shown]
	v_ffbh_u32_e32 v54, v53
	v_min_u32_e32 v54, 32, v54
	v_lshrrev_b32_e32 v60, 29, v0
	v_sub_u32_e32 v56, 31, v54
	v_alignbit_b32 v52, v53, v52, v56
	v_lshlrev_b32_e32 v53, 31, v60
	v_or_b32_e32 v56, 0x33800000, v53
	v_add_lshl_u32 v54, v54, v55, 23
	v_lshrrev_b32_e32 v52, 9, v52
	v_sub_u32_e32 v54, v56, v54
	v_or_b32_e32 v52, v54, v52
	v_alignbit_b32 v54, v55, v57, 9
	v_or_b32_e32 v53, v54, v53
	v_xor_b32_e32 v53, 1.0, v53
	v_mul_f32_e32 v54, 0x3fc90fda, v53
	v_fma_f32 v55, v53, s63, -v54
	v_fmac_f32_e32 v55, 0x33a22168, v53
	v_fmac_f32_e32 v55, 0x3fc90fda, v52
	v_lshrrev_b32_e32 v0, 30, v0
	v_add_f32_e32 v54, v54, v55
	v_add_u32_e32 v0, v61, v0
                                        ; implicit-def: $vgpr55
	s_andn2_saveexec_b64 s[8:9], s[46:47]
	s_cbranch_execnz .LBB347_234
	s_branch .LBB347_235
.LBB347_233:                            ;   in Loop: Header=BB347_191 Depth=3
	s_andn2_saveexec_b64 s[8:9], s[46:47]
.LBB347_234:                            ;   in Loop: Header=BB347_191 Depth=3
	v_cvt_i32_f32_e32 v0, v55
	v_fma_f32 v54, v55, s65, |v15|
	v_fmac_f32_e32 v54, 0xb3a22168, v55
	v_fmac_f32_e32 v54, 0xa7c234c4, v55
.LBB347_235:                            ;   in Loop: Header=BB347_191 Depth=3
	s_or_b64 exec, exec, s[8:9]
	v_mul_f32_e32 v53, v9, v9
	v_mov_b32_e32 v55, 0x3c0881c4
	v_fmac_f32_e32 v55, 0xb94c1982, v53
	v_fma_f32 v55, v53, v55, v25
	v_mul_f32_e32 v55, v53, v55
	v_fmac_f32_e32 v9, v9, v55
	v_mov_b32_e32 v55, 0xbab64f3b
	v_fmac_f32_e32 v55, 0x37d75334, v53
	v_fma_f32 v55, v53, v55, v26
	v_lshlrev_b32_e32 v52, 30, v14
	v_and_b32_e32 v14, 1, v14
	v_fma_f32 v55, v53, v55, v27
	v_and_b32_e32 v52, 0x80000000, v52
	v_fma_f32 v53, v53, v55, 1.0
	v_cmp_eq_u32_e32 vcc, 0, v14
	v_xor_b32_e32 v7, v7, v19
	v_cndmask_b32_e32 v9, v53, v9, vcc
	v_xor_b32_e32 v7, v7, v52
	v_xor_b32_e32 v7, v7, v9
	v_mul_f32_e32 v9, v18, v18
	v_mov_b32_e32 v14, 0x3c0881c4
	v_fmac_f32_e32 v14, 0xb94c1982, v9
	v_fma_f32 v14, v9, v14, v25
	v_mul_f32_e32 v14, v9, v14
	v_fmac_f32_e32 v18, v18, v14
	v_mov_b32_e32 v14, 0xbab64f3b
	v_fmac_f32_e32 v14, 0x37d75334, v9
	v_fma_f32 v14, v9, v14, v26
	v_fma_f32 v14, v9, v14, v27
	v_fma_f32 v9, v9, v14, 1.0
	v_and_b32_e32 v14, 1, v16
	v_cmp_eq_u32_e64 s[8:9], 0, v14
	v_cmp_class_f32_e64 vcc, v17, s51
	v_cndmask_b32_e64 v9, -v18, v9, s[8:9]
	v_mul_f32_e32 v17, v21, v21
	v_mov_b32_e32 v18, 0x3c0881c4
	v_fmac_f32_e32 v18, 0xb94c1982, v17
	v_lshlrev_b32_e32 v14, 30, v16
	v_fma_f32 v18, v17, v18, v25
	v_and_b32_e32 v14, 0x80000000, v14
	v_mul_f32_e32 v18, v17, v18
	v_xor_b32_e32 v9, v14, v9
	v_fmac_f32_e32 v21, v21, v18
	v_mov_b32_e32 v18, 0xbab64f3b
	v_cndmask_b32_e32 v9, v38, v9, vcc
	v_fmac_f32_e32 v18, 0x37d75334, v17
	v_cndmask_b32_e32 v7, v38, v7, vcc
	v_mul_f32_e32 v14, 0x7f800000, v9
	v_cmp_neq_f32_e32 vcc, 0, v9
	v_fma_f32 v18, v17, v18, v26
	v_cndmask_b32_e32 v9, 0, v14, vcc
	v_mul_f32_e32 v14, 0x7f800000, v7
	v_cmp_neq_f32_e32 vcc, 0, v7
	v_and_b32_e32 v16, 1, v51
	v_fma_f32 v18, v17, v18, v27
	v_cndmask_b32_e32 v7, 0, v14, vcc
	v_lshlrev_b32_e32 v14, 30, v51
	v_fma_f32 v17, v17, v18, 1.0
	v_cmp_eq_u32_e32 vcc, 0, v16
	v_and_b32_e32 v14, 0x80000000, v14
	v_cndmask_b32_e32 v16, v17, v21, vcc
	v_xor_b32_e32 v17, v20, v15
	v_xor_b32_e32 v14, v17, v14
	;; [unrolled: 1-line block ×3, first 2 shown]
	v_cmp_class_f32_e64 vcc, v15, s51
	v_mul_f32_e32 v15, v54, v54
	v_mov_b32_e32 v16, 0x3c0881c4
	v_fmac_f32_e32 v16, 0xb94c1982, v15
	v_fma_f32 v16, v15, v16, v25
	v_mul_f32_e32 v16, v15, v16
	v_fmac_f32_e32 v54, v54, v16
	v_mov_b32_e32 v16, 0xbab64f3b
	v_fmac_f32_e32 v16, 0x37d75334, v15
	v_fma_f32 v16, v15, v16, v26
	v_fma_f32 v16, v15, v16, v27
	v_fma_f32 v15, v15, v16, 1.0
	v_and_b32_e32 v16, 1, v0
	v_cmp_eq_u32_e64 s[8:9], 0, v16
	v_lshlrev_b32_e32 v0, 30, v0
	v_cndmask_b32_e64 v15, -v54, v15, s[8:9]
	v_and_b32_e32 v0, 0x80000000, v0
	v_xor_b32_e32 v0, v0, v15
	v_cndmask_b32_e32 v0, v38, v0, vcc
	v_cndmask_b32_e32 v14, v38, v14, vcc
	v_mul_f32_e32 v15, 0x7f800000, v0
	v_cmp_neq_f32_e32 vcc, 0, v0
	v_cndmask_b32_e32 v0, 0, v15, vcc
	v_mul_f32_e32 v15, 0x7f800000, v14
	v_cmp_neq_f32_e32 vcc, 0, v14
	v_cndmask_b32_e32 v14, 0, v15, vcc
	v_add_f32_e32 v9, v9, v0
	v_add_f32_e32 v0, v7, v14
	v_add_f32_e32 v16, -1.0, v9
	v_max_f32_e64 v7, |v16|, |v0|
	v_cvt_f64_f32_e32 v[14:15], v7
	v_frexp_exp_i32_f64_e32 v9, v[14:15]
	v_sub_u32_e32 v14, 0, v9
	v_ldexp_f32 v15, |v16|, v14
	v_ldexp_f32 v14, |v0|, v14
	v_mul_f32_e32 v14, v14, v14
	v_fmac_f32_e32 v14, v15, v15
	v_sqrt_f32_e32 v14, v14
	v_cmp_eq_f32_e32 vcc, s69, v7
	v_add_f32_e32 v7, 1.0, v16
	v_ldexp_f32 v9, v14, v9
	v_cmp_ngt_f32_e64 s[8:9], 0.5, v9
	v_max_f32_e64 v14, |v7|, |v0|
	s_or_b64 s[8:9], vcc, s[8:9]
	s_and_saveexec_b64 s[10:11], s[8:9]
	s_xor_b64 s[10:11], exec, s[10:11]
	s_cbranch_execz .LBB347_237
; %bb.236:                              ;   in Loop: Header=BB347_191 Depth=3
	v_cvt_f64_f32_e32 v[16:17], v14
	v_frexp_exp_i32_f64_e32 v9, v[16:17]
	v_sub_u32_e32 v15, 0, v9
	v_ldexp_f32 v16, |v7|, v15
	v_ldexp_f32 v15, |v0|, v15
	v_mul_f32_e32 v15, v15, v15
	v_fmac_f32_e32 v15, v16, v16
	v_sqrt_f32_e32 v15, v15
	v_cmp_neq_f32_e32 vcc, s69, v14
	v_ldexp_f32 v9, v15, v9
	v_cndmask_b32_e32 v9, v37, v9, vcc
	v_cmp_gt_f32_e32 vcc, s54, v9
	v_cndmask_b32_e32 v15, 1.0, v39, vcc
	v_mul_f32_e32 v9, v9, v15
	v_log_f32_e32 v9, v9
	v_mul_f32_e32 v15, 0x3f317217, v9
	v_fma_f32 v16, v9, s70, -v15
	v_fmac_f32_e32 v16, 0x3377d1cf, v9
	v_add_f32_e32 v15, v15, v16
	v_cmp_lt_f32_e64 s[8:9], |v9|, s69
	v_cndmask_b32_e64 v9, v9, v15, s[8:9]
	v_cndmask_b32_e32 v15, 0, v40, vcc
	v_sub_f32_e32 v16, v9, v15
.LBB347_237:                            ;   in Loop: Header=BB347_191 Depth=3
	s_andn2_saveexec_b64 s[8:9], s[10:11]
	s_cbranch_execz .LBB347_186
; %bb.238:                              ;   in Loop: Header=BB347_191 Depth=3
	v_add_f32_e32 v9, 2.0, v16
	v_mul_f32_e32 v15, v16, v9
	v_fmac_f32_e32 v15, v0, v0
	v_cmp_neq_f32_e32 vcc, 0, v15
	s_and_saveexec_b64 s[10:11], vcc
	s_cbranch_execz .LBB347_185
; %bb.239:                              ;   in Loop: Header=BB347_191 Depth=3
	v_add_f32_e32 v9, 1.0, v15
	v_add_f32_e32 v16, -1.0, v9
	v_sub_f32_e32 v17, v16, v9
	v_add_f32_e32 v17, 1.0, v17
	v_sub_f32_e32 v16, v15, v16
	v_add_f32_e32 v18, v16, v17
	v_frexp_mant_f32_e32 v19, v9
	v_cvt_f64_f32_e32 v[16:17], v9
	v_frexp_exp_i32_f64_e32 v16, v[16:17]
	v_cmp_gt_f32_e32 vcc, s71, v19
	v_subbrev_co_u32_e32 v51, vcc, 0, v16, vcc
	v_sub_u32_e32 v16, 0, v51
	v_ldexp_f32 v9, v9, v16
	v_ldexp_f32 v16, v18, v16
	v_add_f32_e32 v18, -1.0, v9
	v_add_f32_e32 v17, 1.0, v18
	v_sub_f32_e32 v17, v9, v17
	v_add_f32_e32 v19, v16, v17
	v_add_f32_e32 v17, 1.0, v9
	v_add_f32_e32 v20, -1.0, v17
	v_sub_f32_e32 v9, v9, v20
	v_add_f32_e32 v9, v16, v9
	v_add_f32_e32 v54, v17, v9
	v_rcp_f32_e32 v55, v54
	v_sub_f32_e32 v16, v54, v17
	v_add_f32_e32 v17, v18, v19
	v_sub_f32_e32 v9, v9, v16
	v_mul_f32_e32 v57, v17, v55
	v_sub_f32_e32 v16, v17, v18
	v_mul_f32_e32 v18, v54, v57
	v_fma_f32 v20, v57, v54, -v18
	v_fmac_f32_e32 v20, v57, v9
	v_sub_f32_e32 v56, v19, v16
	v_add_f32_e32 v16, v18, v20
	v_sub_f32_e32 v19, v17, v16
	v_pk_add_f32 v[52:53], v[16:17], v[18:19] neg_lo:[0,1] neg_hi:[0,1]
	v_mov_b32_e32 v21, v16
	v_pk_add_f32 v[16:17], v[52:53], v[20:21] neg_lo:[0,1] neg_hi:[0,1]
	v_add_f32_e32 v17, v56, v17
	v_add_f32_e32 v16, v16, v17
	;; [unrolled: 1-line block ×3, first 2 shown]
	v_mul_f32_e32 v56, v55, v17
	v_mul_f32_e32 v18, v54, v56
	v_fma_f32 v20, v56, v54, -v18
	v_fmac_f32_e32 v20, v56, v9
	v_sub_f32_e32 v9, v19, v17
	v_add_f32_e32 v9, v16, v9
	v_add_f32_e32 v16, v18, v20
	v_sub_f32_e32 v19, v17, v16
	v_pk_add_f32 v[52:53], v[16:17], v[18:19] neg_lo:[0,1] neg_hi:[0,1]
	v_mov_b32_e32 v21, v16
	v_pk_add_f32 v[16:17], v[52:53], v[20:21] neg_lo:[0,1] neg_hi:[0,1]
	v_add_f32_e32 v9, v9, v17
	v_add_f32_e32 v9, v16, v9
	;; [unrolled: 1-line block ×4, first 2 shown]
	v_sub_f32_e32 v16, v17, v57
	v_mul_f32_e32 v9, v55, v9
	v_sub_f32_e32 v16, v56, v16
	v_add_f32_e32 v18, v16, v9
	v_add_f32_e32 v20, v17, v18
	v_cvt_f32_i32_e32 v16, v51
	v_mul_f32_e32 v21, v20, v20
	v_mov_b32_e32 v9, 0x3ecc95a3
	v_sub_f32_e32 v17, v20, v17
	v_fmac_f32_e32 v9, 0x3e9b6dac, v21
	v_sub_f32_e32 v17, v18, v17
	v_fma_f32 v9, v21, v9, v28
	v_ldexp_f32 v51, v17, 1
	v_mul_f32_e32 v17, v20, v21
	v_ldexp_f32 v19, v20, 1
	v_pk_mul_f32 v[20:21], v[16:17], v[8:9]
	v_fma_f32 v18, v16, s72, -v20
	v_fmac_f32_e32 v18, 0xb102e308, v16
	v_pk_add_f32 v[16:17], v[20:21], v[18:19]
	v_sub_f32_e32 v9, v17, v19
	v_sub_f32_e32 v9, v21, v9
	v_add_f32_e32 v53, v51, v9
	v_mov_b32_e32 v52, v20
	v_pk_add_f32 v[20:21], v[16:17], v[20:21] neg_lo:[0,1] neg_hi:[0,1]
	v_pk_add_f32 v[54:55], v[16:17], v[52:53]
	v_mov_b32_e32 v21, v55
	v_mov_b32_e32 v19, v16
	v_pk_add_f32 v[56:57], v[18:19], v[20:21] neg_lo:[0,1] neg_hi:[0,1]
	v_pk_add_f32 v[18:19], v[18:19], v[20:21]
	v_mov_b32_e32 v20, v19
	v_pk_add_f32 v[58:59], v[20:21], v[16:17] neg_lo:[0,1] neg_hi:[0,1]
	v_mov_b32_e32 v9, v58
	v_pk_add_f32 v[60:61], v[54:55], v[8:9] neg_lo:[0,1] neg_hi:[0,1]
	v_mov_b32_e32 v18, v55
	v_mov_b32_e32 v54, v17
	;; [unrolled: 1-line block ×4, first 2 shown]
	v_pk_add_f32 v[18:19], v[18:19], v[54:55] neg_lo:[0,1] neg_hi:[0,1]
	v_mov_b32_e32 v52, v53
	v_mov_b32_e32 v53, v16
	v_pk_add_f32 v[16:17], v[52:53], v[18:19] neg_lo:[0,1] neg_hi:[0,1]
	v_mov_b32_e32 v60, v56
	v_pk_add_f32 v[18:19], v[60:61], v[16:17]
	v_mov_b32_e32 v52, v19
	v_pk_add_f32 v[52:53], v[18:19], v[52:53]
	v_pk_add_f32 v[20:21], v[20:21], v[52:53]
	v_mov_b32_e32 v19, v20
	v_pk_add_f32 v[54:55], v[18:19], v[56:57] neg_lo:[0,1] neg_hi:[0,1]
	v_mov_b32_e32 v17, v52
	v_sub_f32_e32 v9, v18, v54
	v_pk_add_f32 v[16:17], v[16:17], v[54:55] neg_lo:[0,1] neg_hi:[0,1]
	v_sub_f32_e32 v9, v56, v9
	v_add_f32_e32 v9, v16, v9
	v_add_f32_e32 v9, v9, v17
	;; [unrolled: 1-line block ×3, first 2 shown]
	v_cmp_eq_f32_e32 vcc, s69, v15
	v_cndmask_b32_e32 v9, v9, v15, vcc
	v_cmp_ngt_f32_e32 vcc, -1.0, v15
	v_cndmask_b32_e32 v9, v38, v9, vcc
	v_cmp_neq_f32_e32 vcc, -1.0, v15
	v_cndmask_b32_e32 v9, v41, v9, vcc
	v_cmp_lt_f32_e64 vcc, |v15|, s62
	v_cndmask_b32_e32 v9, v9, v15, vcc
	v_mul_f32_e32 v16, 0.5, v9
	s_branch .LBB347_185
.LBB347_240:                            ;   in Loop: Header=BB347_129 Depth=2
	s_or_b64 exec, exec, s[36:37]
	s_and_saveexec_b64 s[8:9], s[4:5]
	s_cbranch_execz .LBB347_128
; %bb.241:                              ;   in Loop: Header=BB347_129 Depth=2
	v_cmp_gt_u64_e32 vcc, s[30:31], v[12:13]
	s_and_saveexec_b64 s[10:11], vcc
	s_cbranch_execz .LBB347_243
; %bb.242:                              ;   in Loop: Header=BB347_129 Depth=2
	ds_read_b64 v[14:15], v22
	v_lshlrev_b64 v[12:13], 3, v[12:13]
	v_add_co_u32_e32 v12, vcc, v47, v12
	v_addc_co_u32_e32 v13, vcc, v48, v13, vcc
	s_waitcnt lgkmcnt(0)
	global_store_dwordx2 v[12:13], v[14:15], off
.LBB347_243:                            ;   in Loop: Header=BB347_129 Depth=2
	s_or_b64 exec, exec, s[10:11]
	v_cmp_gt_u64_e32 vcc, s[30:31], v[10:11]
	s_and_b64 exec, exec, vcc
	s_cbranch_execz .LBB347_128
; %bb.244:                              ;   in Loop: Header=BB347_129 Depth=2
	ds_read_b64 v[12:13], v23
	v_lshlrev_b64 v[10:11], 3, v[10:11]
	v_add_co_u32_e32 v10, vcc, v47, v10
	v_addc_co_u32_e32 v11, vcc, v48, v11, vcc
	s_waitcnt lgkmcnt(0)
	global_store_dwordx2 v[10:11], v[12:13], off
	s_branch .LBB347_128
.LBB347_245:
	s_endpgm
	.section	.rodata,"a",@progbits
	.p2align	6, 0x0
	.amdhsa_kernel _ZN2at6native32tensor_kernel_scan_innermost_dimIN3c107complexIfEEZZZNS0_31launch_logcumsumexp_cuda_kernelERKNS_10TensorBaseES7_lENKUlvE_clEvENKUlvE2_clEvEUlS4_S4_E_EEvPT_PKSB_jjjSB_T0_
		.amdhsa_group_segment_fixed_size 0
		.amdhsa_private_segment_fixed_size 0
		.amdhsa_kernarg_size 304
		.amdhsa_user_sgpr_count 6
		.amdhsa_user_sgpr_private_segment_buffer 1
		.amdhsa_user_sgpr_dispatch_ptr 0
		.amdhsa_user_sgpr_queue_ptr 0
		.amdhsa_user_sgpr_kernarg_segment_ptr 1
		.amdhsa_user_sgpr_dispatch_id 0
		.amdhsa_user_sgpr_flat_scratch_init 0
		.amdhsa_user_sgpr_kernarg_preload_length 0
		.amdhsa_user_sgpr_kernarg_preload_offset 0
		.amdhsa_user_sgpr_private_segment_size 0
		.amdhsa_uses_dynamic_stack 0
		.amdhsa_system_sgpr_private_segment_wavefront_offset 0
		.amdhsa_system_sgpr_workgroup_id_x 1
		.amdhsa_system_sgpr_workgroup_id_y 0
		.amdhsa_system_sgpr_workgroup_id_z 0
		.amdhsa_system_sgpr_workgroup_info 0
		.amdhsa_system_vgpr_workitem_id 1
		.amdhsa_next_free_vgpr 68
		.amdhsa_next_free_sgpr 74
		.amdhsa_accum_offset 68
		.amdhsa_reserve_vcc 1
		.amdhsa_reserve_flat_scratch 0
		.amdhsa_float_round_mode_32 0
		.amdhsa_float_round_mode_16_64 0
		.amdhsa_float_denorm_mode_32 3
		.amdhsa_float_denorm_mode_16_64 3
		.amdhsa_dx10_clamp 1
		.amdhsa_ieee_mode 1
		.amdhsa_fp16_overflow 0
		.amdhsa_tg_split 0
		.amdhsa_exception_fp_ieee_invalid_op 0
		.amdhsa_exception_fp_denorm_src 0
		.amdhsa_exception_fp_ieee_div_zero 0
		.amdhsa_exception_fp_ieee_overflow 0
		.amdhsa_exception_fp_ieee_underflow 0
		.amdhsa_exception_fp_ieee_inexact 0
		.amdhsa_exception_int_div_zero 0
	.end_amdhsa_kernel
	.section	.text._ZN2at6native32tensor_kernel_scan_innermost_dimIN3c107complexIfEEZZZNS0_31launch_logcumsumexp_cuda_kernelERKNS_10TensorBaseES7_lENKUlvE_clEvENKUlvE2_clEvEUlS4_S4_E_EEvPT_PKSB_jjjSB_T0_,"axG",@progbits,_ZN2at6native32tensor_kernel_scan_innermost_dimIN3c107complexIfEEZZZNS0_31launch_logcumsumexp_cuda_kernelERKNS_10TensorBaseES7_lENKUlvE_clEvENKUlvE2_clEvEUlS4_S4_E_EEvPT_PKSB_jjjSB_T0_,comdat
.Lfunc_end347:
	.size	_ZN2at6native32tensor_kernel_scan_innermost_dimIN3c107complexIfEEZZZNS0_31launch_logcumsumexp_cuda_kernelERKNS_10TensorBaseES7_lENKUlvE_clEvENKUlvE2_clEvEUlS4_S4_E_EEvPT_PKSB_jjjSB_T0_, .Lfunc_end347-_ZN2at6native32tensor_kernel_scan_innermost_dimIN3c107complexIfEEZZZNS0_31launch_logcumsumexp_cuda_kernelERKNS_10TensorBaseES7_lENKUlvE_clEvENKUlvE2_clEvEUlS4_S4_E_EEvPT_PKSB_jjjSB_T0_
                                        ; -- End function
	.section	.AMDGPU.csdata,"",@progbits
; Kernel info:
; codeLenInByte = 30952
; NumSgprs: 78
; NumVgprs: 68
; NumAgprs: 0
; TotalNumVgprs: 68
; ScratchSize: 0
; MemoryBound: 0
; FloatMode: 240
; IeeeMode: 1
; LDSByteSize: 0 bytes/workgroup (compile time only)
; SGPRBlocks: 9
; VGPRBlocks: 8
; NumSGPRsForWavesPerEU: 78
; NumVGPRsForWavesPerEU: 68
; AccumOffset: 68
; Occupancy: 7
; WaveLimiterHint : 0
; COMPUTE_PGM_RSRC2:SCRATCH_EN: 0
; COMPUTE_PGM_RSRC2:USER_SGPR: 6
; COMPUTE_PGM_RSRC2:TRAP_HANDLER: 0
; COMPUTE_PGM_RSRC2:TGID_X_EN: 1
; COMPUTE_PGM_RSRC2:TGID_Y_EN: 0
; COMPUTE_PGM_RSRC2:TGID_Z_EN: 0
; COMPUTE_PGM_RSRC2:TIDIG_COMP_CNT: 1
; COMPUTE_PGM_RSRC3_GFX90A:ACCUM_OFFSET: 16
; COMPUTE_PGM_RSRC3_GFX90A:TG_SPLIT: 0
	.section	.text._ZN2at6native28tensor_kernel_scan_outer_dimIN3c107complexIfEEjZZZNS0_31launch_logcumsumexp_cuda_kernelERKNS_10TensorBaseES7_lENKUlvE_clEvENKUlvE2_clEvEUlS4_S4_E_EEvPT_PKSB_jjjSB_T1_,"axG",@progbits,_ZN2at6native28tensor_kernel_scan_outer_dimIN3c107complexIfEEjZZZNS0_31launch_logcumsumexp_cuda_kernelERKNS_10TensorBaseES7_lENKUlvE_clEvENKUlvE2_clEvEUlS4_S4_E_EEvPT_PKSB_jjjSB_T1_,comdat
	.globl	_ZN2at6native28tensor_kernel_scan_outer_dimIN3c107complexIfEEjZZZNS0_31launch_logcumsumexp_cuda_kernelERKNS_10TensorBaseES7_lENKUlvE_clEvENKUlvE2_clEvEUlS4_S4_E_EEvPT_PKSB_jjjSB_T1_ ; -- Begin function _ZN2at6native28tensor_kernel_scan_outer_dimIN3c107complexIfEEjZZZNS0_31launch_logcumsumexp_cuda_kernelERKNS_10TensorBaseES7_lENKUlvE_clEvENKUlvE2_clEvEUlS4_S4_E_EEvPT_PKSB_jjjSB_T1_
	.p2align	8
	.type	_ZN2at6native28tensor_kernel_scan_outer_dimIN3c107complexIfEEjZZZNS0_31launch_logcumsumexp_cuda_kernelERKNS_10TensorBaseES7_lENKUlvE_clEvENKUlvE2_clEvEUlS4_S4_E_EEvPT_PKSB_jjjSB_T1_,@function
_ZN2at6native28tensor_kernel_scan_outer_dimIN3c107complexIfEEjZZZNS0_31launch_logcumsumexp_cuda_kernelERKNS_10TensorBaseES7_lENKUlvE_clEvENKUlvE2_clEvEUlS4_S4_E_EEvPT_PKSB_jjjSB_T1_: ; @_ZN2at6native28tensor_kernel_scan_outer_dimIN3c107complexIfEEjZZZNS0_31launch_logcumsumexp_cuda_kernelERKNS_10TensorBaseES7_lENKUlvE_clEvENKUlvE2_clEvEUlS4_S4_E_EEvPT_PKSB_jjjSB_T1_
; %bb.0:
	s_load_dwordx4 s[12:15], s[4:5], 0x10
	s_waitcnt lgkmcnt(0)
	s_cmp_ge_u32 s6, s12
	s_cbranch_scc1 .LBB348_57
; %bb.1:
	s_load_dword s15, s[4:5], 0x30
	s_load_dword s0, s[4:5], 0x3c
	s_load_dwordx4 s[16:19], s[4:5], 0x0
	s_load_dwordx2 s[20:21], s[4:5], 0x20
	s_add_u32 s22, s4, 48
	s_addc_u32 s23, s5, 0
	s_waitcnt lgkmcnt(0)
	s_and_b32 s33, s0, 0xffff
	s_cmp_lg_u32 s14, 0
	s_mul_i32 s2, s6, s14
	s_mul_i32 s7, s7, s33
	;; [unrolled: 1-line block ×3, first 2 shown]
	s_cselect_b64 s[2:3], -1, 0
	v_add_u32_e32 v9, s7, v0
	s_mov_b32 s25, 0
	s_mov_b32 s24, s13
	s_mul_i32 s7, s15, s14
	v_cndmask_b32_e64 v0, 0, 1, s[2:3]
	v_cmp_gt_u32_e64 s[0:1], s13, v9
	s_mul_i32 s7, s7, s13
	s_lshl_b64 s[26:27], s[24:25], 3
	v_cmp_ne_u32_e64 s[2:3], 1, v0
	v_mov_b32_e32 v1, 0
	s_mov_b32 s28, 0x7fc00000
	s_movk_i32 s48, 0x1f8
	s_brev_b32 s49, -2
	s_brev_b32 s50, 18
	s_mov_b32 s51, 0x800000
	s_mov_b32 s52, 0xfe5163ab
	;; [unrolled: 1-line block ×16, first 2 shown]
	v_mov_b32_e32 v18, 0xbe2aaa9d
	v_mov_b32_e32 v19, 0x3d2aabf7
	;; [unrolled: 1-line block ×3, first 2 shown]
	v_mov_b32_e32 v2, 1.0
	s_mov_b32 s67, 0x3f317217
	s_mov_b32 s68, 0x3f2aaaab
	v_mov_b32_e32 v21, 0x3f2aaada
	s_mov_b32 s69, 0x3f317218
	s_movk_i32 s70, 0x204
	v_mov_b32_e32 v22, 0x3d29fb3f
	v_mov_b32_e32 v23, 0xbd97d4d7
	;; [unrolled: 1-line block ×6, first 2 shown]
	v_not_b32_e32 v28, 63
	v_not_b32_e32 v29, 31
	v_mov_b32_e32 v30, 0x7f800000
	v_mov_b32_e32 v31, 0x7fc00000
	;; [unrolled: 1-line block ×9, first 2 shown]
	s_mov_b32 s24, s4
	s_branch .LBB348_3
.LBB348_2:                              ;   in Loop: Header=BB348_3 Depth=1
	s_or_b64 exec, exec, s[30:31]
	s_add_i32 s6, s15, s6
	s_add_i32 s24, s24, s7
	s_cmp_ge_u32 s6, s12
	s_cbranch_scc1 .LBB348_57
.LBB348_3:                              ; =>This Loop Header: Depth=1
                                        ;     Child Loop BB348_6 Depth 2
                                        ;       Child Loop BB348_13 Depth 3
	s_and_saveexec_b64 s[30:31], s[0:1]
	s_cbranch_execz .LBB348_2
; %bb.4:                                ;   in Loop: Header=BB348_3 Depth=1
	s_load_dword s71, s[22:23], 0x4
	s_lshl_b64 s[34:35], s[24:25], 3
	s_mov_b64 s[36:37], 0
	v_mov_b32_e32 v6, v9
	s_waitcnt lgkmcnt(0)
	s_mul_i32 s71, s71, s33
	s_branch .LBB348_6
.LBB348_5:                              ;   in Loop: Header=BB348_6 Depth=2
	v_add_u32_e32 v6, s71, v6
	v_cmp_le_u32_e32 vcc, s13, v6
	s_or_b64 s[36:37], vcc, s[36:37]
	s_andn2_b64 exec, exec, s[36:37]
	s_cbranch_execz .LBB348_2
.LBB348_6:                              ;   Parent Loop BB348_3 Depth=1
                                        ; =>  This Loop Header: Depth=2
                                        ;       Child Loop BB348_13 Depth 3
	s_and_b64 vcc, exec, s[2:3]
	s_cbranch_vccnz .LBB348_5
; %bb.7:                                ;   in Loop: Header=BB348_6 Depth=2
	v_mov_b32_e32 v7, v1
	v_lshlrev_b64 v[10:11], 3, v[6:7]
	v_mov_b32_e32 v0, s35
	v_add_co_u32_e32 v8, vcc, s34, v10
	v_addc_co_u32_e32 v7, vcc, v0, v11, vcc
	v_pk_mov_b32 v[16:17], s[20:21], s[20:21] op_sel:[0,1]
	s_mov_b32 s72, s14
	s_branch .LBB348_13
.LBB348_8:                              ;   in Loop: Header=BB348_13 Depth=3
	s_or_b64 exec, exec, s[8:9]
.LBB348_9:                              ;   in Loop: Header=BB348_13 Depth=3
	s_or_b64 exec, exec, s[4:5]
	v_max_f32_e64 v13, |v0|, |v0|
	v_max_f32_e64 v14, |v3|, |v3|
	v_min_f32_e32 v13, v14, v13
	v_frexp_mant_f32_e32 v14, v10
	v_rcp_f32_e32 v14, v14
	v_frexp_exp_i32_f32_e32 v10, v10
	v_frexp_exp_i32_f32_e32 v15, v13
	v_frexp_mant_f32_e32 v13, v13
	v_mul_f32_e32 v13, v13, v14
	v_sub_u32_e32 v10, v15, v10
	v_ldexp_f32 v10, v13, v10
	v_mul_f32_e32 v13, v10, v10
	v_mov_b32_e32 v14, 0xbc7a590c
	v_fmac_f32_e32 v14, 0x3b2d2a58, v13
	v_fma_f32 v14, v13, v14, v22
	v_fma_f32 v14, v13, v14, v23
	;; [unrolled: 1-line block ×6, first 2 shown]
	v_mul_f32_e32 v13, v13, v14
	v_cmp_gt_i32_e64 s[4:5], 0, v3
	v_fmac_f32_e32 v10, v10, v13
	v_cndmask_b32_e64 v11, 0, v37, s[4:5]
	v_sub_f32_e32 v13, 0x3fc90fdb, v10
	v_cmp_gt_f32_e64 s[4:5], |v0|, |v3|
	v_cndmask_b32_e64 v10, v10, v13, s[4:5]
	v_cmp_gt_f32_e32 vcc, 0, v3
	v_sub_f32_e32 v13, 0x40490fdb, v10
	v_cmp_class_f32_e64 s[8:9], v0, s70
	v_cmp_class_f32_e64 s[10:11], v3, s70
	v_cndmask_b32_e32 v5, v35, v36, vcc
	v_cndmask_b32_e32 v10, v10, v13, vcc
	v_cmp_eq_f32_e32 vcc, 0, v0
	v_cndmask_b32_e32 v10, v10, v11, vcc
	s_and_b64 vcc, s[8:9], s[10:11]
	v_cndmask_b32_e32 v5, v10, v5, vcc
	v_cmp_o_f32_e32 vcc, v3, v0
	v_cndmask_b32_e32 v3, v31, v5, vcc
	v_bfi_b32 v13, s49, v3, v0
.LBB348_10:                             ;   in Loop: Header=BB348_13 Depth=3
	s_or_b64 exec, exec, s[42:43]
.LBB348_11:                             ;   in Loop: Header=BB348_13 Depth=3
	s_or_b64 exec, exec, s[40:41]
	v_pk_mov_b32 v[16:17], v[12:13], v[12:13] op_sel:[0,1]
.LBB348_12:                             ;   in Loop: Header=BB348_13 Depth=3
	s_or_b64 exec, exec, s[38:39]
	v_mov_b32_e32 v0, s17
	v_add_co_u32_e32 v10, vcc, s16, v8
	v_addc_co_u32_e32 v11, vcc, v0, v7, vcc
	v_mov_b32_e32 v0, s27
	s_add_i32 s72, s72, -1
	v_add_co_u32_e32 v8, vcc, s26, v8
	s_cmp_eq_u32 s72, 0
	v_addc_co_u32_e32 v7, vcc, v7, v0, vcc
	global_store_dwordx2 v[10:11], v[16:17], off
	s_cbranch_scc1 .LBB348_5
.LBB348_13:                             ;   Parent Loop BB348_3 Depth=1
                                        ;     Parent Loop BB348_6 Depth=2
                                        ; =>    This Inner Loop Header: Depth=3
	v_mov_b32_e32 v0, s19
	v_add_co_u32_e32 v10, vcc, s18, v8
	v_addc_co_u32_e32 v11, vcc, v0, v7, vcc
	global_load_dwordx2 v[10:11], v[10:11], off
	s_waitcnt vmcnt(0)
	v_cmp_o_f32_e32 vcc, v10, v10
	v_cmp_o_f32_e64 s[4:5], v11, v11
	v_mov_b32_e32 v15, v11
	s_and_b64 s[8:9], vcc, s[4:5]
	v_pk_mov_b32 v[12:13], v[10:11], v[10:11] op_sel:[0,1]
	s_and_saveexec_b64 s[10:11], s[8:9]
; %bb.14:                               ;   in Loop: Header=BB348_13 Depth=3
	v_cmp_u_f32_e32 vcc, v16, v16
	v_cmp_u_f32_e64 s[4:5], v17, v17
	s_or_b64 s[4:5], vcc, s[4:5]
	v_cmp_lt_f32_e32 vcc, v16, v10
	s_or_b64 vcc, s[4:5], vcc
	v_cndmask_b32_e32 v15, v11, v17, vcc
	v_cndmask_b32_e32 v14, v10, v16, vcc
	v_pk_mov_b32 v[12:13], v[14:15], v[14:15] op_sel:[0,1]
; %bb.15:                               ;   in Loop: Header=BB348_13 Depth=3
	s_or_b64 exec, exec, s[10:11]
	s_and_saveexec_b64 s[4:5], s[8:9]
	s_xor_b64 s[8:9], exec, s[4:5]
; %bb.16:                               ;   in Loop: Header=BB348_13 Depth=3
	v_cmp_u_f32_e32 vcc, v16, v16
	v_cmp_u_f32_e64 s[4:5], v17, v17
	s_or_b64 s[4:5], vcc, s[4:5]
	v_cmp_ge_f32_e32 vcc, v16, v10
	s_or_b64 vcc, s[4:5], vcc
	v_cndmask_b32_e32 v11, v11, v17, vcc
	v_cndmask_b32_e32 v10, v10, v16, vcc
; %bb.17:                               ;   in Loop: Header=BB348_13 Depth=3
	s_andn2_saveexec_b64 s[4:5], s[8:9]
	s_or_b64 exec, exec, s[4:5]
	v_cmp_o_f32_e32 vcc, v12, v12
	v_cmp_o_f32_e64 s[4:5], v13, v13
	s_mov_b32 s29, s28
	s_and_b64 s[4:5], vcc, s[4:5]
	v_pk_mov_b32 v[16:17], s[28:29], s[28:29] op_sel:[0,1]
	s_and_saveexec_b64 s[38:39], s[4:5]
	s_cbranch_execz .LBB348_12
; %bb.18:                               ;   in Loop: Header=BB348_13 Depth=3
	v_cmp_class_f32_e64 s[4:5], v12, s48
	v_cmp_neq_f32_e32 vcc, v10, v12
	s_or_b64 s[4:5], s[4:5], vcc
	s_and_saveexec_b64 s[8:9], s[4:5]
	s_xor_b64 s[40:41], exec, s[8:9]
	s_cbranch_execz .LBB348_34
; %bb.19:                               ;   in Loop: Header=BB348_13 Depth=3
	v_pk_add_f32 v[12:13], v[12:13], v[10:11] neg_lo:[0,1] neg_hi:[0,1]
	v_and_b32_e32 v3, 0x7fffffff, v13
	v_lshrrev_b32_e32 v0, 23, v3
	v_and_b32_e32 v5, 0x7fffff, v3
	v_cmp_nlt_f32_e64 s[42:43], |v13|, s50
	v_add_u32_e32 v16, 0xffffff88, v0
	v_or_b32_e32 v15, 0x800000, v5
                                        ; implicit-def: $vgpr5
                                        ; implicit-def: $vgpr14
	s_and_saveexec_b64 s[4:5], s[42:43]
	s_xor_b64 s[44:45], exec, s[4:5]
	s_cbranch_execz .LBB348_21
; %bb.20:                               ;   in Loop: Header=BB348_13 Depth=3
	v_cmp_lt_u32_e32 vcc, 63, v16
	v_cndmask_b32_e32 v0, 0, v28, vcc
	v_add_u32_e32 v0, v0, v16
	v_cmp_lt_u32_e64 s[4:5], 31, v0
	v_cndmask_b32_e64 v5, 0, v29, s[4:5]
	v_add_u32_e32 v0, v5, v0
	v_cmp_lt_u32_e64 s[8:9], 31, v0
	v_cndmask_b32_e64 v5, 0, v29, s[8:9]
	v_mad_u64_u32 v[38:39], s[10:11], v15, s52, 0
	v_add_u32_e32 v5, v5, v0
	v_mov_b32_e32 v0, v39
	v_mad_u64_u32 v[40:41], s[10:11], v15, s53, v[0:1]
	v_mov_b32_e32 v0, v41
	v_mad_u64_u32 v[42:43], s[10:11], v15, s54, v[0:1]
	;; [unrolled: 2-line block ×6, first 2 shown]
	v_cndmask_b32_e32 v14, v48, v44, vcc
	v_cndmask_b32_e32 v0, v50, v46, vcc
	;; [unrolled: 1-line block ×3, first 2 shown]
	v_cndmask_b32_e64 v17, v0, v14, s[4:5]
	v_cndmask_b32_e64 v0, v39, v0, s[4:5]
	v_cndmask_b32_e32 v39, v46, v42, vcc
	v_cndmask_b32_e64 v14, v14, v39, s[4:5]
	v_sub_u32_e32 v41, 32, v5
	v_cmp_eq_u32_e64 s[10:11], 0, v5
	v_cndmask_b32_e32 v5, v44, v40, vcc
	v_cndmask_b32_e64 v0, v0, v17, s[8:9]
	v_cndmask_b32_e64 v17, v17, v14, s[8:9]
	;; [unrolled: 1-line block ×3, first 2 shown]
	v_alignbit_b32 v43, v0, v17, v41
	v_cndmask_b32_e64 v14, v14, v39, s[8:9]
	v_cndmask_b32_e64 v0, v43, v0, s[10:11]
	v_alignbit_b32 v40, v17, v14, v41
	v_cndmask_b32_e32 v38, v42, v38, vcc
	v_cndmask_b32_e64 v17, v40, v17, s[10:11]
	v_bfe_u32 v44, v0, 29, 1
	v_cndmask_b32_e64 v5, v5, v38, s[4:5]
	v_alignbit_b32 v40, v0, v17, 30
	v_sub_u32_e32 v45, 0, v44
	v_cndmask_b32_e64 v5, v39, v5, s[8:9]
	v_xor_b32_e32 v46, v40, v45
	v_alignbit_b32 v38, v14, v5, v41
	v_cndmask_b32_e64 v14, v38, v14, s[10:11]
	v_ffbh_u32_e32 v38, v46
	v_add_u32_e32 v38, 1, v38
	v_cmp_ne_u32_e32 vcc, v40, v45
	v_alignbit_b32 v17, v17, v14, 30
	v_cndmask_b32_e32 v38, 33, v38, vcc
	v_alignbit_b32 v5, v14, v5, 30
	v_xor_b32_e32 v17, v17, v45
	v_sub_u32_e32 v39, 32, v38
	v_xor_b32_e32 v5, v5, v45
	v_alignbit_b32 v40, v46, v17, v39
	v_alignbit_b32 v5, v17, v5, v39
	;; [unrolled: 1-line block ×3, first 2 shown]
	v_ffbh_u32_e32 v17, v14
	v_min_u32_e32 v17, 32, v17
	v_lshrrev_b32_e32 v43, 29, v0
	v_sub_u32_e32 v39, 31, v17
	v_alignbit_b32 v5, v14, v5, v39
	v_lshlrev_b32_e32 v14, 31, v43
	v_or_b32_e32 v39, 0x33800000, v14
	v_add_lshl_u32 v17, v17, v38, 23
	v_lshrrev_b32_e32 v5, 9, v5
	v_sub_u32_e32 v17, v39, v17
	v_or_b32_e32 v5, v17, v5
	v_alignbit_b32 v17, v38, v40, 9
	v_or_b32_e32 v14, v17, v14
	v_xor_b32_e32 v14, 1.0, v14
	v_mul_f32_e32 v17, 0x3fc90fda, v14
	v_fma_f32 v38, v14, s60, -v17
	v_fmac_f32_e32 v38, 0x33a22168, v14
	v_fmac_f32_e32 v38, 0x3fc90fda, v5
	v_lshrrev_b32_e32 v0, 30, v0
	v_add_f32_e32 v14, v17, v38
	v_add_u32_e32 v5, v44, v0
.LBB348_21:                             ;   in Loop: Header=BB348_13 Depth=3
	s_or_saveexec_b64 s[4:5], s[44:45]
	v_mul_f32_e64 v0, |v13|, s61
	v_rndne_f32_e32 v38, v0
	s_xor_b64 exec, exec, s[4:5]
; %bb.22:                               ;   in Loop: Header=BB348_13 Depth=3
	v_cvt_i32_f32_e32 v5, v38
	v_fma_f32 v14, v38, s62, |v13|
	v_fmac_f32_e32 v14, 0xb3a22168, v38
	v_fmac_f32_e32 v14, 0xa7c234c4, v38
; %bb.23:                               ;   in Loop: Header=BB348_13 Depth=3
	s_or_b64 exec, exec, s[4:5]
                                        ; implicit-def: $vgpr0
                                        ; implicit-def: $vgpr17
	s_and_saveexec_b64 s[4:5], s[42:43]
	s_xor_b64 s[42:43], exec, s[4:5]
	s_cbranch_execz .LBB348_25
; %bb.24:                               ;   in Loop: Header=BB348_13 Depth=3
	v_cmp_lt_u32_e32 vcc, 63, v16
	v_cndmask_b32_e32 v0, 0, v28, vcc
	v_add_u32_e32 v0, v0, v16
	v_cmp_lt_u32_e64 s[4:5], 31, v0
	v_cndmask_b32_e64 v16, 0, v29, s[4:5]
	v_add_u32_e32 v0, v16, v0
	v_cmp_lt_u32_e64 s[8:9], 31, v0
	v_cndmask_b32_e64 v16, 0, v29, s[8:9]
	v_add_u32_e32 v50, v16, v0
	v_mad_u64_u32 v[16:17], s[10:11], v15, s52, 0
	v_mov_b32_e32 v0, v17
	v_mad_u64_u32 v[38:39], s[10:11], v15, s53, v[0:1]
	v_mov_b32_e32 v0, v39
	;; [unrolled: 2-line block ×6, first 2 shown]
	v_mad_u64_u32 v[48:49], s[10:11], v15, s58, v[0:1]
	v_cndmask_b32_e32 v17, v46, v42, vcc
	v_cndmask_b32_e32 v0, v48, v44, vcc
	;; [unrolled: 1-line block ×3, first 2 shown]
	v_cndmask_b32_e64 v15, v0, v17, s[4:5]
	v_cndmask_b32_e64 v0, v39, v0, s[4:5]
	v_cndmask_b32_e32 v39, v44, v40, vcc
	v_cndmask_b32_e64 v17, v17, v39, s[4:5]
	v_cndmask_b32_e32 v38, v42, v38, vcc
	v_cndmask_b32_e64 v0, v0, v15, s[8:9]
	v_cndmask_b32_e64 v15, v15, v17, s[8:9]
	v_sub_u32_e32 v41, 32, v50
	v_cndmask_b32_e64 v39, v39, v38, s[4:5]
	v_alignbit_b32 v43, v0, v15, v41
	v_cmp_eq_u32_e64 s[10:11], 0, v50
	v_cndmask_b32_e64 v17, v17, v39, s[8:9]
	v_cndmask_b32_e64 v0, v43, v0, s[10:11]
	v_alignbit_b32 v42, v15, v17, v41
	v_cndmask_b32_e32 v16, v40, v16, vcc
	v_cndmask_b32_e64 v15, v42, v15, s[10:11]
	v_bfe_u32 v44, v0, 29, 1
	v_cndmask_b32_e64 v16, v38, v16, s[4:5]
	v_alignbit_b32 v42, v0, v15, 30
	v_sub_u32_e32 v45, 0, v44
	v_cndmask_b32_e64 v16, v39, v16, s[8:9]
	v_xor_b32_e32 v46, v42, v45
	v_alignbit_b32 v38, v17, v16, v41
	v_cndmask_b32_e64 v17, v38, v17, s[10:11]
	v_ffbh_u32_e32 v38, v46
	v_add_u32_e32 v38, 1, v38
	v_cmp_ne_u32_e32 vcc, v42, v45
	v_alignbit_b32 v15, v15, v17, 30
	v_cndmask_b32_e32 v38, 33, v38, vcc
	v_alignbit_b32 v16, v17, v16, 30
	v_xor_b32_e32 v15, v15, v45
	v_sub_u32_e32 v39, 32, v38
	v_xor_b32_e32 v16, v16, v45
	v_alignbit_b32 v40, v46, v15, v39
	v_alignbit_b32 v15, v15, v16, v39
	;; [unrolled: 1-line block ×3, first 2 shown]
	v_ffbh_u32_e32 v17, v16
	v_min_u32_e32 v17, 32, v17
	v_lshrrev_b32_e32 v43, 29, v0
	v_sub_u32_e32 v39, 31, v17
	v_alignbit_b32 v15, v16, v15, v39
	v_lshlrev_b32_e32 v16, 31, v43
	v_or_b32_e32 v39, 0x33800000, v16
	v_add_lshl_u32 v17, v17, v38, 23
	v_lshrrev_b32_e32 v15, 9, v15
	v_sub_u32_e32 v17, v39, v17
	v_or_b32_e32 v15, v17, v15
	v_alignbit_b32 v17, v38, v40, 9
	v_or_b32_e32 v16, v17, v16
	v_xor_b32_e32 v16, 1.0, v16
	v_mul_f32_e32 v17, 0x3fc90fda, v16
	v_fma_f32 v38, v16, s60, -v17
	v_fmac_f32_e32 v38, 0x33a22168, v16
	v_fmac_f32_e32 v38, 0x3fc90fda, v15
	v_lshrrev_b32_e32 v0, 30, v0
	v_add_f32_e32 v17, v17, v38
	v_add_u32_e32 v0, v44, v0
                                        ; implicit-def: $vgpr38
	s_andn2_saveexec_b64 s[4:5], s[42:43]
	s_cbranch_execnz .LBB348_26
	s_branch .LBB348_27
.LBB348_25:                             ;   in Loop: Header=BB348_13 Depth=3
	s_andn2_saveexec_b64 s[4:5], s[42:43]
.LBB348_26:                             ;   in Loop: Header=BB348_13 Depth=3
	v_cvt_i32_f32_e32 v0, v38
	v_fma_f32 v17, v38, s62, |v13|
	v_fmac_f32_e32 v17, 0xb3a22168, v38
	v_fmac_f32_e32 v17, 0xa7c234c4, v38
.LBB348_27:                             ;   in Loop: Header=BB348_13 Depth=3
	s_or_b64 exec, exec, s[4:5]
	v_mul_f32_e32 v15, 0x3fb8aa3b, v12
	v_rndne_f32_e32 v16, v15
	v_sub_f32_e32 v38, v15, v16
	v_fma_f32 v15, v12, s63, -v15
	v_fmac_f32_e32 v15, 0x32a5705f, v12
	v_add_f32_e32 v15, v38, v15
	v_cvt_i32_f32_e32 v16, v16
	v_exp_f32_e32 v15, v15
	v_cmp_ngt_f32_e32 vcc, s64, v12
	v_and_b32_e32 v41, 1, v0
	v_lshlrev_b32_e32 v0, 30, v0
	v_ldexp_f32 v15, v15, v16
	v_cndmask_b32_e32 v15, 0, v15, vcc
	v_cmp_nlt_f32_e32 vcc, s65, v12
	v_cndmask_b32_e32 v12, v30, v15, vcc
	v_lshlrev_b32_e32 v15, 30, v5
	v_and_b32_e32 v40, 0x80000000, v15
	v_mul_f32_e32 v15, v17, v17
	v_mov_b32_e32 v16, 0x3c0881c4
	v_fmac_f32_e32 v16, 0xb94c1982, v15
	v_fma_f32 v39, v15, v16, v18
	v_mov_b32_e32 v16, 0xbab64f3b
	v_and_b32_e32 v0, 0x80000000, v0
	v_xor_b32_e32 v3, v3, v13
	v_mov_b32_e32 v38, v14
	v_fmac_f32_e32 v16, 0x37d75334, v15
	v_xor_b32_e32 v0, v3, v0
	v_pk_mul_f32 v[38:39], v[14:15], v[38:39]
	v_mov_b32_e32 v3, 0xbab64f3b
	v_fma_f32 v16, v15, v16, v19
	v_fmac_f32_e32 v3, 0x37d75334, v38
	v_fma_f32 v16, v15, v16, v20
	v_fma_f32 v3, v38, v3, v19
	v_fma_f32 v42, v15, v16, 1.0
	v_fma_f32 v16, v38, v3, v20
	v_mov_b32_e32 v3, 0x3c0881c4
	v_fmac_f32_e32 v3, 0xb94c1982, v38
	v_fma_f32 v3, v38, v3, v18
	v_mul_f32_e32 v3, v38, v3
	v_fmac_f32_e32 v14, v14, v3
	v_mov_b32_e32 v3, v17
	v_and_b32_e32 v5, 1, v5
	v_pk_fma_f32 v[16:17], v[38:39], v[16:17], v[2:3]
	v_cmp_eq_u32_e32 vcc, 0, v41
	v_cndmask_b32_e32 v3, v42, v17, vcc
	v_cmp_eq_u32_e32 vcc, 0, v5
	v_cndmask_b32_e64 v5, -v14, v16, vcc
	v_xor_b32_e32 v5, v40, v5
	v_xor_b32_e32 v0, v0, v3
	v_cmp_class_f32_e64 vcc, v13, s48
	v_cndmask_b32_e32 v15, v31, v0, vcc
	v_cndmask_b32_e32 v14, v31, v5, vcc
	v_pk_mul_f32 v[12:13], v[12:13], v[14:15] op_sel_hi:[0,1]
	v_max_f32_e64 v0, |v12|, |v13|
	v_cvt_f64_f32_e32 v[14:15], v0
	v_frexp_exp_i32_f64_e32 v3, v[14:15]
	v_sub_u32_e32 v5, 0, v3
	v_ldexp_f32 v14, |v12|, v5
	v_ldexp_f32 v5, |v13|, v5
	v_mul_f32_e32 v5, v5, v5
	v_fmac_f32_e32 v5, v14, v14
	v_sqrt_f32_e32 v5, v5
	v_cmp_eq_f32_e32 vcc, s66, v0
	v_add_f32_e32 v0, 1.0, v12
                                        ; implicit-def: $vgpr14
	v_ldexp_f32 v3, v5, v3
	v_cmp_ngt_f32_e64 s[4:5], 0.5, v3
	v_max_f32_e64 v3, |v0|, |v13|
	s_or_b64 s[4:5], vcc, s[4:5]
	s_and_saveexec_b64 s[8:9], s[4:5]
	s_xor_b64 s[8:9], exec, s[8:9]
	s_cbranch_execz .LBB348_29
; %bb.28:                               ;   in Loop: Header=BB348_13 Depth=3
	v_cvt_f64_f32_e32 v[14:15], v3
	v_frexp_exp_i32_f64_e32 v5, v[14:15]
	v_sub_u32_e32 v14, 0, v5
	v_ldexp_f32 v15, |v0|, v14
	v_ldexp_f32 v14, |v13|, v14
	v_mul_f32_e32 v14, v14, v14
	v_fmac_f32_e32 v14, v15, v15
	v_sqrt_f32_e32 v14, v14
	v_cmp_neq_f32_e32 vcc, s66, v3
	v_ldexp_f32 v5, v14, v5
	v_cndmask_b32_e32 v5, v30, v5, vcc
	v_cmp_gt_f32_e32 vcc, s51, v5
	v_cndmask_b32_e32 v14, 1.0, v32, vcc
	v_mul_f32_e32 v5, v5, v14
	v_log_f32_e32 v5, v5
	v_mul_f32_e32 v14, 0x3f317217, v5
	v_fma_f32 v15, v5, s67, -v14
	v_fmac_f32_e32 v15, 0x3377d1cf, v5
	v_add_f32_e32 v14, v14, v15
	v_cmp_lt_f32_e64 s[4:5], |v5|, s66
	v_cndmask_b32_e64 v5, v5, v14, s[4:5]
	v_cndmask_b32_e32 v14, 0, v33, vcc
	v_sub_f32_e32 v14, v5, v14
.LBB348_29:                             ;   in Loop: Header=BB348_13 Depth=3
	s_andn2_saveexec_b64 s[4:5], s[8:9]
	s_cbranch_execz .LBB348_33
; %bb.30:                               ;   in Loop: Header=BB348_13 Depth=3
	v_add_f32_e32 v14, 2.0, v12
	v_mov_b32_e32 v15, v13
	v_pk_mul_f32 v[14:15], v[12:13], v[14:15]
	v_add_f32_e32 v14, v14, v15
	v_cmp_neq_f32_e32 vcc, 0, v14
	s_and_saveexec_b64 s[8:9], vcc
	s_cbranch_execz .LBB348_32
; %bb.31:                               ;   in Loop: Header=BB348_13 Depth=3
	v_add_f32_e32 v5, 1.0, v14
	v_add_f32_e32 v12, -1.0, v5
	v_sub_f32_e32 v15, v12, v5
	v_add_f32_e32 v15, 1.0, v15
	v_sub_f32_e32 v12, v14, v12
	v_add_f32_e32 v12, v12, v15
	v_frexp_mant_f32_e32 v15, v5
	v_cvt_f64_f32_e32 v[16:17], v5
	v_frexp_exp_i32_f64_e32 v16, v[16:17]
	v_cmp_gt_f32_e32 vcc, s68, v15
	v_subbrev_co_u32_e32 v15, vcc, 0, v16, vcc
	v_sub_u32_e32 v16, 0, v15
	v_ldexp_f32 v5, v5, v16
	v_ldexp_f32 v12, v12, v16
	v_add_f32_e32 v16, -1.0, v5
	v_add_f32_e32 v17, 1.0, v16
	v_sub_f32_e32 v17, v5, v17
	v_add_f32_e32 v38, v12, v17
	v_add_f32_e32 v17, 1.0, v5
	v_add_f32_e32 v39, -1.0, v17
	v_sub_f32_e32 v5, v5, v39
	v_add_f32_e32 v5, v12, v5
	v_add_f32_e32 v12, v17, v5
	v_rcp_f32_e32 v44, v12
	v_sub_f32_e32 v17, v12, v17
	v_sub_f32_e32 v5, v5, v17
	v_add_f32_e32 v17, v16, v38
	v_sub_f32_e32 v16, v17, v16
	v_mul_f32_e32 v46, v17, v44
	v_sub_f32_e32 v45, v38, v16
	v_mul_f32_e32 v38, v12, v46
	v_fma_f32 v40, v46, v12, -v38
	v_fmac_f32_e32 v40, v46, v5
	v_add_f32_e32 v16, v38, v40
	v_sub_f32_e32 v39, v17, v16
	v_pk_add_f32 v[42:43], v[16:17], v[38:39] neg_lo:[0,1] neg_hi:[0,1]
	v_mov_b32_e32 v41, v16
	v_pk_add_f32 v[16:17], v[42:43], v[40:41] neg_lo:[0,1] neg_hi:[0,1]
	v_add_f32_e32 v17, v45, v17
	v_add_f32_e32 v16, v16, v17
	;; [unrolled: 1-line block ×3, first 2 shown]
	v_mul_f32_e32 v45, v44, v17
	v_mul_f32_e32 v38, v12, v45
	v_fma_f32 v40, v45, v12, -v38
	v_fmac_f32_e32 v40, v45, v5
	v_sub_f32_e32 v5, v39, v17
	v_add_f32_e32 v5, v16, v5
	v_add_f32_e32 v16, v38, v40
	v_sub_f32_e32 v39, v17, v16
	v_pk_add_f32 v[42:43], v[16:17], v[38:39] neg_lo:[0,1] neg_hi:[0,1]
	v_mov_b32_e32 v41, v16
	v_pk_add_f32 v[16:17], v[42:43], v[40:41] neg_lo:[0,1] neg_hi:[0,1]
	v_add_f32_e32 v5, v5, v17
	v_add_f32_e32 v5, v16, v5
	;; [unrolled: 1-line block ×4, first 2 shown]
	v_sub_f32_e32 v16, v12, v46
	v_mul_f32_e32 v5, v44, v5
	v_sub_f32_e32 v16, v45, v16
	v_add_f32_e32 v17, v16, v5
	v_add_f32_e32 v38, v12, v17
	v_cvt_f32_i32_e32 v16, v15
	v_mul_f32_e32 v40, v38, v38
	v_mov_b32_e32 v5, 0x3ecc95a3
	v_fmac_f32_e32 v5, 0x3e9b6dac, v40
	v_sub_f32_e32 v12, v38, v12
	v_fma_f32 v5, v40, v5, v21
	v_sub_f32_e32 v12, v17, v12
	v_mul_f32_e32 v17, v38, v40
	v_pk_mul_f32 v[40:41], v[16:17], v[4:5]
	v_ldexp_f32 v39, v38, 1
	v_fma_f32 v38, v16, s69, -v40
	v_fmac_f32_e32 v38, 0xb102e308, v16
	v_pk_add_f32 v[16:17], v[40:41], v[38:39]
	v_sub_f32_e32 v5, v17, v39
	v_ldexp_f32 v12, v12, 1
	v_sub_f32_e32 v5, v41, v5
	v_add_f32_e32 v43, v12, v5
	v_mov_b32_e32 v42, v40
	v_pk_add_f32 v[40:41], v[16:17], v[40:41] neg_lo:[0,1] neg_hi:[0,1]
	v_pk_add_f32 v[44:45], v[16:17], v[42:43]
	v_mov_b32_e32 v41, v45
	v_mov_b32_e32 v39, v16
	v_pk_add_f32 v[46:47], v[38:39], v[40:41] neg_lo:[0,1] neg_hi:[0,1]
	v_pk_add_f32 v[38:39], v[38:39], v[40:41]
	v_mov_b32_e32 v12, v39
	v_pk_add_f32 v[40:41], v[12:13], v[16:17] neg_lo:[0,1] neg_hi:[0,1]
	v_mov_b32_e32 v5, v40
	v_pk_add_f32 v[48:49], v[44:45], v[4:5] neg_lo:[0,1] neg_hi:[0,1]
	v_mov_b32_e32 v38, v45
	v_mov_b32_e32 v44, v17
	;; [unrolled: 1-line block ×4, first 2 shown]
	v_pk_add_f32 v[38:39], v[38:39], v[44:45] neg_lo:[0,1] neg_hi:[0,1]
	v_mov_b32_e32 v40, v43
	v_mov_b32_e32 v41, v16
	v_pk_add_f32 v[16:17], v[40:41], v[38:39] neg_lo:[0,1] neg_hi:[0,1]
	v_mov_b32_e32 v48, v46
	v_pk_add_f32 v[38:39], v[48:49], v[16:17]
	v_mov_b32_e32 v40, v39
	v_pk_add_f32 v[40:41], v[38:39], v[40:41]
	v_pk_add_f32 v[42:43], v[12:13], v[40:41]
	v_mov_b32_e32 v39, v42
	v_pk_add_f32 v[44:45], v[38:39], v[46:47] neg_lo:[0,1] neg_hi:[0,1]
	v_mov_b32_e32 v17, v40
	v_sub_f32_e32 v5, v38, v44
	v_pk_add_f32 v[16:17], v[16:17], v[44:45] neg_lo:[0,1] neg_hi:[0,1]
	v_sub_f32_e32 v5, v46, v5
	v_add_f32_e32 v5, v16, v5
	v_add_f32_e32 v5, v5, v17
	;; [unrolled: 1-line block ×3, first 2 shown]
	v_cmp_eq_f32_e32 vcc, s66, v14
	v_cndmask_b32_e32 v5, v5, v14, vcc
	v_cmp_ngt_f32_e32 vcc, -1.0, v14
	v_cndmask_b32_e32 v5, v31, v5, vcc
	v_cmp_neq_f32_e32 vcc, -1.0, v14
	v_cndmask_b32_e32 v5, v34, v5, vcc
	v_cmp_lt_f32_e64 vcc, |v14|, s59
	v_cndmask_b32_e32 v5, v5, v14, vcc
	v_mul_f32_e32 v12, 0.5, v5
.LBB348_32:                             ;   in Loop: Header=BB348_13 Depth=3
	s_or_b64 exec, exec, s[8:9]
	v_mov_b32_e32 v14, v12
.LBB348_33:                             ;   in Loop: Header=BB348_13 Depth=3
	s_or_b64 exec, exec, s[4:5]
	v_max_f32_e64 v15, |v13|, |v13|
	v_max_f32_e64 v16, |v0|, |v0|
	v_min_f32_e32 v15, v16, v15
	v_frexp_mant_f32_e32 v16, v3
	v_rcp_f32_e32 v16, v16
	v_frexp_exp_i32_f32_e32 v3, v3
	v_frexp_exp_i32_f32_e32 v17, v15
	v_frexp_mant_f32_e32 v15, v15
	v_mul_f32_e32 v15, v15, v16
	v_sub_u32_e32 v3, v17, v3
	v_ldexp_f32 v3, v15, v3
	v_mul_f32_e32 v15, v3, v3
	v_mov_b32_e32 v16, 0xbc7a590c
	v_fmac_f32_e32 v16, 0x3b2d2a58, v15
	v_fma_f32 v16, v15, v16, v22
	v_fma_f32 v16, v15, v16, v23
	v_fma_f32 v16, v15, v16, v24
	v_fma_f32 v16, v15, v16, v25
	v_fma_f32 v16, v15, v16, v26
	v_fma_f32 v16, v15, v16, v27
	v_mul_f32_e32 v15, v15, v16
	v_cmp_gt_i32_e64 s[4:5], 0, v0
	v_fmac_f32_e32 v3, v3, v15
	v_cndmask_b32_e64 v12, 0, v37, s[4:5]
	v_sub_f32_e32 v15, 0x3fc90fdb, v3
	v_cmp_gt_f32_e64 s[4:5], |v13|, |v0|
	v_cndmask_b32_e64 v3, v3, v15, s[4:5]
	v_cmp_gt_f32_e32 vcc, 0, v0
	v_sub_f32_e32 v15, 0x40490fdb, v3
	v_cmp_class_f32_e64 s[8:9], v13, s70
	v_cmp_class_f32_e64 s[10:11], v0, s70
	v_cndmask_b32_e32 v5, v35, v36, vcc
	v_cndmask_b32_e32 v3, v3, v15, vcc
	v_cmp_eq_f32_e32 vcc, 0, v13
	v_cndmask_b32_e32 v3, v3, v12, vcc
	s_and_b64 vcc, s[10:11], s[8:9]
	v_cndmask_b32_e32 v3, v3, v5, vcc
	v_cmp_o_f32_e32 vcc, v0, v13
	v_cndmask_b32_e32 v0, v31, v3, vcc
	v_bfi_b32 v15, s49, v0, v13
	v_pk_add_f32 v[12:13], v[10:11], v[14:15]
                                        ; implicit-def: $vgpr15
                                        ; implicit-def: $vgpr11
.LBB348_34:                             ;   in Loop: Header=BB348_13 Depth=3
	s_andn2_saveexec_b64 s[40:41], s[40:41]
	s_cbranch_execz .LBB348_11
; %bb.35:                               ;   in Loop: Header=BB348_13 Depth=3
	v_cmp_ngt_f32_e32 vcc, 0, v12
	s_and_saveexec_b64 s[42:43], vcc
	s_cbranch_execz .LBB348_10
; %bb.36:                               ;   in Loop: Header=BB348_13 Depth=3
	v_and_b32_e32 v3, 0x7fffffff, v13
	v_lshrrev_b32_e32 v0, 23, v3
	v_and_b32_e32 v5, 0x7fffff, v3
	v_cmp_nlt_f32_e64 s[44:45], |v13|, s50
	v_add_u32_e32 v17, 0xffffff88, v0
	v_or_b32_e32 v16, 0x800000, v5
                                        ; implicit-def: $vgpr10
                                        ; implicit-def: $vgpr5
	s_and_saveexec_b64 s[4:5], s[44:45]
	s_xor_b64 s[46:47], exec, s[4:5]
	s_cbranch_execz .LBB348_38
; %bb.37:                               ;   in Loop: Header=BB348_13 Depth=3
	v_cmp_lt_u32_e32 vcc, 63, v17
	v_cndmask_b32_e32 v0, 0, v28, vcc
	v_add_u32_e32 v0, v0, v17
	v_cmp_lt_u32_e64 s[4:5], 31, v0
	v_cndmask_b32_e64 v5, 0, v29, s[4:5]
	v_add_u32_e32 v0, v5, v0
	v_cmp_lt_u32_e64 s[8:9], 31, v0
	v_cndmask_b32_e64 v5, 0, v29, s[8:9]
	v_mad_u64_u32 v[38:39], s[10:11], v16, s52, 0
	v_add_u32_e32 v5, v5, v0
	v_mov_b32_e32 v0, v39
	v_mad_u64_u32 v[40:41], s[10:11], v16, s53, v[0:1]
	v_mov_b32_e32 v0, v41
	v_mad_u64_u32 v[42:43], s[10:11], v16, s54, v[0:1]
	v_mov_b32_e32 v0, v43
	v_mad_u64_u32 v[44:45], s[10:11], v16, s55, v[0:1]
	v_mov_b32_e32 v0, v45
	v_mad_u64_u32 v[46:47], s[10:11], v16, s56, v[0:1]
	v_mov_b32_e32 v0, v47
	v_mad_u64_u32 v[48:49], s[10:11], v16, s57, v[0:1]
	v_mov_b32_e32 v0, v49
	v_mad_u64_u32 v[50:51], s[10:11], v16, s58, v[0:1]
	v_cndmask_b32_e32 v10, v48, v44, vcc
	v_cndmask_b32_e32 v0, v50, v46, vcc
	;; [unrolled: 1-line block ×3, first 2 shown]
	v_cndmask_b32_e64 v12, v0, v10, s[4:5]
	v_cndmask_b32_e64 v0, v14, v0, s[4:5]
	v_cndmask_b32_e32 v14, v46, v42, vcc
	v_cndmask_b32_e64 v10, v10, v14, s[4:5]
	v_sub_u32_e32 v39, 32, v5
	v_cmp_eq_u32_e64 s[10:11], 0, v5
	v_cndmask_b32_e32 v5, v44, v40, vcc
	v_cndmask_b32_e64 v0, v0, v12, s[8:9]
	v_cndmask_b32_e64 v12, v12, v10, s[8:9]
	;; [unrolled: 1-line block ×3, first 2 shown]
	v_alignbit_b32 v41, v0, v12, v39
	v_cndmask_b32_e64 v10, v10, v14, s[8:9]
	v_cndmask_b32_e64 v0, v41, v0, s[10:11]
	v_alignbit_b32 v40, v12, v10, v39
	v_cndmask_b32_e32 v38, v42, v38, vcc
	v_cndmask_b32_e64 v12, v40, v12, s[10:11]
	v_bfe_u32 v43, v0, 29, 1
	v_cndmask_b32_e64 v5, v5, v38, s[4:5]
	v_alignbit_b32 v40, v0, v12, 30
	v_sub_u32_e32 v44, 0, v43
	v_cndmask_b32_e64 v5, v14, v5, s[8:9]
	v_xor_b32_e32 v45, v40, v44
	v_alignbit_b32 v14, v10, v5, v39
	v_cndmask_b32_e64 v10, v14, v10, s[10:11]
	v_ffbh_u32_e32 v14, v45
	v_add_u32_e32 v14, 1, v14
	v_cmp_ne_u32_e32 vcc, v40, v44
	v_alignbit_b32 v12, v12, v10, 30
	v_cndmask_b32_e32 v14, 33, v14, vcc
	v_alignbit_b32 v5, v10, v5, 30
	v_xor_b32_e32 v12, v12, v44
	v_sub_u32_e32 v38, 32, v14
	v_xor_b32_e32 v5, v5, v44
	v_alignbit_b32 v39, v45, v12, v38
	v_alignbit_b32 v5, v12, v5, v38
	v_alignbit_b32 v10, v39, v5, 9
	v_ffbh_u32_e32 v12, v10
	v_min_u32_e32 v12, 32, v12
	v_lshrrev_b32_e32 v41, 29, v0
	v_sub_u32_e32 v38, 31, v12
	v_alignbit_b32 v5, v10, v5, v38
	v_lshlrev_b32_e32 v10, 31, v41
	v_or_b32_e32 v38, 0x33800000, v10
	v_add_lshl_u32 v12, v12, v14, 23
	v_lshrrev_b32_e32 v5, 9, v5
	v_sub_u32_e32 v12, v38, v12
	v_or_b32_e32 v5, v12, v5
	v_alignbit_b32 v12, v14, v39, 9
	v_or_b32_e32 v10, v12, v10
	v_xor_b32_e32 v10, 1.0, v10
	v_mul_f32_e32 v12, 0x3fc90fda, v10
	v_fma_f32 v14, v10, s60, -v12
	v_fmac_f32_e32 v14, 0x33a22168, v10
	v_fmac_f32_e32 v14, 0x3fc90fda, v5
	v_lshrrev_b32_e32 v0, 30, v0
	v_add_f32_e32 v5, v12, v14
	v_add_u32_e32 v10, v43, v0
.LBB348_38:                             ;   in Loop: Header=BB348_13 Depth=3
	s_or_saveexec_b64 s[4:5], s[46:47]
	v_mul_f32_e64 v0, |v13|, s61
	v_rndne_f32_e32 v0, v0
	s_xor_b64 exec, exec, s[4:5]
; %bb.39:                               ;   in Loop: Header=BB348_13 Depth=3
	v_cvt_i32_f32_e32 v10, v0
	v_fma_f32 v5, v0, s62, |v13|
	v_fmac_f32_e32 v5, 0xb3a22168, v0
	v_fmac_f32_e32 v5, 0xa7c234c4, v0
; %bb.40:                               ;   in Loop: Header=BB348_13 Depth=3
	s_or_b64 exec, exec, s[4:5]
                                        ; implicit-def: $vgpr12
                                        ; implicit-def: $vgpr14
	s_and_saveexec_b64 s[4:5], s[44:45]
	s_xor_b64 s[44:45], exec, s[4:5]
	s_cbranch_execz .LBB348_42
; %bb.41:                               ;   in Loop: Header=BB348_13 Depth=3
	v_cmp_lt_u32_e32 vcc, 63, v17
	v_cndmask_b32_e32 v0, 0, v28, vcc
	v_add_u32_e32 v0, v0, v17
	v_cmp_lt_u32_e64 s[4:5], 31, v0
	v_cndmask_b32_e64 v12, 0, v29, s[4:5]
	v_add_u32_e32 v0, v12, v0
	v_cmp_lt_u32_e64 s[8:9], 31, v0
	v_cndmask_b32_e64 v12, 0, v29, s[8:9]
	v_mad_u64_u32 v[38:39], s[10:11], v16, s52, 0
	v_add_u32_e32 v12, v12, v0
	v_mov_b32_e32 v0, v39
	v_mad_u64_u32 v[40:41], s[10:11], v16, s53, v[0:1]
	v_mov_b32_e32 v0, v41
	v_mad_u64_u32 v[42:43], s[10:11], v16, s54, v[0:1]
	;; [unrolled: 2-line block ×6, first 2 shown]
	v_cndmask_b32_e32 v14, v48, v44, vcc
	v_cndmask_b32_e32 v0, v16, v46, vcc
	;; [unrolled: 1-line block ×3, first 2 shown]
	v_cndmask_b32_e64 v16, v0, v14, s[4:5]
	v_cndmask_b32_e64 v0, v17, v0, s[4:5]
	v_cndmask_b32_e32 v17, v46, v42, vcc
	v_cndmask_b32_e64 v14, v14, v17, s[4:5]
	v_sub_u32_e32 v39, 32, v12
	v_cmp_eq_u32_e64 s[10:11], 0, v12
	v_cndmask_b32_e32 v12, v44, v40, vcc
	v_cndmask_b32_e64 v0, v0, v16, s[8:9]
	v_cndmask_b32_e64 v16, v16, v14, s[8:9]
	;; [unrolled: 1-line block ×3, first 2 shown]
	v_alignbit_b32 v41, v0, v16, v39
	v_cndmask_b32_e64 v14, v14, v17, s[8:9]
	v_cndmask_b32_e64 v0, v41, v0, s[10:11]
	v_alignbit_b32 v40, v16, v14, v39
	v_cndmask_b32_e32 v38, v42, v38, vcc
	v_cndmask_b32_e64 v16, v40, v16, s[10:11]
	v_bfe_u32 v43, v0, 29, 1
	v_cndmask_b32_e64 v12, v12, v38, s[4:5]
	v_alignbit_b32 v40, v0, v16, 30
	v_sub_u32_e32 v44, 0, v43
	v_cndmask_b32_e64 v12, v17, v12, s[8:9]
	v_xor_b32_e32 v45, v40, v44
	v_alignbit_b32 v17, v14, v12, v39
	v_cndmask_b32_e64 v14, v17, v14, s[10:11]
	v_ffbh_u32_e32 v17, v45
	v_add_u32_e32 v17, 1, v17
	v_cmp_ne_u32_e32 vcc, v40, v44
	v_alignbit_b32 v16, v16, v14, 30
	v_cndmask_b32_e32 v17, 33, v17, vcc
	v_alignbit_b32 v12, v14, v12, 30
	v_xor_b32_e32 v16, v16, v44
	v_sub_u32_e32 v38, 32, v17
	v_xor_b32_e32 v12, v12, v44
	v_alignbit_b32 v39, v45, v16, v38
	v_alignbit_b32 v12, v16, v12, v38
	;; [unrolled: 1-line block ×3, first 2 shown]
	v_ffbh_u32_e32 v16, v14
	v_min_u32_e32 v16, 32, v16
	v_lshrrev_b32_e32 v41, 29, v0
	v_sub_u32_e32 v38, 31, v16
	v_alignbit_b32 v12, v14, v12, v38
	v_lshlrev_b32_e32 v14, 31, v41
	v_or_b32_e32 v38, 0x33800000, v14
	v_add_lshl_u32 v16, v16, v17, 23
	v_lshrrev_b32_e32 v12, 9, v12
	v_sub_u32_e32 v16, v38, v16
	v_or_b32_e32 v12, v16, v12
	v_alignbit_b32 v16, v17, v39, 9
	v_or_b32_e32 v14, v16, v14
	v_xor_b32_e32 v14, 1.0, v14
	v_mul_f32_e32 v16, 0x3fc90fda, v14
	v_fma_f32 v17, v14, s60, -v16
	v_fmac_f32_e32 v17, 0x33a22168, v14
	v_fmac_f32_e32 v17, 0x3fc90fda, v12
	v_lshrrev_b32_e32 v0, 30, v0
	v_add_f32_e32 v14, v16, v17
	v_add_u32_e32 v12, v43, v0
                                        ; implicit-def: $vgpr0
	s_andn2_saveexec_b64 s[4:5], s[44:45]
	s_cbranch_execnz .LBB348_43
	s_branch .LBB348_44
.LBB348_42:                             ;   in Loop: Header=BB348_13 Depth=3
	s_andn2_saveexec_b64 s[4:5], s[44:45]
.LBB348_43:                             ;   in Loop: Header=BB348_13 Depth=3
	v_cvt_i32_f32_e32 v12, v0
	v_fma_f32 v14, v0, s62, |v13|
	v_fmac_f32_e32 v14, 0xb3a22168, v0
	v_fmac_f32_e32 v14, 0xa7c234c4, v0
.LBB348_44:                             ;   in Loop: Header=BB348_13 Depth=3
	s_or_b64 exec, exec, s[4:5]
	v_and_b32_e32 v16, 0x7fffffff, v11
	v_lshrrev_b32_e32 v0, 23, v16
	v_and_b32_e32 v17, 0x7fffff, v16
	v_cmp_nlt_f32_e64 s[44:45], |v11|, s50
	v_add_u32_e32 v40, 0xffffff88, v0
	v_or_b32_e32 v39, 0x800000, v17
                                        ; implicit-def: $vgpr38
                                        ; implicit-def: $vgpr17
	s_and_saveexec_b64 s[4:5], s[44:45]
	s_xor_b64 s[46:47], exec, s[4:5]
	s_cbranch_execz .LBB348_46
; %bb.45:                               ;   in Loop: Header=BB348_13 Depth=3
	v_cmp_lt_u32_e32 vcc, 63, v40
	v_cndmask_b32_e32 v0, 0, v28, vcc
	v_add_u32_e32 v0, v0, v40
	v_cmp_lt_u32_e64 s[4:5], 31, v0
	v_cndmask_b32_e64 v17, 0, v29, s[4:5]
	v_add_u32_e32 v0, v17, v0
	v_cmp_lt_u32_e64 s[8:9], 31, v0
	v_cndmask_b32_e64 v17, 0, v29, s[8:9]
	v_mad_u64_u32 v[42:43], s[10:11], v39, s52, 0
	v_add_u32_e32 v17, v17, v0
	v_mov_b32_e32 v0, v43
	v_mad_u64_u32 v[44:45], s[10:11], v39, s53, v[0:1]
	v_mov_b32_e32 v0, v45
	v_mad_u64_u32 v[46:47], s[10:11], v39, s54, v[0:1]
	v_mov_b32_e32 v0, v47
	v_mad_u64_u32 v[48:49], s[10:11], v39, s55, v[0:1]
	v_mov_b32_e32 v0, v49
	v_mad_u64_u32 v[50:51], s[10:11], v39, s56, v[0:1]
	v_mov_b32_e32 v0, v51
	v_mad_u64_u32 v[52:53], s[10:11], v39, s57, v[0:1]
	v_mov_b32_e32 v0, v53
	v_mad_u64_u32 v[54:55], s[10:11], v39, s58, v[0:1]
	v_cndmask_b32_e32 v38, v52, v48, vcc
	v_cndmask_b32_e32 v0, v54, v50, vcc
	;; [unrolled: 1-line block ×3, first 2 shown]
	v_cndmask_b32_e64 v41, v0, v38, s[4:5]
	v_cndmask_b32_e64 v0, v43, v0, s[4:5]
	v_cndmask_b32_e32 v43, v50, v46, vcc
	v_cndmask_b32_e64 v38, v38, v43, s[4:5]
	v_sub_u32_e32 v45, 32, v17
	v_cmp_eq_u32_e64 s[10:11], 0, v17
	v_cndmask_b32_e32 v17, v48, v44, vcc
	v_cndmask_b32_e64 v0, v0, v41, s[8:9]
	v_cndmask_b32_e64 v41, v41, v38, s[8:9]
	;; [unrolled: 1-line block ×3, first 2 shown]
	v_alignbit_b32 v47, v0, v41, v45
	v_cndmask_b32_e64 v38, v38, v43, s[8:9]
	v_cndmask_b32_e64 v0, v47, v0, s[10:11]
	v_alignbit_b32 v44, v41, v38, v45
	v_cndmask_b32_e32 v42, v46, v42, vcc
	v_cndmask_b32_e64 v41, v44, v41, s[10:11]
	v_bfe_u32 v48, v0, 29, 1
	v_cndmask_b32_e64 v17, v17, v42, s[4:5]
	v_alignbit_b32 v44, v0, v41, 30
	v_sub_u32_e32 v49, 0, v48
	v_cndmask_b32_e64 v17, v43, v17, s[8:9]
	v_xor_b32_e32 v50, v44, v49
	v_alignbit_b32 v42, v38, v17, v45
	v_cndmask_b32_e64 v38, v42, v38, s[10:11]
	v_ffbh_u32_e32 v42, v50
	v_add_u32_e32 v42, 1, v42
	v_cmp_ne_u32_e32 vcc, v44, v49
	v_alignbit_b32 v41, v41, v38, 30
	v_cndmask_b32_e32 v42, 33, v42, vcc
	v_alignbit_b32 v17, v38, v17, 30
	v_xor_b32_e32 v41, v41, v49
	v_sub_u32_e32 v43, 32, v42
	v_xor_b32_e32 v17, v17, v49
	v_alignbit_b32 v44, v50, v41, v43
	v_alignbit_b32 v17, v41, v17, v43
	;; [unrolled: 1-line block ×3, first 2 shown]
	v_ffbh_u32_e32 v41, v38
	v_min_u32_e32 v41, 32, v41
	v_lshrrev_b32_e32 v47, 29, v0
	v_sub_u32_e32 v43, 31, v41
	v_alignbit_b32 v17, v38, v17, v43
	v_lshlrev_b32_e32 v38, 31, v47
	v_or_b32_e32 v43, 0x33800000, v38
	v_add_lshl_u32 v41, v41, v42, 23
	v_lshrrev_b32_e32 v17, 9, v17
	v_sub_u32_e32 v41, v43, v41
	v_or_b32_e32 v17, v41, v17
	v_alignbit_b32 v41, v42, v44, 9
	v_or_b32_e32 v38, v41, v38
	v_xor_b32_e32 v38, 1.0, v38
	v_mul_f32_e32 v41, 0x3fc90fda, v38
	v_fma_f32 v42, v38, s60, -v41
	v_fmac_f32_e32 v42, 0x33a22168, v38
	v_fmac_f32_e32 v42, 0x3fc90fda, v17
	v_lshrrev_b32_e32 v0, 30, v0
	v_add_f32_e32 v17, v41, v42
	v_add_u32_e32 v38, v48, v0
.LBB348_46:                             ;   in Loop: Header=BB348_13 Depth=3
	s_or_saveexec_b64 s[4:5], s[46:47]
	v_mul_f32_e64 v0, |v11|, s61
	v_rndne_f32_e32 v42, v0
	s_xor_b64 exec, exec, s[4:5]
; %bb.47:                               ;   in Loop: Header=BB348_13 Depth=3
	v_cvt_i32_f32_e32 v38, v42
	v_fma_f32 v17, v42, s62, |v11|
	v_fmac_f32_e32 v17, 0xb3a22168, v42
	v_fmac_f32_e32 v17, 0xa7c234c4, v42
; %bb.48:                               ;   in Loop: Header=BB348_13 Depth=3
	s_or_b64 exec, exec, s[4:5]
                                        ; implicit-def: $vgpr0
                                        ; implicit-def: $vgpr41
	s_and_saveexec_b64 s[4:5], s[44:45]
	s_xor_b64 s[44:45], exec, s[4:5]
	s_cbranch_execz .LBB348_50
; %bb.49:                               ;   in Loop: Header=BB348_13 Depth=3
	v_cmp_lt_u32_e32 vcc, 63, v40
	v_cndmask_b32_e32 v0, 0, v28, vcc
	v_add_u32_e32 v0, v0, v40
	v_cmp_lt_u32_e64 s[4:5], 31, v0
	v_cndmask_b32_e64 v40, 0, v29, s[4:5]
	v_add_u32_e32 v0, v40, v0
	v_cmp_lt_u32_e64 s[8:9], 31, v0
	v_cndmask_b32_e64 v40, 0, v29, s[8:9]
	v_add_u32_e32 v54, v40, v0
	v_mad_u64_u32 v[40:41], s[10:11], v39, s52, 0
	v_mov_b32_e32 v0, v41
	v_mad_u64_u32 v[42:43], s[10:11], v39, s53, v[0:1]
	v_mov_b32_e32 v0, v43
	;; [unrolled: 2-line block ×6, first 2 shown]
	v_mad_u64_u32 v[52:53], s[10:11], v39, s58, v[0:1]
	v_cndmask_b32_e32 v41, v50, v46, vcc
	v_cndmask_b32_e32 v0, v52, v48, vcc
	;; [unrolled: 1-line block ×3, first 2 shown]
	v_cndmask_b32_e64 v39, v0, v41, s[4:5]
	v_cndmask_b32_e64 v0, v43, v0, s[4:5]
	v_cndmask_b32_e32 v43, v48, v44, vcc
	v_cndmask_b32_e64 v41, v41, v43, s[4:5]
	v_cndmask_b32_e32 v42, v46, v42, vcc
	v_cndmask_b32_e64 v0, v0, v39, s[8:9]
	v_cndmask_b32_e64 v39, v39, v41, s[8:9]
	v_sub_u32_e32 v45, 32, v54
	v_cndmask_b32_e64 v43, v43, v42, s[4:5]
	v_alignbit_b32 v47, v0, v39, v45
	v_cmp_eq_u32_e64 s[10:11], 0, v54
	v_cndmask_b32_e64 v41, v41, v43, s[8:9]
	v_cndmask_b32_e64 v0, v47, v0, s[10:11]
	v_alignbit_b32 v46, v39, v41, v45
	v_cndmask_b32_e32 v40, v44, v40, vcc
	v_cndmask_b32_e64 v39, v46, v39, s[10:11]
	v_bfe_u32 v48, v0, 29, 1
	v_cndmask_b32_e64 v40, v42, v40, s[4:5]
	v_alignbit_b32 v46, v0, v39, 30
	v_sub_u32_e32 v49, 0, v48
	v_cndmask_b32_e64 v40, v43, v40, s[8:9]
	v_xor_b32_e32 v50, v46, v49
	v_alignbit_b32 v42, v41, v40, v45
	v_cndmask_b32_e64 v41, v42, v41, s[10:11]
	v_ffbh_u32_e32 v42, v50
	v_add_u32_e32 v42, 1, v42
	v_cmp_ne_u32_e32 vcc, v46, v49
	v_alignbit_b32 v39, v39, v41, 30
	v_cndmask_b32_e32 v42, 33, v42, vcc
	v_alignbit_b32 v40, v41, v40, 30
	v_xor_b32_e32 v39, v39, v49
	v_sub_u32_e32 v43, 32, v42
	v_xor_b32_e32 v40, v40, v49
	v_alignbit_b32 v44, v50, v39, v43
	v_alignbit_b32 v39, v39, v40, v43
	;; [unrolled: 1-line block ×3, first 2 shown]
	v_ffbh_u32_e32 v41, v40
	v_min_u32_e32 v41, 32, v41
	v_lshrrev_b32_e32 v47, 29, v0
	v_sub_u32_e32 v43, 31, v41
	v_alignbit_b32 v39, v40, v39, v43
	v_lshlrev_b32_e32 v40, 31, v47
	v_or_b32_e32 v43, 0x33800000, v40
	v_add_lshl_u32 v41, v41, v42, 23
	v_lshrrev_b32_e32 v39, 9, v39
	v_sub_u32_e32 v41, v43, v41
	v_or_b32_e32 v39, v41, v39
	v_alignbit_b32 v41, v42, v44, 9
	v_or_b32_e32 v40, v41, v40
	v_xor_b32_e32 v40, 1.0, v40
	v_mul_f32_e32 v41, 0x3fc90fda, v40
	v_fma_f32 v42, v40, s60, -v41
	v_fmac_f32_e32 v42, 0x33a22168, v40
	v_fmac_f32_e32 v42, 0x3fc90fda, v39
	v_lshrrev_b32_e32 v0, 30, v0
	v_add_f32_e32 v41, v41, v42
	v_add_u32_e32 v0, v48, v0
                                        ; implicit-def: $vgpr42
	s_andn2_saveexec_b64 s[4:5], s[44:45]
	s_cbranch_execnz .LBB348_51
	s_branch .LBB348_52
.LBB348_50:                             ;   in Loop: Header=BB348_13 Depth=3
	s_andn2_saveexec_b64 s[4:5], s[44:45]
.LBB348_51:                             ;   in Loop: Header=BB348_13 Depth=3
	v_cvt_i32_f32_e32 v0, v42
	v_fma_f32 v41, v42, s62, |v11|
	v_fmac_f32_e32 v41, 0xb3a22168, v42
	v_fmac_f32_e32 v41, 0xa7c234c4, v42
.LBB348_52:                             ;   in Loop: Header=BB348_13 Depth=3
	s_or_b64 exec, exec, s[4:5]
	v_mul_f32_e32 v40, v5, v5
	v_mov_b32_e32 v42, 0x3c0881c4
	v_fmac_f32_e32 v42, 0xb94c1982, v40
	v_fma_f32 v42, v40, v42, v18
	v_mul_f32_e32 v42, v40, v42
	v_fmac_f32_e32 v5, v5, v42
	v_mov_b32_e32 v42, 0xbab64f3b
	v_fmac_f32_e32 v42, 0x37d75334, v40
	v_fma_f32 v42, v40, v42, v19
	v_lshlrev_b32_e32 v39, 30, v10
	v_and_b32_e32 v10, 1, v10
	v_fma_f32 v42, v40, v42, v20
	v_and_b32_e32 v39, 0x80000000, v39
	v_fma_f32 v40, v40, v42, 1.0
	v_cmp_eq_u32_e32 vcc, 0, v10
	v_xor_b32_e32 v3, v3, v15
	v_cndmask_b32_e32 v5, v40, v5, vcc
	v_xor_b32_e32 v3, v3, v39
	v_xor_b32_e32 v3, v3, v5
	v_mul_f32_e32 v5, v14, v14
	v_mov_b32_e32 v10, 0x3c0881c4
	v_fmac_f32_e32 v10, 0xb94c1982, v5
	v_fma_f32 v10, v5, v10, v18
	v_mul_f32_e32 v10, v5, v10
	v_fmac_f32_e32 v14, v14, v10
	v_mov_b32_e32 v10, 0xbab64f3b
	v_fmac_f32_e32 v10, 0x37d75334, v5
	v_fma_f32 v10, v5, v10, v19
	v_fma_f32 v10, v5, v10, v20
	v_fma_f32 v5, v5, v10, 1.0
	v_and_b32_e32 v10, 1, v12
	v_cmp_eq_u32_e64 s[4:5], 0, v10
	v_cmp_class_f32_e64 vcc, v13, s48
	v_cndmask_b32_e64 v5, -v14, v5, s[4:5]
	v_mul_f32_e32 v13, v17, v17
	v_mov_b32_e32 v14, 0x3c0881c4
	v_fmac_f32_e32 v14, 0xb94c1982, v13
	v_lshlrev_b32_e32 v10, 30, v12
	v_fma_f32 v14, v13, v14, v18
	v_and_b32_e32 v10, 0x80000000, v10
	v_mul_f32_e32 v14, v13, v14
	v_xor_b32_e32 v5, v10, v5
	v_fmac_f32_e32 v17, v17, v14
	v_mov_b32_e32 v14, 0xbab64f3b
	v_cndmask_b32_e32 v5, v31, v5, vcc
	v_fmac_f32_e32 v14, 0x37d75334, v13
	v_cndmask_b32_e32 v3, v31, v3, vcc
	v_mul_f32_e32 v10, 0x7f800000, v5
	v_cmp_neq_f32_e32 vcc, 0, v5
	v_fma_f32 v14, v13, v14, v19
	v_cndmask_b32_e32 v5, 0, v10, vcc
	v_mul_f32_e32 v10, 0x7f800000, v3
	v_cmp_neq_f32_e32 vcc, 0, v3
	v_and_b32_e32 v12, 1, v38
	v_fma_f32 v14, v13, v14, v20
	v_cndmask_b32_e32 v3, 0, v10, vcc
	v_lshlrev_b32_e32 v10, 30, v38
	v_fma_f32 v13, v13, v14, 1.0
	v_cmp_eq_u32_e32 vcc, 0, v12
	v_and_b32_e32 v10, 0x80000000, v10
	v_cndmask_b32_e32 v12, v13, v17, vcc
	v_xor_b32_e32 v13, v16, v11
	v_xor_b32_e32 v10, v13, v10
	;; [unrolled: 1-line block ×3, first 2 shown]
	v_cmp_class_f32_e64 vcc, v11, s48
	v_mul_f32_e32 v11, v41, v41
	v_mov_b32_e32 v12, 0x3c0881c4
	v_fmac_f32_e32 v12, 0xb94c1982, v11
	v_fma_f32 v12, v11, v12, v18
	v_mul_f32_e32 v12, v11, v12
	v_fmac_f32_e32 v41, v41, v12
	v_mov_b32_e32 v12, 0xbab64f3b
	v_fmac_f32_e32 v12, 0x37d75334, v11
	v_fma_f32 v12, v11, v12, v19
	v_fma_f32 v12, v11, v12, v20
	v_fma_f32 v11, v11, v12, 1.0
	v_and_b32_e32 v12, 1, v0
	v_cmp_eq_u32_e64 s[4:5], 0, v12
	v_lshlrev_b32_e32 v0, 30, v0
	v_cndmask_b32_e64 v11, -v41, v11, s[4:5]
	v_and_b32_e32 v0, 0x80000000, v0
	v_xor_b32_e32 v0, v0, v11
	v_cndmask_b32_e32 v0, v31, v0, vcc
	v_cndmask_b32_e32 v10, v31, v10, vcc
	v_mul_f32_e32 v11, 0x7f800000, v0
	v_cmp_neq_f32_e32 vcc, 0, v0
	v_cndmask_b32_e32 v0, 0, v11, vcc
	v_mul_f32_e32 v11, 0x7f800000, v10
	v_cmp_neq_f32_e32 vcc, 0, v10
	v_cndmask_b32_e32 v10, 0, v11, vcc
	v_add_f32_e32 v5, v5, v0
	v_add_f32_e32 v0, v3, v10
	v_add_f32_e32 v12, -1.0, v5
	v_max_f32_e64 v3, |v12|, |v0|
	v_cvt_f64_f32_e32 v[10:11], v3
	v_frexp_exp_i32_f64_e32 v5, v[10:11]
	v_sub_u32_e32 v10, 0, v5
	v_ldexp_f32 v11, |v12|, v10
	v_ldexp_f32 v10, |v0|, v10
	v_mul_f32_e32 v10, v10, v10
	v_fmac_f32_e32 v10, v11, v11
	v_sqrt_f32_e32 v10, v10
	v_cmp_eq_f32_e32 vcc, s66, v3
	v_add_f32_e32 v3, 1.0, v12
	v_ldexp_f32 v5, v10, v5
	v_cmp_ngt_f32_e64 s[4:5], 0.5, v5
	v_max_f32_e64 v10, |v3|, |v0|
	s_or_b64 s[4:5], vcc, s[4:5]
	s_and_saveexec_b64 s[8:9], s[4:5]
	s_xor_b64 s[8:9], exec, s[8:9]
	s_cbranch_execz .LBB348_54
; %bb.53:                               ;   in Loop: Header=BB348_13 Depth=3
	v_cvt_f64_f32_e32 v[12:13], v10
	v_frexp_exp_i32_f64_e32 v5, v[12:13]
	v_sub_u32_e32 v11, 0, v5
	v_ldexp_f32 v12, |v3|, v11
	v_ldexp_f32 v11, |v0|, v11
	v_mul_f32_e32 v11, v11, v11
	v_fmac_f32_e32 v11, v12, v12
	v_sqrt_f32_e32 v11, v11
	v_cmp_neq_f32_e32 vcc, s66, v10
	v_ldexp_f32 v5, v11, v5
	v_cndmask_b32_e32 v5, v30, v5, vcc
	v_cmp_gt_f32_e32 vcc, s51, v5
	v_cndmask_b32_e32 v11, 1.0, v32, vcc
	v_mul_f32_e32 v5, v5, v11
	v_log_f32_e32 v5, v5
	v_mul_f32_e32 v11, 0x3f317217, v5
	v_fma_f32 v12, v5, s67, -v11
	v_fmac_f32_e32 v12, 0x3377d1cf, v5
	v_add_f32_e32 v11, v11, v12
	v_cmp_lt_f32_e64 s[4:5], |v5|, s66
	v_cndmask_b32_e64 v5, v5, v11, s[4:5]
	v_cndmask_b32_e32 v11, 0, v33, vcc
	v_sub_f32_e32 v12, v5, v11
.LBB348_54:                             ;   in Loop: Header=BB348_13 Depth=3
	s_andn2_saveexec_b64 s[4:5], s[8:9]
	s_cbranch_execz .LBB348_9
; %bb.55:                               ;   in Loop: Header=BB348_13 Depth=3
	v_add_f32_e32 v5, 2.0, v12
	v_mul_f32_e32 v11, v12, v5
	v_fmac_f32_e32 v11, v0, v0
	v_cmp_neq_f32_e32 vcc, 0, v11
	s_and_saveexec_b64 s[8:9], vcc
	s_cbranch_execz .LBB348_8
; %bb.56:                               ;   in Loop: Header=BB348_13 Depth=3
	v_add_f32_e32 v5, 1.0, v11
	v_add_f32_e32 v12, -1.0, v5
	v_sub_f32_e32 v13, v12, v5
	v_add_f32_e32 v13, 1.0, v13
	v_sub_f32_e32 v12, v11, v12
	v_add_f32_e32 v14, v12, v13
	v_frexp_mant_f32_e32 v15, v5
	v_cvt_f64_f32_e32 v[12:13], v5
	v_frexp_exp_i32_f64_e32 v12, v[12:13]
	v_cmp_gt_f32_e32 vcc, s68, v15
	v_subbrev_co_u32_e32 v40, vcc, 0, v12, vcc
	v_sub_u32_e32 v12, 0, v40
	v_ldexp_f32 v5, v5, v12
	v_ldexp_f32 v12, v14, v12
	v_add_f32_e32 v14, -1.0, v5
	v_add_f32_e32 v13, 1.0, v14
	v_sub_f32_e32 v13, v5, v13
	v_add_f32_e32 v15, v12, v13
	v_add_f32_e32 v13, 1.0, v5
	v_add_f32_e32 v16, -1.0, v13
	v_sub_f32_e32 v5, v5, v16
	v_add_f32_e32 v5, v12, v5
	v_add_f32_e32 v41, v13, v5
	v_rcp_f32_e32 v42, v41
	v_sub_f32_e32 v12, v41, v13
	v_add_f32_e32 v13, v14, v15
	v_sub_f32_e32 v5, v5, v12
	v_mul_f32_e32 v44, v13, v42
	v_sub_f32_e32 v12, v13, v14
	v_mul_f32_e32 v14, v41, v44
	v_fma_f32 v16, v44, v41, -v14
	v_fmac_f32_e32 v16, v44, v5
	v_sub_f32_e32 v43, v15, v12
	v_add_f32_e32 v12, v14, v16
	v_sub_f32_e32 v15, v13, v12
	v_pk_add_f32 v[38:39], v[12:13], v[14:15] neg_lo:[0,1] neg_hi:[0,1]
	v_mov_b32_e32 v17, v12
	v_pk_add_f32 v[12:13], v[38:39], v[16:17] neg_lo:[0,1] neg_hi:[0,1]
	v_add_f32_e32 v13, v43, v13
	v_add_f32_e32 v12, v12, v13
	;; [unrolled: 1-line block ×3, first 2 shown]
	v_mul_f32_e32 v43, v42, v13
	v_mul_f32_e32 v14, v41, v43
	v_fma_f32 v16, v43, v41, -v14
	v_fmac_f32_e32 v16, v43, v5
	v_sub_f32_e32 v5, v15, v13
	v_add_f32_e32 v5, v12, v5
	v_add_f32_e32 v12, v14, v16
	v_sub_f32_e32 v15, v13, v12
	v_pk_add_f32 v[38:39], v[12:13], v[14:15] neg_lo:[0,1] neg_hi:[0,1]
	v_mov_b32_e32 v17, v12
	v_pk_add_f32 v[12:13], v[38:39], v[16:17] neg_lo:[0,1] neg_hi:[0,1]
	v_add_f32_e32 v5, v5, v13
	v_add_f32_e32 v5, v12, v5
	;; [unrolled: 1-line block ×4, first 2 shown]
	v_sub_f32_e32 v12, v13, v44
	v_mul_f32_e32 v5, v42, v5
	v_sub_f32_e32 v12, v43, v12
	v_add_f32_e32 v14, v12, v5
	v_add_f32_e32 v16, v13, v14
	v_cvt_f32_i32_e32 v12, v40
	v_mul_f32_e32 v17, v16, v16
	v_mov_b32_e32 v5, 0x3ecc95a3
	v_sub_f32_e32 v13, v16, v13
	v_fmac_f32_e32 v5, 0x3e9b6dac, v17
	v_sub_f32_e32 v13, v14, v13
	v_fma_f32 v5, v17, v5, v21
	v_ldexp_f32 v38, v13, 1
	v_mul_f32_e32 v13, v16, v17
	v_ldexp_f32 v15, v16, 1
	v_pk_mul_f32 v[16:17], v[12:13], v[4:5]
	v_fma_f32 v14, v12, s69, -v16
	v_fmac_f32_e32 v14, 0xb102e308, v12
	v_pk_add_f32 v[12:13], v[16:17], v[14:15]
	v_sub_f32_e32 v5, v13, v15
	v_sub_f32_e32 v5, v17, v5
	v_add_f32_e32 v39, v38, v5
	v_mov_b32_e32 v38, v16
	v_pk_add_f32 v[16:17], v[12:13], v[16:17] neg_lo:[0,1] neg_hi:[0,1]
	v_pk_add_f32 v[40:41], v[12:13], v[38:39]
	v_mov_b32_e32 v17, v41
	v_mov_b32_e32 v15, v12
	v_pk_add_f32 v[42:43], v[14:15], v[16:17] neg_lo:[0,1] neg_hi:[0,1]
	v_pk_add_f32 v[14:15], v[14:15], v[16:17]
	v_mov_b32_e32 v16, v15
	v_pk_add_f32 v[44:45], v[16:17], v[12:13] neg_lo:[0,1] neg_hi:[0,1]
	v_mov_b32_e32 v5, v44
	v_pk_add_f32 v[46:47], v[40:41], v[4:5] neg_lo:[0,1] neg_hi:[0,1]
	v_mov_b32_e32 v14, v41
	v_mov_b32_e32 v40, v13
	;; [unrolled: 1-line block ×4, first 2 shown]
	v_pk_add_f32 v[14:15], v[14:15], v[40:41] neg_lo:[0,1] neg_hi:[0,1]
	v_mov_b32_e32 v38, v39
	v_mov_b32_e32 v39, v12
	v_pk_add_f32 v[12:13], v[38:39], v[14:15] neg_lo:[0,1] neg_hi:[0,1]
	v_mov_b32_e32 v46, v42
	v_pk_add_f32 v[14:15], v[46:47], v[12:13]
	v_mov_b32_e32 v38, v15
	v_pk_add_f32 v[38:39], v[14:15], v[38:39]
	v_pk_add_f32 v[16:17], v[16:17], v[38:39]
	v_mov_b32_e32 v15, v16
	v_pk_add_f32 v[40:41], v[14:15], v[42:43] neg_lo:[0,1] neg_hi:[0,1]
	v_mov_b32_e32 v13, v38
	v_sub_f32_e32 v5, v14, v40
	v_pk_add_f32 v[12:13], v[12:13], v[40:41] neg_lo:[0,1] neg_hi:[0,1]
	v_sub_f32_e32 v5, v42, v5
	v_add_f32_e32 v5, v12, v5
	v_add_f32_e32 v5, v5, v13
	;; [unrolled: 1-line block ×3, first 2 shown]
	v_cmp_eq_f32_e32 vcc, s66, v11
	v_cndmask_b32_e32 v5, v5, v11, vcc
	v_cmp_ngt_f32_e32 vcc, -1.0, v11
	v_cndmask_b32_e32 v5, v31, v5, vcc
	v_cmp_neq_f32_e32 vcc, -1.0, v11
	v_cndmask_b32_e32 v5, v34, v5, vcc
	v_cmp_lt_f32_e64 vcc, |v11|, s59
	v_cndmask_b32_e32 v5, v5, v11, vcc
	v_mul_f32_e32 v12, 0.5, v5
	s_branch .LBB348_8
.LBB348_57:
	s_endpgm
	.section	.rodata,"a",@progbits
	.p2align	6, 0x0
	.amdhsa_kernel _ZN2at6native28tensor_kernel_scan_outer_dimIN3c107complexIfEEjZZZNS0_31launch_logcumsumexp_cuda_kernelERKNS_10TensorBaseES7_lENKUlvE_clEvENKUlvE2_clEvEUlS4_S4_E_EEvPT_PKSB_jjjSB_T1_
		.amdhsa_group_segment_fixed_size 0
		.amdhsa_private_segment_fixed_size 0
		.amdhsa_kernarg_size 304
		.amdhsa_user_sgpr_count 6
		.amdhsa_user_sgpr_private_segment_buffer 1
		.amdhsa_user_sgpr_dispatch_ptr 0
		.amdhsa_user_sgpr_queue_ptr 0
		.amdhsa_user_sgpr_kernarg_segment_ptr 1
		.amdhsa_user_sgpr_dispatch_id 0
		.amdhsa_user_sgpr_flat_scratch_init 0
		.amdhsa_user_sgpr_kernarg_preload_length 0
		.amdhsa_user_sgpr_kernarg_preload_offset 0
		.amdhsa_user_sgpr_private_segment_size 0
		.amdhsa_uses_dynamic_stack 0
		.amdhsa_system_sgpr_private_segment_wavefront_offset 0
		.amdhsa_system_sgpr_workgroup_id_x 1
		.amdhsa_system_sgpr_workgroup_id_y 1
		.amdhsa_system_sgpr_workgroup_id_z 0
		.amdhsa_system_sgpr_workgroup_info 0
		.amdhsa_system_vgpr_workitem_id 0
		.amdhsa_next_free_vgpr 56
		.amdhsa_next_free_sgpr 73
		.amdhsa_accum_offset 56
		.amdhsa_reserve_vcc 1
		.amdhsa_reserve_flat_scratch 0
		.amdhsa_float_round_mode_32 0
		.amdhsa_float_round_mode_16_64 0
		.amdhsa_float_denorm_mode_32 3
		.amdhsa_float_denorm_mode_16_64 3
		.amdhsa_dx10_clamp 1
		.amdhsa_ieee_mode 1
		.amdhsa_fp16_overflow 0
		.amdhsa_tg_split 0
		.amdhsa_exception_fp_ieee_invalid_op 0
		.amdhsa_exception_fp_denorm_src 0
		.amdhsa_exception_fp_ieee_div_zero 0
		.amdhsa_exception_fp_ieee_overflow 0
		.amdhsa_exception_fp_ieee_underflow 0
		.amdhsa_exception_fp_ieee_inexact 0
		.amdhsa_exception_int_div_zero 0
	.end_amdhsa_kernel
	.section	.text._ZN2at6native28tensor_kernel_scan_outer_dimIN3c107complexIfEEjZZZNS0_31launch_logcumsumexp_cuda_kernelERKNS_10TensorBaseES7_lENKUlvE_clEvENKUlvE2_clEvEUlS4_S4_E_EEvPT_PKSB_jjjSB_T1_,"axG",@progbits,_ZN2at6native28tensor_kernel_scan_outer_dimIN3c107complexIfEEjZZZNS0_31launch_logcumsumexp_cuda_kernelERKNS_10TensorBaseES7_lENKUlvE_clEvENKUlvE2_clEvEUlS4_S4_E_EEvPT_PKSB_jjjSB_T1_,comdat
.Lfunc_end348:
	.size	_ZN2at6native28tensor_kernel_scan_outer_dimIN3c107complexIfEEjZZZNS0_31launch_logcumsumexp_cuda_kernelERKNS_10TensorBaseES7_lENKUlvE_clEvENKUlvE2_clEvEUlS4_S4_E_EEvPT_PKSB_jjjSB_T1_, .Lfunc_end348-_ZN2at6native28tensor_kernel_scan_outer_dimIN3c107complexIfEEjZZZNS0_31launch_logcumsumexp_cuda_kernelERKNS_10TensorBaseES7_lENKUlvE_clEvENKUlvE2_clEvEUlS4_S4_E_EEvPT_PKSB_jjjSB_T1_
                                        ; -- End function
	.section	.AMDGPU.csdata,"",@progbits
; Kernel info:
; codeLenInByte = 7512
; NumSgprs: 77
; NumVgprs: 56
; NumAgprs: 0
; TotalNumVgprs: 56
; ScratchSize: 0
; MemoryBound: 0
; FloatMode: 240
; IeeeMode: 1
; LDSByteSize: 0 bytes/workgroup (compile time only)
; SGPRBlocks: 9
; VGPRBlocks: 6
; NumSGPRsForWavesPerEU: 77
; NumVGPRsForWavesPerEU: 56
; AccumOffset: 56
; Occupancy: 8
; WaveLimiterHint : 0
; COMPUTE_PGM_RSRC2:SCRATCH_EN: 0
; COMPUTE_PGM_RSRC2:USER_SGPR: 6
; COMPUTE_PGM_RSRC2:TRAP_HANDLER: 0
; COMPUTE_PGM_RSRC2:TGID_X_EN: 1
; COMPUTE_PGM_RSRC2:TGID_Y_EN: 1
; COMPUTE_PGM_RSRC2:TGID_Z_EN: 0
; COMPUTE_PGM_RSRC2:TIDIG_COMP_CNT: 0
; COMPUTE_PGM_RSRC3_GFX90A:ACCUM_OFFSET: 13
; COMPUTE_PGM_RSRC3_GFX90A:TG_SPLIT: 0
	.section	.text._ZN2at6native28tensor_kernel_scan_outer_dimIN3c107complexIfEEmZZZNS0_31launch_logcumsumexp_cuda_kernelERKNS_10TensorBaseES7_lENKUlvE_clEvENKUlvE2_clEvEUlS4_S4_E_EEvPT_PKSB_jjjSB_T1_,"axG",@progbits,_ZN2at6native28tensor_kernel_scan_outer_dimIN3c107complexIfEEmZZZNS0_31launch_logcumsumexp_cuda_kernelERKNS_10TensorBaseES7_lENKUlvE_clEvENKUlvE2_clEvEUlS4_S4_E_EEvPT_PKSB_jjjSB_T1_,comdat
	.globl	_ZN2at6native28tensor_kernel_scan_outer_dimIN3c107complexIfEEmZZZNS0_31launch_logcumsumexp_cuda_kernelERKNS_10TensorBaseES7_lENKUlvE_clEvENKUlvE2_clEvEUlS4_S4_E_EEvPT_PKSB_jjjSB_T1_ ; -- Begin function _ZN2at6native28tensor_kernel_scan_outer_dimIN3c107complexIfEEmZZZNS0_31launch_logcumsumexp_cuda_kernelERKNS_10TensorBaseES7_lENKUlvE_clEvENKUlvE2_clEvEUlS4_S4_E_EEvPT_PKSB_jjjSB_T1_
	.p2align	8
	.type	_ZN2at6native28tensor_kernel_scan_outer_dimIN3c107complexIfEEmZZZNS0_31launch_logcumsumexp_cuda_kernelERKNS_10TensorBaseES7_lENKUlvE_clEvENKUlvE2_clEvEUlS4_S4_E_EEvPT_PKSB_jjjSB_T1_,@function
_ZN2at6native28tensor_kernel_scan_outer_dimIN3c107complexIfEEmZZZNS0_31launch_logcumsumexp_cuda_kernelERKNS_10TensorBaseES7_lENKUlvE_clEvENKUlvE2_clEvEUlS4_S4_E_EEvPT_PKSB_jjjSB_T1_: ; @_ZN2at6native28tensor_kernel_scan_outer_dimIN3c107complexIfEEmZZZNS0_31launch_logcumsumexp_cuda_kernelERKNS_10TensorBaseES7_lENKUlvE_clEvENKUlvE2_clEvEUlS4_S4_E_EEvPT_PKSB_jjjSB_T1_
; %bb.0:
	s_load_dwordx4 s[12:15], s[4:5], 0x10
	s_waitcnt lgkmcnt(0)
	s_cmp_ge_u32 s6, s12
	s_cbranch_scc1 .LBB349_57
; %bb.1:
	s_load_dword s15, s[4:5], 0x30
	s_load_dword s0, s[4:5], 0x3c
	s_load_dwordx4 s[16:19], s[4:5], 0x0
	s_load_dwordx2 s[20:21], s[4:5], 0x20
	s_add_u32 s22, s4, 48
	s_addc_u32 s23, s5, 0
	s_waitcnt lgkmcnt(0)
	s_and_b32 s33, s0, 0xffff
	s_cmp_lg_u32 s14, 0
	s_mul_i32 s7, s7, s33
	s_cselect_b64 s[8:9], -1, 0
	v_add_u32_e32 v9, s7, v0
	s_mov_b32 s3, 0
	s_mov_b32 s2, s13
	s_mul_hi_u32 s5, s14, s13
	s_mul_i32 s4, s14, s13
	v_cndmask_b32_e64 v0, 0, 1, s[8:9]
	v_cmp_gt_u32_e64 s[0:1], s13, v9
	s_lshl_b64 s[24:25], s[4:5], 3
	s_lshl_b64 s[26:27], s[2:3], 3
	v_cmp_ne_u32_e64 s[2:3], 1, v0
	v_mov_b32_e32 v1, 0
	s_mov_b32 s28, 0x7fc00000
	s_movk_i32 s7, 0x1f8
	s_brev_b32 s46, -2
	s_brev_b32 s47, 18
	s_mov_b32 s48, 0x800000
	s_mov_b32 s49, 0xfe5163ab
	s_mov_b32 s50, 0x3c439041
	s_mov_b32 s51, 0xdb629599
	s_mov_b32 s52, 0xf534ddc0
	s_mov_b32 s53, 0xfc2757d1
	s_mov_b32 s54, 0x4e441529
	s_mov_b32 s55, 0xa2f9836e
	s_mov_b32 s56, 0x33800000
	s_mov_b32 s57, 0x3fc90fda
	s_mov_b32 s58, 0x3f22f983
	s_mov_b32 s59, 0xbfc90fda
	s_mov_b32 s60, 0x3fb8aa3b
	s_mov_b32 s61, 0xc2ce8ed0
	s_mov_b32 s62, 0x42b17218
	s_mov_b32 s63, 0x7f800000
	v_mov_b32_e32 v18, 0xbe2aaa9d
	v_mov_b32_e32 v19, 0x3d2aabf7
	;; [unrolled: 1-line block ×3, first 2 shown]
	v_mov_b32_e32 v2, 1.0
	s_mov_b32 s64, 0x3f317217
	s_mov_b32 s65, 0x3f2aaaab
	v_mov_b32_e32 v21, 0x3f2aaada
	s_mov_b32 s66, 0x3f317218
	s_movk_i32 s67, 0x204
	v_mov_b32_e32 v22, 0x3d29fb3f
	v_mov_b32_e32 v23, 0xbd97d4d7
	;; [unrolled: 1-line block ×6, first 2 shown]
	v_not_b32_e32 v28, 63
	v_not_b32_e32 v29, 31
	v_mov_b32_e32 v30, 0x7f800000
	v_mov_b32_e32 v31, 0x7fc00000
	;; [unrolled: 1-line block ×9, first 2 shown]
	s_branch .LBB349_3
.LBB349_2:                              ;   in Loop: Header=BB349_3 Depth=1
	s_or_b64 exec, exec, s[30:31]
	s_add_i32 s6, s6, s15
	s_cmp_ge_u32 s6, s12
	s_cbranch_scc1 .LBB349_57
.LBB349_3:                              ; =>This Loop Header: Depth=1
                                        ;     Child Loop BB349_6 Depth 2
                                        ;       Child Loop BB349_13 Depth 3
	s_and_saveexec_b64 s[30:31], s[0:1]
	s_cbranch_execz .LBB349_2
; %bb.4:                                ;   in Loop: Header=BB349_3 Depth=1
	s_load_dword s70, s[22:23], 0x4
	s_mul_i32 s4, s25, s6
	s_mul_hi_u32 s5, s24, s6
	s_mul_i32 s68, s24, s6
	s_add_i32 s69, s5, s4
	s_waitcnt lgkmcnt(0)
	s_mul_i32 s70, s70, s33
	s_mov_b64 s[34:35], 0
	v_mov_b32_e32 v6, v9
	s_branch .LBB349_6
.LBB349_5:                              ;   in Loop: Header=BB349_6 Depth=2
	v_add_u32_e32 v6, s70, v6
	v_cmp_le_u32_e32 vcc, s13, v6
	s_or_b64 s[34:35], vcc, s[34:35]
	s_andn2_b64 exec, exec, s[34:35]
	s_cbranch_execz .LBB349_2
.LBB349_6:                              ;   Parent Loop BB349_3 Depth=1
                                        ; =>  This Loop Header: Depth=2
                                        ;       Child Loop BB349_13 Depth 3
	s_and_b64 vcc, exec, s[2:3]
	s_cbranch_vccnz .LBB349_5
; %bb.7:                                ;   in Loop: Header=BB349_6 Depth=2
	v_mov_b32_e32 v7, v1
	v_lshlrev_b64 v[10:11], 3, v[6:7]
	v_mov_b32_e32 v0, s69
	v_add_co_u32_e32 v8, vcc, s68, v10
	v_addc_co_u32_e32 v7, vcc, v0, v11, vcc
	v_pk_mov_b32 v[16:17], s[20:21], s[20:21] op_sel:[0,1]
	s_mov_b32 s71, s14
	s_branch .LBB349_13
.LBB349_8:                              ;   in Loop: Header=BB349_13 Depth=3
	s_or_b64 exec, exec, s[8:9]
.LBB349_9:                              ;   in Loop: Header=BB349_13 Depth=3
	s_or_b64 exec, exec, s[4:5]
	v_max_f32_e64 v13, |v0|, |v0|
	v_max_f32_e64 v14, |v3|, |v3|
	v_min_f32_e32 v13, v14, v13
	v_frexp_mant_f32_e32 v14, v10
	v_rcp_f32_e32 v14, v14
	v_frexp_exp_i32_f32_e32 v10, v10
	v_frexp_exp_i32_f32_e32 v15, v13
	v_frexp_mant_f32_e32 v13, v13
	v_mul_f32_e32 v13, v13, v14
	v_sub_u32_e32 v10, v15, v10
	v_ldexp_f32 v10, v13, v10
	v_mul_f32_e32 v13, v10, v10
	v_mov_b32_e32 v14, 0xbc7a590c
	v_fmac_f32_e32 v14, 0x3b2d2a58, v13
	v_fma_f32 v14, v13, v14, v22
	v_fma_f32 v14, v13, v14, v23
	;; [unrolled: 1-line block ×6, first 2 shown]
	v_mul_f32_e32 v13, v13, v14
	v_cmp_gt_i32_e64 s[4:5], 0, v3
	v_fmac_f32_e32 v10, v10, v13
	v_cndmask_b32_e64 v11, 0, v37, s[4:5]
	v_sub_f32_e32 v13, 0x3fc90fdb, v10
	v_cmp_gt_f32_e64 s[4:5], |v0|, |v3|
	v_cndmask_b32_e64 v10, v10, v13, s[4:5]
	v_cmp_gt_f32_e32 vcc, 0, v3
	v_sub_f32_e32 v13, 0x40490fdb, v10
	v_cmp_class_f32_e64 s[8:9], v0, s67
	v_cmp_class_f32_e64 s[10:11], v3, s67
	v_cndmask_b32_e32 v5, v35, v36, vcc
	v_cndmask_b32_e32 v10, v10, v13, vcc
	v_cmp_eq_f32_e32 vcc, 0, v0
	v_cndmask_b32_e32 v10, v10, v11, vcc
	s_and_b64 vcc, s[8:9], s[10:11]
	v_cndmask_b32_e32 v5, v10, v5, vcc
	v_cmp_o_f32_e32 vcc, v3, v0
	v_cndmask_b32_e32 v3, v31, v5, vcc
	v_bfi_b32 v13, s46, v3, v0
.LBB349_10:                             ;   in Loop: Header=BB349_13 Depth=3
	s_or_b64 exec, exec, s[40:41]
.LBB349_11:                             ;   in Loop: Header=BB349_13 Depth=3
	s_or_b64 exec, exec, s[38:39]
	v_pk_mov_b32 v[16:17], v[12:13], v[12:13] op_sel:[0,1]
.LBB349_12:                             ;   in Loop: Header=BB349_13 Depth=3
	s_or_b64 exec, exec, s[36:37]
	v_mov_b32_e32 v0, s17
	v_add_co_u32_e32 v10, vcc, s16, v8
	v_addc_co_u32_e32 v11, vcc, v0, v7, vcc
	v_mov_b32_e32 v0, s27
	s_add_i32 s71, s71, -1
	v_add_co_u32_e32 v8, vcc, s26, v8
	s_cmp_eq_u32 s71, 0
	v_addc_co_u32_e32 v7, vcc, v7, v0, vcc
	global_store_dwordx2 v[10:11], v[16:17], off
	s_cbranch_scc1 .LBB349_5
.LBB349_13:                             ;   Parent Loop BB349_3 Depth=1
                                        ;     Parent Loop BB349_6 Depth=2
                                        ; =>    This Inner Loop Header: Depth=3
	v_mov_b32_e32 v0, s19
	v_add_co_u32_e32 v10, vcc, s18, v8
	v_addc_co_u32_e32 v11, vcc, v0, v7, vcc
	global_load_dwordx2 v[10:11], v[10:11], off
	s_waitcnt vmcnt(0)
	v_cmp_o_f32_e32 vcc, v10, v10
	v_cmp_o_f32_e64 s[4:5], v11, v11
	v_mov_b32_e32 v15, v11
	s_and_b64 s[8:9], vcc, s[4:5]
	v_pk_mov_b32 v[12:13], v[10:11], v[10:11] op_sel:[0,1]
	s_and_saveexec_b64 s[10:11], s[8:9]
; %bb.14:                               ;   in Loop: Header=BB349_13 Depth=3
	v_cmp_u_f32_e32 vcc, v16, v16
	v_cmp_u_f32_e64 s[4:5], v17, v17
	s_or_b64 s[4:5], vcc, s[4:5]
	v_cmp_lt_f32_e32 vcc, v16, v10
	s_or_b64 vcc, s[4:5], vcc
	v_cndmask_b32_e32 v15, v11, v17, vcc
	v_cndmask_b32_e32 v14, v10, v16, vcc
	v_pk_mov_b32 v[12:13], v[14:15], v[14:15] op_sel:[0,1]
; %bb.15:                               ;   in Loop: Header=BB349_13 Depth=3
	s_or_b64 exec, exec, s[10:11]
	s_and_saveexec_b64 s[4:5], s[8:9]
	s_xor_b64 s[8:9], exec, s[4:5]
; %bb.16:                               ;   in Loop: Header=BB349_13 Depth=3
	v_cmp_u_f32_e32 vcc, v16, v16
	v_cmp_u_f32_e64 s[4:5], v17, v17
	s_or_b64 s[4:5], vcc, s[4:5]
	v_cmp_ge_f32_e32 vcc, v16, v10
	s_or_b64 vcc, s[4:5], vcc
	v_cndmask_b32_e32 v11, v11, v17, vcc
	v_cndmask_b32_e32 v10, v10, v16, vcc
; %bb.17:                               ;   in Loop: Header=BB349_13 Depth=3
	s_andn2_saveexec_b64 s[4:5], s[8:9]
	s_or_b64 exec, exec, s[4:5]
	v_cmp_o_f32_e32 vcc, v12, v12
	v_cmp_o_f32_e64 s[4:5], v13, v13
	s_mov_b32 s29, s28
	s_and_b64 s[4:5], vcc, s[4:5]
	v_pk_mov_b32 v[16:17], s[28:29], s[28:29] op_sel:[0,1]
	s_and_saveexec_b64 s[36:37], s[4:5]
	s_cbranch_execz .LBB349_12
; %bb.18:                               ;   in Loop: Header=BB349_13 Depth=3
	v_cmp_class_f32_e64 s[4:5], v12, s7
	v_cmp_neq_f32_e32 vcc, v10, v12
	s_or_b64 s[4:5], s[4:5], vcc
	s_and_saveexec_b64 s[8:9], s[4:5]
	s_xor_b64 s[38:39], exec, s[8:9]
	s_cbranch_execz .LBB349_34
; %bb.19:                               ;   in Loop: Header=BB349_13 Depth=3
	v_pk_add_f32 v[12:13], v[12:13], v[10:11] neg_lo:[0,1] neg_hi:[0,1]
	v_and_b32_e32 v3, 0x7fffffff, v13
	v_lshrrev_b32_e32 v0, 23, v3
	v_and_b32_e32 v5, 0x7fffff, v3
	v_cmp_nlt_f32_e64 s[40:41], |v13|, s47
	v_add_u32_e32 v16, 0xffffff88, v0
	v_or_b32_e32 v15, 0x800000, v5
                                        ; implicit-def: $vgpr5
                                        ; implicit-def: $vgpr14
	s_and_saveexec_b64 s[4:5], s[40:41]
	s_xor_b64 s[42:43], exec, s[4:5]
	s_cbranch_execz .LBB349_21
; %bb.20:                               ;   in Loop: Header=BB349_13 Depth=3
	v_cmp_lt_u32_e32 vcc, 63, v16
	v_cndmask_b32_e32 v0, 0, v28, vcc
	v_add_u32_e32 v0, v0, v16
	v_cmp_lt_u32_e64 s[4:5], 31, v0
	v_cndmask_b32_e64 v5, 0, v29, s[4:5]
	v_add_u32_e32 v0, v5, v0
	v_cmp_lt_u32_e64 s[8:9], 31, v0
	v_cndmask_b32_e64 v5, 0, v29, s[8:9]
	v_mad_u64_u32 v[38:39], s[10:11], v15, s49, 0
	v_add_u32_e32 v5, v5, v0
	v_mov_b32_e32 v0, v39
	v_mad_u64_u32 v[40:41], s[10:11], v15, s50, v[0:1]
	v_mov_b32_e32 v0, v41
	v_mad_u64_u32 v[42:43], s[10:11], v15, s51, v[0:1]
	;; [unrolled: 2-line block ×6, first 2 shown]
	v_cndmask_b32_e32 v14, v48, v44, vcc
	v_cndmask_b32_e32 v0, v50, v46, vcc
	;; [unrolled: 1-line block ×3, first 2 shown]
	v_cndmask_b32_e64 v17, v0, v14, s[4:5]
	v_cndmask_b32_e64 v0, v39, v0, s[4:5]
	v_cndmask_b32_e32 v39, v46, v42, vcc
	v_cndmask_b32_e64 v14, v14, v39, s[4:5]
	v_sub_u32_e32 v41, 32, v5
	v_cmp_eq_u32_e64 s[10:11], 0, v5
	v_cndmask_b32_e32 v5, v44, v40, vcc
	v_cndmask_b32_e64 v0, v0, v17, s[8:9]
	v_cndmask_b32_e64 v17, v17, v14, s[8:9]
	;; [unrolled: 1-line block ×3, first 2 shown]
	v_alignbit_b32 v43, v0, v17, v41
	v_cndmask_b32_e64 v14, v14, v39, s[8:9]
	v_cndmask_b32_e64 v0, v43, v0, s[10:11]
	v_alignbit_b32 v40, v17, v14, v41
	v_cndmask_b32_e32 v38, v42, v38, vcc
	v_cndmask_b32_e64 v17, v40, v17, s[10:11]
	v_bfe_u32 v44, v0, 29, 1
	v_cndmask_b32_e64 v5, v5, v38, s[4:5]
	v_alignbit_b32 v40, v0, v17, 30
	v_sub_u32_e32 v45, 0, v44
	v_cndmask_b32_e64 v5, v39, v5, s[8:9]
	v_xor_b32_e32 v46, v40, v45
	v_alignbit_b32 v38, v14, v5, v41
	v_cndmask_b32_e64 v14, v38, v14, s[10:11]
	v_ffbh_u32_e32 v38, v46
	v_add_u32_e32 v38, 1, v38
	v_cmp_ne_u32_e32 vcc, v40, v45
	v_alignbit_b32 v17, v17, v14, 30
	v_cndmask_b32_e32 v38, 33, v38, vcc
	v_alignbit_b32 v5, v14, v5, 30
	v_xor_b32_e32 v17, v17, v45
	v_sub_u32_e32 v39, 32, v38
	v_xor_b32_e32 v5, v5, v45
	v_alignbit_b32 v40, v46, v17, v39
	v_alignbit_b32 v5, v17, v5, v39
	;; [unrolled: 1-line block ×3, first 2 shown]
	v_ffbh_u32_e32 v17, v14
	v_min_u32_e32 v17, 32, v17
	v_lshrrev_b32_e32 v43, 29, v0
	v_sub_u32_e32 v39, 31, v17
	v_alignbit_b32 v5, v14, v5, v39
	v_lshlrev_b32_e32 v14, 31, v43
	v_or_b32_e32 v39, 0x33800000, v14
	v_add_lshl_u32 v17, v17, v38, 23
	v_lshrrev_b32_e32 v5, 9, v5
	v_sub_u32_e32 v17, v39, v17
	v_or_b32_e32 v5, v17, v5
	v_alignbit_b32 v17, v38, v40, 9
	v_or_b32_e32 v14, v17, v14
	v_xor_b32_e32 v14, 1.0, v14
	v_mul_f32_e32 v17, 0x3fc90fda, v14
	v_fma_f32 v38, v14, s57, -v17
	v_fmac_f32_e32 v38, 0x33a22168, v14
	v_fmac_f32_e32 v38, 0x3fc90fda, v5
	v_lshrrev_b32_e32 v0, 30, v0
	v_add_f32_e32 v14, v17, v38
	v_add_u32_e32 v5, v44, v0
.LBB349_21:                             ;   in Loop: Header=BB349_13 Depth=3
	s_or_saveexec_b64 s[4:5], s[42:43]
	v_mul_f32_e64 v0, |v13|, s58
	v_rndne_f32_e32 v38, v0
	s_xor_b64 exec, exec, s[4:5]
; %bb.22:                               ;   in Loop: Header=BB349_13 Depth=3
	v_cvt_i32_f32_e32 v5, v38
	v_fma_f32 v14, v38, s59, |v13|
	v_fmac_f32_e32 v14, 0xb3a22168, v38
	v_fmac_f32_e32 v14, 0xa7c234c4, v38
; %bb.23:                               ;   in Loop: Header=BB349_13 Depth=3
	s_or_b64 exec, exec, s[4:5]
                                        ; implicit-def: $vgpr0
                                        ; implicit-def: $vgpr17
	s_and_saveexec_b64 s[4:5], s[40:41]
	s_xor_b64 s[40:41], exec, s[4:5]
	s_cbranch_execz .LBB349_25
; %bb.24:                               ;   in Loop: Header=BB349_13 Depth=3
	v_cmp_lt_u32_e32 vcc, 63, v16
	v_cndmask_b32_e32 v0, 0, v28, vcc
	v_add_u32_e32 v0, v0, v16
	v_cmp_lt_u32_e64 s[4:5], 31, v0
	v_cndmask_b32_e64 v16, 0, v29, s[4:5]
	v_add_u32_e32 v0, v16, v0
	v_cmp_lt_u32_e64 s[8:9], 31, v0
	v_cndmask_b32_e64 v16, 0, v29, s[8:9]
	v_add_u32_e32 v50, v16, v0
	v_mad_u64_u32 v[16:17], s[10:11], v15, s49, 0
	v_mov_b32_e32 v0, v17
	v_mad_u64_u32 v[38:39], s[10:11], v15, s50, v[0:1]
	v_mov_b32_e32 v0, v39
	;; [unrolled: 2-line block ×6, first 2 shown]
	v_mad_u64_u32 v[48:49], s[10:11], v15, s55, v[0:1]
	v_cndmask_b32_e32 v17, v46, v42, vcc
	v_cndmask_b32_e32 v0, v48, v44, vcc
	;; [unrolled: 1-line block ×3, first 2 shown]
	v_cndmask_b32_e64 v15, v0, v17, s[4:5]
	v_cndmask_b32_e64 v0, v39, v0, s[4:5]
	v_cndmask_b32_e32 v39, v44, v40, vcc
	v_cndmask_b32_e64 v17, v17, v39, s[4:5]
	v_cndmask_b32_e32 v38, v42, v38, vcc
	v_cndmask_b32_e64 v0, v0, v15, s[8:9]
	v_cndmask_b32_e64 v15, v15, v17, s[8:9]
	v_sub_u32_e32 v41, 32, v50
	v_cndmask_b32_e64 v39, v39, v38, s[4:5]
	v_alignbit_b32 v43, v0, v15, v41
	v_cmp_eq_u32_e64 s[10:11], 0, v50
	v_cndmask_b32_e64 v17, v17, v39, s[8:9]
	v_cndmask_b32_e64 v0, v43, v0, s[10:11]
	v_alignbit_b32 v42, v15, v17, v41
	v_cndmask_b32_e32 v16, v40, v16, vcc
	v_cndmask_b32_e64 v15, v42, v15, s[10:11]
	v_bfe_u32 v44, v0, 29, 1
	v_cndmask_b32_e64 v16, v38, v16, s[4:5]
	v_alignbit_b32 v42, v0, v15, 30
	v_sub_u32_e32 v45, 0, v44
	v_cndmask_b32_e64 v16, v39, v16, s[8:9]
	v_xor_b32_e32 v46, v42, v45
	v_alignbit_b32 v38, v17, v16, v41
	v_cndmask_b32_e64 v17, v38, v17, s[10:11]
	v_ffbh_u32_e32 v38, v46
	v_add_u32_e32 v38, 1, v38
	v_cmp_ne_u32_e32 vcc, v42, v45
	v_alignbit_b32 v15, v15, v17, 30
	v_cndmask_b32_e32 v38, 33, v38, vcc
	v_alignbit_b32 v16, v17, v16, 30
	v_xor_b32_e32 v15, v15, v45
	v_sub_u32_e32 v39, 32, v38
	v_xor_b32_e32 v16, v16, v45
	v_alignbit_b32 v40, v46, v15, v39
	v_alignbit_b32 v15, v15, v16, v39
	;; [unrolled: 1-line block ×3, first 2 shown]
	v_ffbh_u32_e32 v17, v16
	v_min_u32_e32 v17, 32, v17
	v_lshrrev_b32_e32 v43, 29, v0
	v_sub_u32_e32 v39, 31, v17
	v_alignbit_b32 v15, v16, v15, v39
	v_lshlrev_b32_e32 v16, 31, v43
	v_or_b32_e32 v39, 0x33800000, v16
	v_add_lshl_u32 v17, v17, v38, 23
	v_lshrrev_b32_e32 v15, 9, v15
	v_sub_u32_e32 v17, v39, v17
	v_or_b32_e32 v15, v17, v15
	v_alignbit_b32 v17, v38, v40, 9
	v_or_b32_e32 v16, v17, v16
	v_xor_b32_e32 v16, 1.0, v16
	v_mul_f32_e32 v17, 0x3fc90fda, v16
	v_fma_f32 v38, v16, s57, -v17
	v_fmac_f32_e32 v38, 0x33a22168, v16
	v_fmac_f32_e32 v38, 0x3fc90fda, v15
	v_lshrrev_b32_e32 v0, 30, v0
	v_add_f32_e32 v17, v17, v38
	v_add_u32_e32 v0, v44, v0
                                        ; implicit-def: $vgpr38
	s_andn2_saveexec_b64 s[4:5], s[40:41]
	s_cbranch_execnz .LBB349_26
	s_branch .LBB349_27
.LBB349_25:                             ;   in Loop: Header=BB349_13 Depth=3
	s_andn2_saveexec_b64 s[4:5], s[40:41]
.LBB349_26:                             ;   in Loop: Header=BB349_13 Depth=3
	v_cvt_i32_f32_e32 v0, v38
	v_fma_f32 v17, v38, s59, |v13|
	v_fmac_f32_e32 v17, 0xb3a22168, v38
	v_fmac_f32_e32 v17, 0xa7c234c4, v38
.LBB349_27:                             ;   in Loop: Header=BB349_13 Depth=3
	s_or_b64 exec, exec, s[4:5]
	v_mul_f32_e32 v15, 0x3fb8aa3b, v12
	v_rndne_f32_e32 v16, v15
	v_sub_f32_e32 v38, v15, v16
	v_fma_f32 v15, v12, s60, -v15
	v_fmac_f32_e32 v15, 0x32a5705f, v12
	v_add_f32_e32 v15, v38, v15
	v_cvt_i32_f32_e32 v16, v16
	v_exp_f32_e32 v15, v15
	v_cmp_ngt_f32_e32 vcc, s61, v12
	v_and_b32_e32 v41, 1, v0
	v_lshlrev_b32_e32 v0, 30, v0
	v_ldexp_f32 v15, v15, v16
	v_cndmask_b32_e32 v15, 0, v15, vcc
	v_cmp_nlt_f32_e32 vcc, s62, v12
	v_cndmask_b32_e32 v12, v30, v15, vcc
	v_lshlrev_b32_e32 v15, 30, v5
	v_and_b32_e32 v40, 0x80000000, v15
	v_mul_f32_e32 v15, v17, v17
	v_mov_b32_e32 v16, 0x3c0881c4
	v_fmac_f32_e32 v16, 0xb94c1982, v15
	v_fma_f32 v39, v15, v16, v18
	v_mov_b32_e32 v16, 0xbab64f3b
	v_and_b32_e32 v0, 0x80000000, v0
	v_xor_b32_e32 v3, v3, v13
	v_mov_b32_e32 v38, v14
	v_fmac_f32_e32 v16, 0x37d75334, v15
	v_xor_b32_e32 v0, v3, v0
	v_pk_mul_f32 v[38:39], v[14:15], v[38:39]
	v_mov_b32_e32 v3, 0xbab64f3b
	v_fma_f32 v16, v15, v16, v19
	v_fmac_f32_e32 v3, 0x37d75334, v38
	v_fma_f32 v16, v15, v16, v20
	v_fma_f32 v3, v38, v3, v19
	v_fma_f32 v42, v15, v16, 1.0
	v_fma_f32 v16, v38, v3, v20
	v_mov_b32_e32 v3, 0x3c0881c4
	v_fmac_f32_e32 v3, 0xb94c1982, v38
	v_fma_f32 v3, v38, v3, v18
	v_mul_f32_e32 v3, v38, v3
	v_fmac_f32_e32 v14, v14, v3
	v_mov_b32_e32 v3, v17
	v_and_b32_e32 v5, 1, v5
	v_pk_fma_f32 v[16:17], v[38:39], v[16:17], v[2:3]
	v_cmp_eq_u32_e32 vcc, 0, v41
	v_cndmask_b32_e32 v3, v42, v17, vcc
	v_cmp_eq_u32_e32 vcc, 0, v5
	v_cndmask_b32_e64 v5, -v14, v16, vcc
	v_xor_b32_e32 v5, v40, v5
	v_xor_b32_e32 v0, v0, v3
	v_cmp_class_f32_e64 vcc, v13, s7
	v_cndmask_b32_e32 v15, v31, v0, vcc
	v_cndmask_b32_e32 v14, v31, v5, vcc
	v_pk_mul_f32 v[12:13], v[12:13], v[14:15] op_sel_hi:[0,1]
	v_max_f32_e64 v0, |v12|, |v13|
	v_cvt_f64_f32_e32 v[14:15], v0
	v_frexp_exp_i32_f64_e32 v3, v[14:15]
	v_sub_u32_e32 v5, 0, v3
	v_ldexp_f32 v14, |v12|, v5
	v_ldexp_f32 v5, |v13|, v5
	v_mul_f32_e32 v5, v5, v5
	v_fmac_f32_e32 v5, v14, v14
	v_sqrt_f32_e32 v5, v5
	v_cmp_eq_f32_e32 vcc, s63, v0
	v_add_f32_e32 v0, 1.0, v12
                                        ; implicit-def: $vgpr14
	v_ldexp_f32 v3, v5, v3
	v_cmp_ngt_f32_e64 s[4:5], 0.5, v3
	v_max_f32_e64 v3, |v0|, |v13|
	s_or_b64 s[4:5], vcc, s[4:5]
	s_and_saveexec_b64 s[8:9], s[4:5]
	s_xor_b64 s[8:9], exec, s[8:9]
	s_cbranch_execz .LBB349_29
; %bb.28:                               ;   in Loop: Header=BB349_13 Depth=3
	v_cvt_f64_f32_e32 v[14:15], v3
	v_frexp_exp_i32_f64_e32 v5, v[14:15]
	v_sub_u32_e32 v14, 0, v5
	v_ldexp_f32 v15, |v0|, v14
	v_ldexp_f32 v14, |v13|, v14
	v_mul_f32_e32 v14, v14, v14
	v_fmac_f32_e32 v14, v15, v15
	v_sqrt_f32_e32 v14, v14
	v_cmp_neq_f32_e32 vcc, s63, v3
	v_ldexp_f32 v5, v14, v5
	v_cndmask_b32_e32 v5, v30, v5, vcc
	v_cmp_gt_f32_e32 vcc, s48, v5
	v_cndmask_b32_e32 v14, 1.0, v32, vcc
	v_mul_f32_e32 v5, v5, v14
	v_log_f32_e32 v5, v5
	v_mul_f32_e32 v14, 0x3f317217, v5
	v_fma_f32 v15, v5, s64, -v14
	v_fmac_f32_e32 v15, 0x3377d1cf, v5
	v_add_f32_e32 v14, v14, v15
	v_cmp_lt_f32_e64 s[4:5], |v5|, s63
	v_cndmask_b32_e64 v5, v5, v14, s[4:5]
	v_cndmask_b32_e32 v14, 0, v33, vcc
	v_sub_f32_e32 v14, v5, v14
.LBB349_29:                             ;   in Loop: Header=BB349_13 Depth=3
	s_andn2_saveexec_b64 s[4:5], s[8:9]
	s_cbranch_execz .LBB349_33
; %bb.30:                               ;   in Loop: Header=BB349_13 Depth=3
	v_add_f32_e32 v14, 2.0, v12
	v_mov_b32_e32 v15, v13
	v_pk_mul_f32 v[14:15], v[12:13], v[14:15]
	v_add_f32_e32 v14, v14, v15
	v_cmp_neq_f32_e32 vcc, 0, v14
	s_and_saveexec_b64 s[8:9], vcc
	s_cbranch_execz .LBB349_32
; %bb.31:                               ;   in Loop: Header=BB349_13 Depth=3
	v_add_f32_e32 v5, 1.0, v14
	v_add_f32_e32 v12, -1.0, v5
	v_sub_f32_e32 v15, v12, v5
	v_add_f32_e32 v15, 1.0, v15
	v_sub_f32_e32 v12, v14, v12
	v_add_f32_e32 v12, v12, v15
	v_frexp_mant_f32_e32 v15, v5
	v_cvt_f64_f32_e32 v[16:17], v5
	v_frexp_exp_i32_f64_e32 v16, v[16:17]
	v_cmp_gt_f32_e32 vcc, s65, v15
	v_subbrev_co_u32_e32 v15, vcc, 0, v16, vcc
	v_sub_u32_e32 v16, 0, v15
	v_ldexp_f32 v5, v5, v16
	v_ldexp_f32 v12, v12, v16
	v_add_f32_e32 v16, -1.0, v5
	v_add_f32_e32 v17, 1.0, v16
	v_sub_f32_e32 v17, v5, v17
	v_add_f32_e32 v38, v12, v17
	v_add_f32_e32 v17, 1.0, v5
	v_add_f32_e32 v39, -1.0, v17
	v_sub_f32_e32 v5, v5, v39
	v_add_f32_e32 v5, v12, v5
	v_add_f32_e32 v12, v17, v5
	v_rcp_f32_e32 v44, v12
	v_sub_f32_e32 v17, v12, v17
	v_sub_f32_e32 v5, v5, v17
	v_add_f32_e32 v17, v16, v38
	v_sub_f32_e32 v16, v17, v16
	v_mul_f32_e32 v46, v17, v44
	v_sub_f32_e32 v45, v38, v16
	v_mul_f32_e32 v38, v12, v46
	v_fma_f32 v40, v46, v12, -v38
	v_fmac_f32_e32 v40, v46, v5
	v_add_f32_e32 v16, v38, v40
	v_sub_f32_e32 v39, v17, v16
	v_pk_add_f32 v[42:43], v[16:17], v[38:39] neg_lo:[0,1] neg_hi:[0,1]
	v_mov_b32_e32 v41, v16
	v_pk_add_f32 v[16:17], v[42:43], v[40:41] neg_lo:[0,1] neg_hi:[0,1]
	v_add_f32_e32 v17, v45, v17
	v_add_f32_e32 v16, v16, v17
	;; [unrolled: 1-line block ×3, first 2 shown]
	v_mul_f32_e32 v45, v44, v17
	v_mul_f32_e32 v38, v12, v45
	v_fma_f32 v40, v45, v12, -v38
	v_fmac_f32_e32 v40, v45, v5
	v_sub_f32_e32 v5, v39, v17
	v_add_f32_e32 v5, v16, v5
	v_add_f32_e32 v16, v38, v40
	v_sub_f32_e32 v39, v17, v16
	v_pk_add_f32 v[42:43], v[16:17], v[38:39] neg_lo:[0,1] neg_hi:[0,1]
	v_mov_b32_e32 v41, v16
	v_pk_add_f32 v[16:17], v[42:43], v[40:41] neg_lo:[0,1] neg_hi:[0,1]
	v_add_f32_e32 v5, v5, v17
	v_add_f32_e32 v5, v16, v5
	;; [unrolled: 1-line block ×4, first 2 shown]
	v_sub_f32_e32 v16, v12, v46
	v_mul_f32_e32 v5, v44, v5
	v_sub_f32_e32 v16, v45, v16
	v_add_f32_e32 v17, v16, v5
	v_add_f32_e32 v38, v12, v17
	v_cvt_f32_i32_e32 v16, v15
	v_mul_f32_e32 v40, v38, v38
	v_mov_b32_e32 v5, 0x3ecc95a3
	v_fmac_f32_e32 v5, 0x3e9b6dac, v40
	v_sub_f32_e32 v12, v38, v12
	v_fma_f32 v5, v40, v5, v21
	v_sub_f32_e32 v12, v17, v12
	v_mul_f32_e32 v17, v38, v40
	v_pk_mul_f32 v[40:41], v[16:17], v[4:5]
	v_ldexp_f32 v39, v38, 1
	v_fma_f32 v38, v16, s66, -v40
	v_fmac_f32_e32 v38, 0xb102e308, v16
	v_pk_add_f32 v[16:17], v[40:41], v[38:39]
	v_sub_f32_e32 v5, v17, v39
	v_ldexp_f32 v12, v12, 1
	v_sub_f32_e32 v5, v41, v5
	v_add_f32_e32 v43, v12, v5
	v_mov_b32_e32 v42, v40
	v_pk_add_f32 v[40:41], v[16:17], v[40:41] neg_lo:[0,1] neg_hi:[0,1]
	v_pk_add_f32 v[44:45], v[16:17], v[42:43]
	v_mov_b32_e32 v41, v45
	v_mov_b32_e32 v39, v16
	v_pk_add_f32 v[46:47], v[38:39], v[40:41] neg_lo:[0,1] neg_hi:[0,1]
	v_pk_add_f32 v[38:39], v[38:39], v[40:41]
	v_mov_b32_e32 v12, v39
	v_pk_add_f32 v[40:41], v[12:13], v[16:17] neg_lo:[0,1] neg_hi:[0,1]
	v_mov_b32_e32 v5, v40
	v_pk_add_f32 v[48:49], v[44:45], v[4:5] neg_lo:[0,1] neg_hi:[0,1]
	v_mov_b32_e32 v38, v45
	v_mov_b32_e32 v44, v17
	;; [unrolled: 1-line block ×4, first 2 shown]
	v_pk_add_f32 v[38:39], v[38:39], v[44:45] neg_lo:[0,1] neg_hi:[0,1]
	v_mov_b32_e32 v40, v43
	v_mov_b32_e32 v41, v16
	v_pk_add_f32 v[16:17], v[40:41], v[38:39] neg_lo:[0,1] neg_hi:[0,1]
	v_mov_b32_e32 v48, v46
	v_pk_add_f32 v[38:39], v[48:49], v[16:17]
	v_mov_b32_e32 v40, v39
	v_pk_add_f32 v[40:41], v[38:39], v[40:41]
	v_pk_add_f32 v[42:43], v[12:13], v[40:41]
	v_mov_b32_e32 v39, v42
	v_pk_add_f32 v[44:45], v[38:39], v[46:47] neg_lo:[0,1] neg_hi:[0,1]
	v_mov_b32_e32 v17, v40
	v_sub_f32_e32 v5, v38, v44
	v_pk_add_f32 v[16:17], v[16:17], v[44:45] neg_lo:[0,1] neg_hi:[0,1]
	v_sub_f32_e32 v5, v46, v5
	v_add_f32_e32 v5, v16, v5
	v_add_f32_e32 v5, v5, v17
	;; [unrolled: 1-line block ×3, first 2 shown]
	v_cmp_eq_f32_e32 vcc, s63, v14
	v_cndmask_b32_e32 v5, v5, v14, vcc
	v_cmp_ngt_f32_e32 vcc, -1.0, v14
	v_cndmask_b32_e32 v5, v31, v5, vcc
	v_cmp_neq_f32_e32 vcc, -1.0, v14
	v_cndmask_b32_e32 v5, v34, v5, vcc
	v_cmp_lt_f32_e64 vcc, |v14|, s56
	v_cndmask_b32_e32 v5, v5, v14, vcc
	v_mul_f32_e32 v12, 0.5, v5
.LBB349_32:                             ;   in Loop: Header=BB349_13 Depth=3
	s_or_b64 exec, exec, s[8:9]
	v_mov_b32_e32 v14, v12
.LBB349_33:                             ;   in Loop: Header=BB349_13 Depth=3
	s_or_b64 exec, exec, s[4:5]
	v_max_f32_e64 v15, |v13|, |v13|
	v_max_f32_e64 v16, |v0|, |v0|
	v_min_f32_e32 v15, v16, v15
	v_frexp_mant_f32_e32 v16, v3
	v_rcp_f32_e32 v16, v16
	v_frexp_exp_i32_f32_e32 v3, v3
	v_frexp_exp_i32_f32_e32 v17, v15
	v_frexp_mant_f32_e32 v15, v15
	v_mul_f32_e32 v15, v15, v16
	v_sub_u32_e32 v3, v17, v3
	v_ldexp_f32 v3, v15, v3
	v_mul_f32_e32 v15, v3, v3
	v_mov_b32_e32 v16, 0xbc7a590c
	v_fmac_f32_e32 v16, 0x3b2d2a58, v15
	v_fma_f32 v16, v15, v16, v22
	v_fma_f32 v16, v15, v16, v23
	v_fma_f32 v16, v15, v16, v24
	v_fma_f32 v16, v15, v16, v25
	v_fma_f32 v16, v15, v16, v26
	v_fma_f32 v16, v15, v16, v27
	v_mul_f32_e32 v15, v15, v16
	v_cmp_gt_i32_e64 s[4:5], 0, v0
	v_fmac_f32_e32 v3, v3, v15
	v_cndmask_b32_e64 v12, 0, v37, s[4:5]
	v_sub_f32_e32 v15, 0x3fc90fdb, v3
	v_cmp_gt_f32_e64 s[4:5], |v13|, |v0|
	v_cndmask_b32_e64 v3, v3, v15, s[4:5]
	v_cmp_gt_f32_e32 vcc, 0, v0
	v_sub_f32_e32 v15, 0x40490fdb, v3
	v_cmp_class_f32_e64 s[8:9], v13, s67
	v_cmp_class_f32_e64 s[10:11], v0, s67
	v_cndmask_b32_e32 v5, v35, v36, vcc
	v_cndmask_b32_e32 v3, v3, v15, vcc
	v_cmp_eq_f32_e32 vcc, 0, v13
	v_cndmask_b32_e32 v3, v3, v12, vcc
	s_and_b64 vcc, s[10:11], s[8:9]
	v_cndmask_b32_e32 v3, v3, v5, vcc
	v_cmp_o_f32_e32 vcc, v0, v13
	v_cndmask_b32_e32 v0, v31, v3, vcc
	v_bfi_b32 v15, s46, v0, v13
	v_pk_add_f32 v[12:13], v[10:11], v[14:15]
                                        ; implicit-def: $vgpr15
                                        ; implicit-def: $vgpr11
.LBB349_34:                             ;   in Loop: Header=BB349_13 Depth=3
	s_andn2_saveexec_b64 s[38:39], s[38:39]
	s_cbranch_execz .LBB349_11
; %bb.35:                               ;   in Loop: Header=BB349_13 Depth=3
	v_cmp_ngt_f32_e32 vcc, 0, v12
	s_and_saveexec_b64 s[40:41], vcc
	s_cbranch_execz .LBB349_10
; %bb.36:                               ;   in Loop: Header=BB349_13 Depth=3
	v_and_b32_e32 v3, 0x7fffffff, v13
	v_lshrrev_b32_e32 v0, 23, v3
	v_and_b32_e32 v5, 0x7fffff, v3
	v_cmp_nlt_f32_e64 s[42:43], |v13|, s47
	v_add_u32_e32 v17, 0xffffff88, v0
	v_or_b32_e32 v16, 0x800000, v5
                                        ; implicit-def: $vgpr10
                                        ; implicit-def: $vgpr5
	s_and_saveexec_b64 s[4:5], s[42:43]
	s_xor_b64 s[44:45], exec, s[4:5]
	s_cbranch_execz .LBB349_38
; %bb.37:                               ;   in Loop: Header=BB349_13 Depth=3
	v_cmp_lt_u32_e32 vcc, 63, v17
	v_cndmask_b32_e32 v0, 0, v28, vcc
	v_add_u32_e32 v0, v0, v17
	v_cmp_lt_u32_e64 s[4:5], 31, v0
	v_cndmask_b32_e64 v5, 0, v29, s[4:5]
	v_add_u32_e32 v0, v5, v0
	v_cmp_lt_u32_e64 s[8:9], 31, v0
	v_cndmask_b32_e64 v5, 0, v29, s[8:9]
	v_mad_u64_u32 v[38:39], s[10:11], v16, s49, 0
	v_add_u32_e32 v5, v5, v0
	v_mov_b32_e32 v0, v39
	v_mad_u64_u32 v[40:41], s[10:11], v16, s50, v[0:1]
	v_mov_b32_e32 v0, v41
	v_mad_u64_u32 v[42:43], s[10:11], v16, s51, v[0:1]
	;; [unrolled: 2-line block ×6, first 2 shown]
	v_cndmask_b32_e32 v10, v48, v44, vcc
	v_cndmask_b32_e32 v0, v50, v46, vcc
	;; [unrolled: 1-line block ×3, first 2 shown]
	v_cndmask_b32_e64 v12, v0, v10, s[4:5]
	v_cndmask_b32_e64 v0, v14, v0, s[4:5]
	v_cndmask_b32_e32 v14, v46, v42, vcc
	v_cndmask_b32_e64 v10, v10, v14, s[4:5]
	v_sub_u32_e32 v39, 32, v5
	v_cmp_eq_u32_e64 s[10:11], 0, v5
	v_cndmask_b32_e32 v5, v44, v40, vcc
	v_cndmask_b32_e64 v0, v0, v12, s[8:9]
	v_cndmask_b32_e64 v12, v12, v10, s[8:9]
	;; [unrolled: 1-line block ×3, first 2 shown]
	v_alignbit_b32 v41, v0, v12, v39
	v_cndmask_b32_e64 v10, v10, v14, s[8:9]
	v_cndmask_b32_e64 v0, v41, v0, s[10:11]
	v_alignbit_b32 v40, v12, v10, v39
	v_cndmask_b32_e32 v38, v42, v38, vcc
	v_cndmask_b32_e64 v12, v40, v12, s[10:11]
	v_bfe_u32 v43, v0, 29, 1
	v_cndmask_b32_e64 v5, v5, v38, s[4:5]
	v_alignbit_b32 v40, v0, v12, 30
	v_sub_u32_e32 v44, 0, v43
	v_cndmask_b32_e64 v5, v14, v5, s[8:9]
	v_xor_b32_e32 v45, v40, v44
	v_alignbit_b32 v14, v10, v5, v39
	v_cndmask_b32_e64 v10, v14, v10, s[10:11]
	v_ffbh_u32_e32 v14, v45
	v_add_u32_e32 v14, 1, v14
	v_cmp_ne_u32_e32 vcc, v40, v44
	v_alignbit_b32 v12, v12, v10, 30
	v_cndmask_b32_e32 v14, 33, v14, vcc
	v_alignbit_b32 v5, v10, v5, 30
	v_xor_b32_e32 v12, v12, v44
	v_sub_u32_e32 v38, 32, v14
	v_xor_b32_e32 v5, v5, v44
	v_alignbit_b32 v39, v45, v12, v38
	v_alignbit_b32 v5, v12, v5, v38
	;; [unrolled: 1-line block ×3, first 2 shown]
	v_ffbh_u32_e32 v12, v10
	v_min_u32_e32 v12, 32, v12
	v_lshrrev_b32_e32 v41, 29, v0
	v_sub_u32_e32 v38, 31, v12
	v_alignbit_b32 v5, v10, v5, v38
	v_lshlrev_b32_e32 v10, 31, v41
	v_or_b32_e32 v38, 0x33800000, v10
	v_add_lshl_u32 v12, v12, v14, 23
	v_lshrrev_b32_e32 v5, 9, v5
	v_sub_u32_e32 v12, v38, v12
	v_or_b32_e32 v5, v12, v5
	v_alignbit_b32 v12, v14, v39, 9
	v_or_b32_e32 v10, v12, v10
	v_xor_b32_e32 v10, 1.0, v10
	v_mul_f32_e32 v12, 0x3fc90fda, v10
	v_fma_f32 v14, v10, s57, -v12
	v_fmac_f32_e32 v14, 0x33a22168, v10
	v_fmac_f32_e32 v14, 0x3fc90fda, v5
	v_lshrrev_b32_e32 v0, 30, v0
	v_add_f32_e32 v5, v12, v14
	v_add_u32_e32 v10, v43, v0
.LBB349_38:                             ;   in Loop: Header=BB349_13 Depth=3
	s_or_saveexec_b64 s[4:5], s[44:45]
	v_mul_f32_e64 v0, |v13|, s58
	v_rndne_f32_e32 v0, v0
	s_xor_b64 exec, exec, s[4:5]
; %bb.39:                               ;   in Loop: Header=BB349_13 Depth=3
	v_cvt_i32_f32_e32 v10, v0
	v_fma_f32 v5, v0, s59, |v13|
	v_fmac_f32_e32 v5, 0xb3a22168, v0
	v_fmac_f32_e32 v5, 0xa7c234c4, v0
; %bb.40:                               ;   in Loop: Header=BB349_13 Depth=3
	s_or_b64 exec, exec, s[4:5]
                                        ; implicit-def: $vgpr12
                                        ; implicit-def: $vgpr14
	s_and_saveexec_b64 s[4:5], s[42:43]
	s_xor_b64 s[42:43], exec, s[4:5]
	s_cbranch_execz .LBB349_42
; %bb.41:                               ;   in Loop: Header=BB349_13 Depth=3
	v_cmp_lt_u32_e32 vcc, 63, v17
	v_cndmask_b32_e32 v0, 0, v28, vcc
	v_add_u32_e32 v0, v0, v17
	v_cmp_lt_u32_e64 s[4:5], 31, v0
	v_cndmask_b32_e64 v12, 0, v29, s[4:5]
	v_add_u32_e32 v0, v12, v0
	v_cmp_lt_u32_e64 s[8:9], 31, v0
	v_cndmask_b32_e64 v12, 0, v29, s[8:9]
	v_mad_u64_u32 v[38:39], s[10:11], v16, s49, 0
	v_add_u32_e32 v12, v12, v0
	v_mov_b32_e32 v0, v39
	v_mad_u64_u32 v[40:41], s[10:11], v16, s50, v[0:1]
	v_mov_b32_e32 v0, v41
	v_mad_u64_u32 v[42:43], s[10:11], v16, s51, v[0:1]
	;; [unrolled: 2-line block ×6, first 2 shown]
	v_cndmask_b32_e32 v14, v48, v44, vcc
	v_cndmask_b32_e32 v0, v16, v46, vcc
	;; [unrolled: 1-line block ×3, first 2 shown]
	v_cndmask_b32_e64 v16, v0, v14, s[4:5]
	v_cndmask_b32_e64 v0, v17, v0, s[4:5]
	v_cndmask_b32_e32 v17, v46, v42, vcc
	v_cndmask_b32_e64 v14, v14, v17, s[4:5]
	v_sub_u32_e32 v39, 32, v12
	v_cmp_eq_u32_e64 s[10:11], 0, v12
	v_cndmask_b32_e32 v12, v44, v40, vcc
	v_cndmask_b32_e64 v0, v0, v16, s[8:9]
	v_cndmask_b32_e64 v16, v16, v14, s[8:9]
	;; [unrolled: 1-line block ×3, first 2 shown]
	v_alignbit_b32 v41, v0, v16, v39
	v_cndmask_b32_e64 v14, v14, v17, s[8:9]
	v_cndmask_b32_e64 v0, v41, v0, s[10:11]
	v_alignbit_b32 v40, v16, v14, v39
	v_cndmask_b32_e32 v38, v42, v38, vcc
	v_cndmask_b32_e64 v16, v40, v16, s[10:11]
	v_bfe_u32 v43, v0, 29, 1
	v_cndmask_b32_e64 v12, v12, v38, s[4:5]
	v_alignbit_b32 v40, v0, v16, 30
	v_sub_u32_e32 v44, 0, v43
	v_cndmask_b32_e64 v12, v17, v12, s[8:9]
	v_xor_b32_e32 v45, v40, v44
	v_alignbit_b32 v17, v14, v12, v39
	v_cndmask_b32_e64 v14, v17, v14, s[10:11]
	v_ffbh_u32_e32 v17, v45
	v_add_u32_e32 v17, 1, v17
	v_cmp_ne_u32_e32 vcc, v40, v44
	v_alignbit_b32 v16, v16, v14, 30
	v_cndmask_b32_e32 v17, 33, v17, vcc
	v_alignbit_b32 v12, v14, v12, 30
	v_xor_b32_e32 v16, v16, v44
	v_sub_u32_e32 v38, 32, v17
	v_xor_b32_e32 v12, v12, v44
	v_alignbit_b32 v39, v45, v16, v38
	v_alignbit_b32 v12, v16, v12, v38
	;; [unrolled: 1-line block ×3, first 2 shown]
	v_ffbh_u32_e32 v16, v14
	v_min_u32_e32 v16, 32, v16
	v_lshrrev_b32_e32 v41, 29, v0
	v_sub_u32_e32 v38, 31, v16
	v_alignbit_b32 v12, v14, v12, v38
	v_lshlrev_b32_e32 v14, 31, v41
	v_or_b32_e32 v38, 0x33800000, v14
	v_add_lshl_u32 v16, v16, v17, 23
	v_lshrrev_b32_e32 v12, 9, v12
	v_sub_u32_e32 v16, v38, v16
	v_or_b32_e32 v12, v16, v12
	v_alignbit_b32 v16, v17, v39, 9
	v_or_b32_e32 v14, v16, v14
	v_xor_b32_e32 v14, 1.0, v14
	v_mul_f32_e32 v16, 0x3fc90fda, v14
	v_fma_f32 v17, v14, s57, -v16
	v_fmac_f32_e32 v17, 0x33a22168, v14
	v_fmac_f32_e32 v17, 0x3fc90fda, v12
	v_lshrrev_b32_e32 v0, 30, v0
	v_add_f32_e32 v14, v16, v17
	v_add_u32_e32 v12, v43, v0
                                        ; implicit-def: $vgpr0
	s_andn2_saveexec_b64 s[4:5], s[42:43]
	s_cbranch_execnz .LBB349_43
	s_branch .LBB349_44
.LBB349_42:                             ;   in Loop: Header=BB349_13 Depth=3
	s_andn2_saveexec_b64 s[4:5], s[42:43]
.LBB349_43:                             ;   in Loop: Header=BB349_13 Depth=3
	v_cvt_i32_f32_e32 v12, v0
	v_fma_f32 v14, v0, s59, |v13|
	v_fmac_f32_e32 v14, 0xb3a22168, v0
	v_fmac_f32_e32 v14, 0xa7c234c4, v0
.LBB349_44:                             ;   in Loop: Header=BB349_13 Depth=3
	s_or_b64 exec, exec, s[4:5]
	v_and_b32_e32 v16, 0x7fffffff, v11
	v_lshrrev_b32_e32 v0, 23, v16
	v_and_b32_e32 v17, 0x7fffff, v16
	v_cmp_nlt_f32_e64 s[42:43], |v11|, s47
	v_add_u32_e32 v40, 0xffffff88, v0
	v_or_b32_e32 v39, 0x800000, v17
                                        ; implicit-def: $vgpr38
                                        ; implicit-def: $vgpr17
	s_and_saveexec_b64 s[4:5], s[42:43]
	s_xor_b64 s[44:45], exec, s[4:5]
	s_cbranch_execz .LBB349_46
; %bb.45:                               ;   in Loop: Header=BB349_13 Depth=3
	v_cmp_lt_u32_e32 vcc, 63, v40
	v_cndmask_b32_e32 v0, 0, v28, vcc
	v_add_u32_e32 v0, v0, v40
	v_cmp_lt_u32_e64 s[4:5], 31, v0
	v_cndmask_b32_e64 v17, 0, v29, s[4:5]
	v_add_u32_e32 v0, v17, v0
	v_cmp_lt_u32_e64 s[8:9], 31, v0
	v_cndmask_b32_e64 v17, 0, v29, s[8:9]
	v_mad_u64_u32 v[42:43], s[10:11], v39, s49, 0
	v_add_u32_e32 v17, v17, v0
	v_mov_b32_e32 v0, v43
	v_mad_u64_u32 v[44:45], s[10:11], v39, s50, v[0:1]
	v_mov_b32_e32 v0, v45
	v_mad_u64_u32 v[46:47], s[10:11], v39, s51, v[0:1]
	v_mov_b32_e32 v0, v47
	v_mad_u64_u32 v[48:49], s[10:11], v39, s52, v[0:1]
	v_mov_b32_e32 v0, v49
	v_mad_u64_u32 v[50:51], s[10:11], v39, s53, v[0:1]
	v_mov_b32_e32 v0, v51
	v_mad_u64_u32 v[52:53], s[10:11], v39, s54, v[0:1]
	v_mov_b32_e32 v0, v53
	v_mad_u64_u32 v[54:55], s[10:11], v39, s55, v[0:1]
	v_cndmask_b32_e32 v38, v52, v48, vcc
	v_cndmask_b32_e32 v0, v54, v50, vcc
	;; [unrolled: 1-line block ×3, first 2 shown]
	v_cndmask_b32_e64 v41, v0, v38, s[4:5]
	v_cndmask_b32_e64 v0, v43, v0, s[4:5]
	v_cndmask_b32_e32 v43, v50, v46, vcc
	v_cndmask_b32_e64 v38, v38, v43, s[4:5]
	v_sub_u32_e32 v45, 32, v17
	v_cmp_eq_u32_e64 s[10:11], 0, v17
	v_cndmask_b32_e32 v17, v48, v44, vcc
	v_cndmask_b32_e64 v0, v0, v41, s[8:9]
	v_cndmask_b32_e64 v41, v41, v38, s[8:9]
	;; [unrolled: 1-line block ×3, first 2 shown]
	v_alignbit_b32 v47, v0, v41, v45
	v_cndmask_b32_e64 v38, v38, v43, s[8:9]
	v_cndmask_b32_e64 v0, v47, v0, s[10:11]
	v_alignbit_b32 v44, v41, v38, v45
	v_cndmask_b32_e32 v42, v46, v42, vcc
	v_cndmask_b32_e64 v41, v44, v41, s[10:11]
	v_bfe_u32 v48, v0, 29, 1
	v_cndmask_b32_e64 v17, v17, v42, s[4:5]
	v_alignbit_b32 v44, v0, v41, 30
	v_sub_u32_e32 v49, 0, v48
	v_cndmask_b32_e64 v17, v43, v17, s[8:9]
	v_xor_b32_e32 v50, v44, v49
	v_alignbit_b32 v42, v38, v17, v45
	v_cndmask_b32_e64 v38, v42, v38, s[10:11]
	v_ffbh_u32_e32 v42, v50
	v_add_u32_e32 v42, 1, v42
	v_cmp_ne_u32_e32 vcc, v44, v49
	v_alignbit_b32 v41, v41, v38, 30
	v_cndmask_b32_e32 v42, 33, v42, vcc
	v_alignbit_b32 v17, v38, v17, 30
	v_xor_b32_e32 v41, v41, v49
	v_sub_u32_e32 v43, 32, v42
	v_xor_b32_e32 v17, v17, v49
	v_alignbit_b32 v44, v50, v41, v43
	v_alignbit_b32 v17, v41, v17, v43
	;; [unrolled: 1-line block ×3, first 2 shown]
	v_ffbh_u32_e32 v41, v38
	v_min_u32_e32 v41, 32, v41
	v_lshrrev_b32_e32 v47, 29, v0
	v_sub_u32_e32 v43, 31, v41
	v_alignbit_b32 v17, v38, v17, v43
	v_lshlrev_b32_e32 v38, 31, v47
	v_or_b32_e32 v43, 0x33800000, v38
	v_add_lshl_u32 v41, v41, v42, 23
	v_lshrrev_b32_e32 v17, 9, v17
	v_sub_u32_e32 v41, v43, v41
	v_or_b32_e32 v17, v41, v17
	v_alignbit_b32 v41, v42, v44, 9
	v_or_b32_e32 v38, v41, v38
	v_xor_b32_e32 v38, 1.0, v38
	v_mul_f32_e32 v41, 0x3fc90fda, v38
	v_fma_f32 v42, v38, s57, -v41
	v_fmac_f32_e32 v42, 0x33a22168, v38
	v_fmac_f32_e32 v42, 0x3fc90fda, v17
	v_lshrrev_b32_e32 v0, 30, v0
	v_add_f32_e32 v17, v41, v42
	v_add_u32_e32 v38, v48, v0
.LBB349_46:                             ;   in Loop: Header=BB349_13 Depth=3
	s_or_saveexec_b64 s[4:5], s[44:45]
	v_mul_f32_e64 v0, |v11|, s58
	v_rndne_f32_e32 v42, v0
	s_xor_b64 exec, exec, s[4:5]
; %bb.47:                               ;   in Loop: Header=BB349_13 Depth=3
	v_cvt_i32_f32_e32 v38, v42
	v_fma_f32 v17, v42, s59, |v11|
	v_fmac_f32_e32 v17, 0xb3a22168, v42
	v_fmac_f32_e32 v17, 0xa7c234c4, v42
; %bb.48:                               ;   in Loop: Header=BB349_13 Depth=3
	s_or_b64 exec, exec, s[4:5]
                                        ; implicit-def: $vgpr0
                                        ; implicit-def: $vgpr41
	s_and_saveexec_b64 s[4:5], s[42:43]
	s_xor_b64 s[42:43], exec, s[4:5]
	s_cbranch_execz .LBB349_50
; %bb.49:                               ;   in Loop: Header=BB349_13 Depth=3
	v_cmp_lt_u32_e32 vcc, 63, v40
	v_cndmask_b32_e32 v0, 0, v28, vcc
	v_add_u32_e32 v0, v0, v40
	v_cmp_lt_u32_e64 s[4:5], 31, v0
	v_cndmask_b32_e64 v40, 0, v29, s[4:5]
	v_add_u32_e32 v0, v40, v0
	v_cmp_lt_u32_e64 s[8:9], 31, v0
	v_cndmask_b32_e64 v40, 0, v29, s[8:9]
	v_add_u32_e32 v54, v40, v0
	v_mad_u64_u32 v[40:41], s[10:11], v39, s49, 0
	v_mov_b32_e32 v0, v41
	v_mad_u64_u32 v[42:43], s[10:11], v39, s50, v[0:1]
	v_mov_b32_e32 v0, v43
	;; [unrolled: 2-line block ×6, first 2 shown]
	v_mad_u64_u32 v[52:53], s[10:11], v39, s55, v[0:1]
	v_cndmask_b32_e32 v41, v50, v46, vcc
	v_cndmask_b32_e32 v0, v52, v48, vcc
	;; [unrolled: 1-line block ×3, first 2 shown]
	v_cndmask_b32_e64 v39, v0, v41, s[4:5]
	v_cndmask_b32_e64 v0, v43, v0, s[4:5]
	v_cndmask_b32_e32 v43, v48, v44, vcc
	v_cndmask_b32_e64 v41, v41, v43, s[4:5]
	v_cndmask_b32_e32 v42, v46, v42, vcc
	v_cndmask_b32_e64 v0, v0, v39, s[8:9]
	v_cndmask_b32_e64 v39, v39, v41, s[8:9]
	v_sub_u32_e32 v45, 32, v54
	v_cndmask_b32_e64 v43, v43, v42, s[4:5]
	v_alignbit_b32 v47, v0, v39, v45
	v_cmp_eq_u32_e64 s[10:11], 0, v54
	v_cndmask_b32_e64 v41, v41, v43, s[8:9]
	v_cndmask_b32_e64 v0, v47, v0, s[10:11]
	v_alignbit_b32 v46, v39, v41, v45
	v_cndmask_b32_e32 v40, v44, v40, vcc
	v_cndmask_b32_e64 v39, v46, v39, s[10:11]
	v_bfe_u32 v48, v0, 29, 1
	v_cndmask_b32_e64 v40, v42, v40, s[4:5]
	v_alignbit_b32 v46, v0, v39, 30
	v_sub_u32_e32 v49, 0, v48
	v_cndmask_b32_e64 v40, v43, v40, s[8:9]
	v_xor_b32_e32 v50, v46, v49
	v_alignbit_b32 v42, v41, v40, v45
	v_cndmask_b32_e64 v41, v42, v41, s[10:11]
	v_ffbh_u32_e32 v42, v50
	v_add_u32_e32 v42, 1, v42
	v_cmp_ne_u32_e32 vcc, v46, v49
	v_alignbit_b32 v39, v39, v41, 30
	v_cndmask_b32_e32 v42, 33, v42, vcc
	v_alignbit_b32 v40, v41, v40, 30
	v_xor_b32_e32 v39, v39, v49
	v_sub_u32_e32 v43, 32, v42
	v_xor_b32_e32 v40, v40, v49
	v_alignbit_b32 v44, v50, v39, v43
	v_alignbit_b32 v39, v39, v40, v43
	;; [unrolled: 1-line block ×3, first 2 shown]
	v_ffbh_u32_e32 v41, v40
	v_min_u32_e32 v41, 32, v41
	v_lshrrev_b32_e32 v47, 29, v0
	v_sub_u32_e32 v43, 31, v41
	v_alignbit_b32 v39, v40, v39, v43
	v_lshlrev_b32_e32 v40, 31, v47
	v_or_b32_e32 v43, 0x33800000, v40
	v_add_lshl_u32 v41, v41, v42, 23
	v_lshrrev_b32_e32 v39, 9, v39
	v_sub_u32_e32 v41, v43, v41
	v_or_b32_e32 v39, v41, v39
	v_alignbit_b32 v41, v42, v44, 9
	v_or_b32_e32 v40, v41, v40
	v_xor_b32_e32 v40, 1.0, v40
	v_mul_f32_e32 v41, 0x3fc90fda, v40
	v_fma_f32 v42, v40, s57, -v41
	v_fmac_f32_e32 v42, 0x33a22168, v40
	v_fmac_f32_e32 v42, 0x3fc90fda, v39
	v_lshrrev_b32_e32 v0, 30, v0
	v_add_f32_e32 v41, v41, v42
	v_add_u32_e32 v0, v48, v0
                                        ; implicit-def: $vgpr42
	s_andn2_saveexec_b64 s[4:5], s[42:43]
	s_cbranch_execnz .LBB349_51
	s_branch .LBB349_52
.LBB349_50:                             ;   in Loop: Header=BB349_13 Depth=3
	s_andn2_saveexec_b64 s[4:5], s[42:43]
.LBB349_51:                             ;   in Loop: Header=BB349_13 Depth=3
	v_cvt_i32_f32_e32 v0, v42
	v_fma_f32 v41, v42, s59, |v11|
	v_fmac_f32_e32 v41, 0xb3a22168, v42
	v_fmac_f32_e32 v41, 0xa7c234c4, v42
.LBB349_52:                             ;   in Loop: Header=BB349_13 Depth=3
	s_or_b64 exec, exec, s[4:5]
	v_mul_f32_e32 v40, v5, v5
	v_mov_b32_e32 v42, 0x3c0881c4
	v_fmac_f32_e32 v42, 0xb94c1982, v40
	v_fma_f32 v42, v40, v42, v18
	v_mul_f32_e32 v42, v40, v42
	v_fmac_f32_e32 v5, v5, v42
	v_mov_b32_e32 v42, 0xbab64f3b
	v_fmac_f32_e32 v42, 0x37d75334, v40
	v_fma_f32 v42, v40, v42, v19
	v_lshlrev_b32_e32 v39, 30, v10
	v_and_b32_e32 v10, 1, v10
	v_fma_f32 v42, v40, v42, v20
	v_and_b32_e32 v39, 0x80000000, v39
	v_fma_f32 v40, v40, v42, 1.0
	v_cmp_eq_u32_e32 vcc, 0, v10
	v_xor_b32_e32 v3, v3, v15
	v_cndmask_b32_e32 v5, v40, v5, vcc
	v_xor_b32_e32 v3, v3, v39
	v_xor_b32_e32 v3, v3, v5
	v_mul_f32_e32 v5, v14, v14
	v_mov_b32_e32 v10, 0x3c0881c4
	v_fmac_f32_e32 v10, 0xb94c1982, v5
	v_fma_f32 v10, v5, v10, v18
	v_mul_f32_e32 v10, v5, v10
	v_fmac_f32_e32 v14, v14, v10
	v_mov_b32_e32 v10, 0xbab64f3b
	v_fmac_f32_e32 v10, 0x37d75334, v5
	v_fma_f32 v10, v5, v10, v19
	v_fma_f32 v10, v5, v10, v20
	v_fma_f32 v5, v5, v10, 1.0
	v_and_b32_e32 v10, 1, v12
	v_cmp_eq_u32_e64 s[4:5], 0, v10
	v_cmp_class_f32_e64 vcc, v13, s7
	v_cndmask_b32_e64 v5, -v14, v5, s[4:5]
	v_mul_f32_e32 v13, v17, v17
	v_mov_b32_e32 v14, 0x3c0881c4
	v_fmac_f32_e32 v14, 0xb94c1982, v13
	v_lshlrev_b32_e32 v10, 30, v12
	v_fma_f32 v14, v13, v14, v18
	v_and_b32_e32 v10, 0x80000000, v10
	v_mul_f32_e32 v14, v13, v14
	v_xor_b32_e32 v5, v10, v5
	v_fmac_f32_e32 v17, v17, v14
	v_mov_b32_e32 v14, 0xbab64f3b
	v_cndmask_b32_e32 v5, v31, v5, vcc
	v_fmac_f32_e32 v14, 0x37d75334, v13
	v_cndmask_b32_e32 v3, v31, v3, vcc
	v_mul_f32_e32 v10, 0x7f800000, v5
	v_cmp_neq_f32_e32 vcc, 0, v5
	v_fma_f32 v14, v13, v14, v19
	v_cndmask_b32_e32 v5, 0, v10, vcc
	v_mul_f32_e32 v10, 0x7f800000, v3
	v_cmp_neq_f32_e32 vcc, 0, v3
	v_and_b32_e32 v12, 1, v38
	v_fma_f32 v14, v13, v14, v20
	v_cndmask_b32_e32 v3, 0, v10, vcc
	v_lshlrev_b32_e32 v10, 30, v38
	v_fma_f32 v13, v13, v14, 1.0
	v_cmp_eq_u32_e32 vcc, 0, v12
	v_and_b32_e32 v10, 0x80000000, v10
	v_cndmask_b32_e32 v12, v13, v17, vcc
	v_xor_b32_e32 v13, v16, v11
	v_xor_b32_e32 v10, v13, v10
	;; [unrolled: 1-line block ×3, first 2 shown]
	v_cmp_class_f32_e64 vcc, v11, s7
	v_mul_f32_e32 v11, v41, v41
	v_mov_b32_e32 v12, 0x3c0881c4
	v_fmac_f32_e32 v12, 0xb94c1982, v11
	v_fma_f32 v12, v11, v12, v18
	v_mul_f32_e32 v12, v11, v12
	v_fmac_f32_e32 v41, v41, v12
	v_mov_b32_e32 v12, 0xbab64f3b
	v_fmac_f32_e32 v12, 0x37d75334, v11
	v_fma_f32 v12, v11, v12, v19
	v_fma_f32 v12, v11, v12, v20
	v_fma_f32 v11, v11, v12, 1.0
	v_and_b32_e32 v12, 1, v0
	v_cmp_eq_u32_e64 s[4:5], 0, v12
	v_lshlrev_b32_e32 v0, 30, v0
	v_cndmask_b32_e64 v11, -v41, v11, s[4:5]
	v_and_b32_e32 v0, 0x80000000, v0
	v_xor_b32_e32 v0, v0, v11
	v_cndmask_b32_e32 v0, v31, v0, vcc
	v_cndmask_b32_e32 v10, v31, v10, vcc
	v_mul_f32_e32 v11, 0x7f800000, v0
	v_cmp_neq_f32_e32 vcc, 0, v0
	v_cndmask_b32_e32 v0, 0, v11, vcc
	v_mul_f32_e32 v11, 0x7f800000, v10
	v_cmp_neq_f32_e32 vcc, 0, v10
	v_cndmask_b32_e32 v10, 0, v11, vcc
	v_add_f32_e32 v5, v5, v0
	v_add_f32_e32 v0, v3, v10
	v_add_f32_e32 v12, -1.0, v5
	v_max_f32_e64 v3, |v12|, |v0|
	v_cvt_f64_f32_e32 v[10:11], v3
	v_frexp_exp_i32_f64_e32 v5, v[10:11]
	v_sub_u32_e32 v10, 0, v5
	v_ldexp_f32 v11, |v12|, v10
	v_ldexp_f32 v10, |v0|, v10
	v_mul_f32_e32 v10, v10, v10
	v_fmac_f32_e32 v10, v11, v11
	v_sqrt_f32_e32 v10, v10
	v_cmp_eq_f32_e32 vcc, s63, v3
	v_add_f32_e32 v3, 1.0, v12
	v_ldexp_f32 v5, v10, v5
	v_cmp_ngt_f32_e64 s[4:5], 0.5, v5
	v_max_f32_e64 v10, |v3|, |v0|
	s_or_b64 s[4:5], vcc, s[4:5]
	s_and_saveexec_b64 s[8:9], s[4:5]
	s_xor_b64 s[8:9], exec, s[8:9]
	s_cbranch_execz .LBB349_54
; %bb.53:                               ;   in Loop: Header=BB349_13 Depth=3
	v_cvt_f64_f32_e32 v[12:13], v10
	v_frexp_exp_i32_f64_e32 v5, v[12:13]
	v_sub_u32_e32 v11, 0, v5
	v_ldexp_f32 v12, |v3|, v11
	v_ldexp_f32 v11, |v0|, v11
	v_mul_f32_e32 v11, v11, v11
	v_fmac_f32_e32 v11, v12, v12
	v_sqrt_f32_e32 v11, v11
	v_cmp_neq_f32_e32 vcc, s63, v10
	v_ldexp_f32 v5, v11, v5
	v_cndmask_b32_e32 v5, v30, v5, vcc
	v_cmp_gt_f32_e32 vcc, s48, v5
	v_cndmask_b32_e32 v11, 1.0, v32, vcc
	v_mul_f32_e32 v5, v5, v11
	v_log_f32_e32 v5, v5
	v_mul_f32_e32 v11, 0x3f317217, v5
	v_fma_f32 v12, v5, s64, -v11
	v_fmac_f32_e32 v12, 0x3377d1cf, v5
	v_add_f32_e32 v11, v11, v12
	v_cmp_lt_f32_e64 s[4:5], |v5|, s63
	v_cndmask_b32_e64 v5, v5, v11, s[4:5]
	v_cndmask_b32_e32 v11, 0, v33, vcc
	v_sub_f32_e32 v12, v5, v11
.LBB349_54:                             ;   in Loop: Header=BB349_13 Depth=3
	s_andn2_saveexec_b64 s[4:5], s[8:9]
	s_cbranch_execz .LBB349_9
; %bb.55:                               ;   in Loop: Header=BB349_13 Depth=3
	v_add_f32_e32 v5, 2.0, v12
	v_mul_f32_e32 v11, v12, v5
	v_fmac_f32_e32 v11, v0, v0
	v_cmp_neq_f32_e32 vcc, 0, v11
	s_and_saveexec_b64 s[8:9], vcc
	s_cbranch_execz .LBB349_8
; %bb.56:                               ;   in Loop: Header=BB349_13 Depth=3
	v_add_f32_e32 v5, 1.0, v11
	v_add_f32_e32 v12, -1.0, v5
	v_sub_f32_e32 v13, v12, v5
	v_add_f32_e32 v13, 1.0, v13
	v_sub_f32_e32 v12, v11, v12
	v_add_f32_e32 v14, v12, v13
	v_frexp_mant_f32_e32 v15, v5
	v_cvt_f64_f32_e32 v[12:13], v5
	v_frexp_exp_i32_f64_e32 v12, v[12:13]
	v_cmp_gt_f32_e32 vcc, s65, v15
	v_subbrev_co_u32_e32 v40, vcc, 0, v12, vcc
	v_sub_u32_e32 v12, 0, v40
	v_ldexp_f32 v5, v5, v12
	v_ldexp_f32 v12, v14, v12
	v_add_f32_e32 v14, -1.0, v5
	v_add_f32_e32 v13, 1.0, v14
	v_sub_f32_e32 v13, v5, v13
	v_add_f32_e32 v15, v12, v13
	v_add_f32_e32 v13, 1.0, v5
	v_add_f32_e32 v16, -1.0, v13
	v_sub_f32_e32 v5, v5, v16
	v_add_f32_e32 v5, v12, v5
	v_add_f32_e32 v41, v13, v5
	v_rcp_f32_e32 v42, v41
	v_sub_f32_e32 v12, v41, v13
	v_add_f32_e32 v13, v14, v15
	v_sub_f32_e32 v5, v5, v12
	v_mul_f32_e32 v44, v13, v42
	v_sub_f32_e32 v12, v13, v14
	v_mul_f32_e32 v14, v41, v44
	v_fma_f32 v16, v44, v41, -v14
	v_fmac_f32_e32 v16, v44, v5
	v_sub_f32_e32 v43, v15, v12
	v_add_f32_e32 v12, v14, v16
	v_sub_f32_e32 v15, v13, v12
	v_pk_add_f32 v[38:39], v[12:13], v[14:15] neg_lo:[0,1] neg_hi:[0,1]
	v_mov_b32_e32 v17, v12
	v_pk_add_f32 v[12:13], v[38:39], v[16:17] neg_lo:[0,1] neg_hi:[0,1]
	v_add_f32_e32 v13, v43, v13
	v_add_f32_e32 v12, v12, v13
	;; [unrolled: 1-line block ×3, first 2 shown]
	v_mul_f32_e32 v43, v42, v13
	v_mul_f32_e32 v14, v41, v43
	v_fma_f32 v16, v43, v41, -v14
	v_fmac_f32_e32 v16, v43, v5
	v_sub_f32_e32 v5, v15, v13
	v_add_f32_e32 v5, v12, v5
	v_add_f32_e32 v12, v14, v16
	v_sub_f32_e32 v15, v13, v12
	v_pk_add_f32 v[38:39], v[12:13], v[14:15] neg_lo:[0,1] neg_hi:[0,1]
	v_mov_b32_e32 v17, v12
	v_pk_add_f32 v[12:13], v[38:39], v[16:17] neg_lo:[0,1] neg_hi:[0,1]
	v_add_f32_e32 v5, v5, v13
	v_add_f32_e32 v5, v12, v5
	;; [unrolled: 1-line block ×4, first 2 shown]
	v_sub_f32_e32 v12, v13, v44
	v_mul_f32_e32 v5, v42, v5
	v_sub_f32_e32 v12, v43, v12
	v_add_f32_e32 v14, v12, v5
	v_add_f32_e32 v16, v13, v14
	v_cvt_f32_i32_e32 v12, v40
	v_mul_f32_e32 v17, v16, v16
	v_mov_b32_e32 v5, 0x3ecc95a3
	v_sub_f32_e32 v13, v16, v13
	v_fmac_f32_e32 v5, 0x3e9b6dac, v17
	v_sub_f32_e32 v13, v14, v13
	v_fma_f32 v5, v17, v5, v21
	v_ldexp_f32 v38, v13, 1
	v_mul_f32_e32 v13, v16, v17
	v_ldexp_f32 v15, v16, 1
	v_pk_mul_f32 v[16:17], v[12:13], v[4:5]
	v_fma_f32 v14, v12, s66, -v16
	v_fmac_f32_e32 v14, 0xb102e308, v12
	v_pk_add_f32 v[12:13], v[16:17], v[14:15]
	v_sub_f32_e32 v5, v13, v15
	v_sub_f32_e32 v5, v17, v5
	v_add_f32_e32 v39, v38, v5
	v_mov_b32_e32 v38, v16
	v_pk_add_f32 v[16:17], v[12:13], v[16:17] neg_lo:[0,1] neg_hi:[0,1]
	v_pk_add_f32 v[40:41], v[12:13], v[38:39]
	v_mov_b32_e32 v17, v41
	v_mov_b32_e32 v15, v12
	v_pk_add_f32 v[42:43], v[14:15], v[16:17] neg_lo:[0,1] neg_hi:[0,1]
	v_pk_add_f32 v[14:15], v[14:15], v[16:17]
	v_mov_b32_e32 v16, v15
	v_pk_add_f32 v[44:45], v[16:17], v[12:13] neg_lo:[0,1] neg_hi:[0,1]
	v_mov_b32_e32 v5, v44
	v_pk_add_f32 v[46:47], v[40:41], v[4:5] neg_lo:[0,1] neg_hi:[0,1]
	v_mov_b32_e32 v14, v41
	v_mov_b32_e32 v40, v13
	;; [unrolled: 1-line block ×4, first 2 shown]
	v_pk_add_f32 v[14:15], v[14:15], v[40:41] neg_lo:[0,1] neg_hi:[0,1]
	v_mov_b32_e32 v38, v39
	v_mov_b32_e32 v39, v12
	v_pk_add_f32 v[12:13], v[38:39], v[14:15] neg_lo:[0,1] neg_hi:[0,1]
	v_mov_b32_e32 v46, v42
	v_pk_add_f32 v[14:15], v[46:47], v[12:13]
	v_mov_b32_e32 v38, v15
	v_pk_add_f32 v[38:39], v[14:15], v[38:39]
	v_pk_add_f32 v[16:17], v[16:17], v[38:39]
	v_mov_b32_e32 v15, v16
	v_pk_add_f32 v[40:41], v[14:15], v[42:43] neg_lo:[0,1] neg_hi:[0,1]
	v_mov_b32_e32 v13, v38
	v_sub_f32_e32 v5, v14, v40
	v_pk_add_f32 v[12:13], v[12:13], v[40:41] neg_lo:[0,1] neg_hi:[0,1]
	v_sub_f32_e32 v5, v42, v5
	v_add_f32_e32 v5, v12, v5
	v_add_f32_e32 v5, v5, v13
	;; [unrolled: 1-line block ×3, first 2 shown]
	v_cmp_eq_f32_e32 vcc, s63, v11
	v_cndmask_b32_e32 v5, v5, v11, vcc
	v_cmp_ngt_f32_e32 vcc, -1.0, v11
	v_cndmask_b32_e32 v5, v31, v5, vcc
	v_cmp_neq_f32_e32 vcc, -1.0, v11
	v_cndmask_b32_e32 v5, v34, v5, vcc
	v_cmp_lt_f32_e64 vcc, |v11|, s56
	v_cndmask_b32_e32 v5, v5, v11, vcc
	v_mul_f32_e32 v12, 0.5, v5
	s_branch .LBB349_8
.LBB349_57:
	s_endpgm
	.section	.rodata,"a",@progbits
	.p2align	6, 0x0
	.amdhsa_kernel _ZN2at6native28tensor_kernel_scan_outer_dimIN3c107complexIfEEmZZZNS0_31launch_logcumsumexp_cuda_kernelERKNS_10TensorBaseES7_lENKUlvE_clEvENKUlvE2_clEvEUlS4_S4_E_EEvPT_PKSB_jjjSB_T1_
		.amdhsa_group_segment_fixed_size 0
		.amdhsa_private_segment_fixed_size 0
		.amdhsa_kernarg_size 304
		.amdhsa_user_sgpr_count 6
		.amdhsa_user_sgpr_private_segment_buffer 1
		.amdhsa_user_sgpr_dispatch_ptr 0
		.amdhsa_user_sgpr_queue_ptr 0
		.amdhsa_user_sgpr_kernarg_segment_ptr 1
		.amdhsa_user_sgpr_dispatch_id 0
		.amdhsa_user_sgpr_flat_scratch_init 0
		.amdhsa_user_sgpr_kernarg_preload_length 0
		.amdhsa_user_sgpr_kernarg_preload_offset 0
		.amdhsa_user_sgpr_private_segment_size 0
		.amdhsa_uses_dynamic_stack 0
		.amdhsa_system_sgpr_private_segment_wavefront_offset 0
		.amdhsa_system_sgpr_workgroup_id_x 1
		.amdhsa_system_sgpr_workgroup_id_y 1
		.amdhsa_system_sgpr_workgroup_id_z 0
		.amdhsa_system_sgpr_workgroup_info 0
		.amdhsa_system_vgpr_workitem_id 0
		.amdhsa_next_free_vgpr 56
		.amdhsa_next_free_sgpr 72
		.amdhsa_accum_offset 56
		.amdhsa_reserve_vcc 1
		.amdhsa_reserve_flat_scratch 0
		.amdhsa_float_round_mode_32 0
		.amdhsa_float_round_mode_16_64 0
		.amdhsa_float_denorm_mode_32 3
		.amdhsa_float_denorm_mode_16_64 3
		.amdhsa_dx10_clamp 1
		.amdhsa_ieee_mode 1
		.amdhsa_fp16_overflow 0
		.amdhsa_tg_split 0
		.amdhsa_exception_fp_ieee_invalid_op 0
		.amdhsa_exception_fp_denorm_src 0
		.amdhsa_exception_fp_ieee_div_zero 0
		.amdhsa_exception_fp_ieee_overflow 0
		.amdhsa_exception_fp_ieee_underflow 0
		.amdhsa_exception_fp_ieee_inexact 0
		.amdhsa_exception_int_div_zero 0
	.end_amdhsa_kernel
	.section	.text._ZN2at6native28tensor_kernel_scan_outer_dimIN3c107complexIfEEmZZZNS0_31launch_logcumsumexp_cuda_kernelERKNS_10TensorBaseES7_lENKUlvE_clEvENKUlvE2_clEvEUlS4_S4_E_EEvPT_PKSB_jjjSB_T1_,"axG",@progbits,_ZN2at6native28tensor_kernel_scan_outer_dimIN3c107complexIfEEmZZZNS0_31launch_logcumsumexp_cuda_kernelERKNS_10TensorBaseES7_lENKUlvE_clEvENKUlvE2_clEvEUlS4_S4_E_EEvPT_PKSB_jjjSB_T1_,comdat
.Lfunc_end349:
	.size	_ZN2at6native28tensor_kernel_scan_outer_dimIN3c107complexIfEEmZZZNS0_31launch_logcumsumexp_cuda_kernelERKNS_10TensorBaseES7_lENKUlvE_clEvENKUlvE2_clEvEUlS4_S4_E_EEvPT_PKSB_jjjSB_T1_, .Lfunc_end349-_ZN2at6native28tensor_kernel_scan_outer_dimIN3c107complexIfEEmZZZNS0_31launch_logcumsumexp_cuda_kernelERKNS_10TensorBaseES7_lENKUlvE_clEvENKUlvE2_clEvEUlS4_S4_E_EEvPT_PKSB_jjjSB_T1_
                                        ; -- End function
	.section	.AMDGPU.csdata,"",@progbits
; Kernel info:
; codeLenInByte = 7512
; NumSgprs: 76
; NumVgprs: 56
; NumAgprs: 0
; TotalNumVgprs: 56
; ScratchSize: 0
; MemoryBound: 0
; FloatMode: 240
; IeeeMode: 1
; LDSByteSize: 0 bytes/workgroup (compile time only)
; SGPRBlocks: 9
; VGPRBlocks: 6
; NumSGPRsForWavesPerEU: 76
; NumVGPRsForWavesPerEU: 56
; AccumOffset: 56
; Occupancy: 8
; WaveLimiterHint : 0
; COMPUTE_PGM_RSRC2:SCRATCH_EN: 0
; COMPUTE_PGM_RSRC2:USER_SGPR: 6
; COMPUTE_PGM_RSRC2:TRAP_HANDLER: 0
; COMPUTE_PGM_RSRC2:TGID_X_EN: 1
; COMPUTE_PGM_RSRC2:TGID_Y_EN: 1
; COMPUTE_PGM_RSRC2:TGID_Z_EN: 0
; COMPUTE_PGM_RSRC2:TIDIG_COMP_CNT: 0
; COMPUTE_PGM_RSRC3_GFX90A:ACCUM_OFFSET: 13
; COMPUTE_PGM_RSRC3_GFX90A:TG_SPLIT: 0
	.section	.text._ZN7rocprim17ROCPRIM_400000_NS6detail31init_lookback_scan_state_kernelINS1_19lookback_scan_stateIN3c104HalfELb0ELb1EEENS1_16block_id_wrapperIjLb0EEEEEvT_jT0_jPNS9_10value_typeE,"axG",@progbits,_ZN7rocprim17ROCPRIM_400000_NS6detail31init_lookback_scan_state_kernelINS1_19lookback_scan_stateIN3c104HalfELb0ELb1EEENS1_16block_id_wrapperIjLb0EEEEEvT_jT0_jPNS9_10value_typeE,comdat
	.protected	_ZN7rocprim17ROCPRIM_400000_NS6detail31init_lookback_scan_state_kernelINS1_19lookback_scan_stateIN3c104HalfELb0ELb1EEENS1_16block_id_wrapperIjLb0EEEEEvT_jT0_jPNS9_10value_typeE ; -- Begin function _ZN7rocprim17ROCPRIM_400000_NS6detail31init_lookback_scan_state_kernelINS1_19lookback_scan_stateIN3c104HalfELb0ELb1EEENS1_16block_id_wrapperIjLb0EEEEEvT_jT0_jPNS9_10value_typeE
	.globl	_ZN7rocprim17ROCPRIM_400000_NS6detail31init_lookback_scan_state_kernelINS1_19lookback_scan_stateIN3c104HalfELb0ELb1EEENS1_16block_id_wrapperIjLb0EEEEEvT_jT0_jPNS9_10value_typeE
	.p2align	8
	.type	_ZN7rocprim17ROCPRIM_400000_NS6detail31init_lookback_scan_state_kernelINS1_19lookback_scan_stateIN3c104HalfELb0ELb1EEENS1_16block_id_wrapperIjLb0EEEEEvT_jT0_jPNS9_10value_typeE,@function
_ZN7rocprim17ROCPRIM_400000_NS6detail31init_lookback_scan_state_kernelINS1_19lookback_scan_stateIN3c104HalfELb0ELb1EEENS1_16block_id_wrapperIjLb0EEEEEvT_jT0_jPNS9_10value_typeE: ; @_ZN7rocprim17ROCPRIM_400000_NS6detail31init_lookback_scan_state_kernelINS1_19lookback_scan_stateIN3c104HalfELb0ELb1EEENS1_16block_id_wrapperIjLb0EEEEEvT_jT0_jPNS9_10value_typeE
; %bb.0:
	s_load_dword s7, s[4:5], 0x2c
	s_load_dwordx2 s[2:3], s[4:5], 0x18
	s_load_dwordx2 s[0:1], s[4:5], 0x0
	s_load_dword s8, s[4:5], 0x8
	s_waitcnt lgkmcnt(0)
	s_and_b32 s7, s7, 0xffff
	s_mul_i32 s6, s6, s7
	s_cmp_eq_u64 s[2:3], 0
	v_add_u32_e32 v0, s6, v0
	s_cbranch_scc1 .LBB350_6
; %bb.1:
	s_load_dword s6, s[4:5], 0x10
	s_mov_b32 s7, 0
	s_waitcnt lgkmcnt(0)
	s_cmp_lt_u32 s6, s8
	s_cselect_b32 s4, s6, 0
	v_cmp_eq_u32_e32 vcc, s4, v0
	s_and_saveexec_b64 s[4:5], vcc
	s_cbranch_execz .LBB350_5
; %bb.2:
	s_add_i32 s6, s6, 64
	s_lshl_b64 s[6:7], s[6:7], 2
	s_add_u32 s6, s0, s6
	s_addc_u32 s7, s1, s7
	v_mov_b32_e32 v2, 0
	global_load_dword v1, v2, s[6:7] glc
	s_waitcnt vmcnt(0)
	v_and_b32_e32 v3, 0xff0000, v1
	v_cmp_ne_u32_e32 vcc, 0, v3
	s_cbranch_vccnz .LBB350_4
.LBB350_3:                              ; =>This Inner Loop Header: Depth=1
	global_load_dword v1, v2, s[6:7] glc
	s_waitcnt vmcnt(0)
	v_and_b32_e32 v3, 0xff0000, v1
	v_cmp_eq_u32_e32 vcc, 0, v3
	s_cbranch_vccnz .LBB350_3
.LBB350_4:
	v_mov_b32_e32 v2, 0
	global_store_short v2, v1, s[2:3]
.LBB350_5:
	s_or_b64 exec, exec, s[4:5]
.LBB350_6:
	v_cmp_gt_u32_e32 vcc, s8, v0
	s_and_saveexec_b64 s[2:3], vcc
	s_cbranch_execnz .LBB350_9
; %bb.7:
	s_or_b64 exec, exec, s[2:3]
	v_cmp_gt_u32_e32 vcc, 64, v0
	s_and_saveexec_b64 s[2:3], vcc
	s_cbranch_execnz .LBB350_10
.LBB350_8:
	s_endpgm
.LBB350_9:
	v_add_u32_e32 v2, 64, v0
	v_mov_b32_e32 v3, 0
	v_lshlrev_b64 v[4:5], 2, v[2:3]
	v_mov_b32_e32 v1, s1
	v_add_co_u32_e32 v4, vcc, s0, v4
	v_addc_co_u32_e32 v5, vcc, v1, v5, vcc
	global_store_dword v[4:5], v3, off
	s_or_b64 exec, exec, s[2:3]
	v_cmp_gt_u32_e32 vcc, 64, v0
	s_and_saveexec_b64 s[2:3], vcc
	s_cbranch_execz .LBB350_8
.LBB350_10:
	v_mov_b32_e32 v1, 0
	v_lshlrev_b64 v[0:1], 2, v[0:1]
	v_mov_b32_e32 v2, s1
	v_add_co_u32_e32 v0, vcc, s0, v0
	v_addc_co_u32_e32 v1, vcc, v2, v1, vcc
	v_mov_b32_e32 v2, 0xff0000
	global_store_dword v[0:1], v2, off
	s_endpgm
	.section	.rodata,"a",@progbits
	.p2align	6, 0x0
	.amdhsa_kernel _ZN7rocprim17ROCPRIM_400000_NS6detail31init_lookback_scan_state_kernelINS1_19lookback_scan_stateIN3c104HalfELb0ELb1EEENS1_16block_id_wrapperIjLb0EEEEEvT_jT0_jPNS9_10value_typeE
		.amdhsa_group_segment_fixed_size 0
		.amdhsa_private_segment_fixed_size 0
		.amdhsa_kernarg_size 288
		.amdhsa_user_sgpr_count 6
		.amdhsa_user_sgpr_private_segment_buffer 1
		.amdhsa_user_sgpr_dispatch_ptr 0
		.amdhsa_user_sgpr_queue_ptr 0
		.amdhsa_user_sgpr_kernarg_segment_ptr 1
		.amdhsa_user_sgpr_dispatch_id 0
		.amdhsa_user_sgpr_flat_scratch_init 0
		.amdhsa_user_sgpr_kernarg_preload_length 0
		.amdhsa_user_sgpr_kernarg_preload_offset 0
		.amdhsa_user_sgpr_private_segment_size 0
		.amdhsa_uses_dynamic_stack 0
		.amdhsa_system_sgpr_private_segment_wavefront_offset 0
		.amdhsa_system_sgpr_workgroup_id_x 1
		.amdhsa_system_sgpr_workgroup_id_y 0
		.amdhsa_system_sgpr_workgroup_id_z 0
		.amdhsa_system_sgpr_workgroup_info 0
		.amdhsa_system_vgpr_workitem_id 0
		.amdhsa_next_free_vgpr 6
		.amdhsa_next_free_sgpr 9
		.amdhsa_accum_offset 8
		.amdhsa_reserve_vcc 1
		.amdhsa_reserve_flat_scratch 0
		.amdhsa_float_round_mode_32 0
		.amdhsa_float_round_mode_16_64 0
		.amdhsa_float_denorm_mode_32 3
		.amdhsa_float_denorm_mode_16_64 3
		.amdhsa_dx10_clamp 1
		.amdhsa_ieee_mode 1
		.amdhsa_fp16_overflow 0
		.amdhsa_tg_split 0
		.amdhsa_exception_fp_ieee_invalid_op 0
		.amdhsa_exception_fp_denorm_src 0
		.amdhsa_exception_fp_ieee_div_zero 0
		.amdhsa_exception_fp_ieee_overflow 0
		.amdhsa_exception_fp_ieee_underflow 0
		.amdhsa_exception_fp_ieee_inexact 0
		.amdhsa_exception_int_div_zero 0
	.end_amdhsa_kernel
	.section	.text._ZN7rocprim17ROCPRIM_400000_NS6detail31init_lookback_scan_state_kernelINS1_19lookback_scan_stateIN3c104HalfELb0ELb1EEENS1_16block_id_wrapperIjLb0EEEEEvT_jT0_jPNS9_10value_typeE,"axG",@progbits,_ZN7rocprim17ROCPRIM_400000_NS6detail31init_lookback_scan_state_kernelINS1_19lookback_scan_stateIN3c104HalfELb0ELb1EEENS1_16block_id_wrapperIjLb0EEEEEvT_jT0_jPNS9_10value_typeE,comdat
.Lfunc_end350:
	.size	_ZN7rocprim17ROCPRIM_400000_NS6detail31init_lookback_scan_state_kernelINS1_19lookback_scan_stateIN3c104HalfELb0ELb1EEENS1_16block_id_wrapperIjLb0EEEEEvT_jT0_jPNS9_10value_typeE, .Lfunc_end350-_ZN7rocprim17ROCPRIM_400000_NS6detail31init_lookback_scan_state_kernelINS1_19lookback_scan_stateIN3c104HalfELb0ELb1EEENS1_16block_id_wrapperIjLb0EEEEEvT_jT0_jPNS9_10value_typeE
                                        ; -- End function
	.section	.AMDGPU.csdata,"",@progbits
; Kernel info:
; codeLenInByte = 316
; NumSgprs: 13
; NumVgprs: 6
; NumAgprs: 0
; TotalNumVgprs: 6
; ScratchSize: 0
; MemoryBound: 0
; FloatMode: 240
; IeeeMode: 1
; LDSByteSize: 0 bytes/workgroup (compile time only)
; SGPRBlocks: 1
; VGPRBlocks: 0
; NumSGPRsForWavesPerEU: 13
; NumVGPRsForWavesPerEU: 6
; AccumOffset: 8
; Occupancy: 8
; WaveLimiterHint : 0
; COMPUTE_PGM_RSRC2:SCRATCH_EN: 0
; COMPUTE_PGM_RSRC2:USER_SGPR: 6
; COMPUTE_PGM_RSRC2:TRAP_HANDLER: 0
; COMPUTE_PGM_RSRC2:TGID_X_EN: 1
; COMPUTE_PGM_RSRC2:TGID_Y_EN: 0
; COMPUTE_PGM_RSRC2:TGID_Z_EN: 0
; COMPUTE_PGM_RSRC2:TIDIG_COMP_CNT: 0
; COMPUTE_PGM_RSRC3_GFX90A:ACCUM_OFFSET: 1
; COMPUTE_PGM_RSRC3_GFX90A:TG_SPLIT: 0
	.section	.text._ZN7rocprim17ROCPRIM_400000_NS6detail17trampoline_kernelINS0_14default_configENS1_20scan_config_selectorIN3c104HalfEEEZZNS1_9scan_implILNS1_25lookback_scan_determinismE0ELb0ELb0ES3_PKS6_PS6_S6_ZZZN2at6native31launch_logcumsumexp_cuda_kernelERKNSD_10TensorBaseESH_lENKUlvE_clEvENKUlvE3_clEvEUlS6_S6_E_S6_EEDaPvRmT3_T4_T5_mT6_P12ihipStream_tbENKUlT_T0_E_clISt17integral_constantIbLb0EESY_EEDaST_SU_EUlST_E_NS1_11comp_targetILNS1_3genE0ELNS1_11target_archE4294967295ELNS1_3gpuE0ELNS1_3repE0EEENS1_30default_config_static_selectorELNS0_4arch9wavefront6targetE1EEEvT1_,"axG",@progbits,_ZN7rocprim17ROCPRIM_400000_NS6detail17trampoline_kernelINS0_14default_configENS1_20scan_config_selectorIN3c104HalfEEEZZNS1_9scan_implILNS1_25lookback_scan_determinismE0ELb0ELb0ES3_PKS6_PS6_S6_ZZZN2at6native31launch_logcumsumexp_cuda_kernelERKNSD_10TensorBaseESH_lENKUlvE_clEvENKUlvE3_clEvEUlS6_S6_E_S6_EEDaPvRmT3_T4_T5_mT6_P12ihipStream_tbENKUlT_T0_E_clISt17integral_constantIbLb0EESY_EEDaST_SU_EUlST_E_NS1_11comp_targetILNS1_3genE0ELNS1_11target_archE4294967295ELNS1_3gpuE0ELNS1_3repE0EEENS1_30default_config_static_selectorELNS0_4arch9wavefront6targetE1EEEvT1_,comdat
	.globl	_ZN7rocprim17ROCPRIM_400000_NS6detail17trampoline_kernelINS0_14default_configENS1_20scan_config_selectorIN3c104HalfEEEZZNS1_9scan_implILNS1_25lookback_scan_determinismE0ELb0ELb0ES3_PKS6_PS6_S6_ZZZN2at6native31launch_logcumsumexp_cuda_kernelERKNSD_10TensorBaseESH_lENKUlvE_clEvENKUlvE3_clEvEUlS6_S6_E_S6_EEDaPvRmT3_T4_T5_mT6_P12ihipStream_tbENKUlT_T0_E_clISt17integral_constantIbLb0EESY_EEDaST_SU_EUlST_E_NS1_11comp_targetILNS1_3genE0ELNS1_11target_archE4294967295ELNS1_3gpuE0ELNS1_3repE0EEENS1_30default_config_static_selectorELNS0_4arch9wavefront6targetE1EEEvT1_ ; -- Begin function _ZN7rocprim17ROCPRIM_400000_NS6detail17trampoline_kernelINS0_14default_configENS1_20scan_config_selectorIN3c104HalfEEEZZNS1_9scan_implILNS1_25lookback_scan_determinismE0ELb0ELb0ES3_PKS6_PS6_S6_ZZZN2at6native31launch_logcumsumexp_cuda_kernelERKNSD_10TensorBaseESH_lENKUlvE_clEvENKUlvE3_clEvEUlS6_S6_E_S6_EEDaPvRmT3_T4_T5_mT6_P12ihipStream_tbENKUlT_T0_E_clISt17integral_constantIbLb0EESY_EEDaST_SU_EUlST_E_NS1_11comp_targetILNS1_3genE0ELNS1_11target_archE4294967295ELNS1_3gpuE0ELNS1_3repE0EEENS1_30default_config_static_selectorELNS0_4arch9wavefront6targetE1EEEvT1_
	.p2align	8
	.type	_ZN7rocprim17ROCPRIM_400000_NS6detail17trampoline_kernelINS0_14default_configENS1_20scan_config_selectorIN3c104HalfEEEZZNS1_9scan_implILNS1_25lookback_scan_determinismE0ELb0ELb0ES3_PKS6_PS6_S6_ZZZN2at6native31launch_logcumsumexp_cuda_kernelERKNSD_10TensorBaseESH_lENKUlvE_clEvENKUlvE3_clEvEUlS6_S6_E_S6_EEDaPvRmT3_T4_T5_mT6_P12ihipStream_tbENKUlT_T0_E_clISt17integral_constantIbLb0EESY_EEDaST_SU_EUlST_E_NS1_11comp_targetILNS1_3genE0ELNS1_11target_archE4294967295ELNS1_3gpuE0ELNS1_3repE0EEENS1_30default_config_static_selectorELNS0_4arch9wavefront6targetE1EEEvT1_,@function
_ZN7rocprim17ROCPRIM_400000_NS6detail17trampoline_kernelINS0_14default_configENS1_20scan_config_selectorIN3c104HalfEEEZZNS1_9scan_implILNS1_25lookback_scan_determinismE0ELb0ELb0ES3_PKS6_PS6_S6_ZZZN2at6native31launch_logcumsumexp_cuda_kernelERKNSD_10TensorBaseESH_lENKUlvE_clEvENKUlvE3_clEvEUlS6_S6_E_S6_EEDaPvRmT3_T4_T5_mT6_P12ihipStream_tbENKUlT_T0_E_clISt17integral_constantIbLb0EESY_EEDaST_SU_EUlST_E_NS1_11comp_targetILNS1_3genE0ELNS1_11target_archE4294967295ELNS1_3gpuE0ELNS1_3repE0EEENS1_30default_config_static_selectorELNS0_4arch9wavefront6targetE1EEEvT1_: ; @_ZN7rocprim17ROCPRIM_400000_NS6detail17trampoline_kernelINS0_14default_configENS1_20scan_config_selectorIN3c104HalfEEEZZNS1_9scan_implILNS1_25lookback_scan_determinismE0ELb0ELb0ES3_PKS6_PS6_S6_ZZZN2at6native31launch_logcumsumexp_cuda_kernelERKNSD_10TensorBaseESH_lENKUlvE_clEvENKUlvE3_clEvEUlS6_S6_E_S6_EEDaPvRmT3_T4_T5_mT6_P12ihipStream_tbENKUlT_T0_E_clISt17integral_constantIbLb0EESY_EEDaST_SU_EUlST_E_NS1_11comp_targetILNS1_3genE0ELNS1_11target_archE4294967295ELNS1_3gpuE0ELNS1_3repE0EEENS1_30default_config_static_selectorELNS0_4arch9wavefront6targetE1EEEvT1_
; %bb.0:
	.section	.rodata,"a",@progbits
	.p2align	6, 0x0
	.amdhsa_kernel _ZN7rocprim17ROCPRIM_400000_NS6detail17trampoline_kernelINS0_14default_configENS1_20scan_config_selectorIN3c104HalfEEEZZNS1_9scan_implILNS1_25lookback_scan_determinismE0ELb0ELb0ES3_PKS6_PS6_S6_ZZZN2at6native31launch_logcumsumexp_cuda_kernelERKNSD_10TensorBaseESH_lENKUlvE_clEvENKUlvE3_clEvEUlS6_S6_E_S6_EEDaPvRmT3_T4_T5_mT6_P12ihipStream_tbENKUlT_T0_E_clISt17integral_constantIbLb0EESY_EEDaST_SU_EUlST_E_NS1_11comp_targetILNS1_3genE0ELNS1_11target_archE4294967295ELNS1_3gpuE0ELNS1_3repE0EEENS1_30default_config_static_selectorELNS0_4arch9wavefront6targetE1EEEvT1_
		.amdhsa_group_segment_fixed_size 0
		.amdhsa_private_segment_fixed_size 0
		.amdhsa_kernarg_size 96
		.amdhsa_user_sgpr_count 6
		.amdhsa_user_sgpr_private_segment_buffer 1
		.amdhsa_user_sgpr_dispatch_ptr 0
		.amdhsa_user_sgpr_queue_ptr 0
		.amdhsa_user_sgpr_kernarg_segment_ptr 1
		.amdhsa_user_sgpr_dispatch_id 0
		.amdhsa_user_sgpr_flat_scratch_init 0
		.amdhsa_user_sgpr_kernarg_preload_length 0
		.amdhsa_user_sgpr_kernarg_preload_offset 0
		.amdhsa_user_sgpr_private_segment_size 0
		.amdhsa_uses_dynamic_stack 0
		.amdhsa_system_sgpr_private_segment_wavefront_offset 0
		.amdhsa_system_sgpr_workgroup_id_x 1
		.amdhsa_system_sgpr_workgroup_id_y 0
		.amdhsa_system_sgpr_workgroup_id_z 0
		.amdhsa_system_sgpr_workgroup_info 0
		.amdhsa_system_vgpr_workitem_id 0
		.amdhsa_next_free_vgpr 1
		.amdhsa_next_free_sgpr 0
		.amdhsa_accum_offset 4
		.amdhsa_reserve_vcc 0
		.amdhsa_reserve_flat_scratch 0
		.amdhsa_float_round_mode_32 0
		.amdhsa_float_round_mode_16_64 0
		.amdhsa_float_denorm_mode_32 3
		.amdhsa_float_denorm_mode_16_64 3
		.amdhsa_dx10_clamp 1
		.amdhsa_ieee_mode 1
		.amdhsa_fp16_overflow 0
		.amdhsa_tg_split 0
		.amdhsa_exception_fp_ieee_invalid_op 0
		.amdhsa_exception_fp_denorm_src 0
		.amdhsa_exception_fp_ieee_div_zero 0
		.amdhsa_exception_fp_ieee_overflow 0
		.amdhsa_exception_fp_ieee_underflow 0
		.amdhsa_exception_fp_ieee_inexact 0
		.amdhsa_exception_int_div_zero 0
	.end_amdhsa_kernel
	.section	.text._ZN7rocprim17ROCPRIM_400000_NS6detail17trampoline_kernelINS0_14default_configENS1_20scan_config_selectorIN3c104HalfEEEZZNS1_9scan_implILNS1_25lookback_scan_determinismE0ELb0ELb0ES3_PKS6_PS6_S6_ZZZN2at6native31launch_logcumsumexp_cuda_kernelERKNSD_10TensorBaseESH_lENKUlvE_clEvENKUlvE3_clEvEUlS6_S6_E_S6_EEDaPvRmT3_T4_T5_mT6_P12ihipStream_tbENKUlT_T0_E_clISt17integral_constantIbLb0EESY_EEDaST_SU_EUlST_E_NS1_11comp_targetILNS1_3genE0ELNS1_11target_archE4294967295ELNS1_3gpuE0ELNS1_3repE0EEENS1_30default_config_static_selectorELNS0_4arch9wavefront6targetE1EEEvT1_,"axG",@progbits,_ZN7rocprim17ROCPRIM_400000_NS6detail17trampoline_kernelINS0_14default_configENS1_20scan_config_selectorIN3c104HalfEEEZZNS1_9scan_implILNS1_25lookback_scan_determinismE0ELb0ELb0ES3_PKS6_PS6_S6_ZZZN2at6native31launch_logcumsumexp_cuda_kernelERKNSD_10TensorBaseESH_lENKUlvE_clEvENKUlvE3_clEvEUlS6_S6_E_S6_EEDaPvRmT3_T4_T5_mT6_P12ihipStream_tbENKUlT_T0_E_clISt17integral_constantIbLb0EESY_EEDaST_SU_EUlST_E_NS1_11comp_targetILNS1_3genE0ELNS1_11target_archE4294967295ELNS1_3gpuE0ELNS1_3repE0EEENS1_30default_config_static_selectorELNS0_4arch9wavefront6targetE1EEEvT1_,comdat
.Lfunc_end351:
	.size	_ZN7rocprim17ROCPRIM_400000_NS6detail17trampoline_kernelINS0_14default_configENS1_20scan_config_selectorIN3c104HalfEEEZZNS1_9scan_implILNS1_25lookback_scan_determinismE0ELb0ELb0ES3_PKS6_PS6_S6_ZZZN2at6native31launch_logcumsumexp_cuda_kernelERKNSD_10TensorBaseESH_lENKUlvE_clEvENKUlvE3_clEvEUlS6_S6_E_S6_EEDaPvRmT3_T4_T5_mT6_P12ihipStream_tbENKUlT_T0_E_clISt17integral_constantIbLb0EESY_EEDaST_SU_EUlST_E_NS1_11comp_targetILNS1_3genE0ELNS1_11target_archE4294967295ELNS1_3gpuE0ELNS1_3repE0EEENS1_30default_config_static_selectorELNS0_4arch9wavefront6targetE1EEEvT1_, .Lfunc_end351-_ZN7rocprim17ROCPRIM_400000_NS6detail17trampoline_kernelINS0_14default_configENS1_20scan_config_selectorIN3c104HalfEEEZZNS1_9scan_implILNS1_25lookback_scan_determinismE0ELb0ELb0ES3_PKS6_PS6_S6_ZZZN2at6native31launch_logcumsumexp_cuda_kernelERKNSD_10TensorBaseESH_lENKUlvE_clEvENKUlvE3_clEvEUlS6_S6_E_S6_EEDaPvRmT3_T4_T5_mT6_P12ihipStream_tbENKUlT_T0_E_clISt17integral_constantIbLb0EESY_EEDaST_SU_EUlST_E_NS1_11comp_targetILNS1_3genE0ELNS1_11target_archE4294967295ELNS1_3gpuE0ELNS1_3repE0EEENS1_30default_config_static_selectorELNS0_4arch9wavefront6targetE1EEEvT1_
                                        ; -- End function
	.section	.AMDGPU.csdata,"",@progbits
; Kernel info:
; codeLenInByte = 0
; NumSgprs: 4
; NumVgprs: 0
; NumAgprs: 0
; TotalNumVgprs: 0
; ScratchSize: 0
; MemoryBound: 0
; FloatMode: 240
; IeeeMode: 1
; LDSByteSize: 0 bytes/workgroup (compile time only)
; SGPRBlocks: 0
; VGPRBlocks: 0
; NumSGPRsForWavesPerEU: 4
; NumVGPRsForWavesPerEU: 1
; AccumOffset: 4
; Occupancy: 8
; WaveLimiterHint : 0
; COMPUTE_PGM_RSRC2:SCRATCH_EN: 0
; COMPUTE_PGM_RSRC2:USER_SGPR: 6
; COMPUTE_PGM_RSRC2:TRAP_HANDLER: 0
; COMPUTE_PGM_RSRC2:TGID_X_EN: 1
; COMPUTE_PGM_RSRC2:TGID_Y_EN: 0
; COMPUTE_PGM_RSRC2:TGID_Z_EN: 0
; COMPUTE_PGM_RSRC2:TIDIG_COMP_CNT: 0
; COMPUTE_PGM_RSRC3_GFX90A:ACCUM_OFFSET: 0
; COMPUTE_PGM_RSRC3_GFX90A:TG_SPLIT: 0
	.section	.text._ZN7rocprim17ROCPRIM_400000_NS6detail17trampoline_kernelINS0_14default_configENS1_20scan_config_selectorIN3c104HalfEEEZZNS1_9scan_implILNS1_25lookback_scan_determinismE0ELb0ELb0ES3_PKS6_PS6_S6_ZZZN2at6native31launch_logcumsumexp_cuda_kernelERKNSD_10TensorBaseESH_lENKUlvE_clEvENKUlvE3_clEvEUlS6_S6_E_S6_EEDaPvRmT3_T4_T5_mT6_P12ihipStream_tbENKUlT_T0_E_clISt17integral_constantIbLb0EESY_EEDaST_SU_EUlST_E_NS1_11comp_targetILNS1_3genE5ELNS1_11target_archE942ELNS1_3gpuE9ELNS1_3repE0EEENS1_30default_config_static_selectorELNS0_4arch9wavefront6targetE1EEEvT1_,"axG",@progbits,_ZN7rocprim17ROCPRIM_400000_NS6detail17trampoline_kernelINS0_14default_configENS1_20scan_config_selectorIN3c104HalfEEEZZNS1_9scan_implILNS1_25lookback_scan_determinismE0ELb0ELb0ES3_PKS6_PS6_S6_ZZZN2at6native31launch_logcumsumexp_cuda_kernelERKNSD_10TensorBaseESH_lENKUlvE_clEvENKUlvE3_clEvEUlS6_S6_E_S6_EEDaPvRmT3_T4_T5_mT6_P12ihipStream_tbENKUlT_T0_E_clISt17integral_constantIbLb0EESY_EEDaST_SU_EUlST_E_NS1_11comp_targetILNS1_3genE5ELNS1_11target_archE942ELNS1_3gpuE9ELNS1_3repE0EEENS1_30default_config_static_selectorELNS0_4arch9wavefront6targetE1EEEvT1_,comdat
	.globl	_ZN7rocprim17ROCPRIM_400000_NS6detail17trampoline_kernelINS0_14default_configENS1_20scan_config_selectorIN3c104HalfEEEZZNS1_9scan_implILNS1_25lookback_scan_determinismE0ELb0ELb0ES3_PKS6_PS6_S6_ZZZN2at6native31launch_logcumsumexp_cuda_kernelERKNSD_10TensorBaseESH_lENKUlvE_clEvENKUlvE3_clEvEUlS6_S6_E_S6_EEDaPvRmT3_T4_T5_mT6_P12ihipStream_tbENKUlT_T0_E_clISt17integral_constantIbLb0EESY_EEDaST_SU_EUlST_E_NS1_11comp_targetILNS1_3genE5ELNS1_11target_archE942ELNS1_3gpuE9ELNS1_3repE0EEENS1_30default_config_static_selectorELNS0_4arch9wavefront6targetE1EEEvT1_ ; -- Begin function _ZN7rocprim17ROCPRIM_400000_NS6detail17trampoline_kernelINS0_14default_configENS1_20scan_config_selectorIN3c104HalfEEEZZNS1_9scan_implILNS1_25lookback_scan_determinismE0ELb0ELb0ES3_PKS6_PS6_S6_ZZZN2at6native31launch_logcumsumexp_cuda_kernelERKNSD_10TensorBaseESH_lENKUlvE_clEvENKUlvE3_clEvEUlS6_S6_E_S6_EEDaPvRmT3_T4_T5_mT6_P12ihipStream_tbENKUlT_T0_E_clISt17integral_constantIbLb0EESY_EEDaST_SU_EUlST_E_NS1_11comp_targetILNS1_3genE5ELNS1_11target_archE942ELNS1_3gpuE9ELNS1_3repE0EEENS1_30default_config_static_selectorELNS0_4arch9wavefront6targetE1EEEvT1_
	.p2align	8
	.type	_ZN7rocprim17ROCPRIM_400000_NS6detail17trampoline_kernelINS0_14default_configENS1_20scan_config_selectorIN3c104HalfEEEZZNS1_9scan_implILNS1_25lookback_scan_determinismE0ELb0ELb0ES3_PKS6_PS6_S6_ZZZN2at6native31launch_logcumsumexp_cuda_kernelERKNSD_10TensorBaseESH_lENKUlvE_clEvENKUlvE3_clEvEUlS6_S6_E_S6_EEDaPvRmT3_T4_T5_mT6_P12ihipStream_tbENKUlT_T0_E_clISt17integral_constantIbLb0EESY_EEDaST_SU_EUlST_E_NS1_11comp_targetILNS1_3genE5ELNS1_11target_archE942ELNS1_3gpuE9ELNS1_3repE0EEENS1_30default_config_static_selectorELNS0_4arch9wavefront6targetE1EEEvT1_,@function
_ZN7rocprim17ROCPRIM_400000_NS6detail17trampoline_kernelINS0_14default_configENS1_20scan_config_selectorIN3c104HalfEEEZZNS1_9scan_implILNS1_25lookback_scan_determinismE0ELb0ELb0ES3_PKS6_PS6_S6_ZZZN2at6native31launch_logcumsumexp_cuda_kernelERKNSD_10TensorBaseESH_lENKUlvE_clEvENKUlvE3_clEvEUlS6_S6_E_S6_EEDaPvRmT3_T4_T5_mT6_P12ihipStream_tbENKUlT_T0_E_clISt17integral_constantIbLb0EESY_EEDaST_SU_EUlST_E_NS1_11comp_targetILNS1_3genE5ELNS1_11target_archE942ELNS1_3gpuE9ELNS1_3repE0EEENS1_30default_config_static_selectorELNS0_4arch9wavefront6targetE1EEEvT1_: ; @_ZN7rocprim17ROCPRIM_400000_NS6detail17trampoline_kernelINS0_14default_configENS1_20scan_config_selectorIN3c104HalfEEEZZNS1_9scan_implILNS1_25lookback_scan_determinismE0ELb0ELb0ES3_PKS6_PS6_S6_ZZZN2at6native31launch_logcumsumexp_cuda_kernelERKNSD_10TensorBaseESH_lENKUlvE_clEvENKUlvE3_clEvEUlS6_S6_E_S6_EEDaPvRmT3_T4_T5_mT6_P12ihipStream_tbENKUlT_T0_E_clISt17integral_constantIbLb0EESY_EEDaST_SU_EUlST_E_NS1_11comp_targetILNS1_3genE5ELNS1_11target_archE942ELNS1_3gpuE9ELNS1_3repE0EEENS1_30default_config_static_selectorELNS0_4arch9wavefront6targetE1EEEvT1_
; %bb.0:
	.section	.rodata,"a",@progbits
	.p2align	6, 0x0
	.amdhsa_kernel _ZN7rocprim17ROCPRIM_400000_NS6detail17trampoline_kernelINS0_14default_configENS1_20scan_config_selectorIN3c104HalfEEEZZNS1_9scan_implILNS1_25lookback_scan_determinismE0ELb0ELb0ES3_PKS6_PS6_S6_ZZZN2at6native31launch_logcumsumexp_cuda_kernelERKNSD_10TensorBaseESH_lENKUlvE_clEvENKUlvE3_clEvEUlS6_S6_E_S6_EEDaPvRmT3_T4_T5_mT6_P12ihipStream_tbENKUlT_T0_E_clISt17integral_constantIbLb0EESY_EEDaST_SU_EUlST_E_NS1_11comp_targetILNS1_3genE5ELNS1_11target_archE942ELNS1_3gpuE9ELNS1_3repE0EEENS1_30default_config_static_selectorELNS0_4arch9wavefront6targetE1EEEvT1_
		.amdhsa_group_segment_fixed_size 0
		.amdhsa_private_segment_fixed_size 0
		.amdhsa_kernarg_size 96
		.amdhsa_user_sgpr_count 6
		.amdhsa_user_sgpr_private_segment_buffer 1
		.amdhsa_user_sgpr_dispatch_ptr 0
		.amdhsa_user_sgpr_queue_ptr 0
		.amdhsa_user_sgpr_kernarg_segment_ptr 1
		.amdhsa_user_sgpr_dispatch_id 0
		.amdhsa_user_sgpr_flat_scratch_init 0
		.amdhsa_user_sgpr_kernarg_preload_length 0
		.amdhsa_user_sgpr_kernarg_preload_offset 0
		.amdhsa_user_sgpr_private_segment_size 0
		.amdhsa_uses_dynamic_stack 0
		.amdhsa_system_sgpr_private_segment_wavefront_offset 0
		.amdhsa_system_sgpr_workgroup_id_x 1
		.amdhsa_system_sgpr_workgroup_id_y 0
		.amdhsa_system_sgpr_workgroup_id_z 0
		.amdhsa_system_sgpr_workgroup_info 0
		.amdhsa_system_vgpr_workitem_id 0
		.amdhsa_next_free_vgpr 1
		.amdhsa_next_free_sgpr 0
		.amdhsa_accum_offset 4
		.amdhsa_reserve_vcc 0
		.amdhsa_reserve_flat_scratch 0
		.amdhsa_float_round_mode_32 0
		.amdhsa_float_round_mode_16_64 0
		.amdhsa_float_denorm_mode_32 3
		.amdhsa_float_denorm_mode_16_64 3
		.amdhsa_dx10_clamp 1
		.amdhsa_ieee_mode 1
		.amdhsa_fp16_overflow 0
		.amdhsa_tg_split 0
		.amdhsa_exception_fp_ieee_invalid_op 0
		.amdhsa_exception_fp_denorm_src 0
		.amdhsa_exception_fp_ieee_div_zero 0
		.amdhsa_exception_fp_ieee_overflow 0
		.amdhsa_exception_fp_ieee_underflow 0
		.amdhsa_exception_fp_ieee_inexact 0
		.amdhsa_exception_int_div_zero 0
	.end_amdhsa_kernel
	.section	.text._ZN7rocprim17ROCPRIM_400000_NS6detail17trampoline_kernelINS0_14default_configENS1_20scan_config_selectorIN3c104HalfEEEZZNS1_9scan_implILNS1_25lookback_scan_determinismE0ELb0ELb0ES3_PKS6_PS6_S6_ZZZN2at6native31launch_logcumsumexp_cuda_kernelERKNSD_10TensorBaseESH_lENKUlvE_clEvENKUlvE3_clEvEUlS6_S6_E_S6_EEDaPvRmT3_T4_T5_mT6_P12ihipStream_tbENKUlT_T0_E_clISt17integral_constantIbLb0EESY_EEDaST_SU_EUlST_E_NS1_11comp_targetILNS1_3genE5ELNS1_11target_archE942ELNS1_3gpuE9ELNS1_3repE0EEENS1_30default_config_static_selectorELNS0_4arch9wavefront6targetE1EEEvT1_,"axG",@progbits,_ZN7rocprim17ROCPRIM_400000_NS6detail17trampoline_kernelINS0_14default_configENS1_20scan_config_selectorIN3c104HalfEEEZZNS1_9scan_implILNS1_25lookback_scan_determinismE0ELb0ELb0ES3_PKS6_PS6_S6_ZZZN2at6native31launch_logcumsumexp_cuda_kernelERKNSD_10TensorBaseESH_lENKUlvE_clEvENKUlvE3_clEvEUlS6_S6_E_S6_EEDaPvRmT3_T4_T5_mT6_P12ihipStream_tbENKUlT_T0_E_clISt17integral_constantIbLb0EESY_EEDaST_SU_EUlST_E_NS1_11comp_targetILNS1_3genE5ELNS1_11target_archE942ELNS1_3gpuE9ELNS1_3repE0EEENS1_30default_config_static_selectorELNS0_4arch9wavefront6targetE1EEEvT1_,comdat
.Lfunc_end352:
	.size	_ZN7rocprim17ROCPRIM_400000_NS6detail17trampoline_kernelINS0_14default_configENS1_20scan_config_selectorIN3c104HalfEEEZZNS1_9scan_implILNS1_25lookback_scan_determinismE0ELb0ELb0ES3_PKS6_PS6_S6_ZZZN2at6native31launch_logcumsumexp_cuda_kernelERKNSD_10TensorBaseESH_lENKUlvE_clEvENKUlvE3_clEvEUlS6_S6_E_S6_EEDaPvRmT3_T4_T5_mT6_P12ihipStream_tbENKUlT_T0_E_clISt17integral_constantIbLb0EESY_EEDaST_SU_EUlST_E_NS1_11comp_targetILNS1_3genE5ELNS1_11target_archE942ELNS1_3gpuE9ELNS1_3repE0EEENS1_30default_config_static_selectorELNS0_4arch9wavefront6targetE1EEEvT1_, .Lfunc_end352-_ZN7rocprim17ROCPRIM_400000_NS6detail17trampoline_kernelINS0_14default_configENS1_20scan_config_selectorIN3c104HalfEEEZZNS1_9scan_implILNS1_25lookback_scan_determinismE0ELb0ELb0ES3_PKS6_PS6_S6_ZZZN2at6native31launch_logcumsumexp_cuda_kernelERKNSD_10TensorBaseESH_lENKUlvE_clEvENKUlvE3_clEvEUlS6_S6_E_S6_EEDaPvRmT3_T4_T5_mT6_P12ihipStream_tbENKUlT_T0_E_clISt17integral_constantIbLb0EESY_EEDaST_SU_EUlST_E_NS1_11comp_targetILNS1_3genE5ELNS1_11target_archE942ELNS1_3gpuE9ELNS1_3repE0EEENS1_30default_config_static_selectorELNS0_4arch9wavefront6targetE1EEEvT1_
                                        ; -- End function
	.section	.AMDGPU.csdata,"",@progbits
; Kernel info:
; codeLenInByte = 0
; NumSgprs: 4
; NumVgprs: 0
; NumAgprs: 0
; TotalNumVgprs: 0
; ScratchSize: 0
; MemoryBound: 0
; FloatMode: 240
; IeeeMode: 1
; LDSByteSize: 0 bytes/workgroup (compile time only)
; SGPRBlocks: 0
; VGPRBlocks: 0
; NumSGPRsForWavesPerEU: 4
; NumVGPRsForWavesPerEU: 1
; AccumOffset: 4
; Occupancy: 8
; WaveLimiterHint : 0
; COMPUTE_PGM_RSRC2:SCRATCH_EN: 0
; COMPUTE_PGM_RSRC2:USER_SGPR: 6
; COMPUTE_PGM_RSRC2:TRAP_HANDLER: 0
; COMPUTE_PGM_RSRC2:TGID_X_EN: 1
; COMPUTE_PGM_RSRC2:TGID_Y_EN: 0
; COMPUTE_PGM_RSRC2:TGID_Z_EN: 0
; COMPUTE_PGM_RSRC2:TIDIG_COMP_CNT: 0
; COMPUTE_PGM_RSRC3_GFX90A:ACCUM_OFFSET: 0
; COMPUTE_PGM_RSRC3_GFX90A:TG_SPLIT: 0
	.text
	.p2align	2                               ; -- Begin function _ZZZN7rocprim17ROCPRIM_400000_NS6detail9scan_implILNS1_25lookback_scan_determinismE0ELb0ELb0ENS0_14default_configEPKN3c104HalfEPS6_S6_ZZZN2at6native31launch_logcumsumexp_cuda_kernelERKNSA_10TensorBaseESE_lENKUlvE_clEvENKUlvE3_clEvEUlS6_S6_E_S6_EEDaPvRmT3_T4_T5_mT6_P12ihipStream_tbENKUlT_T0_E_clISt17integral_constantIbLb0EESV_EEDaSQ_SR_ENKUlSQ_E_clINS1_13target_configIS4_NS1_20scan_config_selectorIS6_EENS1_11comp_targetILNS1_3genE4ELNS1_11target_archE910ELNS1_3gpuE8ELNS1_3repE0EEELNS0_4arch9wavefront6targetE1EEEEEDaSQ_
	.type	_ZZZN7rocprim17ROCPRIM_400000_NS6detail9scan_implILNS1_25lookback_scan_determinismE0ELb0ELb0ENS0_14default_configEPKN3c104HalfEPS6_S6_ZZZN2at6native31launch_logcumsumexp_cuda_kernelERKNSA_10TensorBaseESE_lENKUlvE_clEvENKUlvE3_clEvEUlS6_S6_E_S6_EEDaPvRmT3_T4_T5_mT6_P12ihipStream_tbENKUlT_T0_E_clISt17integral_constantIbLb0EESV_EEDaSQ_SR_ENKUlSQ_E_clINS1_13target_configIS4_NS1_20scan_config_selectorIS6_EENS1_11comp_targetILNS1_3genE4ELNS1_11target_archE910ELNS1_3gpuE8ELNS1_3repE0EEELNS0_4arch9wavefront6targetE1EEEEEDaSQ_,@function
_ZZZN7rocprim17ROCPRIM_400000_NS6detail9scan_implILNS1_25lookback_scan_determinismE0ELb0ELb0ENS0_14default_configEPKN3c104HalfEPS6_S6_ZZZN2at6native31launch_logcumsumexp_cuda_kernelERKNSA_10TensorBaseESE_lENKUlvE_clEvENKUlvE3_clEvEUlS6_S6_E_S6_EEDaPvRmT3_T4_T5_mT6_P12ihipStream_tbENKUlT_T0_E_clISt17integral_constantIbLb0EESV_EEDaSQ_SR_ENKUlSQ_E_clINS1_13target_configIS4_NS1_20scan_config_selectorIS6_EENS1_11comp_targetILNS1_3genE4ELNS1_11target_archE910ELNS1_3gpuE8ELNS1_3repE0EEELNS0_4arch9wavefront6targetE1EEEEEDaSQ_: ; @_ZZZN7rocprim17ROCPRIM_400000_NS6detail9scan_implILNS1_25lookback_scan_determinismE0ELb0ELb0ENS0_14default_configEPKN3c104HalfEPS6_S6_ZZZN2at6native31launch_logcumsumexp_cuda_kernelERKNSA_10TensorBaseESE_lENKUlvE_clEvENKUlvE3_clEvEUlS6_S6_E_S6_EEDaPvRmT3_T4_T5_mT6_P12ihipStream_tbENKUlT_T0_E_clISt17integral_constantIbLb0EESV_EEDaSQ_SR_ENKUlSQ_E_clINS1_13target_configIS4_NS1_20scan_config_selectorIS6_EENS1_11comp_targetILNS1_3genE4ELNS1_11target_archE910ELNS1_3gpuE8ELNS1_3repE0EEELNS0_4arch9wavefront6targetE1EEEEEDaSQ_
; %bb.0:
	s_waitcnt vmcnt(0) expcnt(0) lgkmcnt(0)
	s_or_saveexec_b64 s[4:5], -1
	buffer_store_dword v40, off, s[0:3], s32 ; 4-byte Folded Spill
	s_mov_b64 exec, s[4:5]
	v_writelane_b32 v40, s30, 0
	v_writelane_b32 v40, s31, 1
	flat_load_dwordx4 v[14:17], v[0:1]
	flat_load_dwordx3 v[24:26], v[0:1] offset:40
	flat_load_dwordx4 v[10:13], v[0:1] offset:16
	flat_load_dwordx4 v[2:5], v[0:1] offset:56
	;; [unrolled: 1-line block ×3, first 2 shown]
	s_movk_i32 s6, 0x600
	s_mov_b32 s5, 0
	s_mul_i32 s4, s12, 0x600
	s_lshl_b64 s[62:63], s[4:5], 1
	v_and_b32_e32 v0, 0x3ff, v31
	v_mov_b32_e32 v1, s63
	v_lshlrev_b32_e32 v38, 1, v0
	s_waitcnt vmcnt(0) lgkmcnt(0)
	v_lshlrev_b64 v[28:29], 1, v[16:17]
	v_add_u32_e32 v16, -1, v26
	v_add_co_u32_e32 v14, vcc, v14, v28
	v_addc_co_u32_e32 v15, vcc, v15, v29, vcc
	v_mul_lo_u32 v17, v16, s6
	v_sub_co_u32_e32 v36, vcc, v12, v17
	v_subbrev_co_u32_e32 v37, vcc, 0, v13, vcc
	v_add_co_u32_e32 v12, vcc, s62, v14
	v_cmp_ne_u32_e64 s[4:5], s12, v16
	v_addc_co_u32_e32 v13, vcc, v15, v1, vcc
	s_and_saveexec_b64 s[6:7], s[4:5]
	s_xor_b64 s[6:7], exec, s[6:7]
	s_cbranch_execz .LBB353_2
; %bb.1:
	v_add_co_u32_e32 v12, vcc, v12, v38
	v_addc_co_u32_e32 v13, vcc, 0, v13, vcc
	flat_load_ushort v1, v[12:13]
	flat_load_ushort v14, v[12:13] offset:128
	flat_load_ushort v15, v[12:13] offset:256
	;; [unrolled: 1-line block ×23, first 2 shown]
                                        ; implicit-def: $vgpr12
	s_waitcnt vmcnt(0) lgkmcnt(0)
	ds_write_b16 v38, v1
	ds_write_b16 v38, v14 offset:128
	ds_write_b16 v38, v15 offset:256
	;; [unrolled: 1-line block ×23, first 2 shown]
	s_waitcnt lgkmcnt(0)
	; wave barrier
.LBB353_2:
	s_andn2_saveexec_b64 s[6:7], s[6:7]
	s_cbranch_execz .LBB353_52
; %bb.3:
	flat_load_ushort v1, v[12:13]
	v_cmp_lt_u32_e32 vcc, v0, v36
	s_waitcnt vmcnt(0) lgkmcnt(0)
	v_mov_b32_e32 v14, v1
	s_and_saveexec_b64 s[8:9], vcc
	s_cbranch_execz .LBB353_5
; %bb.4:
	v_add_co_u32_e32 v14, vcc, v12, v38
	v_addc_co_u32_e32 v15, vcc, 0, v13, vcc
	flat_load_ushort v14, v[14:15]
.LBB353_5:
	s_or_b64 exec, exec, s[8:9]
	v_add_u32_e32 v15, 64, v0
	v_cmp_lt_u32_e32 vcc, v15, v36
	v_mov_b32_e32 v15, v1
	s_and_saveexec_b64 s[8:9], vcc
	s_cbranch_execz .LBB353_7
; %bb.6:
	v_add_co_u32_e32 v16, vcc, v12, v38
	v_addc_co_u32_e32 v17, vcc, 0, v13, vcc
	flat_load_ushort v15, v[16:17] offset:128
.LBB353_7:
	s_or_b64 exec, exec, s[8:9]
	v_add_u32_e32 v16, 0x80, v0
	v_cmp_lt_u32_e32 vcc, v16, v36
	v_mov_b32_e32 v16, v1
	s_and_saveexec_b64 s[8:9], vcc
	s_cbranch_execz .LBB353_9
; %bb.8:
	v_add_co_u32_e32 v16, vcc, v12, v38
	v_addc_co_u32_e32 v17, vcc, 0, v13, vcc
	flat_load_ushort v16, v[16:17] offset:256
.LBB353_9:
	;; [unrolled: 11-line block ×15, first 2 shown]
	s_or_b64 exec, exec, s[8:9]
	v_or_b32_e32 v34, 0x400, v0
	v_cmp_lt_u32_e32 vcc, v34, v36
	v_mov_b32_e32 v34, v1
	s_and_saveexec_b64 s[8:9], vcc
	s_cbranch_execz .LBB353_37
; %bb.36:
	v_add_co_u32_e32 v34, vcc, v12, v38
	v_addc_co_u32_e32 v35, vcc, 0, v13, vcc
	flat_load_ushort v34, v[34:35] offset:2048
.LBB353_37:
	s_or_b64 exec, exec, s[8:9]
	v_add_u32_e32 v35, 0x440, v0
	v_cmp_lt_u32_e32 vcc, v35, v36
	v_mov_b32_e32 v35, v1
	s_and_saveexec_b64 s[8:9], vcc
	s_cbranch_execz .LBB353_39
; %bb.38:
	v_add_co_u32_e32 v48, vcc, v12, v38
	v_addc_co_u32_e32 v49, vcc, 0, v13, vcc
	flat_load_ushort v35, v[48:49] offset:2176
.LBB353_39:
	s_or_b64 exec, exec, s[8:9]
	v_add_u32_e32 v39, 0x480, v0
	;; [unrolled: 11-line block ×7, first 2 shown]
	v_cmp_lt_u32_e32 vcc, v52, v36
	s_and_saveexec_b64 s[8:9], vcc
	s_cbranch_execz .LBB353_51
; %bb.50:
	v_add_co_u32_e32 v12, vcc, v12, v38
	v_addc_co_u32_e32 v13, vcc, 0, v13, vcc
	flat_load_ushort v1, v[12:13] offset:2944
.LBB353_51:
	s_or_b64 exec, exec, s[8:9]
	s_waitcnt vmcnt(0) lgkmcnt(0)
	ds_write_b16 v38, v14
	ds_write_b16 v38, v15 offset:128
	ds_write_b16 v38, v16 offset:256
	;; [unrolled: 1-line block ×23, first 2 shown]
	s_waitcnt lgkmcnt(0)
	; wave barrier
.LBB353_52:
	s_or_b64 exec, exec, s[6:7]
	v_mul_u32_u24_e32 v39, 24, v0
	v_lshlrev_b32_e32 v1, 1, v39
	s_waitcnt lgkmcnt(0)
	ds_read_b128 v[20:23], v1
	ds_read_b128 v[16:19], v1 offset:16
	ds_read_b128 v[12:15], v1 offset:32
	s_cmp_lg_u32 s12, 0
	s_waitcnt lgkmcnt(0)
	v_cvt_f32_f16_sdwa v48, v20 dst_sel:DWORD dst_unused:UNUSED_PAD src0_sel:WORD_1
	v_cmp_u_f16_sdwa s[6:7], v20, v20 src0_sel:WORD_1 src1_sel:WORD_1
	; wave barrier
	s_cbranch_scc0 .LBB353_249
; %bb.53:
	v_cvt_f32_f16_e32 v87, v20
	v_cmp_u_f16_e64 s[54:55], v20, v20
	s_movk_i32 s10, 0x1f8
	v_min_f32_e32 v26, v87, v48
	v_max_f32_e32 v27, v87, v48
	v_cndmask_b32_e64 v26, v26, v87, s[54:55]
	v_cndmask_b32_e64 v27, v27, v87, s[54:55]
	;; [unrolled: 1-line block ×4, first 2 shown]
	v_cmp_neq_f32_e32 vcc, v32, v31
	v_cmp_class_f32_e64 s[8:9], v32, s10
	s_or_b64 s[14:15], vcc, s[8:9]
	v_mov_b32_e32 v30, v87
	v_mov_b32_e32 v27, v20
	;; [unrolled: 1-line block ×3, first 2 shown]
	s_and_saveexec_b64 s[8:9], s[14:15]
	s_cbranch_execz .LBB353_55
; %bb.54:
	v_sub_f32_e32 v26, v32, v31
	s_mov_b32 s11, 0x3fb8aa3b
	v_mul_f32_e32 v27, 0x3fb8aa3b, v26
	v_fma_f32 v30, v26, s11, -v27
	v_rndne_f32_e32 v32, v27
	v_fmac_f32_e32 v30, 0x32a5705f, v26
	v_sub_f32_e32 v27, v27, v32
	v_add_f32_e32 v27, v27, v30
	v_exp_f32_e32 v27, v27
	v_cvt_i32_f32_e32 v30, v32
	s_mov_b32 s11, 0xc2ce8ed0
	v_cmp_ngt_f32_e32 vcc, s11, v26
	s_mov_b32 s11, 0x42b17218
	v_ldexp_f32 v27, v27, v30
	v_cndmask_b32_e32 v27, 0, v27, vcc
	v_mov_b32_e32 v30, 0x7f800000
	v_cmp_nlt_f32_e32 vcc, s11, v26
	v_cndmask_b32_e32 v49, v30, v27, vcc
	v_add_f32_e32 v30, 1.0, v49
	v_add_f32_e32 v26, -1.0, v30
	v_sub_f32_e32 v27, v26, v30
	v_add_f32_e32 v27, 1.0, v27
	v_sub_f32_e32 v26, v49, v26
	v_add_f32_e32 v32, v26, v27
	v_frexp_mant_f32_e32 v33, v30
	s_mov_b32 s11, 0x3f2aaaab
	v_cvt_f64_f32_e32 v[26:27], v30
	v_frexp_exp_i32_f64_e32 v26, v[26:27]
	v_cmp_gt_f32_e32 vcc, s11, v33
	v_subbrev_co_u32_e32 v52, vcc, 0, v26, vcc
	v_sub_u32_e32 v26, 0, v52
	v_ldexp_f32 v27, v30, v26
	v_add_f32_e32 v30, -1.0, v27
	v_add_f32_e32 v33, 1.0, v27
	v_ldexp_f32 v26, v32, v26
	v_add_f32_e32 v32, 1.0, v30
	v_add_f32_e32 v34, -1.0, v33
	v_sub_f32_e32 v32, v27, v32
	v_sub_f32_e32 v27, v27, v34
	v_add_f32_e32 v32, v26, v32
	v_add_f32_e32 v26, v26, v27
	;; [unrolled: 1-line block ×3, first 2 shown]
	v_rcp_f32_e32 v55, v53
	v_sub_f32_e32 v27, v33, v53
	v_add_f32_e32 v54, v26, v27
	v_add_f32_e32 v27, v30, v32
	v_sub_f32_e32 v26, v30, v27
	v_mul_f32_e32 v64, v27, v55
	v_add_f32_e32 v30, v32, v26
	v_mul_f32_e32 v32, v53, v64
	v_fma_f32 v34, v64, v53, -v32
	v_fmac_f32_e32 v34, v64, v54
	v_add_f32_e32 v26, v32, v34
	v_sub_f32_e32 v33, v27, v26
	v_pk_add_f32 v[50:51], v[26:27], v[32:33] neg_lo:[0,1] neg_hi:[0,1]
	v_mov_b32_e32 v35, v26
	v_pk_add_f32 v[26:27], v[50:51], v[34:35] neg_lo:[0,1] neg_hi:[0,1]
	v_add_f32_e32 v27, v30, v27
	v_add_f32_e32 v26, v26, v27
	v_add_f32_e32 v27, v33, v26
	v_mul_f32_e32 v30, v55, v27
	v_mul_f32_e32 v32, v53, v30
	v_fma_f32 v34, v30, v53, -v32
	v_fmac_f32_e32 v34, v30, v54
	v_sub_f32_e32 v33, v33, v27
	v_add_f32_e32 v53, v26, v33
	v_add_f32_e32 v26, v32, v34
	v_sub_f32_e32 v33, v27, v26
	v_pk_add_f32 v[50:51], v[26:27], v[32:33] neg_lo:[0,1] neg_hi:[0,1]
	v_mov_b32_e32 v35, v26
	v_pk_add_f32 v[26:27], v[50:51], v[34:35] neg_lo:[0,1] neg_hi:[0,1]
	v_add_f32_e32 v27, v53, v27
	v_add_f32_e32 v26, v26, v27
	;; [unrolled: 1-line block ×4, first 2 shown]
	v_sub_f32_e32 v27, v33, v64
	v_mul_f32_e32 v26, v55, v26
	v_sub_f32_e32 v27, v30, v27
	v_add_f32_e32 v26, v27, v26
	v_add_f32_e32 v30, v33, v26
	v_mul_f32_e32 v34, v30, v30
	v_mov_b32_e32 v32, 0x3ecc95a3
	v_fmac_f32_e32 v32, 0x3e9b6dac, v34
	v_mov_b32_e32 v27, 0x3f2aaada
	v_fmac_f32_e32 v27, v34, v32
	v_cvt_f32_i32_e32 v32, v52
	v_sub_f32_e32 v33, v30, v33
	v_sub_f32_e32 v26, v26, v33
	v_ldexp_f32 v50, v26, 1
	v_mul_f32_e32 v33, v30, v34
	v_mov_b32_e32 v26, 0x3f317218
	s_mov_b32 s11, 0x3f317218
	v_pk_mul_f32 v[26:27], v[32:33], v[26:27]
	v_fma_f32 v34, v32, s11, -v26
	v_ldexp_f32 v35, v30, 1
	v_fmac_f32_e32 v34, 0xb102e308, v32
	v_pk_add_f32 v[32:33], v[26:27], v[34:35]
	v_sub_f32_e32 v30, v33, v35
	v_sub_f32_e32 v30, v27, v30
	v_add_f32_e32 v51, v50, v30
	v_mov_b32_e32 v50, v26
	v_pk_add_f32 v[26:27], v[32:33], v[26:27] neg_lo:[0,1] neg_hi:[0,1]
	v_pk_add_f32 v[52:53], v[32:33], v[50:51]
	v_mov_b32_e32 v27, v53
	v_mov_b32_e32 v35, v32
	v_pk_add_f32 v[54:55], v[34:35], v[26:27] neg_lo:[0,1] neg_hi:[0,1]
	v_pk_add_f32 v[26:27], v[34:35], v[26:27]
	v_mov_b32_e32 v30, v27
	v_pk_add_f32 v[34:35], v[30:31], v[32:33] neg_lo:[0,1] neg_hi:[0,1]
	v_mov_b32_e32 v35, v34
	v_pk_add_f32 v[64:65], v[52:53], v[34:35] neg_lo:[0,1] neg_hi:[0,1]
	v_mov_b32_e32 v26, v53
	v_mov_b32_e32 v52, v33
	;; [unrolled: 1-line block ×4, first 2 shown]
	v_pk_add_f32 v[26:27], v[26:27], v[52:53] neg_lo:[0,1] neg_hi:[0,1]
	v_mov_b32_e32 v34, v51
	v_mov_b32_e32 v35, v32
	v_pk_add_f32 v[26:27], v[34:35], v[26:27] neg_lo:[0,1] neg_hi:[0,1]
	v_mov_b32_e32 v64, v54
	v_pk_add_f32 v[32:33], v[64:65], v[26:27]
	v_mov_b32_e32 v34, v33
	v_pk_add_f32 v[34:35], v[32:33], v[34:35]
	v_pk_add_f32 v[50:51], v[30:31], v[34:35]
	v_mov_b32_e32 v33, v50
	v_pk_add_f32 v[52:53], v[32:33], v[54:55] neg_lo:[0,1] neg_hi:[0,1]
	v_mov_b32_e32 v27, v34
	v_sub_f32_e32 v30, v32, v52
	v_pk_add_f32 v[26:27], v[26:27], v[52:53] neg_lo:[0,1] neg_hi:[0,1]
	v_sub_f32_e32 v30, v54, v30
	s_mov_b32 s13, 0x7f800000
	v_add_f32_e32 v26, v26, v30
	s_mov_b32 s11, 0x33800000
	v_add_f32_e32 v26, v26, v27
	v_cmp_eq_f32_e32 vcc, s13, v49
	v_cmp_lt_f32_e64 s[14:15], |v49|, s11
	v_add_f32_e32 v26, v50, v26
	s_or_b64 vcc, vcc, s[14:15]
	v_cndmask_b32_e32 v26, v26, v49, vcc
	v_add_f32_e32 v26, v31, v26
	v_cvt_f16_f32_e32 v27, v26
	v_cvt_f32_f16_e32 v30, v27
	v_mov_b32_e32 v26, v27
.LBB353_55:
	s_or_b64 exec, exec, s[8:9]
	v_cvt_f32_f16_e32 v49, v21
	v_max_f32_e32 v31, v30, v30
	v_cmp_u_f16_e32 vcc, v27, v27
	v_cmp_u_f16_e64 s[8:9], v21, v21
	v_min_f32_e32 v32, v31, v49
	v_max_f32_e32 v31, v31, v49
	v_cndmask_b32_e32 v32, v32, v30, vcc
	v_cndmask_b32_e32 v31, v31, v30, vcc
	v_cndmask_b32_e64 v32, v32, v49, s[8:9]
	v_cndmask_b32_e64 v31, v31, v49, s[8:9]
	v_cmp_neq_f32_e32 vcc, v32, v31
	v_cmp_class_f32_e64 s[10:11], v32, s10
	s_or_b64 s[14:15], vcc, s[10:11]
	s_and_saveexec_b64 s[10:11], s[14:15]
	s_cbranch_execz .LBB353_57
; %bb.56:
	v_sub_f32_e32 v26, v32, v31
	s_mov_b32 s13, 0x3fb8aa3b
	v_mul_f32_e32 v27, 0x3fb8aa3b, v26
	v_fma_f32 v30, v26, s13, -v27
	v_rndne_f32_e32 v32, v27
	v_fmac_f32_e32 v30, 0x32a5705f, v26
	v_sub_f32_e32 v27, v27, v32
	v_add_f32_e32 v27, v27, v30
	v_exp_f32_e32 v27, v27
	v_cvt_i32_f32_e32 v30, v32
	s_mov_b32 s13, 0xc2ce8ed0
	v_cmp_ngt_f32_e32 vcc, s13, v26
	s_mov_b32 s13, 0x42b17218
	v_ldexp_f32 v27, v27, v30
	v_cndmask_b32_e32 v27, 0, v27, vcc
	v_mov_b32_e32 v30, 0x7f800000
	v_cmp_nlt_f32_e32 vcc, s13, v26
	v_cndmask_b32_e32 v66, v30, v27, vcc
	v_add_f32_e32 v30, 1.0, v66
	v_add_f32_e32 v26, -1.0, v30
	v_sub_f32_e32 v27, v26, v30
	v_add_f32_e32 v27, 1.0, v27
	v_sub_f32_e32 v26, v66, v26
	v_add_f32_e32 v32, v26, v27
	v_frexp_mant_f32_e32 v33, v30
	s_mov_b32 s13, 0x3f2aaaab
	v_cvt_f64_f32_e32 v[26:27], v30
	v_frexp_exp_i32_f64_e32 v26, v[26:27]
	v_cmp_gt_f32_e32 vcc, s13, v33
	v_subbrev_co_u32_e32 v52, vcc, 0, v26, vcc
	v_sub_u32_e32 v26, 0, v52
	v_ldexp_f32 v27, v30, v26
	v_add_f32_e32 v30, -1.0, v27
	v_add_f32_e32 v33, 1.0, v27
	v_ldexp_f32 v26, v32, v26
	v_add_f32_e32 v32, 1.0, v30
	v_add_f32_e32 v34, -1.0, v33
	v_sub_f32_e32 v32, v27, v32
	v_sub_f32_e32 v27, v27, v34
	v_add_f32_e32 v32, v26, v32
	v_add_f32_e32 v26, v26, v27
	;; [unrolled: 1-line block ×3, first 2 shown]
	v_rcp_f32_e32 v55, v53
	v_sub_f32_e32 v27, v33, v53
	v_add_f32_e32 v54, v26, v27
	v_add_f32_e32 v27, v30, v32
	v_sub_f32_e32 v26, v30, v27
	v_mul_f32_e32 v64, v27, v55
	v_add_f32_e32 v30, v32, v26
	v_mul_f32_e32 v32, v53, v64
	v_fma_f32 v34, v64, v53, -v32
	v_fmac_f32_e32 v34, v64, v54
	v_add_f32_e32 v26, v32, v34
	v_sub_f32_e32 v33, v27, v26
	v_pk_add_f32 v[50:51], v[26:27], v[32:33] neg_lo:[0,1] neg_hi:[0,1]
	v_mov_b32_e32 v35, v26
	v_pk_add_f32 v[26:27], v[50:51], v[34:35] neg_lo:[0,1] neg_hi:[0,1]
	v_add_f32_e32 v27, v30, v27
	v_add_f32_e32 v26, v26, v27
	;; [unrolled: 1-line block ×3, first 2 shown]
	v_mul_f32_e32 v30, v55, v27
	v_mul_f32_e32 v32, v53, v30
	v_fma_f32 v34, v30, v53, -v32
	v_fmac_f32_e32 v34, v30, v54
	v_sub_f32_e32 v33, v33, v27
	v_add_f32_e32 v53, v26, v33
	v_add_f32_e32 v26, v32, v34
	v_sub_f32_e32 v33, v27, v26
	v_pk_add_f32 v[50:51], v[26:27], v[32:33] neg_lo:[0,1] neg_hi:[0,1]
	v_mov_b32_e32 v35, v26
	v_pk_add_f32 v[26:27], v[50:51], v[34:35] neg_lo:[0,1] neg_hi:[0,1]
	v_add_f32_e32 v27, v53, v27
	v_add_f32_e32 v26, v26, v27
	;; [unrolled: 1-line block ×4, first 2 shown]
	v_sub_f32_e32 v27, v33, v64
	v_mul_f32_e32 v26, v55, v26
	v_sub_f32_e32 v27, v30, v27
	v_add_f32_e32 v26, v27, v26
	v_add_f32_e32 v30, v33, v26
	v_mul_f32_e32 v34, v30, v30
	v_mov_b32_e32 v32, 0x3ecc95a3
	v_fmac_f32_e32 v32, 0x3e9b6dac, v34
	v_mov_b32_e32 v27, 0x3f2aaada
	v_fmac_f32_e32 v27, v34, v32
	v_cvt_f32_i32_e32 v32, v52
	v_sub_f32_e32 v33, v30, v33
	v_sub_f32_e32 v26, v26, v33
	v_ldexp_f32 v50, v26, 1
	v_mul_f32_e32 v33, v30, v34
	v_mov_b32_e32 v26, 0x3f317218
	s_mov_b32 s13, 0x3f317218
	v_pk_mul_f32 v[26:27], v[32:33], v[26:27]
	v_fma_f32 v34, v32, s13, -v26
	v_ldexp_f32 v35, v30, 1
	v_fmac_f32_e32 v34, 0xb102e308, v32
	v_pk_add_f32 v[32:33], v[26:27], v[34:35]
	v_sub_f32_e32 v30, v33, v35
	v_sub_f32_e32 v30, v27, v30
	v_add_f32_e32 v51, v50, v30
	v_mov_b32_e32 v50, v26
	v_pk_add_f32 v[26:27], v[32:33], v[26:27] neg_lo:[0,1] neg_hi:[0,1]
	v_pk_add_f32 v[52:53], v[32:33], v[50:51]
	v_mov_b32_e32 v27, v53
	v_mov_b32_e32 v35, v32
	v_pk_add_f32 v[54:55], v[34:35], v[26:27] neg_lo:[0,1] neg_hi:[0,1]
	v_pk_add_f32 v[26:27], v[34:35], v[26:27]
	v_mov_b32_e32 v30, v27
	v_pk_add_f32 v[34:35], v[30:31], v[32:33] neg_lo:[0,1] neg_hi:[0,1]
	v_mov_b32_e32 v35, v34
	v_pk_add_f32 v[64:65], v[52:53], v[34:35] neg_lo:[0,1] neg_hi:[0,1]
	v_mov_b32_e32 v26, v53
	v_mov_b32_e32 v52, v33
	;; [unrolled: 1-line block ×4, first 2 shown]
	v_pk_add_f32 v[26:27], v[26:27], v[52:53] neg_lo:[0,1] neg_hi:[0,1]
	v_mov_b32_e32 v34, v51
	v_mov_b32_e32 v35, v32
	v_pk_add_f32 v[26:27], v[34:35], v[26:27] neg_lo:[0,1] neg_hi:[0,1]
	v_mov_b32_e32 v64, v54
	v_pk_add_f32 v[32:33], v[64:65], v[26:27]
	v_mov_b32_e32 v34, v33
	v_pk_add_f32 v[34:35], v[32:33], v[34:35]
	v_pk_add_f32 v[50:51], v[30:31], v[34:35]
	v_mov_b32_e32 v33, v50
	v_pk_add_f32 v[52:53], v[32:33], v[54:55] neg_lo:[0,1] neg_hi:[0,1]
	v_mov_b32_e32 v27, v34
	v_sub_f32_e32 v30, v32, v52
	v_pk_add_f32 v[26:27], v[26:27], v[52:53] neg_lo:[0,1] neg_hi:[0,1]
	v_sub_f32_e32 v30, v54, v30
	s_mov_b32 s14, 0x7f800000
	v_add_f32_e32 v26, v26, v30
	s_mov_b32 s13, 0x33800000
	v_add_f32_e32 v26, v26, v27
	v_cmp_eq_f32_e32 vcc, s14, v66
	v_cmp_lt_f32_e64 s[14:15], |v66|, s13
	v_add_f32_e32 v26, v50, v26
	s_or_b64 vcc, vcc, s[14:15]
	v_cndmask_b32_e32 v26, v26, v66, vcc
	v_add_f32_e32 v26, v31, v26
	v_cvt_f16_f32_e32 v27, v26
	v_cvt_f32_f16_e32 v30, v27
	v_mov_b32_e32 v26, v27
.LBB353_57:
	s_or_b64 exec, exec, s[10:11]
	v_cvt_f32_f16_sdwa v50, v21 dst_sel:DWORD dst_unused:UNUSED_PAD src0_sel:WORD_1
	v_max_f32_e32 v31, v30, v30
	v_cmp_u_f16_e32 vcc, v27, v27
	v_cmp_u_f16_sdwa s[10:11], v21, v21 src0_sel:WORD_1 src1_sel:WORD_1
	v_min_f32_e32 v32, v31, v50
	v_max_f32_e32 v31, v31, v50
	v_cndmask_b32_e32 v32, v32, v30, vcc
	v_cndmask_b32_e32 v31, v31, v30, vcc
	v_cndmask_b32_e64 v32, v32, v50, s[10:11]
	v_cndmask_b32_e64 v31, v31, v50, s[10:11]
	s_movk_i32 s13, 0x1f8
	v_cmp_neq_f32_e32 vcc, v32, v31
	v_cmp_class_f32_e64 s[14:15], v32, s13
	s_or_b64 s[16:17], vcc, s[14:15]
	s_and_saveexec_b64 s[14:15], s[16:17]
	s_cbranch_execz .LBB353_59
; %bb.58:
	v_sub_f32_e32 v26, v32, v31
	s_mov_b32 s16, 0x3fb8aa3b
	v_mul_f32_e32 v27, 0x3fb8aa3b, v26
	v_fma_f32 v30, v26, s16, -v27
	v_rndne_f32_e32 v32, v27
	v_fmac_f32_e32 v30, 0x32a5705f, v26
	v_sub_f32_e32 v27, v27, v32
	v_add_f32_e32 v27, v27, v30
	v_exp_f32_e32 v27, v27
	v_cvt_i32_f32_e32 v30, v32
	s_mov_b32 s16, 0xc2ce8ed0
	v_cmp_ngt_f32_e32 vcc, s16, v26
	s_mov_b32 s16, 0x42b17218
	v_ldexp_f32 v27, v27, v30
	v_cndmask_b32_e32 v27, 0, v27, vcc
	v_mov_b32_e32 v30, 0x7f800000
	v_cmp_nlt_f32_e32 vcc, s16, v26
	v_cndmask_b32_e32 v51, v30, v27, vcc
	v_add_f32_e32 v30, 1.0, v51
	v_add_f32_e32 v26, -1.0, v30
	v_sub_f32_e32 v27, v26, v30
	v_add_f32_e32 v27, 1.0, v27
	v_sub_f32_e32 v26, v51, v26
	v_add_f32_e32 v32, v26, v27
	v_frexp_mant_f32_e32 v33, v30
	s_mov_b32 s16, 0x3f2aaaab
	v_cvt_f64_f32_e32 v[26:27], v30
	v_frexp_exp_i32_f64_e32 v26, v[26:27]
	v_cmp_gt_f32_e32 vcc, s16, v33
	v_subbrev_co_u32_e32 v54, vcc, 0, v26, vcc
	v_sub_u32_e32 v26, 0, v54
	v_ldexp_f32 v27, v30, v26
	v_add_f32_e32 v30, -1.0, v27
	v_add_f32_e32 v33, 1.0, v27
	v_ldexp_f32 v26, v32, v26
	v_add_f32_e32 v32, 1.0, v30
	v_add_f32_e32 v34, -1.0, v33
	v_sub_f32_e32 v32, v27, v32
	v_sub_f32_e32 v27, v27, v34
	v_add_f32_e32 v32, v26, v32
	v_add_f32_e32 v26, v26, v27
	v_add_f32_e32 v55, v33, v26
	v_rcp_f32_e32 v65, v55
	v_sub_f32_e32 v27, v33, v55
	v_add_f32_e32 v64, v26, v27
	v_add_f32_e32 v27, v30, v32
	v_sub_f32_e32 v26, v30, v27
	v_mul_f32_e32 v66, v27, v65
	v_add_f32_e32 v30, v32, v26
	v_mul_f32_e32 v32, v55, v66
	v_fma_f32 v34, v66, v55, -v32
	v_fmac_f32_e32 v34, v66, v64
	v_add_f32_e32 v26, v32, v34
	v_sub_f32_e32 v33, v27, v26
	v_pk_add_f32 v[52:53], v[26:27], v[32:33] neg_lo:[0,1] neg_hi:[0,1]
	v_mov_b32_e32 v35, v26
	v_pk_add_f32 v[26:27], v[52:53], v[34:35] neg_lo:[0,1] neg_hi:[0,1]
	v_add_f32_e32 v27, v30, v27
	v_add_f32_e32 v26, v26, v27
	;; [unrolled: 1-line block ×3, first 2 shown]
	v_mul_f32_e32 v30, v65, v27
	v_mul_f32_e32 v32, v55, v30
	v_fma_f32 v34, v30, v55, -v32
	v_fmac_f32_e32 v34, v30, v64
	v_sub_f32_e32 v33, v33, v27
	v_add_f32_e32 v55, v26, v33
	v_add_f32_e32 v26, v32, v34
	v_sub_f32_e32 v33, v27, v26
	v_pk_add_f32 v[52:53], v[26:27], v[32:33] neg_lo:[0,1] neg_hi:[0,1]
	v_mov_b32_e32 v35, v26
	v_pk_add_f32 v[26:27], v[52:53], v[34:35] neg_lo:[0,1] neg_hi:[0,1]
	v_add_f32_e32 v27, v55, v27
	v_add_f32_e32 v26, v26, v27
	;; [unrolled: 1-line block ×4, first 2 shown]
	v_sub_f32_e32 v27, v33, v66
	v_mul_f32_e32 v26, v65, v26
	v_sub_f32_e32 v27, v30, v27
	v_add_f32_e32 v26, v27, v26
	v_add_f32_e32 v30, v33, v26
	v_mul_f32_e32 v34, v30, v30
	v_mov_b32_e32 v32, 0x3ecc95a3
	v_fmac_f32_e32 v32, 0x3e9b6dac, v34
	v_mov_b32_e32 v27, 0x3f2aaada
	v_fmac_f32_e32 v27, v34, v32
	v_cvt_f32_i32_e32 v32, v54
	v_sub_f32_e32 v33, v30, v33
	v_sub_f32_e32 v26, v26, v33
	v_ldexp_f32 v52, v26, 1
	v_mul_f32_e32 v33, v30, v34
	v_mov_b32_e32 v26, 0x3f317218
	s_mov_b32 s16, 0x3f317218
	v_pk_mul_f32 v[26:27], v[32:33], v[26:27]
	v_fma_f32 v34, v32, s16, -v26
	v_ldexp_f32 v35, v30, 1
	v_fmac_f32_e32 v34, 0xb102e308, v32
	v_pk_add_f32 v[32:33], v[26:27], v[34:35]
	v_sub_f32_e32 v30, v33, v35
	v_sub_f32_e32 v30, v27, v30
	v_add_f32_e32 v53, v52, v30
	v_mov_b32_e32 v52, v26
	v_pk_add_f32 v[26:27], v[32:33], v[26:27] neg_lo:[0,1] neg_hi:[0,1]
	v_pk_add_f32 v[54:55], v[32:33], v[52:53]
	v_mov_b32_e32 v27, v55
	v_mov_b32_e32 v35, v32
	v_pk_add_f32 v[64:65], v[34:35], v[26:27] neg_lo:[0,1] neg_hi:[0,1]
	v_pk_add_f32 v[26:27], v[34:35], v[26:27]
	v_mov_b32_e32 v30, v27
	v_pk_add_f32 v[34:35], v[30:31], v[32:33] neg_lo:[0,1] neg_hi:[0,1]
	v_mov_b32_e32 v35, v34
	v_pk_add_f32 v[66:67], v[54:55], v[34:35] neg_lo:[0,1] neg_hi:[0,1]
	v_mov_b32_e32 v26, v55
	v_mov_b32_e32 v54, v33
	;; [unrolled: 1-line block ×4, first 2 shown]
	v_pk_add_f32 v[26:27], v[26:27], v[54:55] neg_lo:[0,1] neg_hi:[0,1]
	v_mov_b32_e32 v34, v53
	v_mov_b32_e32 v35, v32
	v_pk_add_f32 v[26:27], v[34:35], v[26:27] neg_lo:[0,1] neg_hi:[0,1]
	v_mov_b32_e32 v66, v64
	v_pk_add_f32 v[32:33], v[66:67], v[26:27]
	v_mov_b32_e32 v34, v33
	v_pk_add_f32 v[34:35], v[32:33], v[34:35]
	v_pk_add_f32 v[52:53], v[30:31], v[34:35]
	v_mov_b32_e32 v33, v52
	v_pk_add_f32 v[54:55], v[32:33], v[64:65] neg_lo:[0,1] neg_hi:[0,1]
	v_mov_b32_e32 v27, v34
	v_sub_f32_e32 v30, v32, v54
	v_pk_add_f32 v[26:27], v[26:27], v[54:55] neg_lo:[0,1] neg_hi:[0,1]
	v_sub_f32_e32 v30, v64, v30
	s_mov_b32 s17, 0x7f800000
	v_add_f32_e32 v26, v26, v30
	s_mov_b32 s16, 0x33800000
	v_add_f32_e32 v26, v26, v27
	v_cmp_eq_f32_e32 vcc, s17, v51
	v_cmp_lt_f32_e64 s[16:17], |v51|, s16
	v_add_f32_e32 v26, v52, v26
	s_or_b64 vcc, vcc, s[16:17]
	v_cndmask_b32_e32 v26, v26, v51, vcc
	v_add_f32_e32 v26, v31, v26
	v_cvt_f16_f32_e32 v27, v26
	v_cvt_f32_f16_e32 v30, v27
	v_mov_b32_e32 v26, v27
.LBB353_59:
	s_or_b64 exec, exec, s[14:15]
	v_cvt_f32_f16_e32 v51, v22
	v_max_f32_e32 v31, v30, v30
	v_cmp_u_f16_e32 vcc, v27, v27
	v_cmp_u_f16_e64 s[58:59], v22, v22
	v_min_f32_e32 v32, v31, v51
	v_max_f32_e32 v31, v31, v51
	v_cndmask_b32_e32 v32, v32, v30, vcc
	v_cndmask_b32_e32 v31, v31, v30, vcc
	v_cndmask_b32_e64 v32, v32, v51, s[58:59]
	v_cndmask_b32_e64 v31, v31, v51, s[58:59]
	v_cmp_neq_f32_e32 vcc, v32, v31
	v_cmp_class_f32_e64 s[14:15], v32, s13
	s_or_b64 s[16:17], vcc, s[14:15]
	s_and_saveexec_b64 s[14:15], s[16:17]
	s_cbranch_execz .LBB353_61
; %bb.60:
	v_sub_f32_e32 v26, v32, v31
	s_mov_b32 s13, 0x3fb8aa3b
	v_mul_f32_e32 v27, 0x3fb8aa3b, v26
	v_fma_f32 v30, v26, s13, -v27
	v_rndne_f32_e32 v32, v27
	v_fmac_f32_e32 v30, 0x32a5705f, v26
	v_sub_f32_e32 v27, v27, v32
	v_add_f32_e32 v27, v27, v30
	v_exp_f32_e32 v27, v27
	v_cvt_i32_f32_e32 v30, v32
	s_mov_b32 s13, 0xc2ce8ed0
	v_cmp_ngt_f32_e32 vcc, s13, v26
	s_mov_b32 s13, 0x42b17218
	v_ldexp_f32 v27, v27, v30
	v_cndmask_b32_e32 v27, 0, v27, vcc
	v_mov_b32_e32 v30, 0x7f800000
	v_cmp_nlt_f32_e32 vcc, s13, v26
	v_cndmask_b32_e32 v68, v30, v27, vcc
	v_add_f32_e32 v30, 1.0, v68
	v_add_f32_e32 v26, -1.0, v30
	v_sub_f32_e32 v27, v26, v30
	v_add_f32_e32 v27, 1.0, v27
	v_sub_f32_e32 v26, v68, v26
	v_add_f32_e32 v32, v26, v27
	v_frexp_mant_f32_e32 v33, v30
	s_mov_b32 s13, 0x3f2aaaab
	v_cvt_f64_f32_e32 v[26:27], v30
	v_frexp_exp_i32_f64_e32 v26, v[26:27]
	v_cmp_gt_f32_e32 vcc, s13, v33
	v_subbrev_co_u32_e32 v54, vcc, 0, v26, vcc
	v_sub_u32_e32 v26, 0, v54
	v_ldexp_f32 v27, v30, v26
	v_add_f32_e32 v30, -1.0, v27
	v_add_f32_e32 v33, 1.0, v27
	v_ldexp_f32 v26, v32, v26
	v_add_f32_e32 v32, 1.0, v30
	v_add_f32_e32 v34, -1.0, v33
	v_sub_f32_e32 v32, v27, v32
	v_sub_f32_e32 v27, v27, v34
	v_add_f32_e32 v32, v26, v32
	v_add_f32_e32 v26, v26, v27
	;; [unrolled: 1-line block ×3, first 2 shown]
	v_rcp_f32_e32 v65, v55
	v_sub_f32_e32 v27, v33, v55
	v_add_f32_e32 v64, v26, v27
	v_add_f32_e32 v27, v30, v32
	v_sub_f32_e32 v26, v30, v27
	v_mul_f32_e32 v66, v27, v65
	v_add_f32_e32 v30, v32, v26
	v_mul_f32_e32 v32, v55, v66
	v_fma_f32 v34, v66, v55, -v32
	v_fmac_f32_e32 v34, v66, v64
	v_add_f32_e32 v26, v32, v34
	v_sub_f32_e32 v33, v27, v26
	v_pk_add_f32 v[52:53], v[26:27], v[32:33] neg_lo:[0,1] neg_hi:[0,1]
	v_mov_b32_e32 v35, v26
	v_pk_add_f32 v[26:27], v[52:53], v[34:35] neg_lo:[0,1] neg_hi:[0,1]
	v_add_f32_e32 v27, v30, v27
	v_add_f32_e32 v26, v26, v27
	v_add_f32_e32 v27, v33, v26
	v_mul_f32_e32 v30, v65, v27
	v_mul_f32_e32 v32, v55, v30
	v_fma_f32 v34, v30, v55, -v32
	v_fmac_f32_e32 v34, v30, v64
	v_sub_f32_e32 v33, v33, v27
	v_add_f32_e32 v55, v26, v33
	v_add_f32_e32 v26, v32, v34
	v_sub_f32_e32 v33, v27, v26
	v_pk_add_f32 v[52:53], v[26:27], v[32:33] neg_lo:[0,1] neg_hi:[0,1]
	v_mov_b32_e32 v35, v26
	v_pk_add_f32 v[26:27], v[52:53], v[34:35] neg_lo:[0,1] neg_hi:[0,1]
	v_add_f32_e32 v27, v55, v27
	v_add_f32_e32 v26, v26, v27
	;; [unrolled: 1-line block ×4, first 2 shown]
	v_sub_f32_e32 v27, v33, v66
	v_mul_f32_e32 v26, v65, v26
	v_sub_f32_e32 v27, v30, v27
	v_add_f32_e32 v26, v27, v26
	v_add_f32_e32 v30, v33, v26
	v_mul_f32_e32 v34, v30, v30
	v_mov_b32_e32 v32, 0x3ecc95a3
	v_fmac_f32_e32 v32, 0x3e9b6dac, v34
	v_mov_b32_e32 v27, 0x3f2aaada
	v_fmac_f32_e32 v27, v34, v32
	v_cvt_f32_i32_e32 v32, v54
	v_sub_f32_e32 v33, v30, v33
	v_sub_f32_e32 v26, v26, v33
	v_ldexp_f32 v52, v26, 1
	v_mul_f32_e32 v33, v30, v34
	v_mov_b32_e32 v26, 0x3f317218
	s_mov_b32 s13, 0x3f317218
	v_pk_mul_f32 v[26:27], v[32:33], v[26:27]
	v_fma_f32 v34, v32, s13, -v26
	v_ldexp_f32 v35, v30, 1
	v_fmac_f32_e32 v34, 0xb102e308, v32
	v_pk_add_f32 v[32:33], v[26:27], v[34:35]
	v_sub_f32_e32 v30, v33, v35
	v_sub_f32_e32 v30, v27, v30
	v_add_f32_e32 v53, v52, v30
	v_mov_b32_e32 v52, v26
	v_pk_add_f32 v[26:27], v[32:33], v[26:27] neg_lo:[0,1] neg_hi:[0,1]
	v_pk_add_f32 v[54:55], v[32:33], v[52:53]
	v_mov_b32_e32 v27, v55
	v_mov_b32_e32 v35, v32
	v_pk_add_f32 v[64:65], v[34:35], v[26:27] neg_lo:[0,1] neg_hi:[0,1]
	v_pk_add_f32 v[26:27], v[34:35], v[26:27]
	v_mov_b32_e32 v30, v27
	v_pk_add_f32 v[34:35], v[30:31], v[32:33] neg_lo:[0,1] neg_hi:[0,1]
	v_mov_b32_e32 v35, v34
	v_pk_add_f32 v[66:67], v[54:55], v[34:35] neg_lo:[0,1] neg_hi:[0,1]
	v_mov_b32_e32 v26, v55
	v_mov_b32_e32 v54, v33
	;; [unrolled: 1-line block ×4, first 2 shown]
	v_pk_add_f32 v[26:27], v[26:27], v[54:55] neg_lo:[0,1] neg_hi:[0,1]
	v_mov_b32_e32 v34, v53
	v_mov_b32_e32 v35, v32
	v_pk_add_f32 v[26:27], v[34:35], v[26:27] neg_lo:[0,1] neg_hi:[0,1]
	v_mov_b32_e32 v66, v64
	v_pk_add_f32 v[32:33], v[66:67], v[26:27]
	v_mov_b32_e32 v34, v33
	v_pk_add_f32 v[34:35], v[32:33], v[34:35]
	v_pk_add_f32 v[52:53], v[30:31], v[34:35]
	v_mov_b32_e32 v33, v52
	v_pk_add_f32 v[54:55], v[32:33], v[64:65] neg_lo:[0,1] neg_hi:[0,1]
	v_mov_b32_e32 v27, v34
	v_sub_f32_e32 v30, v32, v54
	v_pk_add_f32 v[26:27], v[26:27], v[54:55] neg_lo:[0,1] neg_hi:[0,1]
	v_sub_f32_e32 v30, v64, v30
	s_mov_b32 s16, 0x7f800000
	v_add_f32_e32 v26, v26, v30
	s_mov_b32 s13, 0x33800000
	v_add_f32_e32 v26, v26, v27
	v_cmp_eq_f32_e32 vcc, s16, v68
	v_cmp_lt_f32_e64 s[16:17], |v68|, s13
	v_add_f32_e32 v26, v52, v26
	s_or_b64 vcc, vcc, s[16:17]
	v_cndmask_b32_e32 v26, v26, v68, vcc
	v_add_f32_e32 v26, v31, v26
	v_cvt_f16_f32_e32 v27, v26
	v_cvt_f32_f16_e32 v30, v27
	v_mov_b32_e32 v26, v27
.LBB353_61:
	s_or_b64 exec, exec, s[14:15]
	v_cvt_f32_f16_sdwa v52, v22 dst_sel:DWORD dst_unused:UNUSED_PAD src0_sel:WORD_1
	v_max_f32_e32 v31, v30, v30
	v_cmp_u_f16_e32 vcc, v27, v27
	v_cmp_u_f16_sdwa s[14:15], v22, v22 src0_sel:WORD_1 src1_sel:WORD_1
	v_min_f32_e32 v32, v31, v52
	v_max_f32_e32 v31, v31, v52
	v_cndmask_b32_e32 v32, v32, v30, vcc
	v_cndmask_b32_e32 v31, v31, v30, vcc
	v_cndmask_b32_e64 v32, v32, v52, s[14:15]
	v_cndmask_b32_e64 v31, v31, v52, s[14:15]
	s_movk_i32 s13, 0x1f8
	v_cmp_neq_f32_e32 vcc, v32, v31
	v_cmp_class_f32_e64 s[16:17], v32, s13
	s_or_b64 s[18:19], vcc, s[16:17]
	s_and_saveexec_b64 s[16:17], s[18:19]
	s_cbranch_execz .LBB353_63
; %bb.62:
	v_sub_f32_e32 v26, v32, v31
	s_mov_b32 s18, 0x3fb8aa3b
	v_mul_f32_e32 v27, 0x3fb8aa3b, v26
	v_fma_f32 v30, v26, s18, -v27
	v_rndne_f32_e32 v32, v27
	v_fmac_f32_e32 v30, 0x32a5705f, v26
	v_sub_f32_e32 v27, v27, v32
	v_add_f32_e32 v27, v27, v30
	v_exp_f32_e32 v27, v27
	v_cvt_i32_f32_e32 v30, v32
	s_mov_b32 s18, 0xc2ce8ed0
	v_cmp_ngt_f32_e32 vcc, s18, v26
	s_mov_b32 s18, 0x42b17218
	v_ldexp_f32 v27, v27, v30
	v_cndmask_b32_e32 v27, 0, v27, vcc
	v_mov_b32_e32 v30, 0x7f800000
	v_cmp_nlt_f32_e32 vcc, s18, v26
	v_cndmask_b32_e32 v53, v30, v27, vcc
	v_add_f32_e32 v30, 1.0, v53
	v_add_f32_e32 v26, -1.0, v30
	v_sub_f32_e32 v27, v26, v30
	v_add_f32_e32 v27, 1.0, v27
	v_sub_f32_e32 v26, v53, v26
	v_add_f32_e32 v32, v26, v27
	v_frexp_mant_f32_e32 v33, v30
	s_mov_b32 s18, 0x3f2aaaab
	v_cvt_f64_f32_e32 v[26:27], v30
	v_frexp_exp_i32_f64_e32 v26, v[26:27]
	v_cmp_gt_f32_e32 vcc, s18, v33
	v_subbrev_co_u32_e32 v64, vcc, 0, v26, vcc
	v_sub_u32_e32 v26, 0, v64
	v_ldexp_f32 v27, v30, v26
	v_add_f32_e32 v30, -1.0, v27
	v_add_f32_e32 v33, 1.0, v27
	v_ldexp_f32 v26, v32, v26
	v_add_f32_e32 v32, 1.0, v30
	v_add_f32_e32 v34, -1.0, v33
	v_sub_f32_e32 v32, v27, v32
	v_sub_f32_e32 v27, v27, v34
	v_add_f32_e32 v32, v26, v32
	v_add_f32_e32 v26, v26, v27
	;; [unrolled: 1-line block ×3, first 2 shown]
	v_rcp_f32_e32 v67, v65
	v_sub_f32_e32 v27, v33, v65
	v_add_f32_e32 v66, v26, v27
	v_add_f32_e32 v27, v30, v32
	v_sub_f32_e32 v26, v30, v27
	v_mul_f32_e32 v68, v27, v67
	v_add_f32_e32 v30, v32, v26
	v_mul_f32_e32 v32, v65, v68
	v_fma_f32 v34, v68, v65, -v32
	v_fmac_f32_e32 v34, v68, v66
	v_add_f32_e32 v26, v32, v34
	v_sub_f32_e32 v33, v27, v26
	v_pk_add_f32 v[54:55], v[26:27], v[32:33] neg_lo:[0,1] neg_hi:[0,1]
	v_mov_b32_e32 v35, v26
	v_pk_add_f32 v[26:27], v[54:55], v[34:35] neg_lo:[0,1] neg_hi:[0,1]
	v_add_f32_e32 v27, v30, v27
	v_add_f32_e32 v26, v26, v27
	;; [unrolled: 1-line block ×3, first 2 shown]
	v_mul_f32_e32 v30, v67, v27
	v_mul_f32_e32 v32, v65, v30
	v_fma_f32 v34, v30, v65, -v32
	v_fmac_f32_e32 v34, v30, v66
	v_sub_f32_e32 v33, v33, v27
	v_add_f32_e32 v65, v26, v33
	v_add_f32_e32 v26, v32, v34
	v_sub_f32_e32 v33, v27, v26
	v_pk_add_f32 v[54:55], v[26:27], v[32:33] neg_lo:[0,1] neg_hi:[0,1]
	v_mov_b32_e32 v35, v26
	v_pk_add_f32 v[26:27], v[54:55], v[34:35] neg_lo:[0,1] neg_hi:[0,1]
	v_add_f32_e32 v27, v65, v27
	v_add_f32_e32 v26, v26, v27
	;; [unrolled: 1-line block ×4, first 2 shown]
	v_sub_f32_e32 v27, v33, v68
	v_mul_f32_e32 v26, v67, v26
	v_sub_f32_e32 v27, v30, v27
	v_add_f32_e32 v26, v27, v26
	v_add_f32_e32 v30, v33, v26
	v_mul_f32_e32 v34, v30, v30
	v_mov_b32_e32 v32, 0x3ecc95a3
	v_fmac_f32_e32 v32, 0x3e9b6dac, v34
	v_mov_b32_e32 v27, 0x3f2aaada
	v_fmac_f32_e32 v27, v34, v32
	v_cvt_f32_i32_e32 v32, v64
	v_sub_f32_e32 v33, v30, v33
	v_sub_f32_e32 v26, v26, v33
	v_ldexp_f32 v54, v26, 1
	v_mul_f32_e32 v33, v30, v34
	v_mov_b32_e32 v26, 0x3f317218
	s_mov_b32 s18, 0x3f317218
	v_pk_mul_f32 v[26:27], v[32:33], v[26:27]
	v_fma_f32 v34, v32, s18, -v26
	v_ldexp_f32 v35, v30, 1
	v_fmac_f32_e32 v34, 0xb102e308, v32
	v_pk_add_f32 v[32:33], v[26:27], v[34:35]
	v_sub_f32_e32 v30, v33, v35
	v_sub_f32_e32 v30, v27, v30
	v_add_f32_e32 v55, v54, v30
	v_mov_b32_e32 v54, v26
	v_pk_add_f32 v[26:27], v[32:33], v[26:27] neg_lo:[0,1] neg_hi:[0,1]
	v_pk_add_f32 v[64:65], v[32:33], v[54:55]
	v_mov_b32_e32 v27, v65
	v_mov_b32_e32 v35, v32
	v_pk_add_f32 v[66:67], v[34:35], v[26:27] neg_lo:[0,1] neg_hi:[0,1]
	v_pk_add_f32 v[26:27], v[34:35], v[26:27]
	v_mov_b32_e32 v30, v27
	v_pk_add_f32 v[34:35], v[30:31], v[32:33] neg_lo:[0,1] neg_hi:[0,1]
	v_mov_b32_e32 v35, v34
	v_pk_add_f32 v[68:69], v[64:65], v[34:35] neg_lo:[0,1] neg_hi:[0,1]
	v_mov_b32_e32 v26, v65
	v_mov_b32_e32 v64, v33
	v_mov_b32_e32 v65, v34
	v_mov_b32_e32 v67, v27
	v_pk_add_f32 v[26:27], v[26:27], v[64:65] neg_lo:[0,1] neg_hi:[0,1]
	v_mov_b32_e32 v34, v55
	v_mov_b32_e32 v35, v32
	v_pk_add_f32 v[26:27], v[34:35], v[26:27] neg_lo:[0,1] neg_hi:[0,1]
	v_mov_b32_e32 v68, v66
	v_pk_add_f32 v[32:33], v[68:69], v[26:27]
	v_mov_b32_e32 v34, v33
	v_pk_add_f32 v[34:35], v[32:33], v[34:35]
	v_pk_add_f32 v[54:55], v[30:31], v[34:35]
	v_mov_b32_e32 v33, v54
	v_pk_add_f32 v[64:65], v[32:33], v[66:67] neg_lo:[0,1] neg_hi:[0,1]
	v_mov_b32_e32 v27, v34
	v_sub_f32_e32 v30, v32, v64
	v_pk_add_f32 v[26:27], v[26:27], v[64:65] neg_lo:[0,1] neg_hi:[0,1]
	v_sub_f32_e32 v30, v66, v30
	s_mov_b32 s19, 0x7f800000
	v_add_f32_e32 v26, v26, v30
	s_mov_b32 s18, 0x33800000
	v_add_f32_e32 v26, v26, v27
	v_cmp_eq_f32_e32 vcc, s19, v53
	v_cmp_lt_f32_e64 s[18:19], |v53|, s18
	v_add_f32_e32 v26, v54, v26
	s_or_b64 vcc, vcc, s[18:19]
	v_cndmask_b32_e32 v26, v26, v53, vcc
	v_add_f32_e32 v26, v31, v26
	v_cvt_f16_f32_e32 v27, v26
	v_cvt_f32_f16_e32 v30, v27
	v_mov_b32_e32 v26, v27
.LBB353_63:
	s_or_b64 exec, exec, s[16:17]
	v_cvt_f32_f16_e32 v53, v23
	v_max_f32_e32 v31, v30, v30
	v_cmp_u_f16_e32 vcc, v27, v27
	v_cmp_u_f16_e64 s[16:17], v23, v23
	v_min_f32_e32 v32, v31, v53
	v_max_f32_e32 v31, v31, v53
	v_cndmask_b32_e32 v32, v32, v30, vcc
	v_cndmask_b32_e32 v31, v31, v30, vcc
	v_cndmask_b32_e64 v32, v32, v53, s[16:17]
	v_cndmask_b32_e64 v31, v31, v53, s[16:17]
	v_cmp_neq_f32_e32 vcc, v32, v31
	v_cmp_class_f32_e64 s[18:19], v32, s13
	s_or_b64 s[20:21], vcc, s[18:19]
	s_and_saveexec_b64 s[18:19], s[20:21]
	s_cbranch_execz .LBB353_65
; %bb.64:
	v_sub_f32_e32 v26, v32, v31
	s_mov_b32 s13, 0x3fb8aa3b
	v_mul_f32_e32 v27, 0x3fb8aa3b, v26
	v_fma_f32 v30, v26, s13, -v27
	v_rndne_f32_e32 v32, v27
	v_fmac_f32_e32 v30, 0x32a5705f, v26
	v_sub_f32_e32 v27, v27, v32
	v_add_f32_e32 v27, v27, v30
	v_exp_f32_e32 v27, v27
	v_cvt_i32_f32_e32 v30, v32
	s_mov_b32 s13, 0xc2ce8ed0
	v_cmp_ngt_f32_e32 vcc, s13, v26
	s_mov_b32 s13, 0x42b17218
	v_ldexp_f32 v27, v27, v30
	v_cndmask_b32_e32 v27, 0, v27, vcc
	v_mov_b32_e32 v30, 0x7f800000
	v_cmp_nlt_f32_e32 vcc, s13, v26
	v_cndmask_b32_e32 v70, v30, v27, vcc
	v_add_f32_e32 v30, 1.0, v70
	v_add_f32_e32 v26, -1.0, v30
	v_sub_f32_e32 v27, v26, v30
	v_add_f32_e32 v27, 1.0, v27
	v_sub_f32_e32 v26, v70, v26
	v_add_f32_e32 v32, v26, v27
	v_frexp_mant_f32_e32 v33, v30
	s_mov_b32 s13, 0x3f2aaaab
	v_cvt_f64_f32_e32 v[26:27], v30
	v_frexp_exp_i32_f64_e32 v26, v[26:27]
	v_cmp_gt_f32_e32 vcc, s13, v33
	v_subbrev_co_u32_e32 v64, vcc, 0, v26, vcc
	v_sub_u32_e32 v26, 0, v64
	v_ldexp_f32 v27, v30, v26
	v_add_f32_e32 v30, -1.0, v27
	v_add_f32_e32 v33, 1.0, v27
	v_ldexp_f32 v26, v32, v26
	v_add_f32_e32 v32, 1.0, v30
	v_add_f32_e32 v34, -1.0, v33
	v_sub_f32_e32 v32, v27, v32
	v_sub_f32_e32 v27, v27, v34
	v_add_f32_e32 v32, v26, v32
	v_add_f32_e32 v26, v26, v27
	;; [unrolled: 1-line block ×3, first 2 shown]
	v_rcp_f32_e32 v67, v65
	v_sub_f32_e32 v27, v33, v65
	v_add_f32_e32 v66, v26, v27
	v_add_f32_e32 v27, v30, v32
	v_sub_f32_e32 v26, v30, v27
	v_mul_f32_e32 v68, v27, v67
	v_add_f32_e32 v30, v32, v26
	v_mul_f32_e32 v32, v65, v68
	v_fma_f32 v34, v68, v65, -v32
	v_fmac_f32_e32 v34, v68, v66
	v_add_f32_e32 v26, v32, v34
	v_sub_f32_e32 v33, v27, v26
	v_pk_add_f32 v[54:55], v[26:27], v[32:33] neg_lo:[0,1] neg_hi:[0,1]
	v_mov_b32_e32 v35, v26
	v_pk_add_f32 v[26:27], v[54:55], v[34:35] neg_lo:[0,1] neg_hi:[0,1]
	v_add_f32_e32 v27, v30, v27
	v_add_f32_e32 v26, v26, v27
	;; [unrolled: 1-line block ×3, first 2 shown]
	v_mul_f32_e32 v30, v67, v27
	v_mul_f32_e32 v32, v65, v30
	v_fma_f32 v34, v30, v65, -v32
	v_fmac_f32_e32 v34, v30, v66
	v_sub_f32_e32 v33, v33, v27
	v_add_f32_e32 v65, v26, v33
	v_add_f32_e32 v26, v32, v34
	v_sub_f32_e32 v33, v27, v26
	v_pk_add_f32 v[54:55], v[26:27], v[32:33] neg_lo:[0,1] neg_hi:[0,1]
	v_mov_b32_e32 v35, v26
	v_pk_add_f32 v[26:27], v[54:55], v[34:35] neg_lo:[0,1] neg_hi:[0,1]
	v_add_f32_e32 v27, v65, v27
	v_add_f32_e32 v26, v26, v27
	v_add_f32_e32 v26, v33, v26
	v_add_f32_e32 v33, v68, v30
	v_sub_f32_e32 v27, v33, v68
	v_mul_f32_e32 v26, v67, v26
	v_sub_f32_e32 v27, v30, v27
	v_add_f32_e32 v26, v27, v26
	v_add_f32_e32 v30, v33, v26
	v_mul_f32_e32 v34, v30, v30
	v_mov_b32_e32 v32, 0x3ecc95a3
	v_fmac_f32_e32 v32, 0x3e9b6dac, v34
	v_mov_b32_e32 v27, 0x3f2aaada
	v_fmac_f32_e32 v27, v34, v32
	v_cvt_f32_i32_e32 v32, v64
	v_sub_f32_e32 v33, v30, v33
	v_sub_f32_e32 v26, v26, v33
	v_ldexp_f32 v54, v26, 1
	v_mul_f32_e32 v33, v30, v34
	v_mov_b32_e32 v26, 0x3f317218
	s_mov_b32 s13, 0x3f317218
	v_pk_mul_f32 v[26:27], v[32:33], v[26:27]
	v_fma_f32 v34, v32, s13, -v26
	v_ldexp_f32 v35, v30, 1
	v_fmac_f32_e32 v34, 0xb102e308, v32
	v_pk_add_f32 v[32:33], v[26:27], v[34:35]
	v_sub_f32_e32 v30, v33, v35
	v_sub_f32_e32 v30, v27, v30
	v_add_f32_e32 v55, v54, v30
	v_mov_b32_e32 v54, v26
	v_pk_add_f32 v[26:27], v[32:33], v[26:27] neg_lo:[0,1] neg_hi:[0,1]
	v_pk_add_f32 v[64:65], v[32:33], v[54:55]
	v_mov_b32_e32 v27, v65
	v_mov_b32_e32 v35, v32
	v_pk_add_f32 v[66:67], v[34:35], v[26:27] neg_lo:[0,1] neg_hi:[0,1]
	v_pk_add_f32 v[26:27], v[34:35], v[26:27]
	v_mov_b32_e32 v30, v27
	v_pk_add_f32 v[34:35], v[30:31], v[32:33] neg_lo:[0,1] neg_hi:[0,1]
	v_mov_b32_e32 v35, v34
	v_pk_add_f32 v[68:69], v[64:65], v[34:35] neg_lo:[0,1] neg_hi:[0,1]
	v_mov_b32_e32 v26, v65
	v_mov_b32_e32 v64, v33
	;; [unrolled: 1-line block ×4, first 2 shown]
	v_pk_add_f32 v[26:27], v[26:27], v[64:65] neg_lo:[0,1] neg_hi:[0,1]
	v_mov_b32_e32 v34, v55
	v_mov_b32_e32 v35, v32
	v_pk_add_f32 v[26:27], v[34:35], v[26:27] neg_lo:[0,1] neg_hi:[0,1]
	v_mov_b32_e32 v68, v66
	v_pk_add_f32 v[32:33], v[68:69], v[26:27]
	v_mov_b32_e32 v34, v33
	v_pk_add_f32 v[34:35], v[32:33], v[34:35]
	v_pk_add_f32 v[54:55], v[30:31], v[34:35]
	v_mov_b32_e32 v33, v54
	v_pk_add_f32 v[64:65], v[32:33], v[66:67] neg_lo:[0,1] neg_hi:[0,1]
	v_mov_b32_e32 v27, v34
	v_sub_f32_e32 v30, v32, v64
	v_pk_add_f32 v[26:27], v[26:27], v[64:65] neg_lo:[0,1] neg_hi:[0,1]
	v_sub_f32_e32 v30, v66, v30
	s_mov_b32 s20, 0x7f800000
	v_add_f32_e32 v26, v26, v30
	s_mov_b32 s13, 0x33800000
	v_add_f32_e32 v26, v26, v27
	v_cmp_eq_f32_e32 vcc, s20, v70
	v_cmp_lt_f32_e64 s[20:21], |v70|, s13
	v_add_f32_e32 v26, v54, v26
	s_or_b64 vcc, vcc, s[20:21]
	v_cndmask_b32_e32 v26, v26, v70, vcc
	v_add_f32_e32 v26, v31, v26
	v_cvt_f16_f32_e32 v27, v26
	v_cvt_f32_f16_e32 v30, v27
	v_mov_b32_e32 v26, v27
.LBB353_65:
	s_or_b64 exec, exec, s[18:19]
	v_cvt_f32_f16_sdwa v54, v23 dst_sel:DWORD dst_unused:UNUSED_PAD src0_sel:WORD_1
	v_max_f32_e32 v31, v30, v30
	v_cmp_u_f16_e32 vcc, v27, v27
	v_cmp_u_f16_sdwa s[18:19], v23, v23 src0_sel:WORD_1 src1_sel:WORD_1
	v_min_f32_e32 v32, v31, v54
	v_max_f32_e32 v31, v31, v54
	v_cndmask_b32_e32 v32, v32, v30, vcc
	v_cndmask_b32_e32 v31, v31, v30, vcc
	v_cndmask_b32_e64 v32, v32, v54, s[18:19]
	v_cndmask_b32_e64 v31, v31, v54, s[18:19]
	s_movk_i32 s13, 0x1f8
	v_cmp_neq_f32_e32 vcc, v32, v31
	v_cmp_class_f32_e64 s[20:21], v32, s13
	s_or_b64 s[22:23], vcc, s[20:21]
	s_and_saveexec_b64 s[20:21], s[22:23]
	s_cbranch_execz .LBB353_67
; %bb.66:
	v_sub_f32_e32 v26, v32, v31
	s_mov_b32 s22, 0x3fb8aa3b
	v_mul_f32_e32 v27, 0x3fb8aa3b, v26
	v_fma_f32 v30, v26, s22, -v27
	v_rndne_f32_e32 v32, v27
	v_fmac_f32_e32 v30, 0x32a5705f, v26
	v_sub_f32_e32 v27, v27, v32
	v_add_f32_e32 v27, v27, v30
	v_exp_f32_e32 v27, v27
	v_cvt_i32_f32_e32 v30, v32
	s_mov_b32 s22, 0xc2ce8ed0
	v_cmp_ngt_f32_e32 vcc, s22, v26
	s_mov_b32 s22, 0x42b17218
	v_ldexp_f32 v27, v27, v30
	v_cndmask_b32_e32 v27, 0, v27, vcc
	v_mov_b32_e32 v30, 0x7f800000
	v_cmp_nlt_f32_e32 vcc, s22, v26
	v_cndmask_b32_e32 v55, v30, v27, vcc
	v_add_f32_e32 v30, 1.0, v55
	v_add_f32_e32 v26, -1.0, v30
	v_sub_f32_e32 v27, v26, v30
	v_add_f32_e32 v27, 1.0, v27
	v_sub_f32_e32 v26, v55, v26
	v_add_f32_e32 v32, v26, v27
	v_frexp_mant_f32_e32 v33, v30
	s_mov_b32 s22, 0x3f2aaaab
	v_cvt_f64_f32_e32 v[26:27], v30
	v_frexp_exp_i32_f64_e32 v26, v[26:27]
	v_cmp_gt_f32_e32 vcc, s22, v33
	v_subbrev_co_u32_e32 v66, vcc, 0, v26, vcc
	v_sub_u32_e32 v26, 0, v66
	v_ldexp_f32 v27, v30, v26
	v_add_f32_e32 v30, -1.0, v27
	v_add_f32_e32 v33, 1.0, v27
	v_ldexp_f32 v26, v32, v26
	v_add_f32_e32 v32, 1.0, v30
	v_add_f32_e32 v34, -1.0, v33
	v_sub_f32_e32 v32, v27, v32
	v_sub_f32_e32 v27, v27, v34
	v_add_f32_e32 v32, v26, v32
	v_add_f32_e32 v26, v26, v27
	;; [unrolled: 1-line block ×3, first 2 shown]
	v_rcp_f32_e32 v69, v67
	v_sub_f32_e32 v27, v33, v67
	v_add_f32_e32 v68, v26, v27
	v_add_f32_e32 v27, v30, v32
	v_sub_f32_e32 v26, v30, v27
	v_mul_f32_e32 v70, v27, v69
	v_add_f32_e32 v30, v32, v26
	v_mul_f32_e32 v32, v67, v70
	v_fma_f32 v34, v70, v67, -v32
	v_fmac_f32_e32 v34, v70, v68
	v_add_f32_e32 v26, v32, v34
	v_sub_f32_e32 v33, v27, v26
	v_pk_add_f32 v[64:65], v[26:27], v[32:33] neg_lo:[0,1] neg_hi:[0,1]
	v_mov_b32_e32 v35, v26
	v_pk_add_f32 v[26:27], v[64:65], v[34:35] neg_lo:[0,1] neg_hi:[0,1]
	v_add_f32_e32 v27, v30, v27
	v_add_f32_e32 v26, v26, v27
	;; [unrolled: 1-line block ×3, first 2 shown]
	v_mul_f32_e32 v30, v69, v27
	v_mul_f32_e32 v32, v67, v30
	v_fma_f32 v34, v30, v67, -v32
	v_fmac_f32_e32 v34, v30, v68
	v_sub_f32_e32 v33, v33, v27
	v_add_f32_e32 v67, v26, v33
	v_add_f32_e32 v26, v32, v34
	v_sub_f32_e32 v33, v27, v26
	v_pk_add_f32 v[64:65], v[26:27], v[32:33] neg_lo:[0,1] neg_hi:[0,1]
	v_mov_b32_e32 v35, v26
	v_pk_add_f32 v[26:27], v[64:65], v[34:35] neg_lo:[0,1] neg_hi:[0,1]
	v_add_f32_e32 v27, v67, v27
	v_add_f32_e32 v26, v26, v27
	;; [unrolled: 1-line block ×4, first 2 shown]
	v_sub_f32_e32 v27, v33, v70
	v_mul_f32_e32 v26, v69, v26
	v_sub_f32_e32 v27, v30, v27
	v_add_f32_e32 v26, v27, v26
	v_add_f32_e32 v30, v33, v26
	v_mul_f32_e32 v34, v30, v30
	v_mov_b32_e32 v32, 0x3ecc95a3
	v_fmac_f32_e32 v32, 0x3e9b6dac, v34
	v_mov_b32_e32 v27, 0x3f2aaada
	v_fmac_f32_e32 v27, v34, v32
	v_cvt_f32_i32_e32 v32, v66
	v_sub_f32_e32 v33, v30, v33
	v_sub_f32_e32 v26, v26, v33
	v_ldexp_f32 v64, v26, 1
	v_mul_f32_e32 v33, v30, v34
	v_mov_b32_e32 v26, 0x3f317218
	s_mov_b32 s22, 0x3f317218
	v_pk_mul_f32 v[26:27], v[32:33], v[26:27]
	v_fma_f32 v34, v32, s22, -v26
	v_ldexp_f32 v35, v30, 1
	v_fmac_f32_e32 v34, 0xb102e308, v32
	v_pk_add_f32 v[32:33], v[26:27], v[34:35]
	v_sub_f32_e32 v30, v33, v35
	v_sub_f32_e32 v30, v27, v30
	v_add_f32_e32 v65, v64, v30
	v_mov_b32_e32 v64, v26
	v_pk_add_f32 v[26:27], v[32:33], v[26:27] neg_lo:[0,1] neg_hi:[0,1]
	v_pk_add_f32 v[66:67], v[32:33], v[64:65]
	v_mov_b32_e32 v27, v67
	v_mov_b32_e32 v35, v32
	v_pk_add_f32 v[68:69], v[34:35], v[26:27] neg_lo:[0,1] neg_hi:[0,1]
	v_pk_add_f32 v[26:27], v[34:35], v[26:27]
	v_mov_b32_e32 v30, v27
	v_pk_add_f32 v[34:35], v[30:31], v[32:33] neg_lo:[0,1] neg_hi:[0,1]
	v_mov_b32_e32 v35, v34
	v_pk_add_f32 v[70:71], v[66:67], v[34:35] neg_lo:[0,1] neg_hi:[0,1]
	v_mov_b32_e32 v26, v67
	v_mov_b32_e32 v66, v33
	;; [unrolled: 1-line block ×4, first 2 shown]
	v_pk_add_f32 v[26:27], v[26:27], v[66:67] neg_lo:[0,1] neg_hi:[0,1]
	v_mov_b32_e32 v34, v65
	v_mov_b32_e32 v35, v32
	v_pk_add_f32 v[26:27], v[34:35], v[26:27] neg_lo:[0,1] neg_hi:[0,1]
	v_mov_b32_e32 v70, v68
	v_pk_add_f32 v[32:33], v[70:71], v[26:27]
	v_mov_b32_e32 v34, v33
	v_pk_add_f32 v[34:35], v[32:33], v[34:35]
	v_pk_add_f32 v[64:65], v[30:31], v[34:35]
	v_mov_b32_e32 v33, v64
	v_pk_add_f32 v[66:67], v[32:33], v[68:69] neg_lo:[0,1] neg_hi:[0,1]
	v_mov_b32_e32 v27, v34
	v_sub_f32_e32 v30, v32, v66
	v_pk_add_f32 v[26:27], v[26:27], v[66:67] neg_lo:[0,1] neg_hi:[0,1]
	v_sub_f32_e32 v30, v68, v30
	s_mov_b32 s23, 0x7f800000
	v_add_f32_e32 v26, v26, v30
	s_mov_b32 s22, 0x33800000
	v_add_f32_e32 v26, v26, v27
	v_cmp_eq_f32_e32 vcc, s23, v55
	v_cmp_lt_f32_e64 s[22:23], |v55|, s22
	v_add_f32_e32 v26, v64, v26
	s_or_b64 vcc, vcc, s[22:23]
	v_cndmask_b32_e32 v26, v26, v55, vcc
	v_add_f32_e32 v26, v31, v26
	v_cvt_f16_f32_e32 v27, v26
	v_cvt_f32_f16_e32 v30, v27
	v_mov_b32_e32 v26, v27
.LBB353_67:
	s_or_b64 exec, exec, s[20:21]
	v_cvt_f32_f16_e32 v55, v16
	v_max_f32_e32 v31, v30, v30
	v_cmp_u_f16_e32 vcc, v27, v27
	v_cmp_u_f16_e64 s[20:21], v16, v16
	v_min_f32_e32 v32, v31, v55
	v_max_f32_e32 v31, v31, v55
	v_cndmask_b32_e32 v32, v32, v30, vcc
	v_cndmask_b32_e32 v31, v31, v30, vcc
	v_cndmask_b32_e64 v32, v32, v55, s[20:21]
	v_cndmask_b32_e64 v31, v31, v55, s[20:21]
	v_cmp_neq_f32_e32 vcc, v32, v31
	v_cmp_class_f32_e64 s[22:23], v32, s13
	s_or_b64 s[24:25], vcc, s[22:23]
	s_and_saveexec_b64 s[22:23], s[24:25]
	s_cbranch_execz .LBB353_69
; %bb.68:
	v_sub_f32_e32 v26, v32, v31
	s_mov_b32 s13, 0x3fb8aa3b
	v_mul_f32_e32 v27, 0x3fb8aa3b, v26
	v_fma_f32 v30, v26, s13, -v27
	v_rndne_f32_e32 v32, v27
	v_fmac_f32_e32 v30, 0x32a5705f, v26
	v_sub_f32_e32 v27, v27, v32
	v_add_f32_e32 v27, v27, v30
	v_exp_f32_e32 v27, v27
	v_cvt_i32_f32_e32 v30, v32
	s_mov_b32 s13, 0xc2ce8ed0
	v_cmp_ngt_f32_e32 vcc, s13, v26
	s_mov_b32 s13, 0x42b17218
	v_ldexp_f32 v27, v27, v30
	v_cndmask_b32_e32 v27, 0, v27, vcc
	v_mov_b32_e32 v30, 0x7f800000
	v_cmp_nlt_f32_e32 vcc, s13, v26
	v_cndmask_b32_e32 v80, v30, v27, vcc
	v_add_f32_e32 v30, 1.0, v80
	v_add_f32_e32 v26, -1.0, v30
	v_sub_f32_e32 v27, v26, v30
	v_add_f32_e32 v27, 1.0, v27
	v_sub_f32_e32 v26, v80, v26
	v_add_f32_e32 v32, v26, v27
	v_frexp_mant_f32_e32 v33, v30
	s_mov_b32 s13, 0x3f2aaaab
	v_cvt_f64_f32_e32 v[26:27], v30
	v_frexp_exp_i32_f64_e32 v26, v[26:27]
	v_cmp_gt_f32_e32 vcc, s13, v33
	v_subbrev_co_u32_e32 v66, vcc, 0, v26, vcc
	v_sub_u32_e32 v26, 0, v66
	v_ldexp_f32 v27, v30, v26
	v_add_f32_e32 v30, -1.0, v27
	v_add_f32_e32 v33, 1.0, v27
	v_ldexp_f32 v26, v32, v26
	v_add_f32_e32 v32, 1.0, v30
	v_add_f32_e32 v34, -1.0, v33
	v_sub_f32_e32 v32, v27, v32
	v_sub_f32_e32 v27, v27, v34
	v_add_f32_e32 v32, v26, v32
	v_add_f32_e32 v26, v26, v27
	;; [unrolled: 1-line block ×3, first 2 shown]
	v_rcp_f32_e32 v69, v67
	v_sub_f32_e32 v27, v33, v67
	v_add_f32_e32 v68, v26, v27
	v_add_f32_e32 v27, v30, v32
	v_sub_f32_e32 v26, v30, v27
	v_mul_f32_e32 v70, v27, v69
	v_add_f32_e32 v30, v32, v26
	v_mul_f32_e32 v32, v67, v70
	v_fma_f32 v34, v70, v67, -v32
	v_fmac_f32_e32 v34, v70, v68
	v_add_f32_e32 v26, v32, v34
	v_sub_f32_e32 v33, v27, v26
	v_pk_add_f32 v[64:65], v[26:27], v[32:33] neg_lo:[0,1] neg_hi:[0,1]
	v_mov_b32_e32 v35, v26
	v_pk_add_f32 v[26:27], v[64:65], v[34:35] neg_lo:[0,1] neg_hi:[0,1]
	v_add_f32_e32 v27, v30, v27
	v_add_f32_e32 v26, v26, v27
	;; [unrolled: 1-line block ×3, first 2 shown]
	v_mul_f32_e32 v30, v69, v27
	v_mul_f32_e32 v32, v67, v30
	v_fma_f32 v34, v30, v67, -v32
	v_fmac_f32_e32 v34, v30, v68
	v_sub_f32_e32 v33, v33, v27
	v_add_f32_e32 v67, v26, v33
	v_add_f32_e32 v26, v32, v34
	v_sub_f32_e32 v33, v27, v26
	v_pk_add_f32 v[64:65], v[26:27], v[32:33] neg_lo:[0,1] neg_hi:[0,1]
	v_mov_b32_e32 v35, v26
	v_pk_add_f32 v[26:27], v[64:65], v[34:35] neg_lo:[0,1] neg_hi:[0,1]
	v_add_f32_e32 v27, v67, v27
	v_add_f32_e32 v26, v26, v27
	;; [unrolled: 1-line block ×4, first 2 shown]
	v_sub_f32_e32 v27, v33, v70
	v_mul_f32_e32 v26, v69, v26
	v_sub_f32_e32 v27, v30, v27
	v_add_f32_e32 v26, v27, v26
	v_add_f32_e32 v30, v33, v26
	v_mul_f32_e32 v34, v30, v30
	v_mov_b32_e32 v32, 0x3ecc95a3
	v_fmac_f32_e32 v32, 0x3e9b6dac, v34
	v_mov_b32_e32 v27, 0x3f2aaada
	v_fmac_f32_e32 v27, v34, v32
	v_cvt_f32_i32_e32 v32, v66
	v_sub_f32_e32 v33, v30, v33
	v_sub_f32_e32 v26, v26, v33
	v_ldexp_f32 v64, v26, 1
	v_mul_f32_e32 v33, v30, v34
	v_mov_b32_e32 v26, 0x3f317218
	s_mov_b32 s13, 0x3f317218
	v_pk_mul_f32 v[26:27], v[32:33], v[26:27]
	v_fma_f32 v34, v32, s13, -v26
	v_ldexp_f32 v35, v30, 1
	v_fmac_f32_e32 v34, 0xb102e308, v32
	v_pk_add_f32 v[32:33], v[26:27], v[34:35]
	v_sub_f32_e32 v30, v33, v35
	v_sub_f32_e32 v30, v27, v30
	v_add_f32_e32 v65, v64, v30
	v_mov_b32_e32 v64, v26
	v_pk_add_f32 v[26:27], v[32:33], v[26:27] neg_lo:[0,1] neg_hi:[0,1]
	v_pk_add_f32 v[66:67], v[32:33], v[64:65]
	v_mov_b32_e32 v27, v67
	v_mov_b32_e32 v35, v32
	v_pk_add_f32 v[68:69], v[34:35], v[26:27] neg_lo:[0,1] neg_hi:[0,1]
	v_pk_add_f32 v[26:27], v[34:35], v[26:27]
	v_mov_b32_e32 v30, v27
	v_pk_add_f32 v[34:35], v[30:31], v[32:33] neg_lo:[0,1] neg_hi:[0,1]
	v_mov_b32_e32 v35, v34
	v_pk_add_f32 v[70:71], v[66:67], v[34:35] neg_lo:[0,1] neg_hi:[0,1]
	v_mov_b32_e32 v26, v67
	v_mov_b32_e32 v66, v33
	;; [unrolled: 1-line block ×4, first 2 shown]
	v_pk_add_f32 v[26:27], v[26:27], v[66:67] neg_lo:[0,1] neg_hi:[0,1]
	v_mov_b32_e32 v34, v65
	v_mov_b32_e32 v35, v32
	v_pk_add_f32 v[26:27], v[34:35], v[26:27] neg_lo:[0,1] neg_hi:[0,1]
	v_mov_b32_e32 v70, v68
	v_pk_add_f32 v[32:33], v[70:71], v[26:27]
	v_mov_b32_e32 v34, v33
	v_pk_add_f32 v[34:35], v[32:33], v[34:35]
	v_pk_add_f32 v[64:65], v[30:31], v[34:35]
	v_mov_b32_e32 v33, v64
	v_pk_add_f32 v[66:67], v[32:33], v[68:69] neg_lo:[0,1] neg_hi:[0,1]
	v_mov_b32_e32 v27, v34
	v_sub_f32_e32 v30, v32, v66
	v_pk_add_f32 v[26:27], v[26:27], v[66:67] neg_lo:[0,1] neg_hi:[0,1]
	v_sub_f32_e32 v30, v68, v30
	s_mov_b32 s24, 0x7f800000
	v_add_f32_e32 v26, v26, v30
	s_mov_b32 s13, 0x33800000
	v_add_f32_e32 v26, v26, v27
	v_cmp_eq_f32_e32 vcc, s24, v80
	v_cmp_lt_f32_e64 s[24:25], |v80|, s13
	v_add_f32_e32 v26, v64, v26
	s_or_b64 vcc, vcc, s[24:25]
	v_cndmask_b32_e32 v26, v26, v80, vcc
	v_add_f32_e32 v26, v31, v26
	v_cvt_f16_f32_e32 v27, v26
	v_cvt_f32_f16_e32 v30, v27
	v_mov_b32_e32 v26, v27
.LBB353_69:
	s_or_b64 exec, exec, s[22:23]
	v_cvt_f32_f16_sdwa v64, v16 dst_sel:DWORD dst_unused:UNUSED_PAD src0_sel:WORD_1
	v_max_f32_e32 v31, v30, v30
	v_cmp_u_f16_e32 vcc, v27, v27
	v_cmp_u_f16_sdwa s[22:23], v16, v16 src0_sel:WORD_1 src1_sel:WORD_1
	v_min_f32_e32 v32, v31, v64
	v_max_f32_e32 v31, v31, v64
	v_cndmask_b32_e32 v32, v32, v30, vcc
	v_cndmask_b32_e32 v31, v31, v30, vcc
	v_cndmask_b32_e64 v32, v32, v64, s[22:23]
	v_cndmask_b32_e64 v31, v31, v64, s[22:23]
	s_movk_i32 s13, 0x1f8
	v_cmp_neq_f32_e32 vcc, v32, v31
	v_cmp_class_f32_e64 s[24:25], v32, s13
	s_or_b64 s[26:27], vcc, s[24:25]
	s_and_saveexec_b64 s[24:25], s[26:27]
	s_cbranch_execz .LBB353_71
; %bb.70:
	v_sub_f32_e32 v26, v32, v31
	s_mov_b32 s26, 0x3fb8aa3b
	v_mul_f32_e32 v27, 0x3fb8aa3b, v26
	v_fma_f32 v30, v26, s26, -v27
	v_rndne_f32_e32 v32, v27
	v_fmac_f32_e32 v30, 0x32a5705f, v26
	v_sub_f32_e32 v27, v27, v32
	v_add_f32_e32 v27, v27, v30
	v_exp_f32_e32 v27, v27
	v_cvt_i32_f32_e32 v30, v32
	s_mov_b32 s26, 0xc2ce8ed0
	v_cmp_ngt_f32_e32 vcc, s26, v26
	s_mov_b32 s26, 0x42b17218
	v_ldexp_f32 v27, v27, v30
	v_cndmask_b32_e32 v27, 0, v27, vcc
	v_mov_b32_e32 v30, 0x7f800000
	v_cmp_nlt_f32_e32 vcc, s26, v26
	v_cndmask_b32_e32 v65, v30, v27, vcc
	v_add_f32_e32 v30, 1.0, v65
	v_add_f32_e32 v26, -1.0, v30
	v_sub_f32_e32 v27, v26, v30
	v_add_f32_e32 v27, 1.0, v27
	v_sub_f32_e32 v26, v65, v26
	v_add_f32_e32 v32, v26, v27
	v_frexp_mant_f32_e32 v33, v30
	s_mov_b32 s26, 0x3f2aaaab
	v_cvt_f64_f32_e32 v[26:27], v30
	v_frexp_exp_i32_f64_e32 v26, v[26:27]
	v_cmp_gt_f32_e32 vcc, s26, v33
	v_subbrev_co_u32_e32 v68, vcc, 0, v26, vcc
	v_sub_u32_e32 v26, 0, v68
	v_ldexp_f32 v27, v30, v26
	v_add_f32_e32 v30, -1.0, v27
	v_add_f32_e32 v33, 1.0, v27
	v_ldexp_f32 v26, v32, v26
	v_add_f32_e32 v32, 1.0, v30
	v_add_f32_e32 v34, -1.0, v33
	v_sub_f32_e32 v32, v27, v32
	v_sub_f32_e32 v27, v27, v34
	v_add_f32_e32 v32, v26, v32
	v_add_f32_e32 v26, v26, v27
	v_add_f32_e32 v69, v33, v26
	v_rcp_f32_e32 v71, v69
	v_sub_f32_e32 v27, v33, v69
	v_add_f32_e32 v70, v26, v27
	v_add_f32_e32 v27, v30, v32
	v_sub_f32_e32 v26, v30, v27
	v_mul_f32_e32 v80, v27, v71
	v_add_f32_e32 v30, v32, v26
	v_mul_f32_e32 v32, v69, v80
	v_fma_f32 v34, v80, v69, -v32
	v_fmac_f32_e32 v34, v80, v70
	v_add_f32_e32 v26, v32, v34
	v_sub_f32_e32 v33, v27, v26
	v_pk_add_f32 v[66:67], v[26:27], v[32:33] neg_lo:[0,1] neg_hi:[0,1]
	v_mov_b32_e32 v35, v26
	v_pk_add_f32 v[26:27], v[66:67], v[34:35] neg_lo:[0,1] neg_hi:[0,1]
	v_add_f32_e32 v27, v30, v27
	v_add_f32_e32 v26, v26, v27
	;; [unrolled: 1-line block ×3, first 2 shown]
	v_mul_f32_e32 v30, v71, v27
	v_mul_f32_e32 v32, v69, v30
	v_fma_f32 v34, v30, v69, -v32
	v_fmac_f32_e32 v34, v30, v70
	v_sub_f32_e32 v33, v33, v27
	v_add_f32_e32 v69, v26, v33
	v_add_f32_e32 v26, v32, v34
	v_sub_f32_e32 v33, v27, v26
	v_pk_add_f32 v[66:67], v[26:27], v[32:33] neg_lo:[0,1] neg_hi:[0,1]
	v_mov_b32_e32 v35, v26
	v_pk_add_f32 v[26:27], v[66:67], v[34:35] neg_lo:[0,1] neg_hi:[0,1]
	v_add_f32_e32 v27, v69, v27
	v_add_f32_e32 v26, v26, v27
	;; [unrolled: 1-line block ×4, first 2 shown]
	v_sub_f32_e32 v27, v33, v80
	v_mul_f32_e32 v26, v71, v26
	v_sub_f32_e32 v27, v30, v27
	v_add_f32_e32 v26, v27, v26
	v_add_f32_e32 v30, v33, v26
	v_mul_f32_e32 v34, v30, v30
	v_mov_b32_e32 v32, 0x3ecc95a3
	v_fmac_f32_e32 v32, 0x3e9b6dac, v34
	v_mov_b32_e32 v27, 0x3f2aaada
	v_fmac_f32_e32 v27, v34, v32
	v_cvt_f32_i32_e32 v32, v68
	v_sub_f32_e32 v33, v30, v33
	v_sub_f32_e32 v26, v26, v33
	v_ldexp_f32 v66, v26, 1
	v_mul_f32_e32 v33, v30, v34
	v_mov_b32_e32 v26, 0x3f317218
	s_mov_b32 s26, 0x3f317218
	v_pk_mul_f32 v[26:27], v[32:33], v[26:27]
	v_fma_f32 v34, v32, s26, -v26
	v_ldexp_f32 v35, v30, 1
	v_fmac_f32_e32 v34, 0xb102e308, v32
	v_pk_add_f32 v[32:33], v[26:27], v[34:35]
	v_sub_f32_e32 v30, v33, v35
	v_sub_f32_e32 v30, v27, v30
	v_add_f32_e32 v67, v66, v30
	v_mov_b32_e32 v66, v26
	v_pk_add_f32 v[26:27], v[32:33], v[26:27] neg_lo:[0,1] neg_hi:[0,1]
	v_pk_add_f32 v[68:69], v[32:33], v[66:67]
	v_mov_b32_e32 v27, v69
	v_mov_b32_e32 v35, v32
	v_pk_add_f32 v[70:71], v[34:35], v[26:27] neg_lo:[0,1] neg_hi:[0,1]
	v_pk_add_f32 v[26:27], v[34:35], v[26:27]
	v_mov_b32_e32 v30, v27
	v_pk_add_f32 v[34:35], v[30:31], v[32:33] neg_lo:[0,1] neg_hi:[0,1]
	v_mov_b32_e32 v35, v34
	v_pk_add_f32 v[80:81], v[68:69], v[34:35] neg_lo:[0,1] neg_hi:[0,1]
	v_mov_b32_e32 v26, v69
	v_mov_b32_e32 v68, v33
	;; [unrolled: 1-line block ×4, first 2 shown]
	v_pk_add_f32 v[26:27], v[26:27], v[68:69] neg_lo:[0,1] neg_hi:[0,1]
	v_mov_b32_e32 v34, v67
	v_mov_b32_e32 v35, v32
	v_pk_add_f32 v[26:27], v[34:35], v[26:27] neg_lo:[0,1] neg_hi:[0,1]
	v_mov_b32_e32 v80, v70
	v_pk_add_f32 v[32:33], v[80:81], v[26:27]
	v_mov_b32_e32 v34, v33
	v_pk_add_f32 v[34:35], v[32:33], v[34:35]
	v_pk_add_f32 v[66:67], v[30:31], v[34:35]
	v_mov_b32_e32 v33, v66
	v_pk_add_f32 v[68:69], v[32:33], v[70:71] neg_lo:[0,1] neg_hi:[0,1]
	v_mov_b32_e32 v27, v34
	v_sub_f32_e32 v30, v32, v68
	v_pk_add_f32 v[26:27], v[26:27], v[68:69] neg_lo:[0,1] neg_hi:[0,1]
	v_sub_f32_e32 v30, v70, v30
	s_mov_b32 s27, 0x7f800000
	v_add_f32_e32 v26, v26, v30
	s_mov_b32 s26, 0x33800000
	v_add_f32_e32 v26, v26, v27
	v_cmp_eq_f32_e32 vcc, s27, v65
	v_cmp_lt_f32_e64 s[26:27], |v65|, s26
	v_add_f32_e32 v26, v66, v26
	s_or_b64 vcc, vcc, s[26:27]
	v_cndmask_b32_e32 v26, v26, v65, vcc
	v_add_f32_e32 v26, v31, v26
	v_cvt_f16_f32_e32 v27, v26
	v_cvt_f32_f16_e32 v30, v27
	v_mov_b32_e32 v26, v27
.LBB353_71:
	s_or_b64 exec, exec, s[24:25]
	v_cvt_f32_f16_e32 v65, v17
	v_max_f32_e32 v31, v30, v30
	v_cmp_u_f16_e32 vcc, v27, v27
	v_cmp_u_f16_e64 s[24:25], v17, v17
	v_min_f32_e32 v32, v31, v65
	v_max_f32_e32 v31, v31, v65
	v_cndmask_b32_e32 v32, v32, v30, vcc
	v_cndmask_b32_e32 v31, v31, v30, vcc
	v_cndmask_b32_e64 v32, v32, v65, s[24:25]
	v_cndmask_b32_e64 v31, v31, v65, s[24:25]
	v_cmp_neq_f32_e32 vcc, v32, v31
	v_cmp_class_f32_e64 s[26:27], v32, s13
	s_or_b64 s[28:29], vcc, s[26:27]
	s_and_saveexec_b64 s[26:27], s[28:29]
	s_cbranch_execz .LBB353_73
; %bb.72:
	v_sub_f32_e32 v26, v32, v31
	s_mov_b32 s13, 0x3fb8aa3b
	v_mul_f32_e32 v27, 0x3fb8aa3b, v26
	v_fma_f32 v30, v26, s13, -v27
	v_rndne_f32_e32 v32, v27
	v_fmac_f32_e32 v30, 0x32a5705f, v26
	v_sub_f32_e32 v27, v27, v32
	v_add_f32_e32 v27, v27, v30
	v_exp_f32_e32 v27, v27
	v_cvt_i32_f32_e32 v30, v32
	s_mov_b32 s13, 0xc2ce8ed0
	v_cmp_ngt_f32_e32 vcc, s13, v26
	s_mov_b32 s13, 0x42b17218
	v_ldexp_f32 v27, v27, v30
	v_cndmask_b32_e32 v27, 0, v27, vcc
	v_mov_b32_e32 v30, 0x7f800000
	v_cmp_nlt_f32_e32 vcc, s13, v26
	v_cndmask_b32_e32 v82, v30, v27, vcc
	v_add_f32_e32 v30, 1.0, v82
	v_add_f32_e32 v26, -1.0, v30
	v_sub_f32_e32 v27, v26, v30
	v_add_f32_e32 v27, 1.0, v27
	v_sub_f32_e32 v26, v82, v26
	v_add_f32_e32 v32, v26, v27
	v_frexp_mant_f32_e32 v33, v30
	s_mov_b32 s13, 0x3f2aaaab
	v_cvt_f64_f32_e32 v[26:27], v30
	v_frexp_exp_i32_f64_e32 v26, v[26:27]
	v_cmp_gt_f32_e32 vcc, s13, v33
	v_subbrev_co_u32_e32 v68, vcc, 0, v26, vcc
	v_sub_u32_e32 v26, 0, v68
	v_ldexp_f32 v27, v30, v26
	v_add_f32_e32 v30, -1.0, v27
	v_add_f32_e32 v33, 1.0, v27
	v_ldexp_f32 v26, v32, v26
	v_add_f32_e32 v32, 1.0, v30
	v_add_f32_e32 v34, -1.0, v33
	v_sub_f32_e32 v32, v27, v32
	v_sub_f32_e32 v27, v27, v34
	v_add_f32_e32 v32, v26, v32
	v_add_f32_e32 v26, v26, v27
	;; [unrolled: 1-line block ×3, first 2 shown]
	v_rcp_f32_e32 v71, v69
	v_sub_f32_e32 v27, v33, v69
	v_add_f32_e32 v70, v26, v27
	v_add_f32_e32 v27, v30, v32
	v_sub_f32_e32 v26, v30, v27
	v_mul_f32_e32 v80, v27, v71
	v_add_f32_e32 v30, v32, v26
	v_mul_f32_e32 v32, v69, v80
	v_fma_f32 v34, v80, v69, -v32
	v_fmac_f32_e32 v34, v80, v70
	v_add_f32_e32 v26, v32, v34
	v_sub_f32_e32 v33, v27, v26
	v_pk_add_f32 v[66:67], v[26:27], v[32:33] neg_lo:[0,1] neg_hi:[0,1]
	v_mov_b32_e32 v35, v26
	v_pk_add_f32 v[26:27], v[66:67], v[34:35] neg_lo:[0,1] neg_hi:[0,1]
	v_add_f32_e32 v27, v30, v27
	v_add_f32_e32 v26, v26, v27
	;; [unrolled: 1-line block ×3, first 2 shown]
	v_mul_f32_e32 v30, v71, v27
	v_mul_f32_e32 v32, v69, v30
	v_fma_f32 v34, v30, v69, -v32
	v_fmac_f32_e32 v34, v30, v70
	v_sub_f32_e32 v33, v33, v27
	v_add_f32_e32 v69, v26, v33
	v_add_f32_e32 v26, v32, v34
	v_sub_f32_e32 v33, v27, v26
	v_pk_add_f32 v[66:67], v[26:27], v[32:33] neg_lo:[0,1] neg_hi:[0,1]
	v_mov_b32_e32 v35, v26
	v_pk_add_f32 v[26:27], v[66:67], v[34:35] neg_lo:[0,1] neg_hi:[0,1]
	v_add_f32_e32 v27, v69, v27
	v_add_f32_e32 v26, v26, v27
	v_add_f32_e32 v26, v33, v26
	v_add_f32_e32 v33, v80, v30
	v_sub_f32_e32 v27, v33, v80
	v_mul_f32_e32 v26, v71, v26
	v_sub_f32_e32 v27, v30, v27
	v_add_f32_e32 v26, v27, v26
	v_add_f32_e32 v30, v33, v26
	v_mul_f32_e32 v34, v30, v30
	v_mov_b32_e32 v32, 0x3ecc95a3
	v_fmac_f32_e32 v32, 0x3e9b6dac, v34
	v_mov_b32_e32 v27, 0x3f2aaada
	v_fmac_f32_e32 v27, v34, v32
	v_cvt_f32_i32_e32 v32, v68
	v_sub_f32_e32 v33, v30, v33
	v_sub_f32_e32 v26, v26, v33
	v_ldexp_f32 v66, v26, 1
	v_mul_f32_e32 v33, v30, v34
	v_mov_b32_e32 v26, 0x3f317218
	s_mov_b32 s13, 0x3f317218
	v_pk_mul_f32 v[26:27], v[32:33], v[26:27]
	v_fma_f32 v34, v32, s13, -v26
	v_ldexp_f32 v35, v30, 1
	v_fmac_f32_e32 v34, 0xb102e308, v32
	v_pk_add_f32 v[32:33], v[26:27], v[34:35]
	v_sub_f32_e32 v30, v33, v35
	v_sub_f32_e32 v30, v27, v30
	v_add_f32_e32 v67, v66, v30
	v_mov_b32_e32 v66, v26
	v_pk_add_f32 v[26:27], v[32:33], v[26:27] neg_lo:[0,1] neg_hi:[0,1]
	v_pk_add_f32 v[68:69], v[32:33], v[66:67]
	v_mov_b32_e32 v27, v69
	v_mov_b32_e32 v35, v32
	v_pk_add_f32 v[70:71], v[34:35], v[26:27] neg_lo:[0,1] neg_hi:[0,1]
	v_pk_add_f32 v[26:27], v[34:35], v[26:27]
	v_mov_b32_e32 v30, v27
	v_pk_add_f32 v[34:35], v[30:31], v[32:33] neg_lo:[0,1] neg_hi:[0,1]
	v_mov_b32_e32 v35, v34
	v_pk_add_f32 v[80:81], v[68:69], v[34:35] neg_lo:[0,1] neg_hi:[0,1]
	v_mov_b32_e32 v26, v69
	v_mov_b32_e32 v68, v33
	;; [unrolled: 1-line block ×4, first 2 shown]
	v_pk_add_f32 v[26:27], v[26:27], v[68:69] neg_lo:[0,1] neg_hi:[0,1]
	v_mov_b32_e32 v34, v67
	v_mov_b32_e32 v35, v32
	v_pk_add_f32 v[26:27], v[34:35], v[26:27] neg_lo:[0,1] neg_hi:[0,1]
	v_mov_b32_e32 v80, v70
	v_pk_add_f32 v[32:33], v[80:81], v[26:27]
	v_mov_b32_e32 v34, v33
	v_pk_add_f32 v[34:35], v[32:33], v[34:35]
	v_pk_add_f32 v[66:67], v[30:31], v[34:35]
	v_mov_b32_e32 v33, v66
	v_pk_add_f32 v[68:69], v[32:33], v[70:71] neg_lo:[0,1] neg_hi:[0,1]
	v_mov_b32_e32 v27, v34
	v_sub_f32_e32 v30, v32, v68
	v_pk_add_f32 v[26:27], v[26:27], v[68:69] neg_lo:[0,1] neg_hi:[0,1]
	v_sub_f32_e32 v30, v70, v30
	s_mov_b32 s28, 0x7f800000
	v_add_f32_e32 v26, v26, v30
	s_mov_b32 s13, 0x33800000
	v_add_f32_e32 v26, v26, v27
	v_cmp_eq_f32_e32 vcc, s28, v82
	v_cmp_lt_f32_e64 s[28:29], |v82|, s13
	v_add_f32_e32 v26, v66, v26
	s_or_b64 vcc, vcc, s[28:29]
	v_cndmask_b32_e32 v26, v26, v82, vcc
	v_add_f32_e32 v26, v31, v26
	v_cvt_f16_f32_e32 v27, v26
	v_cvt_f32_f16_e32 v30, v27
	v_mov_b32_e32 v26, v27
.LBB353_73:
	s_or_b64 exec, exec, s[26:27]
	v_cvt_f32_f16_sdwa v66, v17 dst_sel:DWORD dst_unused:UNUSED_PAD src0_sel:WORD_1
	v_max_f32_e32 v31, v30, v30
	v_cmp_u_f16_e32 vcc, v27, v27
	v_cmp_u_f16_sdwa s[26:27], v17, v17 src0_sel:WORD_1 src1_sel:WORD_1
	v_min_f32_e32 v32, v31, v66
	v_max_f32_e32 v31, v31, v66
	v_cndmask_b32_e32 v32, v32, v30, vcc
	v_cndmask_b32_e32 v31, v31, v30, vcc
	v_cndmask_b32_e64 v32, v32, v66, s[26:27]
	v_cndmask_b32_e64 v31, v31, v66, s[26:27]
	s_movk_i32 s13, 0x1f8
	v_cmp_neq_f32_e32 vcc, v32, v31
	v_cmp_class_f32_e64 s[28:29], v32, s13
	s_or_b64 vcc, vcc, s[28:29]
	s_and_saveexec_b64 s[28:29], vcc
	s_cbranch_execz .LBB353_75
; %bb.74:
	v_sub_f32_e32 v26, v32, v31
	s_mov_b32 s30, 0x3fb8aa3b
	v_mul_f32_e32 v27, 0x3fb8aa3b, v26
	v_fma_f32 v30, v26, s30, -v27
	v_rndne_f32_e32 v32, v27
	v_fmac_f32_e32 v30, 0x32a5705f, v26
	v_sub_f32_e32 v27, v27, v32
	v_add_f32_e32 v27, v27, v30
	v_exp_f32_e32 v27, v27
	v_cvt_i32_f32_e32 v30, v32
	s_mov_b32 s30, 0xc2ce8ed0
	v_cmp_ngt_f32_e32 vcc, s30, v26
	s_mov_b32 s30, 0x42b17218
	v_ldexp_f32 v27, v27, v30
	v_cndmask_b32_e32 v27, 0, v27, vcc
	v_mov_b32_e32 v30, 0x7f800000
	v_cmp_nlt_f32_e32 vcc, s30, v26
	v_cndmask_b32_e32 v67, v30, v27, vcc
	v_add_f32_e32 v30, 1.0, v67
	v_add_f32_e32 v26, -1.0, v30
	v_sub_f32_e32 v27, v26, v30
	v_add_f32_e32 v27, 1.0, v27
	v_sub_f32_e32 v26, v67, v26
	v_add_f32_e32 v32, v26, v27
	v_frexp_mant_f32_e32 v33, v30
	s_mov_b32 s30, 0x3f2aaaab
	v_cvt_f64_f32_e32 v[26:27], v30
	v_frexp_exp_i32_f64_e32 v26, v[26:27]
	v_cmp_gt_f32_e32 vcc, s30, v33
	v_subbrev_co_u32_e32 v70, vcc, 0, v26, vcc
	v_sub_u32_e32 v26, 0, v70
	v_ldexp_f32 v27, v30, v26
	v_add_f32_e32 v30, -1.0, v27
	v_add_f32_e32 v33, 1.0, v27
	v_ldexp_f32 v26, v32, v26
	v_add_f32_e32 v32, 1.0, v30
	v_add_f32_e32 v34, -1.0, v33
	v_sub_f32_e32 v32, v27, v32
	v_sub_f32_e32 v27, v27, v34
	v_add_f32_e32 v32, v26, v32
	v_add_f32_e32 v26, v26, v27
	v_add_f32_e32 v71, v33, v26
	v_rcp_f32_e32 v81, v71
	v_sub_f32_e32 v27, v33, v71
	v_add_f32_e32 v80, v26, v27
	v_add_f32_e32 v27, v30, v32
	v_sub_f32_e32 v26, v30, v27
	v_mul_f32_e32 v82, v27, v81
	v_add_f32_e32 v30, v32, v26
	v_mul_f32_e32 v32, v71, v82
	v_fma_f32 v34, v82, v71, -v32
	v_fmac_f32_e32 v34, v82, v80
	v_add_f32_e32 v26, v32, v34
	v_sub_f32_e32 v33, v27, v26
	v_pk_add_f32 v[68:69], v[26:27], v[32:33] neg_lo:[0,1] neg_hi:[0,1]
	v_mov_b32_e32 v35, v26
	v_pk_add_f32 v[26:27], v[68:69], v[34:35] neg_lo:[0,1] neg_hi:[0,1]
	v_add_f32_e32 v27, v30, v27
	v_add_f32_e32 v26, v26, v27
	;; [unrolled: 1-line block ×3, first 2 shown]
	v_mul_f32_e32 v30, v81, v27
	v_mul_f32_e32 v32, v71, v30
	v_fma_f32 v34, v30, v71, -v32
	v_fmac_f32_e32 v34, v30, v80
	v_sub_f32_e32 v33, v33, v27
	v_add_f32_e32 v71, v26, v33
	v_add_f32_e32 v26, v32, v34
	v_sub_f32_e32 v33, v27, v26
	v_pk_add_f32 v[68:69], v[26:27], v[32:33] neg_lo:[0,1] neg_hi:[0,1]
	v_mov_b32_e32 v35, v26
	v_pk_add_f32 v[26:27], v[68:69], v[34:35] neg_lo:[0,1] neg_hi:[0,1]
	v_add_f32_e32 v27, v71, v27
	v_add_f32_e32 v26, v26, v27
	;; [unrolled: 1-line block ×4, first 2 shown]
	v_sub_f32_e32 v27, v33, v82
	v_mul_f32_e32 v26, v81, v26
	v_sub_f32_e32 v27, v30, v27
	v_add_f32_e32 v26, v27, v26
	v_add_f32_e32 v30, v33, v26
	v_mul_f32_e32 v34, v30, v30
	v_mov_b32_e32 v32, 0x3ecc95a3
	v_fmac_f32_e32 v32, 0x3e9b6dac, v34
	v_mov_b32_e32 v27, 0x3f2aaada
	v_fmac_f32_e32 v27, v34, v32
	v_cvt_f32_i32_e32 v32, v70
	v_sub_f32_e32 v33, v30, v33
	v_sub_f32_e32 v26, v26, v33
	v_ldexp_f32 v68, v26, 1
	v_mul_f32_e32 v33, v30, v34
	v_mov_b32_e32 v26, 0x3f317218
	s_mov_b32 s30, 0x3f317218
	v_pk_mul_f32 v[26:27], v[32:33], v[26:27]
	v_fma_f32 v34, v32, s30, -v26
	v_ldexp_f32 v35, v30, 1
	v_fmac_f32_e32 v34, 0xb102e308, v32
	v_pk_add_f32 v[32:33], v[26:27], v[34:35]
	v_sub_f32_e32 v30, v33, v35
	v_sub_f32_e32 v30, v27, v30
	v_add_f32_e32 v69, v68, v30
	v_mov_b32_e32 v68, v26
	v_pk_add_f32 v[26:27], v[32:33], v[26:27] neg_lo:[0,1] neg_hi:[0,1]
	v_pk_add_f32 v[70:71], v[32:33], v[68:69]
	v_mov_b32_e32 v27, v71
	v_mov_b32_e32 v35, v32
	v_pk_add_f32 v[80:81], v[34:35], v[26:27] neg_lo:[0,1] neg_hi:[0,1]
	v_pk_add_f32 v[26:27], v[34:35], v[26:27]
	v_mov_b32_e32 v30, v27
	v_pk_add_f32 v[34:35], v[30:31], v[32:33] neg_lo:[0,1] neg_hi:[0,1]
	v_mov_b32_e32 v35, v34
	v_pk_add_f32 v[82:83], v[70:71], v[34:35] neg_lo:[0,1] neg_hi:[0,1]
	v_mov_b32_e32 v26, v71
	v_mov_b32_e32 v70, v33
	;; [unrolled: 1-line block ×4, first 2 shown]
	v_pk_add_f32 v[26:27], v[26:27], v[70:71] neg_lo:[0,1] neg_hi:[0,1]
	v_mov_b32_e32 v34, v69
	v_mov_b32_e32 v35, v32
	v_pk_add_f32 v[26:27], v[34:35], v[26:27] neg_lo:[0,1] neg_hi:[0,1]
	v_mov_b32_e32 v82, v80
	v_pk_add_f32 v[32:33], v[82:83], v[26:27]
	v_mov_b32_e32 v34, v33
	v_pk_add_f32 v[34:35], v[32:33], v[34:35]
	v_pk_add_f32 v[68:69], v[30:31], v[34:35]
	v_mov_b32_e32 v33, v68
	v_pk_add_f32 v[70:71], v[32:33], v[80:81] neg_lo:[0,1] neg_hi:[0,1]
	v_mov_b32_e32 v27, v34
	v_sub_f32_e32 v30, v32, v70
	v_pk_add_f32 v[26:27], v[26:27], v[70:71] neg_lo:[0,1] neg_hi:[0,1]
	v_sub_f32_e32 v30, v80, v30
	s_mov_b32 s31, 0x7f800000
	v_add_f32_e32 v26, v26, v30
	s_mov_b32 s30, 0x33800000
	v_add_f32_e32 v26, v26, v27
	v_cmp_eq_f32_e32 vcc, s31, v67
	v_cmp_lt_f32_e64 s[30:31], |v67|, s30
	v_add_f32_e32 v26, v68, v26
	s_or_b64 vcc, vcc, s[30:31]
	v_cndmask_b32_e32 v26, v26, v67, vcc
	v_add_f32_e32 v26, v31, v26
	v_cvt_f16_f32_e32 v27, v26
	v_cvt_f32_f16_e32 v30, v27
	v_mov_b32_e32 v26, v27
.LBB353_75:
	s_or_b64 exec, exec, s[28:29]
	v_cvt_f32_f16_e32 v67, v18
	v_max_f32_e32 v31, v30, v30
	v_cmp_u_f16_e32 vcc, v27, v27
	v_cmp_u_f16_e64 s[28:29], v18, v18
	v_min_f32_e32 v32, v31, v67
	v_max_f32_e32 v31, v31, v67
	v_cndmask_b32_e32 v32, v32, v30, vcc
	v_cndmask_b32_e32 v31, v31, v30, vcc
	v_cndmask_b32_e64 v32, v32, v67, s[28:29]
	v_cndmask_b32_e64 v31, v31, v67, s[28:29]
	v_cmp_neq_f32_e32 vcc, v32, v31
	v_cmp_class_f32_e64 s[30:31], v32, s13
	s_or_b64 vcc, vcc, s[30:31]
	s_and_saveexec_b64 s[30:31], vcc
	s_cbranch_execz .LBB353_77
; %bb.76:
	v_sub_f32_e32 v26, v32, v31
	s_mov_b32 s13, 0x3fb8aa3b
	v_mul_f32_e32 v27, 0x3fb8aa3b, v26
	v_fma_f32 v30, v26, s13, -v27
	v_rndne_f32_e32 v32, v27
	v_fmac_f32_e32 v30, 0x32a5705f, v26
	v_sub_f32_e32 v27, v27, v32
	v_add_f32_e32 v27, v27, v30
	v_exp_f32_e32 v27, v27
	v_cvt_i32_f32_e32 v30, v32
	s_mov_b32 s13, 0xc2ce8ed0
	v_cmp_ngt_f32_e32 vcc, s13, v26
	s_mov_b32 s13, 0x42b17218
	v_ldexp_f32 v27, v27, v30
	v_cndmask_b32_e32 v27, 0, v27, vcc
	v_mov_b32_e32 v30, 0x7f800000
	v_cmp_nlt_f32_e32 vcc, s13, v26
	v_cndmask_b32_e32 v84, v30, v27, vcc
	v_add_f32_e32 v30, 1.0, v84
	v_add_f32_e32 v26, -1.0, v30
	v_sub_f32_e32 v27, v26, v30
	v_add_f32_e32 v27, 1.0, v27
	v_sub_f32_e32 v26, v84, v26
	v_add_f32_e32 v32, v26, v27
	v_frexp_mant_f32_e32 v33, v30
	s_mov_b32 s13, 0x3f2aaaab
	v_cvt_f64_f32_e32 v[26:27], v30
	v_frexp_exp_i32_f64_e32 v26, v[26:27]
	v_cmp_gt_f32_e32 vcc, s13, v33
	v_subbrev_co_u32_e32 v70, vcc, 0, v26, vcc
	v_sub_u32_e32 v26, 0, v70
	v_ldexp_f32 v27, v30, v26
	v_add_f32_e32 v30, -1.0, v27
	v_add_f32_e32 v33, 1.0, v27
	v_ldexp_f32 v26, v32, v26
	v_add_f32_e32 v32, 1.0, v30
	v_add_f32_e32 v34, -1.0, v33
	v_sub_f32_e32 v32, v27, v32
	v_sub_f32_e32 v27, v27, v34
	v_add_f32_e32 v32, v26, v32
	v_add_f32_e32 v26, v26, v27
	;; [unrolled: 1-line block ×3, first 2 shown]
	v_rcp_f32_e32 v81, v71
	v_sub_f32_e32 v27, v33, v71
	v_add_f32_e32 v80, v26, v27
	v_add_f32_e32 v27, v30, v32
	v_sub_f32_e32 v26, v30, v27
	v_mul_f32_e32 v82, v27, v81
	v_add_f32_e32 v30, v32, v26
	v_mul_f32_e32 v32, v71, v82
	v_fma_f32 v34, v82, v71, -v32
	v_fmac_f32_e32 v34, v82, v80
	v_add_f32_e32 v26, v32, v34
	v_sub_f32_e32 v33, v27, v26
	v_pk_add_f32 v[68:69], v[26:27], v[32:33] neg_lo:[0,1] neg_hi:[0,1]
	v_mov_b32_e32 v35, v26
	v_pk_add_f32 v[26:27], v[68:69], v[34:35] neg_lo:[0,1] neg_hi:[0,1]
	v_add_f32_e32 v27, v30, v27
	v_add_f32_e32 v26, v26, v27
	;; [unrolled: 1-line block ×3, first 2 shown]
	v_mul_f32_e32 v30, v81, v27
	v_mul_f32_e32 v32, v71, v30
	v_fma_f32 v34, v30, v71, -v32
	v_fmac_f32_e32 v34, v30, v80
	v_sub_f32_e32 v33, v33, v27
	v_add_f32_e32 v71, v26, v33
	v_add_f32_e32 v26, v32, v34
	v_sub_f32_e32 v33, v27, v26
	v_pk_add_f32 v[68:69], v[26:27], v[32:33] neg_lo:[0,1] neg_hi:[0,1]
	v_mov_b32_e32 v35, v26
	v_pk_add_f32 v[26:27], v[68:69], v[34:35] neg_lo:[0,1] neg_hi:[0,1]
	v_add_f32_e32 v27, v71, v27
	v_add_f32_e32 v26, v26, v27
	v_add_f32_e32 v26, v33, v26
	v_add_f32_e32 v33, v82, v30
	v_sub_f32_e32 v27, v33, v82
	v_mul_f32_e32 v26, v81, v26
	v_sub_f32_e32 v27, v30, v27
	v_add_f32_e32 v26, v27, v26
	v_add_f32_e32 v30, v33, v26
	v_mul_f32_e32 v34, v30, v30
	v_mov_b32_e32 v32, 0x3ecc95a3
	v_fmac_f32_e32 v32, 0x3e9b6dac, v34
	v_mov_b32_e32 v27, 0x3f2aaada
	v_fmac_f32_e32 v27, v34, v32
	v_cvt_f32_i32_e32 v32, v70
	v_sub_f32_e32 v33, v30, v33
	v_sub_f32_e32 v26, v26, v33
	v_ldexp_f32 v68, v26, 1
	v_mul_f32_e32 v33, v30, v34
	v_mov_b32_e32 v26, 0x3f317218
	s_mov_b32 s13, 0x3f317218
	v_pk_mul_f32 v[26:27], v[32:33], v[26:27]
	v_fma_f32 v34, v32, s13, -v26
	v_ldexp_f32 v35, v30, 1
	v_fmac_f32_e32 v34, 0xb102e308, v32
	v_pk_add_f32 v[32:33], v[26:27], v[34:35]
	v_sub_f32_e32 v30, v33, v35
	v_sub_f32_e32 v30, v27, v30
	v_add_f32_e32 v69, v68, v30
	v_mov_b32_e32 v68, v26
	v_pk_add_f32 v[26:27], v[32:33], v[26:27] neg_lo:[0,1] neg_hi:[0,1]
	v_pk_add_f32 v[70:71], v[32:33], v[68:69]
	v_mov_b32_e32 v27, v71
	v_mov_b32_e32 v35, v32
	v_pk_add_f32 v[80:81], v[34:35], v[26:27] neg_lo:[0,1] neg_hi:[0,1]
	v_pk_add_f32 v[26:27], v[34:35], v[26:27]
	v_mov_b32_e32 v30, v27
	v_pk_add_f32 v[34:35], v[30:31], v[32:33] neg_lo:[0,1] neg_hi:[0,1]
	v_mov_b32_e32 v35, v34
	v_pk_add_f32 v[82:83], v[70:71], v[34:35] neg_lo:[0,1] neg_hi:[0,1]
	v_mov_b32_e32 v26, v71
	v_mov_b32_e32 v70, v33
	;; [unrolled: 1-line block ×4, first 2 shown]
	v_pk_add_f32 v[26:27], v[26:27], v[70:71] neg_lo:[0,1] neg_hi:[0,1]
	v_mov_b32_e32 v34, v69
	v_mov_b32_e32 v35, v32
	v_pk_add_f32 v[26:27], v[34:35], v[26:27] neg_lo:[0,1] neg_hi:[0,1]
	v_mov_b32_e32 v82, v80
	v_pk_add_f32 v[32:33], v[82:83], v[26:27]
	v_mov_b32_e32 v34, v33
	v_pk_add_f32 v[34:35], v[32:33], v[34:35]
	v_pk_add_f32 v[68:69], v[30:31], v[34:35]
	v_mov_b32_e32 v33, v68
	v_pk_add_f32 v[70:71], v[32:33], v[80:81] neg_lo:[0,1] neg_hi:[0,1]
	v_mov_b32_e32 v27, v34
	v_sub_f32_e32 v30, v32, v70
	v_pk_add_f32 v[26:27], v[26:27], v[70:71] neg_lo:[0,1] neg_hi:[0,1]
	v_sub_f32_e32 v30, v80, v30
	s_mov_b32 s34, 0x7f800000
	v_add_f32_e32 v26, v26, v30
	s_mov_b32 s13, 0x33800000
	v_add_f32_e32 v26, v26, v27
	v_cmp_eq_f32_e32 vcc, s34, v84
	v_cmp_lt_f32_e64 s[34:35], |v84|, s13
	v_add_f32_e32 v26, v68, v26
	s_or_b64 vcc, vcc, s[34:35]
	v_cndmask_b32_e32 v26, v26, v84, vcc
	v_add_f32_e32 v26, v31, v26
	v_cvt_f16_f32_e32 v27, v26
	v_cvt_f32_f16_e32 v30, v27
	v_mov_b32_e32 v26, v27
.LBB353_77:
	s_or_b64 exec, exec, s[30:31]
	v_cvt_f32_f16_sdwa v68, v18 dst_sel:DWORD dst_unused:UNUSED_PAD src0_sel:WORD_1
	v_max_f32_e32 v31, v30, v30
	v_cmp_u_f16_e32 vcc, v27, v27
	v_cmp_u_f16_sdwa s[30:31], v18, v18 src0_sel:WORD_1 src1_sel:WORD_1
	v_min_f32_e32 v32, v31, v68
	v_max_f32_e32 v31, v31, v68
	v_cndmask_b32_e32 v32, v32, v30, vcc
	v_cndmask_b32_e32 v31, v31, v30, vcc
	v_cndmask_b32_e64 v32, v32, v68, s[30:31]
	v_cndmask_b32_e64 v31, v31, v68, s[30:31]
	s_movk_i32 s13, 0x1f8
	v_cmp_neq_f32_e32 vcc, v32, v31
	v_cmp_class_f32_e64 s[34:35], v32, s13
	s_or_b64 vcc, vcc, s[34:35]
	s_and_saveexec_b64 s[34:35], vcc
	s_cbranch_execz .LBB353_79
; %bb.78:
	v_sub_f32_e32 v26, v32, v31
	s_mov_b32 s36, 0x3fb8aa3b
	v_mul_f32_e32 v27, 0x3fb8aa3b, v26
	v_fma_f32 v30, v26, s36, -v27
	v_rndne_f32_e32 v32, v27
	v_fmac_f32_e32 v30, 0x32a5705f, v26
	v_sub_f32_e32 v27, v27, v32
	v_add_f32_e32 v27, v27, v30
	v_exp_f32_e32 v27, v27
	v_cvt_i32_f32_e32 v30, v32
	s_mov_b32 s36, 0xc2ce8ed0
	v_cmp_ngt_f32_e32 vcc, s36, v26
	s_mov_b32 s36, 0x42b17218
	v_ldexp_f32 v27, v27, v30
	v_cndmask_b32_e32 v27, 0, v27, vcc
	v_mov_b32_e32 v30, 0x7f800000
	v_cmp_nlt_f32_e32 vcc, s36, v26
	v_cndmask_b32_e32 v69, v30, v27, vcc
	v_add_f32_e32 v30, 1.0, v69
	v_add_f32_e32 v26, -1.0, v30
	v_sub_f32_e32 v27, v26, v30
	v_add_f32_e32 v27, 1.0, v27
	v_sub_f32_e32 v26, v69, v26
	v_add_f32_e32 v32, v26, v27
	v_frexp_mant_f32_e32 v33, v30
	s_mov_b32 s36, 0x3f2aaaab
	v_cvt_f64_f32_e32 v[26:27], v30
	v_frexp_exp_i32_f64_e32 v26, v[26:27]
	v_cmp_gt_f32_e32 vcc, s36, v33
	v_subbrev_co_u32_e32 v80, vcc, 0, v26, vcc
	v_sub_u32_e32 v26, 0, v80
	v_ldexp_f32 v27, v30, v26
	v_add_f32_e32 v30, -1.0, v27
	v_add_f32_e32 v33, 1.0, v27
	v_ldexp_f32 v26, v32, v26
	v_add_f32_e32 v32, 1.0, v30
	v_add_f32_e32 v34, -1.0, v33
	v_sub_f32_e32 v32, v27, v32
	v_sub_f32_e32 v27, v27, v34
	v_add_f32_e32 v32, v26, v32
	v_add_f32_e32 v26, v26, v27
	v_add_f32_e32 v81, v33, v26
	v_rcp_f32_e32 v83, v81
	v_sub_f32_e32 v27, v33, v81
	v_add_f32_e32 v82, v26, v27
	v_add_f32_e32 v27, v30, v32
	v_sub_f32_e32 v26, v30, v27
	v_mul_f32_e32 v84, v27, v83
	v_add_f32_e32 v30, v32, v26
	v_mul_f32_e32 v32, v81, v84
	v_fma_f32 v34, v84, v81, -v32
	v_fmac_f32_e32 v34, v84, v82
	v_add_f32_e32 v26, v32, v34
	v_sub_f32_e32 v33, v27, v26
	v_pk_add_f32 v[70:71], v[26:27], v[32:33] neg_lo:[0,1] neg_hi:[0,1]
	v_mov_b32_e32 v35, v26
	v_pk_add_f32 v[26:27], v[70:71], v[34:35] neg_lo:[0,1] neg_hi:[0,1]
	v_add_f32_e32 v27, v30, v27
	v_add_f32_e32 v26, v26, v27
	;; [unrolled: 1-line block ×3, first 2 shown]
	v_mul_f32_e32 v30, v83, v27
	v_mul_f32_e32 v32, v81, v30
	v_fma_f32 v34, v30, v81, -v32
	v_fmac_f32_e32 v34, v30, v82
	v_sub_f32_e32 v33, v33, v27
	v_add_f32_e32 v81, v26, v33
	v_add_f32_e32 v26, v32, v34
	v_sub_f32_e32 v33, v27, v26
	v_pk_add_f32 v[70:71], v[26:27], v[32:33] neg_lo:[0,1] neg_hi:[0,1]
	v_mov_b32_e32 v35, v26
	v_pk_add_f32 v[26:27], v[70:71], v[34:35] neg_lo:[0,1] neg_hi:[0,1]
	v_add_f32_e32 v27, v81, v27
	v_add_f32_e32 v26, v26, v27
	;; [unrolled: 1-line block ×4, first 2 shown]
	v_sub_f32_e32 v27, v33, v84
	v_mul_f32_e32 v26, v83, v26
	v_sub_f32_e32 v27, v30, v27
	v_add_f32_e32 v26, v27, v26
	v_add_f32_e32 v30, v33, v26
	v_mul_f32_e32 v34, v30, v30
	v_mov_b32_e32 v32, 0x3ecc95a3
	v_fmac_f32_e32 v32, 0x3e9b6dac, v34
	v_mov_b32_e32 v27, 0x3f2aaada
	v_fmac_f32_e32 v27, v34, v32
	v_cvt_f32_i32_e32 v32, v80
	v_sub_f32_e32 v33, v30, v33
	v_sub_f32_e32 v26, v26, v33
	v_ldexp_f32 v70, v26, 1
	v_mul_f32_e32 v33, v30, v34
	v_mov_b32_e32 v26, 0x3f317218
	s_mov_b32 s36, 0x3f317218
	v_pk_mul_f32 v[26:27], v[32:33], v[26:27]
	v_fma_f32 v34, v32, s36, -v26
	v_ldexp_f32 v35, v30, 1
	v_fmac_f32_e32 v34, 0xb102e308, v32
	v_pk_add_f32 v[32:33], v[26:27], v[34:35]
	v_sub_f32_e32 v30, v33, v35
	v_sub_f32_e32 v30, v27, v30
	v_add_f32_e32 v71, v70, v30
	v_mov_b32_e32 v70, v26
	v_pk_add_f32 v[26:27], v[32:33], v[26:27] neg_lo:[0,1] neg_hi:[0,1]
	v_pk_add_f32 v[80:81], v[32:33], v[70:71]
	v_mov_b32_e32 v27, v81
	v_mov_b32_e32 v35, v32
	v_pk_add_f32 v[82:83], v[34:35], v[26:27] neg_lo:[0,1] neg_hi:[0,1]
	v_pk_add_f32 v[26:27], v[34:35], v[26:27]
	v_mov_b32_e32 v30, v27
	v_pk_add_f32 v[34:35], v[30:31], v[32:33] neg_lo:[0,1] neg_hi:[0,1]
	v_mov_b32_e32 v35, v34
	v_pk_add_f32 v[84:85], v[80:81], v[34:35] neg_lo:[0,1] neg_hi:[0,1]
	v_mov_b32_e32 v26, v81
	v_mov_b32_e32 v80, v33
	;; [unrolled: 1-line block ×4, first 2 shown]
	v_pk_add_f32 v[26:27], v[26:27], v[80:81] neg_lo:[0,1] neg_hi:[0,1]
	v_mov_b32_e32 v34, v71
	v_mov_b32_e32 v35, v32
	v_pk_add_f32 v[26:27], v[34:35], v[26:27] neg_lo:[0,1] neg_hi:[0,1]
	v_mov_b32_e32 v84, v82
	v_pk_add_f32 v[32:33], v[84:85], v[26:27]
	v_mov_b32_e32 v34, v33
	v_pk_add_f32 v[34:35], v[32:33], v[34:35]
	v_pk_add_f32 v[70:71], v[30:31], v[34:35]
	v_mov_b32_e32 v33, v70
	v_pk_add_f32 v[80:81], v[32:33], v[82:83] neg_lo:[0,1] neg_hi:[0,1]
	v_mov_b32_e32 v27, v34
	v_sub_f32_e32 v30, v32, v80
	v_pk_add_f32 v[26:27], v[26:27], v[80:81] neg_lo:[0,1] neg_hi:[0,1]
	v_sub_f32_e32 v30, v82, v30
	s_mov_b32 s37, 0x7f800000
	v_add_f32_e32 v26, v26, v30
	s_mov_b32 s36, 0x33800000
	v_add_f32_e32 v26, v26, v27
	v_cmp_eq_f32_e32 vcc, s37, v69
	v_cmp_lt_f32_e64 s[36:37], |v69|, s36
	v_add_f32_e32 v26, v70, v26
	s_or_b64 vcc, vcc, s[36:37]
	v_cndmask_b32_e32 v26, v26, v69, vcc
	v_add_f32_e32 v26, v31, v26
	v_cvt_f16_f32_e32 v27, v26
	v_cvt_f32_f16_e32 v30, v27
	v_mov_b32_e32 v26, v27
.LBB353_79:
	s_or_b64 exec, exec, s[34:35]
	v_cvt_f32_f16_e32 v69, v19
	v_max_f32_e32 v31, v30, v30
	v_cmp_u_f16_e32 vcc, v27, v27
	v_cmp_u_f16_e64 s[34:35], v19, v19
	v_min_f32_e32 v32, v31, v69
	v_max_f32_e32 v31, v31, v69
	v_cndmask_b32_e32 v32, v32, v30, vcc
	v_cndmask_b32_e32 v31, v31, v30, vcc
	v_cndmask_b32_e64 v32, v32, v69, s[34:35]
	v_cndmask_b32_e64 v31, v31, v69, s[34:35]
	v_cmp_neq_f32_e32 vcc, v32, v31
	v_cmp_class_f32_e64 s[36:37], v32, s13
	s_or_b64 vcc, vcc, s[36:37]
	s_and_saveexec_b64 s[36:37], vcc
	s_cbranch_execz .LBB353_81
; %bb.80:
	v_sub_f32_e32 v26, v32, v31
	s_mov_b32 s13, 0x3fb8aa3b
	v_mul_f32_e32 v27, 0x3fb8aa3b, v26
	v_fma_f32 v30, v26, s13, -v27
	v_rndne_f32_e32 v32, v27
	v_fmac_f32_e32 v30, 0x32a5705f, v26
	v_sub_f32_e32 v27, v27, v32
	v_add_f32_e32 v27, v27, v30
	v_exp_f32_e32 v27, v27
	v_cvt_i32_f32_e32 v30, v32
	s_mov_b32 s13, 0xc2ce8ed0
	v_cmp_ngt_f32_e32 vcc, s13, v26
	s_mov_b32 s13, 0x42b17218
	v_ldexp_f32 v27, v27, v30
	v_cndmask_b32_e32 v27, 0, v27, vcc
	v_mov_b32_e32 v30, 0x7f800000
	v_cmp_nlt_f32_e32 vcc, s13, v26
	v_cndmask_b32_e32 v86, v30, v27, vcc
	v_add_f32_e32 v30, 1.0, v86
	v_add_f32_e32 v26, -1.0, v30
	v_sub_f32_e32 v27, v26, v30
	v_add_f32_e32 v27, 1.0, v27
	v_sub_f32_e32 v26, v86, v26
	v_add_f32_e32 v32, v26, v27
	v_frexp_mant_f32_e32 v33, v30
	s_mov_b32 s13, 0x3f2aaaab
	v_cvt_f64_f32_e32 v[26:27], v30
	v_frexp_exp_i32_f64_e32 v26, v[26:27]
	v_cmp_gt_f32_e32 vcc, s13, v33
	v_subbrev_co_u32_e32 v80, vcc, 0, v26, vcc
	v_sub_u32_e32 v26, 0, v80
	v_ldexp_f32 v27, v30, v26
	v_add_f32_e32 v30, -1.0, v27
	v_add_f32_e32 v33, 1.0, v27
	v_ldexp_f32 v26, v32, v26
	v_add_f32_e32 v32, 1.0, v30
	v_add_f32_e32 v34, -1.0, v33
	v_sub_f32_e32 v32, v27, v32
	v_sub_f32_e32 v27, v27, v34
	v_add_f32_e32 v32, v26, v32
	v_add_f32_e32 v26, v26, v27
	;; [unrolled: 1-line block ×3, first 2 shown]
	v_rcp_f32_e32 v83, v81
	v_sub_f32_e32 v27, v33, v81
	v_add_f32_e32 v82, v26, v27
	v_add_f32_e32 v27, v30, v32
	v_sub_f32_e32 v26, v30, v27
	v_mul_f32_e32 v84, v27, v83
	v_add_f32_e32 v30, v32, v26
	v_mul_f32_e32 v32, v81, v84
	v_fma_f32 v34, v84, v81, -v32
	v_fmac_f32_e32 v34, v84, v82
	v_add_f32_e32 v26, v32, v34
	v_sub_f32_e32 v33, v27, v26
	v_pk_add_f32 v[70:71], v[26:27], v[32:33] neg_lo:[0,1] neg_hi:[0,1]
	v_mov_b32_e32 v35, v26
	v_pk_add_f32 v[26:27], v[70:71], v[34:35] neg_lo:[0,1] neg_hi:[0,1]
	v_add_f32_e32 v27, v30, v27
	v_add_f32_e32 v26, v26, v27
	;; [unrolled: 1-line block ×3, first 2 shown]
	v_mul_f32_e32 v30, v83, v27
	v_mul_f32_e32 v32, v81, v30
	v_fma_f32 v34, v30, v81, -v32
	v_fmac_f32_e32 v34, v30, v82
	v_sub_f32_e32 v33, v33, v27
	v_add_f32_e32 v81, v26, v33
	v_add_f32_e32 v26, v32, v34
	v_sub_f32_e32 v33, v27, v26
	v_pk_add_f32 v[70:71], v[26:27], v[32:33] neg_lo:[0,1] neg_hi:[0,1]
	v_mov_b32_e32 v35, v26
	v_pk_add_f32 v[26:27], v[70:71], v[34:35] neg_lo:[0,1] neg_hi:[0,1]
	v_add_f32_e32 v27, v81, v27
	v_add_f32_e32 v26, v26, v27
	;; [unrolled: 1-line block ×4, first 2 shown]
	v_sub_f32_e32 v27, v33, v84
	v_mul_f32_e32 v26, v83, v26
	v_sub_f32_e32 v27, v30, v27
	v_add_f32_e32 v26, v27, v26
	v_add_f32_e32 v30, v33, v26
	v_mul_f32_e32 v34, v30, v30
	v_mov_b32_e32 v32, 0x3ecc95a3
	v_fmac_f32_e32 v32, 0x3e9b6dac, v34
	v_mov_b32_e32 v27, 0x3f2aaada
	v_fmac_f32_e32 v27, v34, v32
	v_cvt_f32_i32_e32 v32, v80
	v_sub_f32_e32 v33, v30, v33
	v_sub_f32_e32 v26, v26, v33
	v_ldexp_f32 v70, v26, 1
	v_mul_f32_e32 v33, v30, v34
	v_mov_b32_e32 v26, 0x3f317218
	s_mov_b32 s13, 0x3f317218
	v_pk_mul_f32 v[26:27], v[32:33], v[26:27]
	v_fma_f32 v34, v32, s13, -v26
	v_ldexp_f32 v35, v30, 1
	v_fmac_f32_e32 v34, 0xb102e308, v32
	v_pk_add_f32 v[32:33], v[26:27], v[34:35]
	v_sub_f32_e32 v30, v33, v35
	v_sub_f32_e32 v30, v27, v30
	v_add_f32_e32 v71, v70, v30
	v_mov_b32_e32 v70, v26
	v_pk_add_f32 v[26:27], v[32:33], v[26:27] neg_lo:[0,1] neg_hi:[0,1]
	v_pk_add_f32 v[80:81], v[32:33], v[70:71]
	v_mov_b32_e32 v27, v81
	v_mov_b32_e32 v35, v32
	v_pk_add_f32 v[82:83], v[34:35], v[26:27] neg_lo:[0,1] neg_hi:[0,1]
	v_pk_add_f32 v[26:27], v[34:35], v[26:27]
	v_mov_b32_e32 v30, v27
	v_pk_add_f32 v[34:35], v[30:31], v[32:33] neg_lo:[0,1] neg_hi:[0,1]
	v_mov_b32_e32 v35, v34
	v_pk_add_f32 v[84:85], v[80:81], v[34:35] neg_lo:[0,1] neg_hi:[0,1]
	v_mov_b32_e32 v26, v81
	v_mov_b32_e32 v80, v33
	;; [unrolled: 1-line block ×4, first 2 shown]
	v_pk_add_f32 v[26:27], v[26:27], v[80:81] neg_lo:[0,1] neg_hi:[0,1]
	v_mov_b32_e32 v34, v71
	v_mov_b32_e32 v35, v32
	v_pk_add_f32 v[26:27], v[34:35], v[26:27] neg_lo:[0,1] neg_hi:[0,1]
	v_mov_b32_e32 v84, v82
	v_pk_add_f32 v[32:33], v[84:85], v[26:27]
	v_mov_b32_e32 v34, v33
	v_pk_add_f32 v[34:35], v[32:33], v[34:35]
	v_pk_add_f32 v[70:71], v[30:31], v[34:35]
	v_mov_b32_e32 v33, v70
	v_pk_add_f32 v[80:81], v[32:33], v[82:83] neg_lo:[0,1] neg_hi:[0,1]
	v_mov_b32_e32 v27, v34
	v_sub_f32_e32 v30, v32, v80
	v_pk_add_f32 v[26:27], v[26:27], v[80:81] neg_lo:[0,1] neg_hi:[0,1]
	v_sub_f32_e32 v30, v82, v30
	s_mov_b32 s38, 0x7f800000
	v_add_f32_e32 v26, v26, v30
	s_mov_b32 s13, 0x33800000
	v_add_f32_e32 v26, v26, v27
	v_cmp_eq_f32_e32 vcc, s38, v86
	v_cmp_lt_f32_e64 s[38:39], |v86|, s13
	v_add_f32_e32 v26, v70, v26
	s_or_b64 vcc, vcc, s[38:39]
	v_cndmask_b32_e32 v26, v26, v86, vcc
	v_add_f32_e32 v26, v31, v26
	v_cvt_f16_f32_e32 v27, v26
	v_cvt_f32_f16_e32 v30, v27
	v_mov_b32_e32 v26, v27
.LBB353_81:
	s_or_b64 exec, exec, s[36:37]
	v_cvt_f32_f16_sdwa v70, v19 dst_sel:DWORD dst_unused:UNUSED_PAD src0_sel:WORD_1
	v_max_f32_e32 v31, v30, v30
	v_cmp_u_f16_e32 vcc, v27, v27
	v_cmp_u_f16_sdwa s[36:37], v19, v19 src0_sel:WORD_1 src1_sel:WORD_1
	v_min_f32_e32 v32, v31, v70
	v_max_f32_e32 v31, v31, v70
	v_cndmask_b32_e32 v32, v32, v30, vcc
	v_cndmask_b32_e32 v31, v31, v30, vcc
	v_cndmask_b32_e64 v32, v32, v70, s[36:37]
	v_cndmask_b32_e64 v31, v31, v70, s[36:37]
	s_movk_i32 s13, 0x1f8
	v_cmp_neq_f32_e32 vcc, v32, v31
	v_cmp_class_f32_e64 s[38:39], v32, s13
	s_or_b64 vcc, vcc, s[38:39]
	s_and_saveexec_b64 s[38:39], vcc
	s_cbranch_execz .LBB353_83
; %bb.82:
	v_sub_f32_e32 v26, v32, v31
	s_mov_b32 s40, 0x3fb8aa3b
	v_mul_f32_e32 v27, 0x3fb8aa3b, v26
	v_fma_f32 v30, v26, s40, -v27
	v_rndne_f32_e32 v32, v27
	v_fmac_f32_e32 v30, 0x32a5705f, v26
	v_sub_f32_e32 v27, v27, v32
	v_add_f32_e32 v27, v27, v30
	v_exp_f32_e32 v27, v27
	v_cvt_i32_f32_e32 v30, v32
	s_mov_b32 s40, 0xc2ce8ed0
	v_cmp_ngt_f32_e32 vcc, s40, v26
	s_mov_b32 s40, 0x42b17218
	v_ldexp_f32 v27, v27, v30
	v_cndmask_b32_e32 v27, 0, v27, vcc
	v_mov_b32_e32 v30, 0x7f800000
	v_cmp_nlt_f32_e32 vcc, s40, v26
	v_cndmask_b32_e32 v71, v30, v27, vcc
	v_add_f32_e32 v30, 1.0, v71
	v_add_f32_e32 v26, -1.0, v30
	v_sub_f32_e32 v27, v26, v30
	v_add_f32_e32 v27, 1.0, v27
	v_sub_f32_e32 v26, v71, v26
	v_add_f32_e32 v32, v26, v27
	v_frexp_mant_f32_e32 v33, v30
	s_mov_b32 s40, 0x3f2aaaab
	v_cvt_f64_f32_e32 v[26:27], v30
	v_frexp_exp_i32_f64_e32 v26, v[26:27]
	v_cmp_gt_f32_e32 vcc, s40, v33
	v_subbrev_co_u32_e32 v82, vcc, 0, v26, vcc
	v_sub_u32_e32 v26, 0, v82
	v_ldexp_f32 v27, v30, v26
	v_add_f32_e32 v30, -1.0, v27
	v_add_f32_e32 v33, 1.0, v27
	v_ldexp_f32 v26, v32, v26
	v_add_f32_e32 v32, 1.0, v30
	v_add_f32_e32 v34, -1.0, v33
	v_sub_f32_e32 v32, v27, v32
	v_sub_f32_e32 v27, v27, v34
	v_add_f32_e32 v32, v26, v32
	v_add_f32_e32 v26, v26, v27
	;; [unrolled: 1-line block ×3, first 2 shown]
	v_rcp_f32_e32 v85, v83
	v_sub_f32_e32 v27, v33, v83
	v_add_f32_e32 v84, v26, v27
	v_add_f32_e32 v27, v30, v32
	v_sub_f32_e32 v26, v30, v27
	v_mul_f32_e32 v86, v27, v85
	v_add_f32_e32 v30, v32, v26
	v_mul_f32_e32 v32, v83, v86
	v_fma_f32 v34, v86, v83, -v32
	v_fmac_f32_e32 v34, v86, v84
	v_add_f32_e32 v26, v32, v34
	v_sub_f32_e32 v33, v27, v26
	v_pk_add_f32 v[80:81], v[26:27], v[32:33] neg_lo:[0,1] neg_hi:[0,1]
	v_mov_b32_e32 v35, v26
	v_pk_add_f32 v[26:27], v[80:81], v[34:35] neg_lo:[0,1] neg_hi:[0,1]
	v_add_f32_e32 v27, v30, v27
	v_add_f32_e32 v26, v26, v27
	;; [unrolled: 1-line block ×3, first 2 shown]
	v_mul_f32_e32 v30, v85, v27
	v_mul_f32_e32 v32, v83, v30
	v_fma_f32 v34, v30, v83, -v32
	v_fmac_f32_e32 v34, v30, v84
	v_sub_f32_e32 v33, v33, v27
	v_add_f32_e32 v83, v26, v33
	v_add_f32_e32 v26, v32, v34
	v_sub_f32_e32 v33, v27, v26
	v_pk_add_f32 v[80:81], v[26:27], v[32:33] neg_lo:[0,1] neg_hi:[0,1]
	v_mov_b32_e32 v35, v26
	v_pk_add_f32 v[26:27], v[80:81], v[34:35] neg_lo:[0,1] neg_hi:[0,1]
	v_add_f32_e32 v27, v83, v27
	v_add_f32_e32 v26, v26, v27
	;; [unrolled: 1-line block ×4, first 2 shown]
	v_sub_f32_e32 v27, v33, v86
	v_mul_f32_e32 v26, v85, v26
	v_sub_f32_e32 v27, v30, v27
	v_add_f32_e32 v26, v27, v26
	v_add_f32_e32 v30, v33, v26
	v_mul_f32_e32 v34, v30, v30
	v_mov_b32_e32 v32, 0x3ecc95a3
	v_fmac_f32_e32 v32, 0x3e9b6dac, v34
	v_mov_b32_e32 v27, 0x3f2aaada
	v_fmac_f32_e32 v27, v34, v32
	v_cvt_f32_i32_e32 v32, v82
	v_sub_f32_e32 v33, v30, v33
	v_sub_f32_e32 v26, v26, v33
	v_ldexp_f32 v80, v26, 1
	v_mul_f32_e32 v33, v30, v34
	v_mov_b32_e32 v26, 0x3f317218
	s_mov_b32 s40, 0x3f317218
	v_pk_mul_f32 v[26:27], v[32:33], v[26:27]
	v_fma_f32 v34, v32, s40, -v26
	v_ldexp_f32 v35, v30, 1
	v_fmac_f32_e32 v34, 0xb102e308, v32
	v_pk_add_f32 v[32:33], v[26:27], v[34:35]
	v_sub_f32_e32 v30, v33, v35
	v_sub_f32_e32 v30, v27, v30
	v_add_f32_e32 v81, v80, v30
	v_mov_b32_e32 v80, v26
	v_pk_add_f32 v[26:27], v[32:33], v[26:27] neg_lo:[0,1] neg_hi:[0,1]
	v_pk_add_f32 v[82:83], v[32:33], v[80:81]
	v_mov_b32_e32 v27, v83
	v_mov_b32_e32 v35, v32
	v_pk_add_f32 v[84:85], v[34:35], v[26:27] neg_lo:[0,1] neg_hi:[0,1]
	v_pk_add_f32 v[26:27], v[34:35], v[26:27]
	v_mov_b32_e32 v30, v27
	v_pk_add_f32 v[34:35], v[30:31], v[32:33] neg_lo:[0,1] neg_hi:[0,1]
	v_mov_b32_e32 v35, v34
	v_pk_add_f32 v[96:97], v[82:83], v[34:35] neg_lo:[0,1] neg_hi:[0,1]
	v_mov_b32_e32 v26, v83
	v_mov_b32_e32 v82, v33
	;; [unrolled: 1-line block ×4, first 2 shown]
	v_pk_add_f32 v[26:27], v[26:27], v[82:83] neg_lo:[0,1] neg_hi:[0,1]
	v_mov_b32_e32 v34, v81
	v_mov_b32_e32 v35, v32
	v_pk_add_f32 v[26:27], v[34:35], v[26:27] neg_lo:[0,1] neg_hi:[0,1]
	v_mov_b32_e32 v96, v84
	v_pk_add_f32 v[32:33], v[96:97], v[26:27]
	v_mov_b32_e32 v34, v33
	v_pk_add_f32 v[34:35], v[32:33], v[34:35]
	v_pk_add_f32 v[80:81], v[30:31], v[34:35]
	v_mov_b32_e32 v33, v80
	v_pk_add_f32 v[82:83], v[32:33], v[84:85] neg_lo:[0,1] neg_hi:[0,1]
	v_mov_b32_e32 v27, v34
	v_sub_f32_e32 v30, v32, v82
	v_pk_add_f32 v[26:27], v[26:27], v[82:83] neg_lo:[0,1] neg_hi:[0,1]
	v_sub_f32_e32 v30, v84, v30
	s_mov_b32 s41, 0x7f800000
	v_add_f32_e32 v26, v26, v30
	s_mov_b32 s40, 0x33800000
	v_add_f32_e32 v26, v26, v27
	v_cmp_eq_f32_e32 vcc, s41, v71
	v_cmp_lt_f32_e64 s[40:41], |v71|, s40
	v_add_f32_e32 v26, v80, v26
	s_or_b64 vcc, vcc, s[40:41]
	v_cndmask_b32_e32 v26, v26, v71, vcc
	v_add_f32_e32 v26, v31, v26
	v_cvt_f16_f32_e32 v27, v26
	v_cvt_f32_f16_e32 v30, v27
	v_mov_b32_e32 v26, v27
.LBB353_83:
	s_or_b64 exec, exec, s[38:39]
	v_cvt_f32_f16_e32 v71, v12
	v_max_f32_e32 v31, v30, v30
	v_cmp_u_f16_e32 vcc, v27, v27
	v_cmp_u_f16_e64 s[38:39], v12, v12
	v_min_f32_e32 v32, v31, v71
	v_max_f32_e32 v31, v31, v71
	v_cndmask_b32_e32 v32, v32, v30, vcc
	v_cndmask_b32_e32 v31, v31, v30, vcc
	v_cndmask_b32_e64 v32, v32, v71, s[38:39]
	v_cndmask_b32_e64 v31, v31, v71, s[38:39]
	v_cmp_neq_f32_e32 vcc, v32, v31
	v_cmp_class_f32_e64 s[40:41], v32, s13
	s_or_b64 vcc, vcc, s[40:41]
	s_and_saveexec_b64 s[40:41], vcc
	s_cbranch_execz .LBB353_85
; %bb.84:
	v_sub_f32_e32 v26, v32, v31
	s_mov_b32 s13, 0x3fb8aa3b
	v_mul_f32_e32 v27, 0x3fb8aa3b, v26
	v_fma_f32 v30, v26, s13, -v27
	v_rndne_f32_e32 v32, v27
	v_fmac_f32_e32 v30, 0x32a5705f, v26
	v_sub_f32_e32 v27, v27, v32
	v_add_f32_e32 v27, v27, v30
	v_exp_f32_e32 v27, v27
	v_cvt_i32_f32_e32 v30, v32
	s_mov_b32 s13, 0xc2ce8ed0
	v_cmp_ngt_f32_e32 vcc, s13, v26
	s_mov_b32 s13, 0x42b17218
	v_ldexp_f32 v27, v27, v30
	v_cndmask_b32_e32 v27, 0, v27, vcc
	v_mov_b32_e32 v30, 0x7f800000
	v_cmp_nlt_f32_e32 vcc, s13, v26
	v_cndmask_b32_e32 v86, v30, v27, vcc
	v_add_f32_e32 v30, 1.0, v86
	v_add_f32_e32 v26, -1.0, v30
	v_sub_f32_e32 v27, v26, v30
	v_add_f32_e32 v27, 1.0, v27
	v_sub_f32_e32 v26, v86, v26
	v_add_f32_e32 v32, v26, v27
	v_frexp_mant_f32_e32 v33, v30
	s_mov_b32 s13, 0x3f2aaaab
	v_cvt_f64_f32_e32 v[26:27], v30
	v_frexp_exp_i32_f64_e32 v26, v[26:27]
	v_cmp_gt_f32_e32 vcc, s13, v33
	v_subbrev_co_u32_e32 v82, vcc, 0, v26, vcc
	v_sub_u32_e32 v26, 0, v82
	v_ldexp_f32 v27, v30, v26
	v_add_f32_e32 v30, -1.0, v27
	v_add_f32_e32 v33, 1.0, v27
	v_ldexp_f32 v26, v32, v26
	v_add_f32_e32 v32, 1.0, v30
	v_add_f32_e32 v34, -1.0, v33
	v_sub_f32_e32 v32, v27, v32
	v_sub_f32_e32 v27, v27, v34
	v_add_f32_e32 v32, v26, v32
	v_add_f32_e32 v26, v26, v27
	;; [unrolled: 1-line block ×3, first 2 shown]
	v_rcp_f32_e32 v85, v83
	v_sub_f32_e32 v27, v33, v83
	v_add_f32_e32 v84, v26, v27
	v_add_f32_e32 v27, v30, v32
	v_sub_f32_e32 v26, v30, v27
	v_mul_f32_e32 v96, v27, v85
	v_add_f32_e32 v30, v32, v26
	v_mul_f32_e32 v32, v83, v96
	v_fma_f32 v34, v96, v83, -v32
	v_fmac_f32_e32 v34, v96, v84
	v_add_f32_e32 v26, v32, v34
	v_sub_f32_e32 v33, v27, v26
	v_pk_add_f32 v[80:81], v[26:27], v[32:33] neg_lo:[0,1] neg_hi:[0,1]
	v_mov_b32_e32 v35, v26
	v_pk_add_f32 v[26:27], v[80:81], v[34:35] neg_lo:[0,1] neg_hi:[0,1]
	v_add_f32_e32 v27, v30, v27
	v_add_f32_e32 v26, v26, v27
	v_add_f32_e32 v27, v33, v26
	v_mul_f32_e32 v30, v85, v27
	v_mul_f32_e32 v32, v83, v30
	v_fma_f32 v34, v30, v83, -v32
	v_fmac_f32_e32 v34, v30, v84
	v_sub_f32_e32 v33, v33, v27
	v_add_f32_e32 v83, v26, v33
	v_add_f32_e32 v26, v32, v34
	v_sub_f32_e32 v33, v27, v26
	v_pk_add_f32 v[80:81], v[26:27], v[32:33] neg_lo:[0,1] neg_hi:[0,1]
	v_mov_b32_e32 v35, v26
	v_pk_add_f32 v[26:27], v[80:81], v[34:35] neg_lo:[0,1] neg_hi:[0,1]
	v_add_f32_e32 v27, v83, v27
	v_add_f32_e32 v26, v26, v27
	;; [unrolled: 1-line block ×4, first 2 shown]
	v_sub_f32_e32 v27, v33, v96
	v_mul_f32_e32 v26, v85, v26
	v_sub_f32_e32 v27, v30, v27
	v_add_f32_e32 v26, v27, v26
	v_add_f32_e32 v30, v33, v26
	v_mul_f32_e32 v34, v30, v30
	v_mov_b32_e32 v32, 0x3ecc95a3
	v_fmac_f32_e32 v32, 0x3e9b6dac, v34
	v_mov_b32_e32 v27, 0x3f2aaada
	v_fmac_f32_e32 v27, v34, v32
	v_cvt_f32_i32_e32 v32, v82
	v_sub_f32_e32 v33, v30, v33
	v_sub_f32_e32 v26, v26, v33
	v_ldexp_f32 v80, v26, 1
	v_mul_f32_e32 v33, v30, v34
	v_mov_b32_e32 v26, 0x3f317218
	s_mov_b32 s13, 0x3f317218
	v_pk_mul_f32 v[26:27], v[32:33], v[26:27]
	v_fma_f32 v34, v32, s13, -v26
	v_ldexp_f32 v35, v30, 1
	v_fmac_f32_e32 v34, 0xb102e308, v32
	v_pk_add_f32 v[32:33], v[26:27], v[34:35]
	v_sub_f32_e32 v30, v33, v35
	v_sub_f32_e32 v30, v27, v30
	v_add_f32_e32 v81, v80, v30
	v_mov_b32_e32 v80, v26
	v_pk_add_f32 v[26:27], v[32:33], v[26:27] neg_lo:[0,1] neg_hi:[0,1]
	v_pk_add_f32 v[82:83], v[32:33], v[80:81]
	v_mov_b32_e32 v27, v83
	v_mov_b32_e32 v35, v32
	v_pk_add_f32 v[84:85], v[34:35], v[26:27] neg_lo:[0,1] neg_hi:[0,1]
	v_pk_add_f32 v[26:27], v[34:35], v[26:27]
	v_mov_b32_e32 v30, v27
	v_pk_add_f32 v[34:35], v[30:31], v[32:33] neg_lo:[0,1] neg_hi:[0,1]
	v_mov_b32_e32 v35, v34
	v_pk_add_f32 v[96:97], v[82:83], v[34:35] neg_lo:[0,1] neg_hi:[0,1]
	v_mov_b32_e32 v26, v83
	v_mov_b32_e32 v82, v33
	;; [unrolled: 1-line block ×4, first 2 shown]
	v_pk_add_f32 v[26:27], v[26:27], v[82:83] neg_lo:[0,1] neg_hi:[0,1]
	v_mov_b32_e32 v34, v81
	v_mov_b32_e32 v35, v32
	v_pk_add_f32 v[26:27], v[34:35], v[26:27] neg_lo:[0,1] neg_hi:[0,1]
	v_mov_b32_e32 v96, v84
	v_pk_add_f32 v[32:33], v[96:97], v[26:27]
	v_mov_b32_e32 v34, v33
	v_pk_add_f32 v[34:35], v[32:33], v[34:35]
	v_pk_add_f32 v[80:81], v[30:31], v[34:35]
	v_mov_b32_e32 v33, v80
	v_pk_add_f32 v[82:83], v[32:33], v[84:85] neg_lo:[0,1] neg_hi:[0,1]
	v_mov_b32_e32 v27, v34
	v_sub_f32_e32 v30, v32, v82
	v_pk_add_f32 v[26:27], v[26:27], v[82:83] neg_lo:[0,1] neg_hi:[0,1]
	v_sub_f32_e32 v30, v84, v30
	s_mov_b32 s42, 0x7f800000
	v_add_f32_e32 v26, v26, v30
	s_mov_b32 s13, 0x33800000
	v_add_f32_e32 v26, v26, v27
	v_cmp_eq_f32_e32 vcc, s42, v86
	v_cmp_lt_f32_e64 s[42:43], |v86|, s13
	v_add_f32_e32 v26, v80, v26
	s_or_b64 vcc, vcc, s[42:43]
	v_cndmask_b32_e32 v26, v26, v86, vcc
	v_add_f32_e32 v26, v31, v26
	v_cvt_f16_f32_e32 v27, v26
	v_cvt_f32_f16_e32 v30, v27
	v_mov_b32_e32 v26, v27
.LBB353_85:
	s_or_b64 exec, exec, s[40:41]
	v_cvt_f32_f16_sdwa v80, v12 dst_sel:DWORD dst_unused:UNUSED_PAD src0_sel:WORD_1
	v_max_f32_e32 v31, v30, v30
	v_cmp_u_f16_e32 vcc, v27, v27
	v_cmp_u_f16_sdwa s[40:41], v12, v12 src0_sel:WORD_1 src1_sel:WORD_1
	v_min_f32_e32 v32, v31, v80
	v_max_f32_e32 v31, v31, v80
	v_cndmask_b32_e32 v32, v32, v30, vcc
	v_cndmask_b32_e32 v31, v31, v30, vcc
	v_cndmask_b32_e64 v32, v32, v80, s[40:41]
	v_cndmask_b32_e64 v31, v31, v80, s[40:41]
	s_movk_i32 s13, 0x1f8
	v_cmp_neq_f32_e32 vcc, v32, v31
	v_cmp_class_f32_e64 s[42:43], v32, s13
	s_or_b64 vcc, vcc, s[42:43]
	s_and_saveexec_b64 s[42:43], vcc
	s_cbranch_execz .LBB353_87
; %bb.86:
	v_sub_f32_e32 v26, v32, v31
	s_mov_b32 s44, 0x3fb8aa3b
	v_mul_f32_e32 v27, 0x3fb8aa3b, v26
	v_fma_f32 v30, v26, s44, -v27
	v_rndne_f32_e32 v32, v27
	v_fmac_f32_e32 v30, 0x32a5705f, v26
	v_sub_f32_e32 v27, v27, v32
	v_add_f32_e32 v27, v27, v30
	v_exp_f32_e32 v27, v27
	v_cvt_i32_f32_e32 v30, v32
	s_mov_b32 s44, 0xc2ce8ed0
	v_cmp_ngt_f32_e32 vcc, s44, v26
	s_mov_b32 s44, 0x42b17218
	v_ldexp_f32 v27, v27, v30
	v_cndmask_b32_e32 v27, 0, v27, vcc
	v_mov_b32_e32 v30, 0x7f800000
	v_cmp_nlt_f32_e32 vcc, s44, v26
	v_cndmask_b32_e32 v81, v30, v27, vcc
	v_add_f32_e32 v30, 1.0, v81
	v_add_f32_e32 v26, -1.0, v30
	v_sub_f32_e32 v27, v26, v30
	v_add_f32_e32 v27, 1.0, v27
	v_sub_f32_e32 v26, v81, v26
	v_add_f32_e32 v32, v26, v27
	v_frexp_mant_f32_e32 v33, v30
	s_mov_b32 s44, 0x3f2aaaab
	v_cvt_f64_f32_e32 v[26:27], v30
	v_frexp_exp_i32_f64_e32 v26, v[26:27]
	v_cmp_gt_f32_e32 vcc, s44, v33
	v_subbrev_co_u32_e32 v84, vcc, 0, v26, vcc
	v_sub_u32_e32 v26, 0, v84
	v_ldexp_f32 v27, v30, v26
	v_add_f32_e32 v30, -1.0, v27
	v_add_f32_e32 v33, 1.0, v27
	v_ldexp_f32 v26, v32, v26
	v_add_f32_e32 v32, 1.0, v30
	v_add_f32_e32 v34, -1.0, v33
	v_sub_f32_e32 v32, v27, v32
	v_sub_f32_e32 v27, v27, v34
	v_add_f32_e32 v32, v26, v32
	v_add_f32_e32 v26, v26, v27
	;; [unrolled: 1-line block ×3, first 2 shown]
	v_rcp_f32_e32 v96, v85
	v_sub_f32_e32 v27, v33, v85
	v_add_f32_e32 v86, v26, v27
	v_add_f32_e32 v27, v30, v32
	v_sub_f32_e32 v26, v30, v27
	v_mul_f32_e32 v97, v27, v96
	v_add_f32_e32 v30, v32, v26
	v_mul_f32_e32 v32, v85, v97
	v_fma_f32 v34, v97, v85, -v32
	v_fmac_f32_e32 v34, v97, v86
	v_add_f32_e32 v26, v32, v34
	v_sub_f32_e32 v33, v27, v26
	v_pk_add_f32 v[82:83], v[26:27], v[32:33] neg_lo:[0,1] neg_hi:[0,1]
	v_mov_b32_e32 v35, v26
	v_pk_add_f32 v[26:27], v[82:83], v[34:35] neg_lo:[0,1] neg_hi:[0,1]
	v_add_f32_e32 v27, v30, v27
	v_add_f32_e32 v26, v26, v27
	;; [unrolled: 1-line block ×3, first 2 shown]
	v_mul_f32_e32 v30, v96, v27
	v_mul_f32_e32 v32, v85, v30
	v_fma_f32 v34, v30, v85, -v32
	v_fmac_f32_e32 v34, v30, v86
	v_sub_f32_e32 v33, v33, v27
	v_add_f32_e32 v85, v26, v33
	v_add_f32_e32 v26, v32, v34
	v_sub_f32_e32 v33, v27, v26
	v_pk_add_f32 v[82:83], v[26:27], v[32:33] neg_lo:[0,1] neg_hi:[0,1]
	v_mov_b32_e32 v35, v26
	v_pk_add_f32 v[26:27], v[82:83], v[34:35] neg_lo:[0,1] neg_hi:[0,1]
	v_add_f32_e32 v27, v85, v27
	v_add_f32_e32 v26, v26, v27
	;; [unrolled: 1-line block ×4, first 2 shown]
	v_sub_f32_e32 v27, v33, v97
	v_mul_f32_e32 v26, v96, v26
	v_sub_f32_e32 v27, v30, v27
	v_add_f32_e32 v26, v27, v26
	v_add_f32_e32 v30, v33, v26
	v_mul_f32_e32 v34, v30, v30
	v_mov_b32_e32 v32, 0x3ecc95a3
	v_fmac_f32_e32 v32, 0x3e9b6dac, v34
	v_mov_b32_e32 v27, 0x3f2aaada
	v_fmac_f32_e32 v27, v34, v32
	v_cvt_f32_i32_e32 v32, v84
	v_sub_f32_e32 v33, v30, v33
	v_sub_f32_e32 v26, v26, v33
	v_ldexp_f32 v82, v26, 1
	v_mul_f32_e32 v33, v30, v34
	v_mov_b32_e32 v26, 0x3f317218
	s_mov_b32 s44, 0x3f317218
	v_pk_mul_f32 v[26:27], v[32:33], v[26:27]
	v_fma_f32 v34, v32, s44, -v26
	v_ldexp_f32 v35, v30, 1
	v_fmac_f32_e32 v34, 0xb102e308, v32
	v_pk_add_f32 v[32:33], v[26:27], v[34:35]
	v_sub_f32_e32 v30, v33, v35
	v_sub_f32_e32 v30, v27, v30
	v_add_f32_e32 v83, v82, v30
	v_mov_b32_e32 v82, v26
	v_pk_add_f32 v[26:27], v[32:33], v[26:27] neg_lo:[0,1] neg_hi:[0,1]
	v_pk_add_f32 v[84:85], v[32:33], v[82:83]
	v_mov_b32_e32 v27, v85
	v_mov_b32_e32 v35, v32
	v_pk_add_f32 v[96:97], v[34:35], v[26:27] neg_lo:[0,1] neg_hi:[0,1]
	v_pk_add_f32 v[26:27], v[34:35], v[26:27]
	v_mov_b32_e32 v30, v27
	v_pk_add_f32 v[34:35], v[30:31], v[32:33] neg_lo:[0,1] neg_hi:[0,1]
	v_mov_b32_e32 v35, v34
	v_pk_add_f32 v[98:99], v[84:85], v[34:35] neg_lo:[0,1] neg_hi:[0,1]
	v_mov_b32_e32 v26, v85
	v_mov_b32_e32 v84, v33
	;; [unrolled: 1-line block ×4, first 2 shown]
	v_pk_add_f32 v[26:27], v[26:27], v[84:85] neg_lo:[0,1] neg_hi:[0,1]
	v_mov_b32_e32 v34, v83
	v_mov_b32_e32 v35, v32
	v_pk_add_f32 v[26:27], v[34:35], v[26:27] neg_lo:[0,1] neg_hi:[0,1]
	v_mov_b32_e32 v98, v96
	v_pk_add_f32 v[32:33], v[98:99], v[26:27]
	v_mov_b32_e32 v34, v33
	v_pk_add_f32 v[34:35], v[32:33], v[34:35]
	v_pk_add_f32 v[82:83], v[30:31], v[34:35]
	v_mov_b32_e32 v33, v82
	v_pk_add_f32 v[84:85], v[32:33], v[96:97] neg_lo:[0,1] neg_hi:[0,1]
	v_mov_b32_e32 v27, v34
	v_sub_f32_e32 v30, v32, v84
	v_pk_add_f32 v[26:27], v[26:27], v[84:85] neg_lo:[0,1] neg_hi:[0,1]
	v_sub_f32_e32 v30, v96, v30
	s_mov_b32 s45, 0x7f800000
	v_add_f32_e32 v26, v26, v30
	s_mov_b32 s44, 0x33800000
	v_add_f32_e32 v26, v26, v27
	v_cmp_eq_f32_e32 vcc, s45, v81
	v_cmp_lt_f32_e64 s[44:45], |v81|, s44
	v_add_f32_e32 v26, v82, v26
	s_or_b64 vcc, vcc, s[44:45]
	v_cndmask_b32_e32 v26, v26, v81, vcc
	v_add_f32_e32 v26, v31, v26
	v_cvt_f16_f32_e32 v27, v26
	v_cvt_f32_f16_e32 v30, v27
	v_mov_b32_e32 v26, v27
.LBB353_87:
	s_or_b64 exec, exec, s[42:43]
	v_cvt_f32_f16_e32 v81, v13
	v_max_f32_e32 v31, v30, v30
	v_cmp_u_f16_e32 vcc, v27, v27
	v_cmp_u_f16_e64 s[42:43], v13, v13
	v_min_f32_e32 v32, v31, v81
	v_max_f32_e32 v31, v31, v81
	v_cndmask_b32_e32 v32, v32, v30, vcc
	v_cndmask_b32_e32 v31, v31, v30, vcc
	v_cndmask_b32_e64 v32, v32, v81, s[42:43]
	v_cndmask_b32_e64 v31, v31, v81, s[42:43]
	v_cmp_neq_f32_e32 vcc, v32, v31
	v_cmp_class_f32_e64 s[44:45], v32, s13
	s_or_b64 vcc, vcc, s[44:45]
	s_and_saveexec_b64 s[44:45], vcc
	s_cbranch_execz .LBB353_89
; %bb.88:
	v_sub_f32_e32 v26, v32, v31
	s_mov_b32 s13, 0x3fb8aa3b
	v_mul_f32_e32 v27, 0x3fb8aa3b, v26
	v_fma_f32 v30, v26, s13, -v27
	v_rndne_f32_e32 v32, v27
	v_fmac_f32_e32 v30, 0x32a5705f, v26
	v_sub_f32_e32 v27, v27, v32
	v_add_f32_e32 v27, v27, v30
	v_exp_f32_e32 v27, v27
	v_cvt_i32_f32_e32 v30, v32
	s_mov_b32 s13, 0xc2ce8ed0
	v_cmp_ngt_f32_e32 vcc, s13, v26
	s_mov_b32 s13, 0x42b17218
	v_ldexp_f32 v27, v27, v30
	v_cndmask_b32_e32 v27, 0, v27, vcc
	v_mov_b32_e32 v30, 0x7f800000
	v_cmp_nlt_f32_e32 vcc, s13, v26
	v_cndmask_b32_e32 v86, v30, v27, vcc
	v_add_f32_e32 v30, 1.0, v86
	v_add_f32_e32 v26, -1.0, v30
	v_sub_f32_e32 v27, v26, v30
	v_add_f32_e32 v27, 1.0, v27
	v_sub_f32_e32 v26, v86, v26
	v_add_f32_e32 v32, v26, v27
	v_frexp_mant_f32_e32 v33, v30
	s_mov_b32 s13, 0x3f2aaaab
	v_cvt_f64_f32_e32 v[26:27], v30
	v_frexp_exp_i32_f64_e32 v26, v[26:27]
	v_cmp_gt_f32_e32 vcc, s13, v33
	v_subbrev_co_u32_e32 v84, vcc, 0, v26, vcc
	v_sub_u32_e32 v26, 0, v84
	v_ldexp_f32 v27, v30, v26
	v_add_f32_e32 v30, -1.0, v27
	v_add_f32_e32 v33, 1.0, v27
	v_ldexp_f32 v26, v32, v26
	v_add_f32_e32 v32, 1.0, v30
	v_add_f32_e32 v34, -1.0, v33
	v_sub_f32_e32 v32, v27, v32
	v_sub_f32_e32 v27, v27, v34
	v_add_f32_e32 v32, v26, v32
	v_add_f32_e32 v26, v26, v27
	;; [unrolled: 1-line block ×3, first 2 shown]
	v_rcp_f32_e32 v97, v85
	v_sub_f32_e32 v27, v33, v85
	v_add_f32_e32 v96, v26, v27
	v_add_f32_e32 v27, v30, v32
	v_sub_f32_e32 v26, v30, v27
	v_mul_f32_e32 v98, v27, v97
	v_add_f32_e32 v30, v32, v26
	v_mul_f32_e32 v32, v85, v98
	v_fma_f32 v34, v98, v85, -v32
	v_fmac_f32_e32 v34, v98, v96
	v_add_f32_e32 v26, v32, v34
	v_sub_f32_e32 v33, v27, v26
	v_pk_add_f32 v[82:83], v[26:27], v[32:33] neg_lo:[0,1] neg_hi:[0,1]
	v_mov_b32_e32 v35, v26
	v_pk_add_f32 v[26:27], v[82:83], v[34:35] neg_lo:[0,1] neg_hi:[0,1]
	v_add_f32_e32 v27, v30, v27
	v_add_f32_e32 v26, v26, v27
	;; [unrolled: 1-line block ×3, first 2 shown]
	v_mul_f32_e32 v30, v97, v27
	v_mul_f32_e32 v32, v85, v30
	v_fma_f32 v34, v30, v85, -v32
	v_fmac_f32_e32 v34, v30, v96
	v_sub_f32_e32 v33, v33, v27
	v_add_f32_e32 v85, v26, v33
	v_add_f32_e32 v26, v32, v34
	v_sub_f32_e32 v33, v27, v26
	v_pk_add_f32 v[82:83], v[26:27], v[32:33] neg_lo:[0,1] neg_hi:[0,1]
	v_mov_b32_e32 v35, v26
	v_pk_add_f32 v[26:27], v[82:83], v[34:35] neg_lo:[0,1] neg_hi:[0,1]
	v_add_f32_e32 v27, v85, v27
	v_add_f32_e32 v26, v26, v27
	;; [unrolled: 1-line block ×4, first 2 shown]
	v_sub_f32_e32 v27, v33, v98
	v_mul_f32_e32 v26, v97, v26
	v_sub_f32_e32 v27, v30, v27
	v_add_f32_e32 v26, v27, v26
	v_add_f32_e32 v30, v33, v26
	v_mul_f32_e32 v34, v30, v30
	v_mov_b32_e32 v32, 0x3ecc95a3
	v_fmac_f32_e32 v32, 0x3e9b6dac, v34
	v_mov_b32_e32 v27, 0x3f2aaada
	v_fmac_f32_e32 v27, v34, v32
	v_cvt_f32_i32_e32 v32, v84
	v_sub_f32_e32 v33, v30, v33
	v_sub_f32_e32 v26, v26, v33
	v_ldexp_f32 v82, v26, 1
	v_mul_f32_e32 v33, v30, v34
	v_mov_b32_e32 v26, 0x3f317218
	s_mov_b32 s13, 0x3f317218
	v_pk_mul_f32 v[26:27], v[32:33], v[26:27]
	v_fma_f32 v34, v32, s13, -v26
	v_ldexp_f32 v35, v30, 1
	v_fmac_f32_e32 v34, 0xb102e308, v32
	v_pk_add_f32 v[32:33], v[26:27], v[34:35]
	v_sub_f32_e32 v30, v33, v35
	v_sub_f32_e32 v30, v27, v30
	v_add_f32_e32 v83, v82, v30
	v_mov_b32_e32 v82, v26
	v_pk_add_f32 v[26:27], v[32:33], v[26:27] neg_lo:[0,1] neg_hi:[0,1]
	v_pk_add_f32 v[84:85], v[32:33], v[82:83]
	v_mov_b32_e32 v27, v85
	v_mov_b32_e32 v35, v32
	v_pk_add_f32 v[96:97], v[34:35], v[26:27] neg_lo:[0,1] neg_hi:[0,1]
	v_pk_add_f32 v[26:27], v[34:35], v[26:27]
	v_mov_b32_e32 v30, v27
	v_pk_add_f32 v[34:35], v[30:31], v[32:33] neg_lo:[0,1] neg_hi:[0,1]
	v_mov_b32_e32 v35, v34
	v_pk_add_f32 v[98:99], v[84:85], v[34:35] neg_lo:[0,1] neg_hi:[0,1]
	v_mov_b32_e32 v26, v85
	v_mov_b32_e32 v84, v33
	;; [unrolled: 1-line block ×4, first 2 shown]
	v_pk_add_f32 v[26:27], v[26:27], v[84:85] neg_lo:[0,1] neg_hi:[0,1]
	v_mov_b32_e32 v34, v83
	v_mov_b32_e32 v35, v32
	v_pk_add_f32 v[26:27], v[34:35], v[26:27] neg_lo:[0,1] neg_hi:[0,1]
	v_mov_b32_e32 v98, v96
	v_pk_add_f32 v[32:33], v[98:99], v[26:27]
	v_mov_b32_e32 v34, v33
	v_pk_add_f32 v[34:35], v[32:33], v[34:35]
	v_pk_add_f32 v[82:83], v[30:31], v[34:35]
	v_mov_b32_e32 v33, v82
	v_pk_add_f32 v[84:85], v[32:33], v[96:97] neg_lo:[0,1] neg_hi:[0,1]
	v_mov_b32_e32 v27, v34
	v_sub_f32_e32 v30, v32, v84
	v_pk_add_f32 v[26:27], v[26:27], v[84:85] neg_lo:[0,1] neg_hi:[0,1]
	v_sub_f32_e32 v30, v96, v30
	s_mov_b32 s46, 0x7f800000
	v_add_f32_e32 v26, v26, v30
	s_mov_b32 s13, 0x33800000
	v_add_f32_e32 v26, v26, v27
	v_cmp_eq_f32_e32 vcc, s46, v86
	v_cmp_lt_f32_e64 s[46:47], |v86|, s13
	v_add_f32_e32 v26, v82, v26
	s_or_b64 vcc, vcc, s[46:47]
	v_cndmask_b32_e32 v26, v26, v86, vcc
	v_add_f32_e32 v26, v31, v26
	v_cvt_f16_f32_e32 v27, v26
	v_cvt_f32_f16_e32 v30, v27
	v_mov_b32_e32 v26, v27
.LBB353_89:
	s_or_b64 exec, exec, s[44:45]
	v_cvt_f32_f16_sdwa v82, v13 dst_sel:DWORD dst_unused:UNUSED_PAD src0_sel:WORD_1
	v_max_f32_e32 v31, v30, v30
	v_cmp_u_f16_e32 vcc, v27, v27
	v_cmp_u_f16_sdwa s[44:45], v13, v13 src0_sel:WORD_1 src1_sel:WORD_1
	v_min_f32_e32 v32, v31, v82
	v_max_f32_e32 v31, v31, v82
	v_cndmask_b32_e32 v32, v32, v30, vcc
	v_cndmask_b32_e32 v31, v31, v30, vcc
	v_cndmask_b32_e64 v32, v32, v82, s[44:45]
	v_cndmask_b32_e64 v31, v31, v82, s[44:45]
	s_movk_i32 s13, 0x1f8
	v_cmp_neq_f32_e32 vcc, v32, v31
	v_cmp_class_f32_e64 s[46:47], v32, s13
	s_or_b64 vcc, vcc, s[46:47]
	s_and_saveexec_b64 s[46:47], vcc
	s_cbranch_execz .LBB353_91
; %bb.90:
	v_sub_f32_e32 v26, v32, v31
	s_mov_b32 s48, 0x3fb8aa3b
	v_mul_f32_e32 v27, 0x3fb8aa3b, v26
	v_fma_f32 v30, v26, s48, -v27
	v_rndne_f32_e32 v32, v27
	v_fmac_f32_e32 v30, 0x32a5705f, v26
	v_sub_f32_e32 v27, v27, v32
	v_add_f32_e32 v27, v27, v30
	v_exp_f32_e32 v27, v27
	v_cvt_i32_f32_e32 v30, v32
	s_mov_b32 s48, 0xc2ce8ed0
	v_cmp_ngt_f32_e32 vcc, s48, v26
	s_mov_b32 s48, 0x42b17218
	v_ldexp_f32 v27, v27, v30
	v_cndmask_b32_e32 v27, 0, v27, vcc
	v_mov_b32_e32 v30, 0x7f800000
	v_cmp_nlt_f32_e32 vcc, s48, v26
	v_cndmask_b32_e32 v83, v30, v27, vcc
	v_add_f32_e32 v30, 1.0, v83
	v_add_f32_e32 v26, -1.0, v30
	v_sub_f32_e32 v27, v26, v30
	v_add_f32_e32 v27, 1.0, v27
	v_sub_f32_e32 v26, v83, v26
	v_add_f32_e32 v32, v26, v27
	v_frexp_mant_f32_e32 v33, v30
	s_mov_b32 s48, 0x3f2aaaab
	v_cvt_f64_f32_e32 v[26:27], v30
	v_frexp_exp_i32_f64_e32 v26, v[26:27]
	v_cmp_gt_f32_e32 vcc, s48, v33
	v_subbrev_co_u32_e32 v86, vcc, 0, v26, vcc
	v_sub_u32_e32 v26, 0, v86
	v_ldexp_f32 v27, v30, v26
	v_add_f32_e32 v30, -1.0, v27
	v_add_f32_e32 v33, 1.0, v27
	v_ldexp_f32 v26, v32, v26
	v_add_f32_e32 v32, 1.0, v30
	v_add_f32_e32 v34, -1.0, v33
	v_sub_f32_e32 v32, v27, v32
	v_sub_f32_e32 v27, v27, v34
	v_add_f32_e32 v32, v26, v32
	v_add_f32_e32 v26, v26, v27
	;; [unrolled: 1-line block ×3, first 2 shown]
	v_rcp_f32_e32 v98, v96
	v_sub_f32_e32 v27, v33, v96
	v_add_f32_e32 v97, v26, v27
	v_add_f32_e32 v27, v30, v32
	v_sub_f32_e32 v26, v30, v27
	v_mul_f32_e32 v99, v27, v98
	v_add_f32_e32 v30, v32, v26
	v_mul_f32_e32 v32, v96, v99
	v_fma_f32 v34, v99, v96, -v32
	v_fmac_f32_e32 v34, v99, v97
	v_add_f32_e32 v26, v32, v34
	v_sub_f32_e32 v33, v27, v26
	v_pk_add_f32 v[84:85], v[26:27], v[32:33] neg_lo:[0,1] neg_hi:[0,1]
	v_mov_b32_e32 v35, v26
	v_pk_add_f32 v[26:27], v[84:85], v[34:35] neg_lo:[0,1] neg_hi:[0,1]
	v_add_f32_e32 v27, v30, v27
	v_add_f32_e32 v26, v26, v27
	v_add_f32_e32 v27, v33, v26
	v_mul_f32_e32 v30, v98, v27
	v_mul_f32_e32 v32, v96, v30
	v_fma_f32 v34, v30, v96, -v32
	v_fmac_f32_e32 v34, v30, v97
	v_sub_f32_e32 v33, v33, v27
	v_add_f32_e32 v96, v26, v33
	v_add_f32_e32 v26, v32, v34
	v_sub_f32_e32 v33, v27, v26
	v_pk_add_f32 v[84:85], v[26:27], v[32:33] neg_lo:[0,1] neg_hi:[0,1]
	v_mov_b32_e32 v35, v26
	v_pk_add_f32 v[26:27], v[84:85], v[34:35] neg_lo:[0,1] neg_hi:[0,1]
	v_add_f32_e32 v27, v96, v27
	v_add_f32_e32 v26, v26, v27
	;; [unrolled: 1-line block ×4, first 2 shown]
	v_sub_f32_e32 v27, v33, v99
	v_mul_f32_e32 v26, v98, v26
	v_sub_f32_e32 v27, v30, v27
	v_add_f32_e32 v26, v27, v26
	v_add_f32_e32 v30, v33, v26
	v_mul_f32_e32 v34, v30, v30
	v_mov_b32_e32 v32, 0x3ecc95a3
	v_fmac_f32_e32 v32, 0x3e9b6dac, v34
	v_mov_b32_e32 v27, 0x3f2aaada
	v_fmac_f32_e32 v27, v34, v32
	v_cvt_f32_i32_e32 v32, v86
	v_sub_f32_e32 v33, v30, v33
	v_sub_f32_e32 v26, v26, v33
	v_ldexp_f32 v84, v26, 1
	v_mul_f32_e32 v33, v30, v34
	v_mov_b32_e32 v26, 0x3f317218
	s_mov_b32 s48, 0x3f317218
	v_pk_mul_f32 v[26:27], v[32:33], v[26:27]
	v_fma_f32 v34, v32, s48, -v26
	v_ldexp_f32 v35, v30, 1
	v_fmac_f32_e32 v34, 0xb102e308, v32
	v_pk_add_f32 v[32:33], v[26:27], v[34:35]
	v_sub_f32_e32 v30, v33, v35
	v_sub_f32_e32 v30, v27, v30
	v_add_f32_e32 v85, v84, v30
	v_mov_b32_e32 v84, v26
	v_pk_add_f32 v[26:27], v[32:33], v[26:27] neg_lo:[0,1] neg_hi:[0,1]
	v_pk_add_f32 v[96:97], v[32:33], v[84:85]
	v_mov_b32_e32 v27, v97
	v_mov_b32_e32 v35, v32
	v_pk_add_f32 v[98:99], v[34:35], v[26:27] neg_lo:[0,1] neg_hi:[0,1]
	v_pk_add_f32 v[26:27], v[34:35], v[26:27]
	v_mov_b32_e32 v30, v27
	v_pk_add_f32 v[34:35], v[30:31], v[32:33] neg_lo:[0,1] neg_hi:[0,1]
	v_mov_b32_e32 v35, v34
	v_pk_add_f32 v[100:101], v[96:97], v[34:35] neg_lo:[0,1] neg_hi:[0,1]
	v_mov_b32_e32 v26, v97
	v_mov_b32_e32 v96, v33
	v_mov_b32_e32 v97, v34
	v_mov_b32_e32 v99, v27
	v_pk_add_f32 v[26:27], v[26:27], v[96:97] neg_lo:[0,1] neg_hi:[0,1]
	v_mov_b32_e32 v34, v85
	v_mov_b32_e32 v35, v32
	v_pk_add_f32 v[26:27], v[34:35], v[26:27] neg_lo:[0,1] neg_hi:[0,1]
	v_mov_b32_e32 v100, v98
	v_pk_add_f32 v[32:33], v[100:101], v[26:27]
	v_mov_b32_e32 v34, v33
	v_pk_add_f32 v[34:35], v[32:33], v[34:35]
	v_pk_add_f32 v[84:85], v[30:31], v[34:35]
	v_mov_b32_e32 v33, v84
	v_pk_add_f32 v[96:97], v[32:33], v[98:99] neg_lo:[0,1] neg_hi:[0,1]
	v_mov_b32_e32 v27, v34
	v_sub_f32_e32 v30, v32, v96
	v_pk_add_f32 v[26:27], v[26:27], v[96:97] neg_lo:[0,1] neg_hi:[0,1]
	v_sub_f32_e32 v30, v98, v30
	s_mov_b32 s49, 0x7f800000
	v_add_f32_e32 v26, v26, v30
	s_mov_b32 s48, 0x33800000
	v_add_f32_e32 v26, v26, v27
	v_cmp_eq_f32_e32 vcc, s49, v83
	v_cmp_lt_f32_e64 s[48:49], |v83|, s48
	v_add_f32_e32 v26, v84, v26
	s_or_b64 vcc, vcc, s[48:49]
	v_cndmask_b32_e32 v26, v26, v83, vcc
	v_add_f32_e32 v26, v31, v26
	v_cvt_f16_f32_e32 v27, v26
	v_cvt_f32_f16_e32 v30, v27
	v_mov_b32_e32 v26, v27
.LBB353_91:
	s_or_b64 exec, exec, s[46:47]
	v_cvt_f32_f16_e32 v83, v14
	v_max_f32_e32 v31, v30, v30
	v_cmp_u_f16_e32 vcc, v27, v27
	v_cmp_u_f16_e64 s[46:47], v14, v14
	v_min_f32_e32 v32, v31, v83
	v_max_f32_e32 v31, v31, v83
	v_cndmask_b32_e32 v32, v32, v30, vcc
	v_cndmask_b32_e32 v31, v31, v30, vcc
	v_cndmask_b32_e64 v32, v32, v83, s[46:47]
	v_cndmask_b32_e64 v31, v31, v83, s[46:47]
	v_cmp_neq_f32_e32 vcc, v32, v31
	v_cmp_class_f32_e64 s[48:49], v32, s13
	s_or_b64 vcc, vcc, s[48:49]
	s_and_saveexec_b64 s[48:49], vcc
	s_cbranch_execz .LBB353_93
; %bb.92:
	v_sub_f32_e32 v26, v32, v31
	s_mov_b32 s13, 0x3fb8aa3b
	v_mul_f32_e32 v27, 0x3fb8aa3b, v26
	v_fma_f32 v30, v26, s13, -v27
	v_rndne_f32_e32 v32, v27
	v_fmac_f32_e32 v30, 0x32a5705f, v26
	v_sub_f32_e32 v27, v27, v32
	v_add_f32_e32 v27, v27, v30
	v_exp_f32_e32 v27, v27
	v_cvt_i32_f32_e32 v30, v32
	s_mov_b32 s13, 0xc2ce8ed0
	v_cmp_ngt_f32_e32 vcc, s13, v26
	s_mov_b32 s13, 0x42b17218
	v_ldexp_f32 v27, v27, v30
	v_cndmask_b32_e32 v27, 0, v27, vcc
	v_mov_b32_e32 v30, 0x7f800000
	v_cmp_nlt_f32_e32 vcc, s13, v26
	v_cndmask_b32_e32 v86, v30, v27, vcc
	v_add_f32_e32 v30, 1.0, v86
	v_add_f32_e32 v26, -1.0, v30
	v_sub_f32_e32 v27, v26, v30
	v_add_f32_e32 v27, 1.0, v27
	v_sub_f32_e32 v26, v86, v26
	v_add_f32_e32 v32, v26, v27
	v_frexp_mant_f32_e32 v33, v30
	s_mov_b32 s13, 0x3f2aaaab
	v_cvt_f64_f32_e32 v[26:27], v30
	v_frexp_exp_i32_f64_e32 v26, v[26:27]
	v_cmp_gt_f32_e32 vcc, s13, v33
	v_subbrev_co_u32_e32 v96, vcc, 0, v26, vcc
	v_sub_u32_e32 v26, 0, v96
	v_ldexp_f32 v27, v30, v26
	v_add_f32_e32 v30, -1.0, v27
	v_add_f32_e32 v33, 1.0, v27
	v_ldexp_f32 v26, v32, v26
	v_add_f32_e32 v32, 1.0, v30
	v_add_f32_e32 v34, -1.0, v33
	v_sub_f32_e32 v32, v27, v32
	v_sub_f32_e32 v27, v27, v34
	v_add_f32_e32 v32, v26, v32
	v_add_f32_e32 v26, v26, v27
	;; [unrolled: 1-line block ×3, first 2 shown]
	v_rcp_f32_e32 v99, v97
	v_sub_f32_e32 v27, v33, v97
	v_add_f32_e32 v98, v26, v27
	v_add_f32_e32 v27, v30, v32
	v_sub_f32_e32 v26, v30, v27
	v_mul_f32_e32 v100, v27, v99
	v_add_f32_e32 v30, v32, v26
	v_mul_f32_e32 v32, v97, v100
	v_fma_f32 v34, v100, v97, -v32
	v_fmac_f32_e32 v34, v100, v98
	v_add_f32_e32 v26, v32, v34
	v_sub_f32_e32 v33, v27, v26
	v_pk_add_f32 v[84:85], v[26:27], v[32:33] neg_lo:[0,1] neg_hi:[0,1]
	v_mov_b32_e32 v35, v26
	v_pk_add_f32 v[26:27], v[84:85], v[34:35] neg_lo:[0,1] neg_hi:[0,1]
	v_add_f32_e32 v27, v30, v27
	v_add_f32_e32 v26, v26, v27
	;; [unrolled: 1-line block ×3, first 2 shown]
	v_mul_f32_e32 v30, v99, v27
	v_mul_f32_e32 v32, v97, v30
	v_fma_f32 v34, v30, v97, -v32
	v_fmac_f32_e32 v34, v30, v98
	v_sub_f32_e32 v33, v33, v27
	v_add_f32_e32 v97, v26, v33
	v_add_f32_e32 v26, v32, v34
	v_sub_f32_e32 v33, v27, v26
	v_pk_add_f32 v[84:85], v[26:27], v[32:33] neg_lo:[0,1] neg_hi:[0,1]
	v_mov_b32_e32 v35, v26
	v_pk_add_f32 v[26:27], v[84:85], v[34:35] neg_lo:[0,1] neg_hi:[0,1]
	v_add_f32_e32 v27, v97, v27
	v_add_f32_e32 v26, v26, v27
	;; [unrolled: 1-line block ×4, first 2 shown]
	v_sub_f32_e32 v27, v33, v100
	v_mul_f32_e32 v26, v99, v26
	v_sub_f32_e32 v27, v30, v27
	v_add_f32_e32 v26, v27, v26
	v_add_f32_e32 v30, v33, v26
	v_mul_f32_e32 v34, v30, v30
	v_mov_b32_e32 v32, 0x3ecc95a3
	v_fmac_f32_e32 v32, 0x3e9b6dac, v34
	v_mov_b32_e32 v27, 0x3f2aaada
	v_fmac_f32_e32 v27, v34, v32
	v_cvt_f32_i32_e32 v32, v96
	v_sub_f32_e32 v33, v30, v33
	v_sub_f32_e32 v26, v26, v33
	v_ldexp_f32 v84, v26, 1
	v_mul_f32_e32 v33, v30, v34
	v_mov_b32_e32 v26, 0x3f317218
	s_mov_b32 s13, 0x3f317218
	v_pk_mul_f32 v[26:27], v[32:33], v[26:27]
	v_fma_f32 v34, v32, s13, -v26
	v_ldexp_f32 v35, v30, 1
	v_fmac_f32_e32 v34, 0xb102e308, v32
	v_pk_add_f32 v[32:33], v[26:27], v[34:35]
	v_sub_f32_e32 v30, v33, v35
	v_sub_f32_e32 v30, v27, v30
	v_add_f32_e32 v85, v84, v30
	v_mov_b32_e32 v84, v26
	v_pk_add_f32 v[26:27], v[32:33], v[26:27] neg_lo:[0,1] neg_hi:[0,1]
	v_pk_add_f32 v[96:97], v[32:33], v[84:85]
	v_mov_b32_e32 v27, v97
	v_mov_b32_e32 v35, v32
	v_pk_add_f32 v[98:99], v[34:35], v[26:27] neg_lo:[0,1] neg_hi:[0,1]
	v_pk_add_f32 v[26:27], v[34:35], v[26:27]
	v_mov_b32_e32 v30, v27
	v_pk_add_f32 v[34:35], v[30:31], v[32:33] neg_lo:[0,1] neg_hi:[0,1]
	v_mov_b32_e32 v35, v34
	v_pk_add_f32 v[100:101], v[96:97], v[34:35] neg_lo:[0,1] neg_hi:[0,1]
	v_mov_b32_e32 v26, v97
	v_mov_b32_e32 v96, v33
	;; [unrolled: 1-line block ×4, first 2 shown]
	v_pk_add_f32 v[26:27], v[26:27], v[96:97] neg_lo:[0,1] neg_hi:[0,1]
	v_mov_b32_e32 v34, v85
	v_mov_b32_e32 v35, v32
	v_pk_add_f32 v[26:27], v[34:35], v[26:27] neg_lo:[0,1] neg_hi:[0,1]
	v_mov_b32_e32 v100, v98
	v_pk_add_f32 v[32:33], v[100:101], v[26:27]
	v_mov_b32_e32 v34, v33
	v_pk_add_f32 v[34:35], v[32:33], v[34:35]
	v_pk_add_f32 v[84:85], v[30:31], v[34:35]
	v_mov_b32_e32 v33, v84
	v_pk_add_f32 v[96:97], v[32:33], v[98:99] neg_lo:[0,1] neg_hi:[0,1]
	v_mov_b32_e32 v27, v34
	v_sub_f32_e32 v30, v32, v96
	v_pk_add_f32 v[26:27], v[26:27], v[96:97] neg_lo:[0,1] neg_hi:[0,1]
	v_sub_f32_e32 v30, v98, v30
	s_mov_b32 s50, 0x7f800000
	v_add_f32_e32 v26, v26, v30
	s_mov_b32 s13, 0x33800000
	v_add_f32_e32 v26, v26, v27
	v_cmp_eq_f32_e32 vcc, s50, v86
	v_cmp_lt_f32_e64 s[50:51], |v86|, s13
	v_add_f32_e32 v26, v84, v26
	s_or_b64 vcc, vcc, s[50:51]
	v_cndmask_b32_e32 v26, v26, v86, vcc
	v_add_f32_e32 v26, v31, v26
	v_cvt_f16_f32_e32 v27, v26
	v_cvt_f32_f16_e32 v30, v27
	v_mov_b32_e32 v26, v27
.LBB353_93:
	s_or_b64 exec, exec, s[48:49]
	v_cvt_f32_f16_sdwa v84, v14 dst_sel:DWORD dst_unused:UNUSED_PAD src0_sel:WORD_1
	v_max_f32_e32 v31, v30, v30
	v_cmp_u_f16_e32 vcc, v27, v27
	v_cmp_u_f16_sdwa s[48:49], v14, v14 src0_sel:WORD_1 src1_sel:WORD_1
	v_min_f32_e32 v32, v31, v84
	v_max_f32_e32 v31, v31, v84
	v_cndmask_b32_e32 v32, v32, v30, vcc
	v_cndmask_b32_e32 v31, v31, v30, vcc
	v_cndmask_b32_e64 v32, v32, v84, s[48:49]
	v_cndmask_b32_e64 v31, v31, v84, s[48:49]
	s_movk_i32 s13, 0x1f8
	v_cmp_neq_f32_e32 vcc, v32, v31
	v_cmp_class_f32_e64 s[50:51], v32, s13
	s_or_b64 vcc, vcc, s[50:51]
	s_and_saveexec_b64 s[50:51], vcc
	s_cbranch_execz .LBB353_95
; %bb.94:
	v_sub_f32_e32 v26, v32, v31
	s_mov_b32 s52, 0x3fb8aa3b
	v_mul_f32_e32 v27, 0x3fb8aa3b, v26
	v_fma_f32 v30, v26, s52, -v27
	v_rndne_f32_e32 v32, v27
	v_fmac_f32_e32 v30, 0x32a5705f, v26
	v_sub_f32_e32 v27, v27, v32
	v_add_f32_e32 v27, v27, v30
	v_exp_f32_e32 v27, v27
	v_cvt_i32_f32_e32 v30, v32
	s_mov_b32 s52, 0xc2ce8ed0
	v_cmp_ngt_f32_e32 vcc, s52, v26
	s_mov_b32 s52, 0x42b17218
	v_ldexp_f32 v27, v27, v30
	v_cndmask_b32_e32 v27, 0, v27, vcc
	v_mov_b32_e32 v30, 0x7f800000
	v_cmp_nlt_f32_e32 vcc, s52, v26
	v_cndmask_b32_e32 v85, v30, v27, vcc
	v_add_f32_e32 v30, 1.0, v85
	v_add_f32_e32 v26, -1.0, v30
	v_sub_f32_e32 v27, v26, v30
	v_add_f32_e32 v27, 1.0, v27
	v_sub_f32_e32 v26, v85, v26
	v_add_f32_e32 v32, v26, v27
	v_frexp_mant_f32_e32 v33, v30
	s_mov_b32 s52, 0x3f2aaaab
	v_cvt_f64_f32_e32 v[26:27], v30
	v_frexp_exp_i32_f64_e32 v26, v[26:27]
	v_cmp_gt_f32_e32 vcc, s52, v33
	v_subbrev_co_u32_e32 v86, vcc, 0, v26, vcc
	v_sub_u32_e32 v26, 0, v86
	v_ldexp_f32 v27, v30, v26
	v_add_f32_e32 v30, -1.0, v27
	v_add_f32_e32 v33, 1.0, v27
	v_ldexp_f32 v26, v32, v26
	v_add_f32_e32 v32, 1.0, v30
	v_add_f32_e32 v34, -1.0, v33
	v_sub_f32_e32 v32, v27, v32
	v_sub_f32_e32 v27, v27, v34
	v_add_f32_e32 v32, v26, v32
	v_add_f32_e32 v26, v26, v27
	;; [unrolled: 1-line block ×3, first 2 shown]
	v_rcp_f32_e32 v100, v98
	v_sub_f32_e32 v27, v33, v98
	v_add_f32_e32 v99, v26, v27
	v_add_f32_e32 v27, v30, v32
	v_sub_f32_e32 v26, v30, v27
	v_mul_f32_e32 v101, v27, v100
	v_add_f32_e32 v30, v32, v26
	v_mul_f32_e32 v32, v98, v101
	v_fma_f32 v34, v101, v98, -v32
	v_fmac_f32_e32 v34, v101, v99
	v_add_f32_e32 v26, v32, v34
	v_sub_f32_e32 v33, v27, v26
	v_pk_add_f32 v[96:97], v[26:27], v[32:33] neg_lo:[0,1] neg_hi:[0,1]
	v_mov_b32_e32 v35, v26
	v_pk_add_f32 v[26:27], v[96:97], v[34:35] neg_lo:[0,1] neg_hi:[0,1]
	v_add_f32_e32 v27, v30, v27
	v_add_f32_e32 v26, v26, v27
	;; [unrolled: 1-line block ×3, first 2 shown]
	v_mul_f32_e32 v30, v100, v27
	v_mul_f32_e32 v32, v98, v30
	v_fma_f32 v34, v30, v98, -v32
	v_fmac_f32_e32 v34, v30, v99
	v_sub_f32_e32 v33, v33, v27
	v_add_f32_e32 v98, v26, v33
	v_add_f32_e32 v26, v32, v34
	v_sub_f32_e32 v33, v27, v26
	v_pk_add_f32 v[96:97], v[26:27], v[32:33] neg_lo:[0,1] neg_hi:[0,1]
	v_mov_b32_e32 v35, v26
	v_pk_add_f32 v[26:27], v[96:97], v[34:35] neg_lo:[0,1] neg_hi:[0,1]
	v_add_f32_e32 v27, v98, v27
	v_add_f32_e32 v26, v26, v27
	;; [unrolled: 1-line block ×4, first 2 shown]
	v_sub_f32_e32 v27, v33, v101
	v_mul_f32_e32 v26, v100, v26
	v_sub_f32_e32 v27, v30, v27
	v_add_f32_e32 v26, v27, v26
	v_add_f32_e32 v30, v33, v26
	v_mul_f32_e32 v34, v30, v30
	v_mov_b32_e32 v32, 0x3ecc95a3
	v_fmac_f32_e32 v32, 0x3e9b6dac, v34
	v_mov_b32_e32 v27, 0x3f2aaada
	v_fmac_f32_e32 v27, v34, v32
	v_cvt_f32_i32_e32 v32, v86
	v_sub_f32_e32 v33, v30, v33
	v_sub_f32_e32 v26, v26, v33
	v_ldexp_f32 v86, v26, 1
	v_mul_f32_e32 v33, v30, v34
	v_mov_b32_e32 v26, 0x3f317218
	s_mov_b32 s52, 0x3f317218
	v_pk_mul_f32 v[26:27], v[32:33], v[26:27]
	v_fma_f32 v34, v32, s52, -v26
	v_ldexp_f32 v35, v30, 1
	v_fmac_f32_e32 v34, 0xb102e308, v32
	v_pk_add_f32 v[32:33], v[26:27], v[34:35]
	v_sub_f32_e32 v30, v33, v35
	v_sub_f32_e32 v30, v27, v30
	v_add_f32_e32 v97, v86, v30
	v_mov_b32_e32 v96, v26
	v_pk_add_f32 v[26:27], v[32:33], v[26:27] neg_lo:[0,1] neg_hi:[0,1]
	v_pk_add_f32 v[98:99], v[32:33], v[96:97]
	v_mov_b32_e32 v27, v99
	v_mov_b32_e32 v35, v32
	v_pk_add_f32 v[100:101], v[34:35], v[26:27] neg_lo:[0,1] neg_hi:[0,1]
	v_pk_add_f32 v[26:27], v[34:35], v[26:27]
	v_mov_b32_e32 v30, v27
	v_pk_add_f32 v[34:35], v[30:31], v[32:33] neg_lo:[0,1] neg_hi:[0,1]
	v_mov_b32_e32 v35, v34
	v_pk_add_f32 v[102:103], v[98:99], v[34:35] neg_lo:[0,1] neg_hi:[0,1]
	v_mov_b32_e32 v26, v99
	v_mov_b32_e32 v98, v33
	;; [unrolled: 1-line block ×4, first 2 shown]
	v_pk_add_f32 v[26:27], v[26:27], v[98:99] neg_lo:[0,1] neg_hi:[0,1]
	v_mov_b32_e32 v34, v97
	v_mov_b32_e32 v35, v32
	v_pk_add_f32 v[26:27], v[34:35], v[26:27] neg_lo:[0,1] neg_hi:[0,1]
	v_mov_b32_e32 v102, v100
	v_pk_add_f32 v[32:33], v[102:103], v[26:27]
	v_mov_b32_e32 v34, v33
	v_pk_add_f32 v[34:35], v[32:33], v[34:35]
	v_pk_add_f32 v[96:97], v[30:31], v[34:35]
	v_mov_b32_e32 v33, v96
	v_pk_add_f32 v[98:99], v[32:33], v[100:101] neg_lo:[0,1] neg_hi:[0,1]
	v_mov_b32_e32 v27, v34
	v_sub_f32_e32 v30, v32, v98
	v_pk_add_f32 v[26:27], v[26:27], v[98:99] neg_lo:[0,1] neg_hi:[0,1]
	v_sub_f32_e32 v30, v100, v30
	s_mov_b32 s53, 0x7f800000
	v_add_f32_e32 v26, v26, v30
	s_mov_b32 s52, 0x33800000
	v_add_f32_e32 v26, v26, v27
	v_cmp_eq_f32_e32 vcc, s53, v85
	v_cmp_lt_f32_e64 s[52:53], |v85|, s52
	v_add_f32_e32 v26, v96, v26
	s_or_b64 vcc, vcc, s[52:53]
	v_cndmask_b32_e32 v26, v26, v85, vcc
	v_add_f32_e32 v26, v31, v26
	v_cvt_f16_f32_e32 v27, v26
	v_cvt_f32_f16_e32 v30, v27
	v_mov_b32_e32 v26, v27
.LBB353_95:
	s_or_b64 exec, exec, s[50:51]
	v_cvt_f32_f16_e32 v85, v15
	v_max_f32_e32 v31, v30, v30
	v_cmp_u_f16_e32 vcc, v27, v27
	v_cmp_u_f16_e64 s[50:51], v15, v15
	v_min_f32_e32 v32, v31, v85
	v_max_f32_e32 v31, v31, v85
	v_cndmask_b32_e32 v32, v32, v30, vcc
	v_cndmask_b32_e32 v31, v31, v30, vcc
	v_cndmask_b32_e64 v32, v32, v85, s[50:51]
	v_cndmask_b32_e64 v31, v31, v85, s[50:51]
	v_cmp_neq_f32_e32 vcc, v32, v31
	v_cmp_class_f32_e64 s[52:53], v32, s13
	s_or_b64 vcc, vcc, s[52:53]
	s_and_saveexec_b64 s[52:53], vcc
	s_cbranch_execz .LBB353_97
; %bb.96:
	v_sub_f32_e32 v26, v32, v31
	s_mov_b32 s13, 0x3fb8aa3b
	v_mul_f32_e32 v27, 0x3fb8aa3b, v26
	v_fma_f32 v30, v26, s13, -v27
	v_rndne_f32_e32 v32, v27
	v_fmac_f32_e32 v30, 0x32a5705f, v26
	v_sub_f32_e32 v27, v27, v32
	v_add_f32_e32 v27, v27, v30
	v_exp_f32_e32 v27, v27
	v_cvt_i32_f32_e32 v30, v32
	s_mov_b32 s13, 0xc2ce8ed0
	v_cmp_ngt_f32_e32 vcc, s13, v26
	s_mov_b32 s13, 0x42b17218
	v_ldexp_f32 v27, v27, v30
	v_cndmask_b32_e32 v27, 0, v27, vcc
	v_mov_b32_e32 v30, 0x7f800000
	v_cmp_nlt_f32_e32 vcc, s13, v26
	v_cndmask_b32_e32 v86, v30, v27, vcc
	v_add_f32_e32 v30, 1.0, v86
	v_add_f32_e32 v26, -1.0, v30
	v_sub_f32_e32 v27, v26, v30
	v_add_f32_e32 v27, 1.0, v27
	v_sub_f32_e32 v26, v86, v26
	v_add_f32_e32 v32, v26, v27
	v_frexp_mant_f32_e32 v33, v30
	s_mov_b32 s13, 0x3f2aaaab
	v_cvt_f64_f32_e32 v[26:27], v30
	v_frexp_exp_i32_f64_e32 v26, v[26:27]
	v_cmp_gt_f32_e32 vcc, s13, v33
	v_subbrev_co_u32_e32 v98, vcc, 0, v26, vcc
	v_sub_u32_e32 v26, 0, v98
	v_ldexp_f32 v27, v30, v26
	v_add_f32_e32 v30, -1.0, v27
	v_add_f32_e32 v33, 1.0, v27
	v_ldexp_f32 v26, v32, v26
	v_add_f32_e32 v32, 1.0, v30
	v_add_f32_e32 v34, -1.0, v33
	v_sub_f32_e32 v32, v27, v32
	v_sub_f32_e32 v27, v27, v34
	v_add_f32_e32 v32, v26, v32
	v_add_f32_e32 v26, v26, v27
	;; [unrolled: 1-line block ×3, first 2 shown]
	v_rcp_f32_e32 v101, v99
	v_sub_f32_e32 v27, v33, v99
	v_add_f32_e32 v100, v26, v27
	v_add_f32_e32 v27, v30, v32
	v_sub_f32_e32 v26, v30, v27
	v_mul_f32_e32 v102, v27, v101
	v_add_f32_e32 v30, v32, v26
	v_mul_f32_e32 v32, v99, v102
	v_fma_f32 v34, v102, v99, -v32
	v_fmac_f32_e32 v34, v102, v100
	v_add_f32_e32 v26, v32, v34
	v_sub_f32_e32 v33, v27, v26
	v_pk_add_f32 v[96:97], v[26:27], v[32:33] neg_lo:[0,1] neg_hi:[0,1]
	v_mov_b32_e32 v35, v26
	v_pk_add_f32 v[26:27], v[96:97], v[34:35] neg_lo:[0,1] neg_hi:[0,1]
	v_add_f32_e32 v27, v30, v27
	v_add_f32_e32 v26, v26, v27
	;; [unrolled: 1-line block ×3, first 2 shown]
	v_mul_f32_e32 v30, v101, v27
	v_mul_f32_e32 v32, v99, v30
	v_fma_f32 v34, v30, v99, -v32
	v_fmac_f32_e32 v34, v30, v100
	v_sub_f32_e32 v33, v33, v27
	v_add_f32_e32 v99, v26, v33
	v_add_f32_e32 v26, v32, v34
	v_sub_f32_e32 v33, v27, v26
	v_pk_add_f32 v[96:97], v[26:27], v[32:33] neg_lo:[0,1] neg_hi:[0,1]
	v_mov_b32_e32 v35, v26
	v_pk_add_f32 v[26:27], v[96:97], v[34:35] neg_lo:[0,1] neg_hi:[0,1]
	v_add_f32_e32 v27, v99, v27
	v_add_f32_e32 v26, v26, v27
	;; [unrolled: 1-line block ×4, first 2 shown]
	v_sub_f32_e32 v27, v33, v102
	v_mul_f32_e32 v26, v101, v26
	v_sub_f32_e32 v27, v30, v27
	v_add_f32_e32 v26, v27, v26
	v_add_f32_e32 v30, v33, v26
	v_mul_f32_e32 v34, v30, v30
	v_mov_b32_e32 v32, 0x3ecc95a3
	v_fmac_f32_e32 v32, 0x3e9b6dac, v34
	v_mov_b32_e32 v27, 0x3f2aaada
	v_fmac_f32_e32 v27, v34, v32
	v_cvt_f32_i32_e32 v32, v98
	v_sub_f32_e32 v33, v30, v33
	v_sub_f32_e32 v26, v26, v33
	v_ldexp_f32 v96, v26, 1
	v_mul_f32_e32 v33, v30, v34
	v_mov_b32_e32 v26, 0x3f317218
	s_mov_b32 s13, 0x3f317218
	v_pk_mul_f32 v[26:27], v[32:33], v[26:27]
	v_fma_f32 v34, v32, s13, -v26
	v_ldexp_f32 v35, v30, 1
	v_fmac_f32_e32 v34, 0xb102e308, v32
	v_pk_add_f32 v[32:33], v[26:27], v[34:35]
	v_sub_f32_e32 v30, v33, v35
	v_sub_f32_e32 v30, v27, v30
	v_add_f32_e32 v97, v96, v30
	v_mov_b32_e32 v96, v26
	v_pk_add_f32 v[26:27], v[32:33], v[26:27] neg_lo:[0,1] neg_hi:[0,1]
	v_pk_add_f32 v[98:99], v[32:33], v[96:97]
	v_mov_b32_e32 v27, v99
	v_mov_b32_e32 v35, v32
	v_pk_add_f32 v[100:101], v[34:35], v[26:27] neg_lo:[0,1] neg_hi:[0,1]
	v_pk_add_f32 v[26:27], v[34:35], v[26:27]
	v_mov_b32_e32 v30, v27
	v_pk_add_f32 v[34:35], v[30:31], v[32:33] neg_lo:[0,1] neg_hi:[0,1]
	v_mov_b32_e32 v35, v34
	v_pk_add_f32 v[102:103], v[98:99], v[34:35] neg_lo:[0,1] neg_hi:[0,1]
	v_mov_b32_e32 v26, v99
	v_mov_b32_e32 v98, v33
	;; [unrolled: 1-line block ×4, first 2 shown]
	v_pk_add_f32 v[26:27], v[26:27], v[98:99] neg_lo:[0,1] neg_hi:[0,1]
	v_mov_b32_e32 v34, v97
	v_mov_b32_e32 v35, v32
	v_pk_add_f32 v[26:27], v[34:35], v[26:27] neg_lo:[0,1] neg_hi:[0,1]
	v_mov_b32_e32 v102, v100
	v_pk_add_f32 v[32:33], v[102:103], v[26:27]
	v_mov_b32_e32 v34, v33
	v_pk_add_f32 v[34:35], v[32:33], v[34:35]
	v_pk_add_f32 v[96:97], v[30:31], v[34:35]
	v_mov_b32_e32 v33, v96
	v_pk_add_f32 v[98:99], v[32:33], v[100:101] neg_lo:[0,1] neg_hi:[0,1]
	v_mov_b32_e32 v27, v34
	v_sub_f32_e32 v30, v32, v98
	v_pk_add_f32 v[26:27], v[26:27], v[98:99] neg_lo:[0,1] neg_hi:[0,1]
	v_sub_f32_e32 v30, v100, v30
	s_mov_b32 s56, 0x7f800000
	v_add_f32_e32 v26, v26, v30
	s_mov_b32 s13, 0x33800000
	v_add_f32_e32 v26, v26, v27
	v_cmp_eq_f32_e32 vcc, s56, v86
	v_cmp_lt_f32_e64 s[56:57], |v86|, s13
	v_add_f32_e32 v26, v96, v26
	s_or_b64 vcc, vcc, s[56:57]
	v_cndmask_b32_e32 v26, v26, v86, vcc
	v_add_f32_e32 v26, v31, v26
	v_cvt_f16_f32_e32 v27, v26
	v_cvt_f32_f16_e32 v30, v27
	v_mov_b32_e32 v26, v27
.LBB353_97:
	s_or_b64 exec, exec, s[52:53]
	v_cvt_f32_f16_sdwa v86, v15 dst_sel:DWORD dst_unused:UNUSED_PAD src0_sel:WORD_1
	v_max_f32_e32 v32, v30, v30
	v_cmp_u_f16_e32 vcc, v27, v27
	v_cmp_u_f16_sdwa s[52:53], v15, v15 src0_sel:WORD_1 src1_sel:WORD_1
	v_min_f32_e32 v31, v32, v86
	v_cndmask_b32_e32 v27, v31, v30, vcc
	v_cndmask_b32_e64 v31, v27, v86, s[52:53]
	v_max_f32_e32 v27, v32, v86
	v_cndmask_b32_e32 v27, v27, v30, vcc
	v_cndmask_b32_e64 v27, v27, v86, s[52:53]
	s_movk_i32 s13, 0x1f8
	v_cmp_neq_f32_e32 vcc, v31, v27
	v_cmp_class_f32_e64 s[56:57], v31, s13
	s_or_b64 vcc, vcc, s[56:57]
	s_and_saveexec_b64 s[56:57], vcc
	s_cbranch_execz .LBB353_99
; %bb.98:
	v_sub_f32_e32 v26, v31, v27
	s_mov_b32 s13, 0x3fb8aa3b
	v_mul_f32_e32 v30, 0x3fb8aa3b, v26
	v_fma_f32 v31, v26, s13, -v30
	v_rndne_f32_e32 v32, v30
	v_fmac_f32_e32 v31, 0x32a5705f, v26
	v_sub_f32_e32 v30, v30, v32
	v_add_f32_e32 v30, v30, v31
	v_exp_f32_e32 v30, v30
	v_cvt_i32_f32_e32 v31, v32
	s_mov_b32 s13, 0xc2ce8ed0
	v_cmp_ngt_f32_e32 vcc, s13, v26
	s_mov_b32 s13, 0x42b17218
	v_ldexp_f32 v30, v30, v31
	v_cndmask_b32_e32 v30, 0, v30, vcc
	v_mov_b32_e32 v31, 0x7f800000
	v_cmp_nlt_f32_e32 vcc, s13, v26
	v_cndmask_b32_e32 v112, v31, v30, vcc
	v_add_f32_e32 v26, 1.0, v112
	v_add_f32_e32 v30, -1.0, v26
	v_sub_f32_e32 v31, v30, v26
	v_add_f32_e32 v31, 1.0, v31
	v_sub_f32_e32 v30, v112, v30
	v_add_f32_e32 v32, v30, v31
	v_frexp_mant_f32_e32 v33, v26
	s_mov_b32 s13, 0x3f2aaaab
	v_cvt_f64_f32_e32 v[30:31], v26
	v_frexp_exp_i32_f64_e32 v30, v[30:31]
	v_cmp_gt_f32_e32 vcc, s13, v33
	v_subbrev_co_u32_e32 v98, vcc, 0, v30, vcc
	v_sub_u32_e32 v30, 0, v98
	v_ldexp_f32 v26, v26, v30
	v_ldexp_f32 v30, v32, v30
	v_add_f32_e32 v32, -1.0, v26
	v_add_f32_e32 v31, 1.0, v32
	v_sub_f32_e32 v31, v26, v31
	v_add_f32_e32 v33, v30, v31
	v_add_f32_e32 v31, 1.0, v26
	v_add_f32_e32 v34, -1.0, v31
	v_sub_f32_e32 v26, v26, v34
	v_add_f32_e32 v26, v30, v26
	v_add_f32_e32 v99, v31, v26
	v_rcp_f32_e32 v100, v99
	v_sub_f32_e32 v30, v31, v99
	v_add_f32_e32 v31, v32, v33
	v_add_f32_e32 v26, v26, v30
	v_mul_f32_e32 v102, v31, v100
	v_sub_f32_e32 v30, v32, v31
	v_mul_f32_e32 v32, v99, v102
	v_fma_f32 v34, v102, v99, -v32
	v_fmac_f32_e32 v34, v102, v26
	v_add_f32_e32 v101, v33, v30
	v_add_f32_e32 v30, v32, v34
	v_sub_f32_e32 v33, v31, v30
	v_pk_add_f32 v[96:97], v[30:31], v[32:33] neg_lo:[0,1] neg_hi:[0,1]
	v_mov_b32_e32 v35, v30
	v_pk_add_f32 v[30:31], v[96:97], v[34:35] neg_lo:[0,1] neg_hi:[0,1]
	v_add_f32_e32 v31, v101, v31
	v_add_f32_e32 v30, v30, v31
	;; [unrolled: 1-line block ×3, first 2 shown]
	v_mul_f32_e32 v101, v100, v31
	v_mul_f32_e32 v32, v99, v101
	v_fma_f32 v34, v101, v99, -v32
	v_fmac_f32_e32 v34, v101, v26
	v_sub_f32_e32 v26, v33, v31
	v_add_f32_e32 v26, v30, v26
	v_add_f32_e32 v30, v32, v34
	v_sub_f32_e32 v33, v31, v30
	v_pk_add_f32 v[96:97], v[30:31], v[32:33] neg_lo:[0,1] neg_hi:[0,1]
	v_mov_b32_e32 v35, v30
	v_pk_add_f32 v[30:31], v[96:97], v[34:35] neg_lo:[0,1] neg_hi:[0,1]
	v_add_f32_e32 v26, v26, v31
	v_add_f32_e32 v26, v30, v26
	;; [unrolled: 1-line block ×4, first 2 shown]
	v_sub_f32_e32 v31, v30, v102
	v_mul_f32_e32 v26, v100, v26
	v_sub_f32_e32 v31, v101, v31
	v_add_f32_e32 v26, v31, v26
	v_add_f32_e32 v33, v30, v26
	v_mul_f32_e32 v34, v33, v33
	v_mov_b32_e32 v32, 0x3ecc95a3
	v_fmac_f32_e32 v32, 0x3e9b6dac, v34
	v_mov_b32_e32 v31, 0x3f2aaada
	v_fmac_f32_e32 v31, v34, v32
	v_cvt_f32_i32_e32 v32, v98
	v_sub_f32_e32 v30, v33, v30
	v_sub_f32_e32 v26, v26, v30
	v_ldexp_f32 v35, v33, 1
	v_mul_f32_e32 v33, v33, v34
	v_mov_b32_e32 v30, 0x3f317218
	s_mov_b32 s13, 0x3f317218
	v_pk_mul_f32 v[30:31], v[32:33], v[30:31]
	v_fma_f32 v34, v32, s13, -v30
	v_fmac_f32_e32 v34, 0xb102e308, v32
	v_pk_add_f32 v[32:33], v[30:31], v[34:35]
	v_sub_f32_e32 v35, v33, v35
	v_ldexp_f32 v26, v26, 1
	v_sub_f32_e32 v35, v31, v35
	v_add_f32_e32 v97, v26, v35
	v_mov_b32_e32 v96, v30
	v_pk_add_f32 v[30:31], v[32:33], v[30:31] neg_lo:[0,1] neg_hi:[0,1]
	v_pk_add_f32 v[98:99], v[32:33], v[96:97]
	v_mov_b32_e32 v31, v99
	v_mov_b32_e32 v35, v32
	v_pk_add_f32 v[100:101], v[34:35], v[30:31] neg_lo:[0,1] neg_hi:[0,1]
	v_pk_add_f32 v[30:31], v[34:35], v[30:31]
	v_mov_b32_e32 v26, v31
	v_pk_add_f32 v[34:35], v[26:27], v[32:33] neg_lo:[0,1] neg_hi:[0,1]
	v_mov_b32_e32 v35, v34
	v_pk_add_f32 v[102:103], v[98:99], v[34:35] neg_lo:[0,1] neg_hi:[0,1]
	v_mov_b32_e32 v30, v99
	v_mov_b32_e32 v98, v33
	;; [unrolled: 1-line block ×4, first 2 shown]
	v_pk_add_f32 v[30:31], v[30:31], v[98:99] neg_lo:[0,1] neg_hi:[0,1]
	v_mov_b32_e32 v34, v97
	v_mov_b32_e32 v35, v32
	v_pk_add_f32 v[30:31], v[34:35], v[30:31] neg_lo:[0,1] neg_hi:[0,1]
	v_mov_b32_e32 v102, v100
	v_pk_add_f32 v[32:33], v[102:103], v[30:31]
	v_mov_b32_e32 v34, v33
	v_pk_add_f32 v[34:35], v[32:33], v[34:35]
	v_pk_add_f32 v[96:97], v[26:27], v[34:35]
	v_mov_b32_e32 v33, v96
	v_pk_add_f32 v[98:99], v[32:33], v[100:101] neg_lo:[0,1] neg_hi:[0,1]
	v_mov_b32_e32 v31, v34
	v_sub_f32_e32 v26, v32, v98
	v_pk_add_f32 v[30:31], v[30:31], v[98:99] neg_lo:[0,1] neg_hi:[0,1]
	v_sub_f32_e32 v26, v100, v26
	s_mov_b32 s60, 0x7f800000
	v_add_f32_e32 v26, v30, v26
	s_mov_b32 s13, 0x33800000
	v_add_f32_e32 v26, v26, v31
	v_cmp_eq_f32_e32 vcc, s60, v112
	v_cmp_lt_f32_e64 s[60:61], |v112|, s13
	v_add_f32_e32 v26, v96, v26
	s_or_b64 vcc, vcc, s[60:61]
	v_cndmask_b32_e32 v26, v26, v112, vcc
	v_add_f32_e32 v26, v27, v26
	v_cvt_f16_f32_e32 v26, v26
.LBB353_99:
	s_or_b64 exec, exec, s[56:57]
	v_mbcnt_lo_u32_b32 v27, -1, 0
	v_mbcnt_hi_u32_b32 v27, -1, v27
	v_and_b32_e32 v30, 15, v27
	v_and_b32_e32 v31, 0xffff, v26
	v_cmp_ne_u32_e32 vcc, 0, v30
	s_nop 0
	v_mov_b32_dpp v32, v31 row_shr:1 row_mask:0xf bank_mask:0xf
	s_and_saveexec_b64 s[60:61], vcc
	s_cbranch_execz .LBB353_103
; %bb.100:
	v_cvt_f32_f16_e32 v33, v32
	v_cvt_f32_f16_e32 v34, v26
	v_cmp_u_f16_e32 vcc, v32, v32
	v_cmp_u_f16_e64 s[56:57], v26, v26
	s_movk_i32 s13, 0x1f8
	v_min_f32_e32 v31, v33, v34
	v_max_f32_e32 v26, v33, v34
	v_cndmask_b32_e32 v31, v31, v33, vcc
	v_cndmask_b32_e32 v26, v26, v33, vcc
	v_cndmask_b32_e64 v31, v31, v34, s[56:57]
	v_cndmask_b32_e64 v26, v26, v34, s[56:57]
	v_cmp_neq_f32_e32 vcc, v31, v26
	v_cmp_class_f32_e64 s[56:57], v31, s13
	s_or_b64 vcc, vcc, s[56:57]
	s_and_saveexec_b64 s[56:57], vcc
	s_cbranch_execz .LBB353_102
; %bb.101:
	v_sub_f32_e32 v31, v31, v26
	s_mov_b32 s13, 0x3fb8aa3b
	v_mul_f32_e32 v32, 0x3fb8aa3b, v31
	v_fma_f32 v33, v31, s13, -v32
	v_rndne_f32_e32 v34, v32
	v_fmac_f32_e32 v33, 0x32a5705f, v31
	v_sub_f32_e32 v32, v32, v34
	v_add_f32_e32 v32, v32, v33
	v_exp_f32_e32 v32, v32
	v_cvt_i32_f32_e32 v33, v34
	s_mov_b32 s13, 0xc2ce8ed0
	v_cmp_ngt_f32_e32 vcc, s13, v31
	s_mov_b32 s13, 0x42b17218
	v_ldexp_f32 v32, v32, v33
	v_cndmask_b32_e32 v32, 0, v32, vcc
	v_mov_b32_e32 v33, 0x7f800000
	v_cmp_nlt_f32_e32 vcc, s13, v31
	v_cndmask_b32_e32 v116, v33, v32, vcc
	v_add_f32_e32 v31, 1.0, v116
	v_add_f32_e32 v32, -1.0, v31
	v_sub_f32_e32 v33, v32, v31
	v_add_f32_e32 v33, 1.0, v33
	v_sub_f32_e32 v32, v116, v32
	v_add_f32_e32 v34, v32, v33
	v_frexp_mant_f32_e32 v35, v31
	s_mov_b32 s13, 0x3f2aaaab
	v_cvt_f64_f32_e32 v[32:33], v31
	v_frexp_exp_i32_f64_e32 v32, v[32:33]
	v_cmp_gt_f32_e32 vcc, s13, v35
	v_subbrev_co_u32_e32 v100, vcc, 0, v32, vcc
	v_sub_u32_e32 v32, 0, v100
	v_ldexp_f32 v31, v31, v32
	v_ldexp_f32 v32, v34, v32
	v_add_f32_e32 v34, -1.0, v31
	v_add_f32_e32 v33, 1.0, v34
	v_sub_f32_e32 v33, v31, v33
	v_add_f32_e32 v35, v32, v33
	v_add_f32_e32 v33, 1.0, v31
	v_add_f32_e32 v96, -1.0, v33
	v_sub_f32_e32 v31, v31, v96
	v_add_f32_e32 v31, v32, v31
	v_add_f32_e32 v101, v33, v31
	v_rcp_f32_e32 v102, v101
	v_sub_f32_e32 v32, v33, v101
	v_add_f32_e32 v33, v34, v35
	v_add_f32_e32 v31, v31, v32
	v_mul_f32_e32 v112, v33, v102
	v_sub_f32_e32 v32, v34, v33
	v_mul_f32_e32 v34, v101, v112
	v_fma_f32 v96, v112, v101, -v34
	v_fmac_f32_e32 v96, v112, v31
	v_add_f32_e32 v103, v35, v32
	v_add_f32_e32 v32, v34, v96
	v_sub_f32_e32 v35, v33, v32
	v_pk_add_f32 v[98:99], v[32:33], v[34:35] neg_lo:[0,1] neg_hi:[0,1]
	v_mov_b32_e32 v97, v32
	v_pk_add_f32 v[32:33], v[98:99], v[96:97] neg_lo:[0,1] neg_hi:[0,1]
	v_add_f32_e32 v33, v103, v33
	v_add_f32_e32 v32, v32, v33
	;; [unrolled: 1-line block ×3, first 2 shown]
	v_mul_f32_e32 v103, v102, v33
	v_mul_f32_e32 v34, v101, v103
	v_fma_f32 v96, v103, v101, -v34
	v_fmac_f32_e32 v96, v103, v31
	v_sub_f32_e32 v31, v35, v33
	v_add_f32_e32 v31, v32, v31
	v_add_f32_e32 v32, v34, v96
	v_sub_f32_e32 v35, v33, v32
	v_pk_add_f32 v[98:99], v[32:33], v[34:35] neg_lo:[0,1] neg_hi:[0,1]
	v_mov_b32_e32 v97, v32
	v_pk_add_f32 v[32:33], v[98:99], v[96:97] neg_lo:[0,1] neg_hi:[0,1]
	v_add_f32_e32 v31, v31, v33
	v_add_f32_e32 v31, v32, v31
	;; [unrolled: 1-line block ×4, first 2 shown]
	v_sub_f32_e32 v33, v32, v112
	v_mul_f32_e32 v31, v102, v31
	v_sub_f32_e32 v33, v103, v33
	v_add_f32_e32 v31, v33, v31
	v_add_f32_e32 v35, v32, v31
	v_mul_f32_e32 v96, v35, v35
	v_mov_b32_e32 v34, 0x3ecc95a3
	v_fmac_f32_e32 v34, 0x3e9b6dac, v96
	v_mov_b32_e32 v33, 0x3f2aaada
	v_fmac_f32_e32 v33, v96, v34
	v_cvt_f32_i32_e32 v34, v100
	v_sub_f32_e32 v32, v35, v32
	v_sub_f32_e32 v31, v31, v32
	v_ldexp_f32 v97, v35, 1
	v_mul_f32_e32 v35, v35, v96
	v_mov_b32_e32 v32, 0x3f317218
	s_mov_b32 s13, 0x3f317218
	v_pk_mul_f32 v[32:33], v[34:35], v[32:33]
	v_fma_f32 v96, v34, s13, -v32
	v_fmac_f32_e32 v96, 0xb102e308, v34
	v_pk_add_f32 v[34:35], v[32:33], v[96:97]
	v_sub_f32_e32 v97, v35, v97
	v_ldexp_f32 v31, v31, 1
	v_sub_f32_e32 v97, v33, v97
	v_add_f32_e32 v99, v31, v97
	v_mov_b32_e32 v98, v32
	v_pk_add_f32 v[32:33], v[34:35], v[32:33] neg_lo:[0,1] neg_hi:[0,1]
	v_pk_add_f32 v[100:101], v[34:35], v[98:99]
	v_mov_b32_e32 v33, v101
	v_mov_b32_e32 v97, v34
	v_pk_add_f32 v[102:103], v[96:97], v[32:33] neg_lo:[0,1] neg_hi:[0,1]
	v_pk_add_f32 v[32:33], v[96:97], v[32:33]
	v_mov_b32_e32 v96, v33
	v_pk_add_f32 v[112:113], v[96:97], v[34:35] neg_lo:[0,1] neg_hi:[0,1]
	v_mov_b32_e32 v31, v112
	v_pk_add_f32 v[114:115], v[100:101], v[30:31] neg_lo:[0,1] neg_hi:[0,1]
	v_mov_b32_e32 v32, v101
	v_mov_b32_e32 v100, v35
	;; [unrolled: 1-line block ×4, first 2 shown]
	v_pk_add_f32 v[32:33], v[32:33], v[100:101] neg_lo:[0,1] neg_hi:[0,1]
	v_mov_b32_e32 v98, v99
	v_mov_b32_e32 v99, v34
	v_pk_add_f32 v[32:33], v[98:99], v[32:33] neg_lo:[0,1] neg_hi:[0,1]
	v_mov_b32_e32 v114, v102
	v_pk_add_f32 v[34:35], v[114:115], v[32:33]
	v_mov_b32_e32 v98, v35
	v_pk_add_f32 v[98:99], v[34:35], v[98:99]
	v_pk_add_f32 v[96:97], v[96:97], v[98:99]
	v_mov_b32_e32 v35, v96
	v_pk_add_f32 v[100:101], v[34:35], v[102:103] neg_lo:[0,1] neg_hi:[0,1]
	v_mov_b32_e32 v33, v98
	v_sub_f32_e32 v31, v34, v100
	v_pk_add_f32 v[32:33], v[32:33], v[100:101] neg_lo:[0,1] neg_hi:[0,1]
	v_sub_f32_e32 v31, v102, v31
	s_mov_b32 s64, 0x7f800000
	v_add_f32_e32 v31, v32, v31
	s_mov_b32 s13, 0x33800000
	v_add_f32_e32 v31, v31, v33
	v_cmp_eq_f32_e32 vcc, s64, v116
	v_cmp_lt_f32_e64 s[64:65], |v116|, s13
	v_add_f32_e32 v31, v96, v31
	s_or_b64 vcc, vcc, s[64:65]
	v_cndmask_b32_e32 v31, v31, v116, vcc
	v_add_f32_e32 v26, v26, v31
	v_cvt_f16_f32_e32 v32, v26
.LBB353_102:
	s_or_b64 exec, exec, s[56:57]
	v_and_b32_e32 v31, 0xffff, v32
	v_mov_b32_e32 v26, v32
.LBB353_103:
	s_or_b64 exec, exec, s[60:61]
	v_mov_b32_dpp v32, v31 row_shr:2 row_mask:0xf bank_mask:0xf
	v_cmp_lt_u32_e32 vcc, 1, v30
	s_and_saveexec_b64 s[60:61], vcc
	s_cbranch_execz .LBB353_107
; %bb.104:
	v_cvt_f32_f16_e32 v33, v32
	v_cvt_f32_f16_e32 v34, v26
	v_cmp_u_f16_e32 vcc, v32, v32
	v_cmp_u_f16_e64 s[56:57], v26, v26
	s_movk_i32 s13, 0x1f8
	v_min_f32_e32 v31, v33, v34
	v_max_f32_e32 v26, v33, v34
	v_cndmask_b32_e32 v31, v31, v33, vcc
	v_cndmask_b32_e32 v26, v26, v33, vcc
	v_cndmask_b32_e64 v31, v31, v34, s[56:57]
	v_cndmask_b32_e64 v26, v26, v34, s[56:57]
	v_cmp_neq_f32_e32 vcc, v31, v26
	v_cmp_class_f32_e64 s[56:57], v31, s13
	s_or_b64 vcc, vcc, s[56:57]
	s_and_saveexec_b64 s[56:57], vcc
	s_cbranch_execz .LBB353_106
; %bb.105:
	v_sub_f32_e32 v31, v31, v26
	s_mov_b32 s13, 0x3fb8aa3b
	v_mul_f32_e32 v32, 0x3fb8aa3b, v31
	v_fma_f32 v33, v31, s13, -v32
	v_rndne_f32_e32 v34, v32
	v_fmac_f32_e32 v33, 0x32a5705f, v31
	v_sub_f32_e32 v32, v32, v34
	v_add_f32_e32 v32, v32, v33
	v_exp_f32_e32 v32, v32
	v_cvt_i32_f32_e32 v33, v34
	s_mov_b32 s13, 0xc2ce8ed0
	v_cmp_ngt_f32_e32 vcc, s13, v31
	s_mov_b32 s13, 0x42b17218
	v_ldexp_f32 v32, v32, v33
	v_cndmask_b32_e32 v32, 0, v32, vcc
	v_mov_b32_e32 v33, 0x7f800000
	v_cmp_nlt_f32_e32 vcc, s13, v31
	v_cndmask_b32_e32 v116, v33, v32, vcc
	v_add_f32_e32 v31, 1.0, v116
	v_add_f32_e32 v32, -1.0, v31
	v_sub_f32_e32 v33, v32, v31
	v_add_f32_e32 v33, 1.0, v33
	v_sub_f32_e32 v32, v116, v32
	v_add_f32_e32 v34, v32, v33
	v_frexp_mant_f32_e32 v35, v31
	s_mov_b32 s13, 0x3f2aaaab
	v_cvt_f64_f32_e32 v[32:33], v31
	v_frexp_exp_i32_f64_e32 v32, v[32:33]
	v_cmp_gt_f32_e32 vcc, s13, v35
	v_subbrev_co_u32_e32 v100, vcc, 0, v32, vcc
	v_sub_u32_e32 v32, 0, v100
	v_ldexp_f32 v31, v31, v32
	v_ldexp_f32 v32, v34, v32
	v_add_f32_e32 v34, -1.0, v31
	v_add_f32_e32 v33, 1.0, v34
	v_sub_f32_e32 v33, v31, v33
	v_add_f32_e32 v35, v32, v33
	v_add_f32_e32 v33, 1.0, v31
	v_add_f32_e32 v96, -1.0, v33
	v_sub_f32_e32 v31, v31, v96
	v_add_f32_e32 v31, v32, v31
	v_add_f32_e32 v101, v33, v31
	v_rcp_f32_e32 v102, v101
	v_sub_f32_e32 v32, v33, v101
	v_add_f32_e32 v33, v34, v35
	v_add_f32_e32 v31, v31, v32
	v_mul_f32_e32 v112, v33, v102
	v_sub_f32_e32 v32, v34, v33
	v_mul_f32_e32 v34, v101, v112
	v_fma_f32 v96, v112, v101, -v34
	v_fmac_f32_e32 v96, v112, v31
	v_add_f32_e32 v103, v35, v32
	v_add_f32_e32 v32, v34, v96
	v_sub_f32_e32 v35, v33, v32
	v_pk_add_f32 v[98:99], v[32:33], v[34:35] neg_lo:[0,1] neg_hi:[0,1]
	v_mov_b32_e32 v97, v32
	v_pk_add_f32 v[32:33], v[98:99], v[96:97] neg_lo:[0,1] neg_hi:[0,1]
	v_add_f32_e32 v33, v103, v33
	v_add_f32_e32 v32, v32, v33
	;; [unrolled: 1-line block ×3, first 2 shown]
	v_mul_f32_e32 v103, v102, v33
	v_mul_f32_e32 v34, v101, v103
	v_fma_f32 v96, v103, v101, -v34
	v_fmac_f32_e32 v96, v103, v31
	v_sub_f32_e32 v31, v35, v33
	v_add_f32_e32 v31, v32, v31
	v_add_f32_e32 v32, v34, v96
	v_sub_f32_e32 v35, v33, v32
	v_pk_add_f32 v[98:99], v[32:33], v[34:35] neg_lo:[0,1] neg_hi:[0,1]
	v_mov_b32_e32 v97, v32
	v_pk_add_f32 v[32:33], v[98:99], v[96:97] neg_lo:[0,1] neg_hi:[0,1]
	v_add_f32_e32 v31, v31, v33
	v_add_f32_e32 v31, v32, v31
	;; [unrolled: 1-line block ×4, first 2 shown]
	v_sub_f32_e32 v33, v32, v112
	v_mul_f32_e32 v31, v102, v31
	v_sub_f32_e32 v33, v103, v33
	v_add_f32_e32 v31, v33, v31
	v_add_f32_e32 v35, v32, v31
	v_mul_f32_e32 v96, v35, v35
	v_mov_b32_e32 v34, 0x3ecc95a3
	v_fmac_f32_e32 v34, 0x3e9b6dac, v96
	v_mov_b32_e32 v33, 0x3f2aaada
	v_fmac_f32_e32 v33, v96, v34
	v_cvt_f32_i32_e32 v34, v100
	v_sub_f32_e32 v32, v35, v32
	v_sub_f32_e32 v31, v31, v32
	v_ldexp_f32 v97, v35, 1
	v_mul_f32_e32 v35, v35, v96
	v_mov_b32_e32 v32, 0x3f317218
	s_mov_b32 s13, 0x3f317218
	v_pk_mul_f32 v[32:33], v[34:35], v[32:33]
	v_fma_f32 v96, v34, s13, -v32
	v_fmac_f32_e32 v96, 0xb102e308, v34
	v_pk_add_f32 v[34:35], v[32:33], v[96:97]
	v_sub_f32_e32 v97, v35, v97
	v_ldexp_f32 v31, v31, 1
	v_sub_f32_e32 v97, v33, v97
	v_add_f32_e32 v99, v31, v97
	v_mov_b32_e32 v98, v32
	v_pk_add_f32 v[32:33], v[34:35], v[32:33] neg_lo:[0,1] neg_hi:[0,1]
	v_pk_add_f32 v[100:101], v[34:35], v[98:99]
	v_mov_b32_e32 v33, v101
	v_mov_b32_e32 v97, v34
	v_pk_add_f32 v[102:103], v[96:97], v[32:33] neg_lo:[0,1] neg_hi:[0,1]
	v_pk_add_f32 v[32:33], v[96:97], v[32:33]
	v_mov_b32_e32 v96, v33
	v_pk_add_f32 v[112:113], v[96:97], v[34:35] neg_lo:[0,1] neg_hi:[0,1]
	v_mov_b32_e32 v31, v112
	v_pk_add_f32 v[114:115], v[100:101], v[30:31] neg_lo:[0,1] neg_hi:[0,1]
	v_mov_b32_e32 v32, v101
	v_mov_b32_e32 v100, v35
	;; [unrolled: 1-line block ×4, first 2 shown]
	v_pk_add_f32 v[32:33], v[32:33], v[100:101] neg_lo:[0,1] neg_hi:[0,1]
	v_mov_b32_e32 v98, v99
	v_mov_b32_e32 v99, v34
	v_pk_add_f32 v[32:33], v[98:99], v[32:33] neg_lo:[0,1] neg_hi:[0,1]
	v_mov_b32_e32 v114, v102
	v_pk_add_f32 v[34:35], v[114:115], v[32:33]
	v_mov_b32_e32 v98, v35
	v_pk_add_f32 v[98:99], v[34:35], v[98:99]
	v_pk_add_f32 v[96:97], v[96:97], v[98:99]
	v_mov_b32_e32 v35, v96
	v_pk_add_f32 v[100:101], v[34:35], v[102:103] neg_lo:[0,1] neg_hi:[0,1]
	v_mov_b32_e32 v33, v98
	v_sub_f32_e32 v31, v34, v100
	v_pk_add_f32 v[32:33], v[32:33], v[100:101] neg_lo:[0,1] neg_hi:[0,1]
	v_sub_f32_e32 v31, v102, v31
	s_mov_b32 s64, 0x7f800000
	v_add_f32_e32 v31, v32, v31
	s_mov_b32 s13, 0x33800000
	v_add_f32_e32 v31, v31, v33
	v_cmp_eq_f32_e32 vcc, s64, v116
	v_cmp_lt_f32_e64 s[64:65], |v116|, s13
	v_add_f32_e32 v31, v96, v31
	s_or_b64 vcc, vcc, s[64:65]
	v_cndmask_b32_e32 v31, v31, v116, vcc
	v_add_f32_e32 v26, v26, v31
	v_cvt_f16_f32_e32 v32, v26
.LBB353_106:
	s_or_b64 exec, exec, s[56:57]
	v_and_b32_e32 v31, 0xffff, v32
	v_mov_b32_e32 v26, v32
.LBB353_107:
	s_or_b64 exec, exec, s[60:61]
	v_mov_b32_dpp v32, v31 row_shr:4 row_mask:0xf bank_mask:0xf
	v_cmp_lt_u32_e32 vcc, 3, v30
	s_and_saveexec_b64 s[60:61], vcc
	s_cbranch_execz .LBB353_111
; %bb.108:
	v_cvt_f32_f16_e32 v33, v32
	v_cvt_f32_f16_e32 v34, v26
	v_cmp_u_f16_e32 vcc, v32, v32
	v_cmp_u_f16_e64 s[56:57], v26, v26
	s_movk_i32 s13, 0x1f8
	v_min_f32_e32 v31, v33, v34
	v_max_f32_e32 v26, v33, v34
	v_cndmask_b32_e32 v31, v31, v33, vcc
	v_cndmask_b32_e32 v26, v26, v33, vcc
	v_cndmask_b32_e64 v31, v31, v34, s[56:57]
	v_cndmask_b32_e64 v26, v26, v34, s[56:57]
	v_cmp_neq_f32_e32 vcc, v31, v26
	v_cmp_class_f32_e64 s[56:57], v31, s13
	s_or_b64 vcc, vcc, s[56:57]
	s_and_saveexec_b64 s[56:57], vcc
	s_cbranch_execz .LBB353_110
; %bb.109:
	v_sub_f32_e32 v31, v31, v26
	s_mov_b32 s13, 0x3fb8aa3b
	v_mul_f32_e32 v32, 0x3fb8aa3b, v31
	v_fma_f32 v33, v31, s13, -v32
	v_rndne_f32_e32 v34, v32
	v_fmac_f32_e32 v33, 0x32a5705f, v31
	v_sub_f32_e32 v32, v32, v34
	v_add_f32_e32 v32, v32, v33
	v_exp_f32_e32 v32, v32
	v_cvt_i32_f32_e32 v33, v34
	s_mov_b32 s13, 0xc2ce8ed0
	v_cmp_ngt_f32_e32 vcc, s13, v31
	s_mov_b32 s13, 0x42b17218
	v_ldexp_f32 v32, v32, v33
	v_cndmask_b32_e32 v32, 0, v32, vcc
	v_mov_b32_e32 v33, 0x7f800000
	v_cmp_nlt_f32_e32 vcc, s13, v31
	v_cndmask_b32_e32 v116, v33, v32, vcc
	v_add_f32_e32 v31, 1.0, v116
	v_add_f32_e32 v32, -1.0, v31
	v_sub_f32_e32 v33, v32, v31
	v_add_f32_e32 v33, 1.0, v33
	v_sub_f32_e32 v32, v116, v32
	v_add_f32_e32 v34, v32, v33
	v_frexp_mant_f32_e32 v35, v31
	s_mov_b32 s13, 0x3f2aaaab
	v_cvt_f64_f32_e32 v[32:33], v31
	v_frexp_exp_i32_f64_e32 v32, v[32:33]
	v_cmp_gt_f32_e32 vcc, s13, v35
	v_subbrev_co_u32_e32 v100, vcc, 0, v32, vcc
	v_sub_u32_e32 v32, 0, v100
	v_ldexp_f32 v31, v31, v32
	v_ldexp_f32 v32, v34, v32
	v_add_f32_e32 v34, -1.0, v31
	v_add_f32_e32 v33, 1.0, v34
	v_sub_f32_e32 v33, v31, v33
	v_add_f32_e32 v35, v32, v33
	v_add_f32_e32 v33, 1.0, v31
	v_add_f32_e32 v96, -1.0, v33
	v_sub_f32_e32 v31, v31, v96
	v_add_f32_e32 v31, v32, v31
	v_add_f32_e32 v101, v33, v31
	v_rcp_f32_e32 v102, v101
	v_sub_f32_e32 v32, v33, v101
	v_add_f32_e32 v33, v34, v35
	v_add_f32_e32 v31, v31, v32
	v_mul_f32_e32 v112, v33, v102
	v_sub_f32_e32 v32, v34, v33
	v_mul_f32_e32 v34, v101, v112
	v_fma_f32 v96, v112, v101, -v34
	v_fmac_f32_e32 v96, v112, v31
	v_add_f32_e32 v103, v35, v32
	v_add_f32_e32 v32, v34, v96
	v_sub_f32_e32 v35, v33, v32
	v_pk_add_f32 v[98:99], v[32:33], v[34:35] neg_lo:[0,1] neg_hi:[0,1]
	v_mov_b32_e32 v97, v32
	v_pk_add_f32 v[32:33], v[98:99], v[96:97] neg_lo:[0,1] neg_hi:[0,1]
	v_add_f32_e32 v33, v103, v33
	v_add_f32_e32 v32, v32, v33
	;; [unrolled: 1-line block ×3, first 2 shown]
	v_mul_f32_e32 v103, v102, v33
	v_mul_f32_e32 v34, v101, v103
	v_fma_f32 v96, v103, v101, -v34
	v_fmac_f32_e32 v96, v103, v31
	v_sub_f32_e32 v31, v35, v33
	v_add_f32_e32 v31, v32, v31
	v_add_f32_e32 v32, v34, v96
	v_sub_f32_e32 v35, v33, v32
	v_pk_add_f32 v[98:99], v[32:33], v[34:35] neg_lo:[0,1] neg_hi:[0,1]
	v_mov_b32_e32 v97, v32
	v_pk_add_f32 v[32:33], v[98:99], v[96:97] neg_lo:[0,1] neg_hi:[0,1]
	v_add_f32_e32 v31, v31, v33
	v_add_f32_e32 v31, v32, v31
	;; [unrolled: 1-line block ×4, first 2 shown]
	v_sub_f32_e32 v33, v32, v112
	v_mul_f32_e32 v31, v102, v31
	v_sub_f32_e32 v33, v103, v33
	v_add_f32_e32 v31, v33, v31
	v_add_f32_e32 v35, v32, v31
	v_mul_f32_e32 v96, v35, v35
	v_mov_b32_e32 v34, 0x3ecc95a3
	v_fmac_f32_e32 v34, 0x3e9b6dac, v96
	v_mov_b32_e32 v33, 0x3f2aaada
	v_fmac_f32_e32 v33, v96, v34
	v_cvt_f32_i32_e32 v34, v100
	v_sub_f32_e32 v32, v35, v32
	v_sub_f32_e32 v31, v31, v32
	v_ldexp_f32 v97, v35, 1
	v_mul_f32_e32 v35, v35, v96
	v_mov_b32_e32 v32, 0x3f317218
	s_mov_b32 s13, 0x3f317218
	v_pk_mul_f32 v[32:33], v[34:35], v[32:33]
	v_fma_f32 v96, v34, s13, -v32
	v_fmac_f32_e32 v96, 0xb102e308, v34
	v_pk_add_f32 v[34:35], v[32:33], v[96:97]
	v_sub_f32_e32 v97, v35, v97
	v_ldexp_f32 v31, v31, 1
	v_sub_f32_e32 v97, v33, v97
	v_add_f32_e32 v99, v31, v97
	v_mov_b32_e32 v98, v32
	v_pk_add_f32 v[32:33], v[34:35], v[32:33] neg_lo:[0,1] neg_hi:[0,1]
	v_pk_add_f32 v[100:101], v[34:35], v[98:99]
	v_mov_b32_e32 v33, v101
	v_mov_b32_e32 v97, v34
	v_pk_add_f32 v[102:103], v[96:97], v[32:33] neg_lo:[0,1] neg_hi:[0,1]
	v_pk_add_f32 v[32:33], v[96:97], v[32:33]
	v_mov_b32_e32 v96, v33
	v_pk_add_f32 v[112:113], v[96:97], v[34:35] neg_lo:[0,1] neg_hi:[0,1]
	v_mov_b32_e32 v31, v112
	v_pk_add_f32 v[114:115], v[100:101], v[30:31] neg_lo:[0,1] neg_hi:[0,1]
	v_mov_b32_e32 v32, v101
	v_mov_b32_e32 v100, v35
	;; [unrolled: 1-line block ×4, first 2 shown]
	v_pk_add_f32 v[32:33], v[32:33], v[100:101] neg_lo:[0,1] neg_hi:[0,1]
	v_mov_b32_e32 v98, v99
	v_mov_b32_e32 v99, v34
	v_pk_add_f32 v[32:33], v[98:99], v[32:33] neg_lo:[0,1] neg_hi:[0,1]
	v_mov_b32_e32 v114, v102
	v_pk_add_f32 v[34:35], v[114:115], v[32:33]
	v_mov_b32_e32 v98, v35
	v_pk_add_f32 v[98:99], v[34:35], v[98:99]
	v_pk_add_f32 v[96:97], v[96:97], v[98:99]
	v_mov_b32_e32 v35, v96
	v_pk_add_f32 v[100:101], v[34:35], v[102:103] neg_lo:[0,1] neg_hi:[0,1]
	v_mov_b32_e32 v33, v98
	v_sub_f32_e32 v31, v34, v100
	v_pk_add_f32 v[32:33], v[32:33], v[100:101] neg_lo:[0,1] neg_hi:[0,1]
	v_sub_f32_e32 v31, v102, v31
	s_mov_b32 s64, 0x7f800000
	v_add_f32_e32 v31, v32, v31
	s_mov_b32 s13, 0x33800000
	v_add_f32_e32 v31, v31, v33
	v_cmp_eq_f32_e32 vcc, s64, v116
	v_cmp_lt_f32_e64 s[64:65], |v116|, s13
	v_add_f32_e32 v31, v96, v31
	s_or_b64 vcc, vcc, s[64:65]
	v_cndmask_b32_e32 v31, v31, v116, vcc
	v_add_f32_e32 v26, v26, v31
	v_cvt_f16_f32_e32 v32, v26
.LBB353_110:
	s_or_b64 exec, exec, s[56:57]
	v_and_b32_e32 v31, 0xffff, v32
	v_mov_b32_e32 v26, v32
.LBB353_111:
	s_or_b64 exec, exec, s[60:61]
	v_mov_b32_dpp v32, v31 row_shr:8 row_mask:0xf bank_mask:0xf
	v_cmp_lt_u32_e32 vcc, 7, v30
	s_and_saveexec_b64 s[60:61], vcc
	s_cbranch_execz .LBB353_115
; %bb.112:
	v_cvt_f32_f16_e32 v31, v32
	v_cvt_f32_f16_e32 v33, v26
	v_cmp_u_f16_e32 vcc, v32, v32
	v_cmp_u_f16_e64 s[56:57], v26, v26
	s_movk_i32 s13, 0x1f8
	v_min_f32_e32 v30, v31, v33
	v_max_f32_e32 v26, v31, v33
	v_cndmask_b32_e32 v30, v30, v31, vcc
	v_cndmask_b32_e32 v26, v26, v31, vcc
	v_cndmask_b32_e64 v30, v30, v33, s[56:57]
	v_cndmask_b32_e64 v26, v26, v33, s[56:57]
	v_cmp_neq_f32_e32 vcc, v30, v26
	v_cmp_class_f32_e64 s[56:57], v30, s13
	s_or_b64 vcc, vcc, s[56:57]
	s_and_saveexec_b64 s[56:57], vcc
	s_cbranch_execz .LBB353_114
; %bb.113:
	v_sub_f32_e32 v30, v30, v26
	s_mov_b32 s13, 0x3fb8aa3b
	v_mul_f32_e32 v31, 0x3fb8aa3b, v30
	v_fma_f32 v32, v30, s13, -v31
	v_rndne_f32_e32 v33, v31
	v_fmac_f32_e32 v32, 0x32a5705f, v30
	v_sub_f32_e32 v31, v31, v33
	v_add_f32_e32 v31, v31, v32
	v_exp_f32_e32 v31, v31
	v_cvt_i32_f32_e32 v32, v33
	s_mov_b32 s13, 0xc2ce8ed0
	v_cmp_ngt_f32_e32 vcc, s13, v30
	s_mov_b32 s13, 0x42b17218
	v_ldexp_f32 v31, v31, v32
	v_cndmask_b32_e32 v31, 0, v31, vcc
	v_mov_b32_e32 v32, 0x7f800000
	v_cmp_nlt_f32_e32 vcc, s13, v30
	v_cndmask_b32_e32 v114, v32, v31, vcc
	v_add_f32_e32 v32, 1.0, v114
	v_add_f32_e32 v30, -1.0, v32
	v_sub_f32_e32 v31, v30, v32
	v_add_f32_e32 v31, 1.0, v31
	v_sub_f32_e32 v30, v114, v30
	v_add_f32_e32 v33, v30, v31
	v_frexp_mant_f32_e32 v34, v32
	s_mov_b32 s13, 0x3f2aaaab
	v_cvt_f64_f32_e32 v[30:31], v32
	v_frexp_exp_i32_f64_e32 v30, v[30:31]
	v_cmp_gt_f32_e32 vcc, s13, v34
	v_subbrev_co_u32_e32 v98, vcc, 0, v30, vcc
	v_sub_u32_e32 v30, 0, v98
	v_ldexp_f32 v31, v32, v30
	v_add_f32_e32 v32, -1.0, v31
	v_add_f32_e32 v34, 1.0, v31
	v_ldexp_f32 v30, v33, v30
	v_add_f32_e32 v33, 1.0, v32
	v_add_f32_e32 v35, -1.0, v34
	v_sub_f32_e32 v33, v31, v33
	v_sub_f32_e32 v31, v31, v35
	v_add_f32_e32 v33, v30, v33
	v_add_f32_e32 v30, v30, v31
	;; [unrolled: 1-line block ×3, first 2 shown]
	v_rcp_f32_e32 v101, v99
	v_sub_f32_e32 v31, v34, v99
	v_add_f32_e32 v100, v30, v31
	v_add_f32_e32 v31, v32, v33
	v_mul_f32_e32 v103, v31, v101
	v_sub_f32_e32 v30, v32, v31
	v_mul_f32_e32 v32, v99, v103
	v_fma_f32 v34, v103, v99, -v32
	v_fmac_f32_e32 v34, v103, v100
	v_add_f32_e32 v102, v33, v30
	v_add_f32_e32 v30, v32, v34
	v_sub_f32_e32 v33, v31, v30
	v_pk_add_f32 v[96:97], v[30:31], v[32:33] neg_lo:[0,1] neg_hi:[0,1]
	v_mov_b32_e32 v35, v30
	v_pk_add_f32 v[30:31], v[96:97], v[34:35] neg_lo:[0,1] neg_hi:[0,1]
	v_add_f32_e32 v31, v102, v31
	v_add_f32_e32 v30, v30, v31
	;; [unrolled: 1-line block ×3, first 2 shown]
	v_mul_f32_e32 v102, v101, v31
	v_mul_f32_e32 v32, v99, v102
	v_fma_f32 v34, v102, v99, -v32
	v_fmac_f32_e32 v34, v102, v100
	v_sub_f32_e32 v33, v33, v31
	v_add_f32_e32 v99, v30, v33
	v_add_f32_e32 v30, v32, v34
	v_sub_f32_e32 v33, v31, v30
	v_pk_add_f32 v[96:97], v[30:31], v[32:33] neg_lo:[0,1] neg_hi:[0,1]
	v_mov_b32_e32 v35, v30
	v_pk_add_f32 v[30:31], v[96:97], v[34:35] neg_lo:[0,1] neg_hi:[0,1]
	v_add_f32_e32 v31, v99, v31
	v_add_f32_e32 v30, v30, v31
	;; [unrolled: 1-line block ×4, first 2 shown]
	v_sub_f32_e32 v31, v33, v103
	v_mul_f32_e32 v30, v101, v30
	v_sub_f32_e32 v31, v102, v31
	v_add_f32_e32 v30, v31, v30
	v_add_f32_e32 v34, v33, v30
	v_mul_f32_e32 v96, v34, v34
	v_mov_b32_e32 v32, 0x3ecc95a3
	v_fmac_f32_e32 v32, 0x3e9b6dac, v96
	v_mov_b32_e32 v31, 0x3f2aaada
	v_fmac_f32_e32 v31, v96, v32
	v_cvt_f32_i32_e32 v32, v98
	v_sub_f32_e32 v33, v34, v33
	v_sub_f32_e32 v30, v30, v33
	v_ldexp_f32 v97, v30, 1
	v_mul_f32_e32 v33, v34, v96
	v_mov_b32_e32 v30, 0x3f317218
	s_mov_b32 s13, 0x3f317218
	v_pk_mul_f32 v[30:31], v[32:33], v[30:31]
	v_ldexp_f32 v35, v34, 1
	v_fma_f32 v34, v32, s13, -v30
	v_fmac_f32_e32 v34, 0xb102e308, v32
	v_pk_add_f32 v[32:33], v[30:31], v[34:35]
	v_sub_f32_e32 v35, v33, v35
	v_sub_f32_e32 v35, v31, v35
	v_add_f32_e32 v97, v97, v35
	v_mov_b32_e32 v96, v30
	v_pk_add_f32 v[30:31], v[32:33], v[30:31] neg_lo:[0,1] neg_hi:[0,1]
	v_pk_add_f32 v[98:99], v[32:33], v[96:97]
	v_mov_b32_e32 v31, v99
	v_mov_b32_e32 v35, v32
	v_pk_add_f32 v[100:101], v[34:35], v[30:31] neg_lo:[0,1] neg_hi:[0,1]
	v_pk_add_f32 v[30:31], v[34:35], v[30:31]
	v_mov_b32_e32 v34, v31
	v_pk_add_f32 v[102:103], v[34:35], v[32:33] neg_lo:[0,1] neg_hi:[0,1]
	v_mov_b32_e32 v35, v102
	v_pk_add_f32 v[112:113], v[98:99], v[34:35] neg_lo:[0,1] neg_hi:[0,1]
	v_mov_b32_e32 v30, v99
	v_mov_b32_e32 v98, v33
	v_mov_b32_e32 v99, v102
	v_mov_b32_e32 v101, v31
	v_pk_add_f32 v[30:31], v[30:31], v[98:99] neg_lo:[0,1] neg_hi:[0,1]
	v_mov_b32_e32 v96, v97
	v_mov_b32_e32 v97, v32
	v_pk_add_f32 v[30:31], v[96:97], v[30:31] neg_lo:[0,1] neg_hi:[0,1]
	v_mov_b32_e32 v112, v100
	v_pk_add_f32 v[32:33], v[112:113], v[30:31]
	v_mov_b32_e32 v96, v33
	v_pk_add_f32 v[96:97], v[32:33], v[96:97]
	v_pk_add_f32 v[34:35], v[34:35], v[96:97]
	v_mov_b32_e32 v33, v34
	v_pk_add_f32 v[98:99], v[32:33], v[100:101] neg_lo:[0,1] neg_hi:[0,1]
	v_mov_b32_e32 v31, v96
	v_sub_f32_e32 v32, v32, v98
	v_pk_add_f32 v[30:31], v[30:31], v[98:99] neg_lo:[0,1] neg_hi:[0,1]
	v_sub_f32_e32 v32, v100, v32
	s_mov_b32 s64, 0x7f800000
	v_add_f32_e32 v30, v30, v32
	s_mov_b32 s13, 0x33800000
	v_add_f32_e32 v30, v30, v31
	v_cmp_eq_f32_e32 vcc, s64, v114
	v_cmp_lt_f32_e64 s[64:65], |v114|, s13
	v_add_f32_e32 v30, v34, v30
	s_or_b64 vcc, vcc, s[64:65]
	v_cndmask_b32_e32 v30, v30, v114, vcc
	v_add_f32_e32 v26, v26, v30
	v_cvt_f16_f32_e32 v32, v26
.LBB353_114:
	s_or_b64 exec, exec, s[56:57]
	v_and_b32_e32 v31, 0xffff, v32
	v_mov_b32_e32 v26, v32
.LBB353_115:
	s_or_b64 exec, exec, s[60:61]
	v_and_b32_e32 v32, 16, v27
	v_mov_b32_dpp v30, v31 row_bcast:15 row_mask:0xf bank_mask:0xf
	v_cmp_ne_u32_e32 vcc, 0, v32
	s_and_saveexec_b64 s[60:61], vcc
	s_cbranch_execz .LBB353_119
; %bb.116:
	v_cvt_f32_f16_e32 v32, v30
	v_cvt_f32_f16_e32 v33, v26
	v_cmp_u_f16_e32 vcc, v30, v30
	v_cmp_u_f16_e64 s[56:57], v26, v26
	s_movk_i32 s13, 0x1f8
	v_min_f32_e32 v31, v32, v33
	v_max_f32_e32 v26, v32, v33
	v_cndmask_b32_e32 v31, v31, v32, vcc
	v_cndmask_b32_e32 v26, v26, v32, vcc
	v_cndmask_b32_e64 v31, v31, v33, s[56:57]
	v_cndmask_b32_e64 v26, v26, v33, s[56:57]
	v_cmp_neq_f32_e32 vcc, v31, v26
	v_cmp_class_f32_e64 s[56:57], v31, s13
	s_or_b64 vcc, vcc, s[56:57]
	s_and_saveexec_b64 s[56:57], vcc
	s_cbranch_execz .LBB353_118
; %bb.117:
	v_sub_f32_e32 v30, v31, v26
	s_mov_b32 s13, 0x3fb8aa3b
	v_mul_f32_e32 v31, 0x3fb8aa3b, v30
	v_fma_f32 v32, v30, s13, -v31
	v_rndne_f32_e32 v33, v31
	v_fmac_f32_e32 v32, 0x32a5705f, v30
	v_sub_f32_e32 v31, v31, v33
	v_add_f32_e32 v31, v31, v32
	v_exp_f32_e32 v31, v31
	v_cvt_i32_f32_e32 v32, v33
	s_mov_b32 s13, 0xc2ce8ed0
	v_cmp_ngt_f32_e32 vcc, s13, v30
	s_mov_b32 s13, 0x42b17218
	v_ldexp_f32 v31, v31, v32
	v_cndmask_b32_e32 v31, 0, v31, vcc
	v_mov_b32_e32 v32, 0x7f800000
	v_cmp_nlt_f32_e32 vcc, s13, v30
	v_cndmask_b32_e32 v114, v32, v31, vcc
	v_add_f32_e32 v32, 1.0, v114
	v_add_f32_e32 v30, -1.0, v32
	v_sub_f32_e32 v31, v30, v32
	v_add_f32_e32 v31, 1.0, v31
	v_sub_f32_e32 v30, v114, v30
	v_add_f32_e32 v33, v30, v31
	v_frexp_mant_f32_e32 v34, v32
	s_mov_b32 s13, 0x3f2aaaab
	v_cvt_f64_f32_e32 v[30:31], v32
	v_frexp_exp_i32_f64_e32 v30, v[30:31]
	v_cmp_gt_f32_e32 vcc, s13, v34
	v_subbrev_co_u32_e32 v98, vcc, 0, v30, vcc
	v_sub_u32_e32 v30, 0, v98
	v_ldexp_f32 v31, v32, v30
	v_add_f32_e32 v32, -1.0, v31
	v_add_f32_e32 v34, 1.0, v31
	v_ldexp_f32 v30, v33, v30
	v_add_f32_e32 v33, 1.0, v32
	v_add_f32_e32 v35, -1.0, v34
	v_sub_f32_e32 v33, v31, v33
	v_sub_f32_e32 v31, v31, v35
	v_add_f32_e32 v33, v30, v33
	v_add_f32_e32 v30, v30, v31
	;; [unrolled: 1-line block ×3, first 2 shown]
	v_rcp_f32_e32 v101, v99
	v_sub_f32_e32 v31, v34, v99
	v_add_f32_e32 v100, v30, v31
	v_add_f32_e32 v31, v32, v33
	v_mul_f32_e32 v103, v31, v101
	v_sub_f32_e32 v30, v32, v31
	v_mul_f32_e32 v32, v99, v103
	v_fma_f32 v34, v103, v99, -v32
	v_fmac_f32_e32 v34, v103, v100
	v_add_f32_e32 v102, v33, v30
	v_add_f32_e32 v30, v32, v34
	v_sub_f32_e32 v33, v31, v30
	v_pk_add_f32 v[96:97], v[30:31], v[32:33] neg_lo:[0,1] neg_hi:[0,1]
	v_mov_b32_e32 v35, v30
	v_pk_add_f32 v[30:31], v[96:97], v[34:35] neg_lo:[0,1] neg_hi:[0,1]
	v_add_f32_e32 v31, v102, v31
	v_add_f32_e32 v30, v30, v31
	;; [unrolled: 1-line block ×3, first 2 shown]
	v_mul_f32_e32 v102, v101, v31
	v_mul_f32_e32 v32, v99, v102
	v_fma_f32 v34, v102, v99, -v32
	v_fmac_f32_e32 v34, v102, v100
	v_sub_f32_e32 v33, v33, v31
	v_add_f32_e32 v99, v30, v33
	v_add_f32_e32 v30, v32, v34
	v_sub_f32_e32 v33, v31, v30
	v_pk_add_f32 v[96:97], v[30:31], v[32:33] neg_lo:[0,1] neg_hi:[0,1]
	v_mov_b32_e32 v35, v30
	v_pk_add_f32 v[30:31], v[96:97], v[34:35] neg_lo:[0,1] neg_hi:[0,1]
	v_add_f32_e32 v31, v99, v31
	v_add_f32_e32 v30, v30, v31
	v_add_f32_e32 v30, v33, v30
	v_add_f32_e32 v33, v103, v102
	v_sub_f32_e32 v31, v33, v103
	v_mul_f32_e32 v30, v101, v30
	v_sub_f32_e32 v31, v102, v31
	v_add_f32_e32 v30, v31, v30
	v_add_f32_e32 v34, v33, v30
	v_mul_f32_e32 v96, v34, v34
	v_mov_b32_e32 v32, 0x3ecc95a3
	v_fmac_f32_e32 v32, 0x3e9b6dac, v96
	v_mov_b32_e32 v31, 0x3f2aaada
	v_fmac_f32_e32 v31, v96, v32
	v_cvt_f32_i32_e32 v32, v98
	v_sub_f32_e32 v33, v34, v33
	v_sub_f32_e32 v30, v30, v33
	v_ldexp_f32 v97, v30, 1
	v_mul_f32_e32 v33, v34, v96
	v_mov_b32_e32 v30, 0x3f317218
	s_mov_b32 s13, 0x3f317218
	v_pk_mul_f32 v[30:31], v[32:33], v[30:31]
	v_ldexp_f32 v35, v34, 1
	v_fma_f32 v34, v32, s13, -v30
	v_fmac_f32_e32 v34, 0xb102e308, v32
	v_pk_add_f32 v[32:33], v[30:31], v[34:35]
	v_sub_f32_e32 v35, v33, v35
	v_sub_f32_e32 v35, v31, v35
	v_add_f32_e32 v97, v97, v35
	v_mov_b32_e32 v96, v30
	v_pk_add_f32 v[30:31], v[32:33], v[30:31] neg_lo:[0,1] neg_hi:[0,1]
	v_pk_add_f32 v[98:99], v[32:33], v[96:97]
	v_mov_b32_e32 v31, v99
	v_mov_b32_e32 v35, v32
	v_pk_add_f32 v[100:101], v[34:35], v[30:31] neg_lo:[0,1] neg_hi:[0,1]
	v_pk_add_f32 v[30:31], v[34:35], v[30:31]
	v_mov_b32_e32 v34, v31
	v_pk_add_f32 v[102:103], v[34:35], v[32:33] neg_lo:[0,1] neg_hi:[0,1]
	v_mov_b32_e32 v35, v102
	v_pk_add_f32 v[112:113], v[98:99], v[34:35] neg_lo:[0,1] neg_hi:[0,1]
	v_mov_b32_e32 v30, v99
	v_mov_b32_e32 v98, v33
	;; [unrolled: 1-line block ×4, first 2 shown]
	v_pk_add_f32 v[30:31], v[30:31], v[98:99] neg_lo:[0,1] neg_hi:[0,1]
	v_mov_b32_e32 v96, v97
	v_mov_b32_e32 v97, v32
	v_pk_add_f32 v[30:31], v[96:97], v[30:31] neg_lo:[0,1] neg_hi:[0,1]
	v_mov_b32_e32 v112, v100
	v_pk_add_f32 v[32:33], v[112:113], v[30:31]
	v_mov_b32_e32 v96, v33
	v_pk_add_f32 v[96:97], v[32:33], v[96:97]
	v_pk_add_f32 v[34:35], v[34:35], v[96:97]
	v_mov_b32_e32 v33, v34
	v_pk_add_f32 v[98:99], v[32:33], v[100:101] neg_lo:[0,1] neg_hi:[0,1]
	v_mov_b32_e32 v31, v96
	v_sub_f32_e32 v32, v32, v98
	v_pk_add_f32 v[30:31], v[30:31], v[98:99] neg_lo:[0,1] neg_hi:[0,1]
	v_sub_f32_e32 v32, v100, v32
	s_mov_b32 s64, 0x7f800000
	v_add_f32_e32 v30, v30, v32
	s_mov_b32 s13, 0x33800000
	v_add_f32_e32 v30, v30, v31
	v_cmp_eq_f32_e32 vcc, s64, v114
	v_cmp_lt_f32_e64 s[64:65], |v114|, s13
	v_add_f32_e32 v30, v34, v30
	s_or_b64 vcc, vcc, s[64:65]
	v_cndmask_b32_e32 v30, v30, v114, vcc
	v_add_f32_e32 v26, v26, v30
	v_cvt_f16_f32_e32 v30, v26
.LBB353_118:
	s_or_b64 exec, exec, s[56:57]
	v_and_b32_e32 v31, 0xffff, v30
	v_mov_b32_e32 v26, v30
.LBB353_119:
	s_or_b64 exec, exec, s[60:61]
	v_mov_b32_dpp v30, v31 row_bcast:31 row_mask:0xf bank_mask:0xf
	v_cmp_lt_u32_e32 vcc, 31, v27
	s_and_saveexec_b64 s[60:61], vcc
	s_cbranch_execz .LBB353_123
; %bb.120:
	v_cvt_f32_f16_e32 v32, v30
	v_cvt_f32_f16_e32 v33, v26
	v_cmp_u_f16_e32 vcc, v30, v30
	v_cmp_u_f16_e64 s[56:57], v26, v26
	s_movk_i32 s13, 0x1f8
	v_min_f32_e32 v31, v32, v33
	v_max_f32_e32 v26, v32, v33
	v_cndmask_b32_e32 v31, v31, v32, vcc
	v_cndmask_b32_e32 v26, v26, v32, vcc
	v_cndmask_b32_e64 v31, v31, v33, s[56:57]
	v_cndmask_b32_e64 v26, v26, v33, s[56:57]
	v_cmp_neq_f32_e32 vcc, v31, v26
	v_cmp_class_f32_e64 s[56:57], v31, s13
	s_or_b64 vcc, vcc, s[56:57]
	s_and_saveexec_b64 s[56:57], vcc
	s_cbranch_execz .LBB353_122
; %bb.121:
	v_sub_f32_e32 v30, v31, v26
	s_mov_b32 s13, 0x3fb8aa3b
	v_mul_f32_e32 v31, 0x3fb8aa3b, v30
	v_fma_f32 v32, v30, s13, -v31
	v_rndne_f32_e32 v33, v31
	v_fmac_f32_e32 v32, 0x32a5705f, v30
	v_sub_f32_e32 v31, v31, v33
	v_add_f32_e32 v31, v31, v32
	v_exp_f32_e32 v31, v31
	v_cvt_i32_f32_e32 v32, v33
	s_mov_b32 s13, 0xc2ce8ed0
	v_cmp_ngt_f32_e32 vcc, s13, v30
	s_mov_b32 s13, 0x42b17218
	v_ldexp_f32 v31, v31, v32
	v_cndmask_b32_e32 v31, 0, v31, vcc
	v_mov_b32_e32 v32, 0x7f800000
	v_cmp_nlt_f32_e32 vcc, s13, v30
	v_cndmask_b32_e32 v114, v32, v31, vcc
	v_add_f32_e32 v32, 1.0, v114
	v_add_f32_e32 v30, -1.0, v32
	v_sub_f32_e32 v31, v30, v32
	v_add_f32_e32 v31, 1.0, v31
	v_sub_f32_e32 v30, v114, v30
	v_add_f32_e32 v33, v30, v31
	v_frexp_mant_f32_e32 v34, v32
	s_mov_b32 s13, 0x3f2aaaab
	v_cvt_f64_f32_e32 v[30:31], v32
	v_frexp_exp_i32_f64_e32 v30, v[30:31]
	v_cmp_gt_f32_e32 vcc, s13, v34
	v_subbrev_co_u32_e32 v98, vcc, 0, v30, vcc
	v_sub_u32_e32 v30, 0, v98
	v_ldexp_f32 v31, v32, v30
	v_add_f32_e32 v32, -1.0, v31
	v_add_f32_e32 v34, 1.0, v31
	v_ldexp_f32 v30, v33, v30
	v_add_f32_e32 v33, 1.0, v32
	v_add_f32_e32 v35, -1.0, v34
	v_sub_f32_e32 v33, v31, v33
	v_sub_f32_e32 v31, v31, v35
	v_add_f32_e32 v33, v30, v33
	v_add_f32_e32 v30, v30, v31
	v_add_f32_e32 v99, v34, v30
	v_rcp_f32_e32 v101, v99
	v_sub_f32_e32 v31, v34, v99
	v_add_f32_e32 v100, v30, v31
	v_add_f32_e32 v31, v32, v33
	v_mul_f32_e32 v103, v31, v101
	v_sub_f32_e32 v30, v32, v31
	v_mul_f32_e32 v32, v99, v103
	v_fma_f32 v34, v103, v99, -v32
	v_fmac_f32_e32 v34, v103, v100
	v_add_f32_e32 v102, v33, v30
	v_add_f32_e32 v30, v32, v34
	v_sub_f32_e32 v33, v31, v30
	v_pk_add_f32 v[96:97], v[30:31], v[32:33] neg_lo:[0,1] neg_hi:[0,1]
	v_mov_b32_e32 v35, v30
	v_pk_add_f32 v[30:31], v[96:97], v[34:35] neg_lo:[0,1] neg_hi:[0,1]
	v_add_f32_e32 v31, v102, v31
	v_add_f32_e32 v30, v30, v31
	;; [unrolled: 1-line block ×3, first 2 shown]
	v_mul_f32_e32 v102, v101, v31
	v_mul_f32_e32 v32, v99, v102
	v_fma_f32 v34, v102, v99, -v32
	v_fmac_f32_e32 v34, v102, v100
	v_sub_f32_e32 v33, v33, v31
	v_add_f32_e32 v99, v30, v33
	v_add_f32_e32 v30, v32, v34
	v_sub_f32_e32 v33, v31, v30
	v_pk_add_f32 v[96:97], v[30:31], v[32:33] neg_lo:[0,1] neg_hi:[0,1]
	v_mov_b32_e32 v35, v30
	v_pk_add_f32 v[30:31], v[96:97], v[34:35] neg_lo:[0,1] neg_hi:[0,1]
	v_add_f32_e32 v31, v99, v31
	v_add_f32_e32 v30, v30, v31
	;; [unrolled: 1-line block ×4, first 2 shown]
	v_sub_f32_e32 v31, v33, v103
	v_mul_f32_e32 v30, v101, v30
	v_sub_f32_e32 v31, v102, v31
	v_add_f32_e32 v30, v31, v30
	v_add_f32_e32 v34, v33, v30
	v_mul_f32_e32 v96, v34, v34
	v_mov_b32_e32 v32, 0x3ecc95a3
	v_fmac_f32_e32 v32, 0x3e9b6dac, v96
	v_mov_b32_e32 v31, 0x3f2aaada
	v_fmac_f32_e32 v31, v96, v32
	v_cvt_f32_i32_e32 v32, v98
	v_sub_f32_e32 v33, v34, v33
	v_sub_f32_e32 v30, v30, v33
	v_ldexp_f32 v97, v30, 1
	v_mul_f32_e32 v33, v34, v96
	v_mov_b32_e32 v30, 0x3f317218
	s_mov_b32 s13, 0x3f317218
	v_pk_mul_f32 v[30:31], v[32:33], v[30:31]
	v_ldexp_f32 v35, v34, 1
	v_fma_f32 v34, v32, s13, -v30
	v_fmac_f32_e32 v34, 0xb102e308, v32
	v_pk_add_f32 v[32:33], v[30:31], v[34:35]
	v_sub_f32_e32 v35, v33, v35
	v_sub_f32_e32 v35, v31, v35
	v_add_f32_e32 v97, v97, v35
	v_mov_b32_e32 v96, v30
	v_pk_add_f32 v[30:31], v[32:33], v[30:31] neg_lo:[0,1] neg_hi:[0,1]
	v_pk_add_f32 v[98:99], v[32:33], v[96:97]
	v_mov_b32_e32 v31, v99
	v_mov_b32_e32 v35, v32
	v_pk_add_f32 v[100:101], v[34:35], v[30:31] neg_lo:[0,1] neg_hi:[0,1]
	v_pk_add_f32 v[30:31], v[34:35], v[30:31]
	v_mov_b32_e32 v34, v31
	v_pk_add_f32 v[102:103], v[34:35], v[32:33] neg_lo:[0,1] neg_hi:[0,1]
	v_mov_b32_e32 v35, v102
	v_pk_add_f32 v[112:113], v[98:99], v[34:35] neg_lo:[0,1] neg_hi:[0,1]
	v_mov_b32_e32 v30, v99
	v_mov_b32_e32 v98, v33
	;; [unrolled: 1-line block ×4, first 2 shown]
	v_pk_add_f32 v[30:31], v[30:31], v[98:99] neg_lo:[0,1] neg_hi:[0,1]
	v_mov_b32_e32 v96, v97
	v_mov_b32_e32 v97, v32
	v_pk_add_f32 v[30:31], v[96:97], v[30:31] neg_lo:[0,1] neg_hi:[0,1]
	v_mov_b32_e32 v112, v100
	v_pk_add_f32 v[32:33], v[112:113], v[30:31]
	v_mov_b32_e32 v96, v33
	v_pk_add_f32 v[96:97], v[32:33], v[96:97]
	v_pk_add_f32 v[34:35], v[34:35], v[96:97]
	v_mov_b32_e32 v33, v34
	v_pk_add_f32 v[98:99], v[32:33], v[100:101] neg_lo:[0,1] neg_hi:[0,1]
	v_mov_b32_e32 v31, v96
	v_sub_f32_e32 v32, v32, v98
	v_pk_add_f32 v[30:31], v[30:31], v[98:99] neg_lo:[0,1] neg_hi:[0,1]
	v_sub_f32_e32 v32, v100, v32
	s_mov_b32 s64, 0x7f800000
	v_add_f32_e32 v30, v30, v32
	s_mov_b32 s13, 0x33800000
	v_add_f32_e32 v30, v30, v31
	v_cmp_eq_f32_e32 vcc, s64, v114
	v_cmp_lt_f32_e64 s[64:65], |v114|, s13
	v_add_f32_e32 v30, v34, v30
	s_or_b64 vcc, vcc, s[64:65]
	v_cndmask_b32_e32 v30, v30, v114, vcc
	v_add_f32_e32 v26, v26, v30
	v_cvt_f16_f32_e32 v30, v26
.LBB353_122:
	s_or_b64 exec, exec, s[56:57]
	v_mov_b32_e32 v26, v30
.LBB353_123:
	s_or_b64 exec, exec, s[60:61]
	v_cmp_eq_u32_e32 vcc, 63, v0
	s_and_saveexec_b64 s[56:57], vcc
	s_cbranch_execz .LBB353_125
; %bb.124:
	v_mov_b32_e32 v30, 0
	ds_write_b16 v30, v26
.LBB353_125:
	s_or_b64 exec, exec, s[56:57]
	v_add_u32_e32 v30, -1, v27
	v_and_b32_e32 v31, 64, v27
	v_cmp_lt_i32_e32 vcc, v30, v31
	v_cndmask_b32_e32 v30, v30, v27, vcc
	v_and_b32_e32 v26, 0xffff, v26
	v_lshlrev_b32_e32 v30, 2, v30
	ds_bpermute_b32 v96, v30, v26
	v_cmp_gt_u32_e32 vcc, 64, v0
	s_waitcnt lgkmcnt(0)
	; wave barrier
	s_waitcnt lgkmcnt(0)
	s_and_saveexec_b64 s[64:65], vcc
	s_cbranch_execz .LBB353_196
; %bb.126:
	v_mov_b32_e32 v31, 0
	ds_read_u16 v97, v31
	s_mov_b32 vcc_hi, 0
	v_cmp_eq_u32_e64 s[56:57], 0, v27
	s_and_saveexec_b64 s[60:61], s[56:57]
	s_cbranch_execz .LBB353_128
; %bb.127:
	s_add_i32 vcc_lo, s12, 64
	s_lshl_b64 vcc, vcc, 2
	v_mov_b32_e32 v26, vcc_hi
	v_add_co_u32_e32 v32, vcc, vcc_lo, v24
	v_addc_co_u32_e32 v33, vcc, v25, v26, vcc
	s_waitcnt lgkmcnt(0)
	v_or_b32_e32 v26, 0x10000, v97
	flat_store_dword v[32:33], v26
.LBB353_128:
	s_or_b64 exec, exec, s[60:61]
	v_xad_u32 v26, v27, -1, s12
	v_add_u32_e32 v30, 64, v26
	v_lshlrev_b64 v[32:33], 2, v[30:31]
	v_add_co_u32_e32 v32, vcc, v24, v32
	v_addc_co_u32_e32 v33, vcc, v25, v33, vcc
	flat_load_dword v131, v[32:33] glc
	s_waitcnt vmcnt(0) lgkmcnt(0)
	v_lshrrev_b32_e32 v98, 16, v131
	v_cmp_eq_u16_sdwa s[60:61], v98, v31 src0_sel:BYTE_0 src1_sel:DWORD
	s_and_saveexec_b64 vcc, s[60:61]
	s_cbranch_execz .LBB353_132
; %bb.129:
	s_mov_b64 s[60:61], 0
	v_mov_b32_e32 v30, 0
.LBB353_130:                            ; =>This Inner Loop Header: Depth=1
	flat_load_dword v131, v[32:33] glc
	s_waitcnt vmcnt(0) lgkmcnt(0)
	v_lshrrev_b32_e32 v98, 16, v131
	v_cmp_ne_u16_sdwa s[66:67], v98, v30 src0_sel:BYTE_0 src1_sel:DWORD
	s_or_b64 s[60:61], s[66:67], s[60:61]
	s_andn2_b64 exec, exec, s[60:61]
	s_cbranch_execnz .LBB353_130
; %bb.131:
	s_or_b64 exec, exec, s[60:61]
.LBB353_132:
	s_or_b64 exec, exec, vcc
	v_mov_b32_e32 v30, 2
	v_cmp_eq_u16_sdwa vcc, v98, v30 src0_sel:BYTE_0 src1_sel:DWORD
	v_lshlrev_b64 v[30:31], v27, -1
	v_and_b32_e32 v99, 63, v27
	v_and_b32_e32 v32, vcc_hi, v31
	v_and_b32_e32 v35, vcc_lo, v30
	v_cmp_ne_u32_e32 vcc, 63, v99
	v_addc_co_u32_e32 v34, vcc, 0, v27, vcc
	v_and_b32_e32 v33, 0xffff, v131
	v_lshlrev_b32_e32 v100, 2, v34
	v_or_b32_e32 v32, 0x80000000, v32
	ds_bpermute_b32 v34, v100, v33
	v_ffbl_b32_e32 v32, v32
	v_add_u32_e32 v32, 32, v32
	v_ffbl_b32_e32 v35, v35
	v_min_u32_e32 v32, v35, v32
	v_cmp_lt_u32_e32 vcc, v99, v32
	s_and_saveexec_b64 s[66:67], vcc
	s_cbranch_execz .LBB353_136
; %bb.133:
	s_waitcnt lgkmcnt(0)
	v_cvt_f32_f16_e32 v33, v34
	v_cvt_f32_f16_e32 v101, v131
	v_cmp_u_f16_e32 vcc, v34, v34
	v_cmp_u_f16_e64 s[60:61], v131, v131
	s_movk_i32 s13, 0x1f8
	v_min_f32_e32 v35, v33, v101
	v_max_f32_e32 v102, v33, v101
	v_cndmask_b32_e32 v35, v35, v33, vcc
	v_cndmask_b32_e32 v33, v102, v33, vcc
	v_cndmask_b32_e64 v35, v35, v101, s[60:61]
	v_cndmask_b32_e64 v33, v33, v101, s[60:61]
	v_cmp_neq_f32_e32 vcc, v35, v33
	v_cmp_class_f32_e64 s[60:61], v35, s13
	s_or_b64 vcc, vcc, s[60:61]
	s_and_saveexec_b64 s[60:61], vcc
	s_cbranch_execz .LBB353_135
; %bb.134:
	v_sub_f32_e32 v34, v35, v33
	s_mov_b32 s13, 0x3fb8aa3b
	v_mul_f32_e32 v35, 0x3fb8aa3b, v34
	v_fma_f32 v101, v34, s13, -v35
	v_rndne_f32_e32 v102, v35
	v_fmac_f32_e32 v101, 0x32a5705f, v34
	v_sub_f32_e32 v35, v35, v102
	v_add_f32_e32 v35, v35, v101
	v_exp_f32_e32 v35, v35
	v_cvt_i32_f32_e32 v101, v102
	s_mov_b32 s13, 0xc2ce8ed0
	v_cmp_ngt_f32_e32 vcc, s13, v34
	s_mov_b32 s13, 0x42b17218
	v_ldexp_f32 v35, v35, v101
	v_cndmask_b32_e32 v35, 0, v35, vcc
	v_mov_b32_e32 v101, 0x7f800000
	v_cmp_nlt_f32_e32 vcc, s13, v34
	v_cndmask_b32_e32 v132, v101, v35, vcc
	v_add_f32_e32 v101, 1.0, v132
	v_add_f32_e32 v34, -1.0, v101
	v_sub_f32_e32 v35, v34, v101
	v_add_f32_e32 v35, 1.0, v35
	v_sub_f32_e32 v34, v132, v34
	v_add_f32_e32 v102, v34, v35
	v_frexp_mant_f32_e32 v103, v101
	s_mov_b32 s13, 0x3f2aaaab
	v_cvt_f64_f32_e32 v[34:35], v101
	v_frexp_exp_i32_f64_e32 v34, v[34:35]
	v_cmp_gt_f32_e32 vcc, s13, v103
	v_subbrev_co_u32_e32 v116, vcc, 0, v34, vcc
	v_sub_u32_e32 v34, 0, v116
	v_ldexp_f32 v35, v101, v34
	v_add_f32_e32 v101, -1.0, v35
	v_add_f32_e32 v103, 1.0, v35
	v_ldexp_f32 v34, v102, v34
	v_add_f32_e32 v102, 1.0, v101
	v_add_f32_e32 v112, -1.0, v103
	v_sub_f32_e32 v102, v35, v102
	v_sub_f32_e32 v35, v35, v112
	v_add_f32_e32 v102, v34, v102
	v_add_f32_e32 v34, v34, v35
	;; [unrolled: 1-line block ×3, first 2 shown]
	v_rcp_f32_e32 v119, v117
	v_sub_f32_e32 v35, v103, v117
	v_add_f32_e32 v118, v34, v35
	v_add_f32_e32 v35, v101, v102
	v_sub_f32_e32 v34, v101, v35
	v_mul_f32_e32 v128, v35, v119
	v_add_f32_e32 v101, v102, v34
	v_mul_f32_e32 v102, v117, v128
	v_fma_f32 v112, v128, v117, -v102
	v_fmac_f32_e32 v112, v128, v118
	v_add_f32_e32 v34, v102, v112
	v_sub_f32_e32 v103, v35, v34
	v_pk_add_f32 v[114:115], v[34:35], v[102:103] neg_lo:[0,1] neg_hi:[0,1]
	v_mov_b32_e32 v113, v34
	v_pk_add_f32 v[34:35], v[114:115], v[112:113] neg_lo:[0,1] neg_hi:[0,1]
	v_add_f32_e32 v35, v101, v35
	v_add_f32_e32 v34, v34, v35
	;; [unrolled: 1-line block ×3, first 2 shown]
	v_mul_f32_e32 v101, v119, v35
	v_mul_f32_e32 v102, v117, v101
	v_fma_f32 v112, v101, v117, -v102
	v_fmac_f32_e32 v112, v101, v118
	v_sub_f32_e32 v103, v103, v35
	v_add_f32_e32 v117, v34, v103
	v_add_f32_e32 v34, v102, v112
	v_sub_f32_e32 v103, v35, v34
	v_pk_add_f32 v[114:115], v[34:35], v[102:103] neg_lo:[0,1] neg_hi:[0,1]
	v_mov_b32_e32 v113, v34
	v_pk_add_f32 v[34:35], v[114:115], v[112:113] neg_lo:[0,1] neg_hi:[0,1]
	v_add_f32_e32 v35, v117, v35
	v_add_f32_e32 v34, v34, v35
	;; [unrolled: 1-line block ×4, first 2 shown]
	v_sub_f32_e32 v35, v103, v128
	v_mul_f32_e32 v34, v119, v34
	v_sub_f32_e32 v35, v101, v35
	v_add_f32_e32 v34, v35, v34
	v_add_f32_e32 v101, v103, v34
	v_mul_f32_e32 v112, v101, v101
	v_mov_b32_e32 v102, 0x3ecc95a3
	v_fmac_f32_e32 v102, 0x3e9b6dac, v112
	v_mov_b32_e32 v35, 0x3f2aaada
	v_fmac_f32_e32 v35, v112, v102
	v_cvt_f32_i32_e32 v102, v116
	v_sub_f32_e32 v103, v101, v103
	v_sub_f32_e32 v34, v34, v103
	v_ldexp_f32 v114, v34, 1
	v_mul_f32_e32 v103, v101, v112
	v_mov_b32_e32 v34, 0x3f317218
	s_mov_b32 s13, 0x3f317218
	v_pk_mul_f32 v[34:35], v[102:103], v[34:35]
	v_fma_f32 v112, v102, s13, -v34
	v_ldexp_f32 v113, v101, 1
	v_fmac_f32_e32 v112, 0xb102e308, v102
	v_pk_add_f32 v[102:103], v[34:35], v[112:113]
	v_sub_f32_e32 v101, v103, v113
	v_sub_f32_e32 v101, v35, v101
	v_add_f32_e32 v115, v114, v101
	v_mov_b32_e32 v114, v34
	v_pk_add_f32 v[34:35], v[102:103], v[34:35] neg_lo:[0,1] neg_hi:[0,1]
	v_pk_add_f32 v[116:117], v[102:103], v[114:115]
	v_mov_b32_e32 v35, v117
	v_mov_b32_e32 v113, v102
	v_pk_add_f32 v[118:119], v[112:113], v[34:35] neg_lo:[0,1] neg_hi:[0,1]
	v_pk_add_f32 v[34:35], v[112:113], v[34:35]
	v_mov_b32_e32 v112, v35
	v_pk_add_f32 v[128:129], v[112:113], v[102:103] neg_lo:[0,1] neg_hi:[0,1]
	v_mov_b32_e32 v101, v128
	v_pk_add_f32 v[130:131], v[116:117], v[100:101] neg_lo:[0,1] neg_hi:[0,1]
	v_mov_b32_e32 v34, v117
	v_mov_b32_e32 v116, v103
	;; [unrolled: 1-line block ×4, first 2 shown]
	v_pk_add_f32 v[34:35], v[34:35], v[116:117] neg_lo:[0,1] neg_hi:[0,1]
	v_mov_b32_e32 v114, v115
	v_mov_b32_e32 v115, v102
	v_pk_add_f32 v[34:35], v[114:115], v[34:35] neg_lo:[0,1] neg_hi:[0,1]
	v_mov_b32_e32 v130, v118
	v_pk_add_f32 v[102:103], v[130:131], v[34:35]
	v_mov_b32_e32 v114, v103
	v_pk_add_f32 v[114:115], v[102:103], v[114:115]
	v_pk_add_f32 v[112:113], v[112:113], v[114:115]
	v_mov_b32_e32 v103, v112
	v_pk_add_f32 v[116:117], v[102:103], v[118:119] neg_lo:[0,1] neg_hi:[0,1]
	v_mov_b32_e32 v35, v114
	v_sub_f32_e32 v101, v102, v116
	v_pk_add_f32 v[34:35], v[34:35], v[116:117] neg_lo:[0,1] neg_hi:[0,1]
	v_sub_f32_e32 v101, v118, v101
	s_mov_b32 s68, 0x7f800000
	v_add_f32_e32 v34, v34, v101
	s_mov_b32 s13, 0x33800000
	v_add_f32_e32 v34, v34, v35
	v_cmp_eq_f32_e32 vcc, s68, v132
	v_cmp_lt_f32_e64 s[68:69], |v132|, s13
	v_add_f32_e32 v34, v112, v34
	s_or_b64 vcc, vcc, s[68:69]
	v_cndmask_b32_e32 v34, v34, v132, vcc
	v_add_f32_e32 v33, v33, v34
	v_cvt_f16_f32_e32 v34, v33
.LBB353_135:
	s_or_b64 exec, exec, s[60:61]
	v_and_b32_e32 v33, 0xffff, v34
	v_mov_b32_e32 v131, v34
.LBB353_136:
	s_or_b64 exec, exec, s[66:67]
	v_cmp_gt_u32_e32 vcc, 62, v99
	s_waitcnt lgkmcnt(0)
	v_cndmask_b32_e64 v34, 0, 1, vcc
	v_lshlrev_b32_e32 v34, 1, v34
	v_add_lshl_u32 v101, v34, v27, 2
	ds_bpermute_b32 v34, v101, v33
	v_add_u32_e32 v102, 2, v99
	v_cmp_le_u32_e32 vcc, v102, v32
	s_and_saveexec_b64 s[66:67], vcc
	s_cbranch_execz .LBB353_140
; %bb.137:
	s_waitcnt lgkmcnt(0)
	v_cvt_f32_f16_e32 v33, v34
	v_cvt_f32_f16_e32 v103, v131
	v_cmp_u_f16_e32 vcc, v34, v34
	v_cmp_u_f16_e64 s[60:61], v131, v131
	s_movk_i32 s13, 0x1f8
	v_min_f32_e32 v35, v33, v103
	v_max_f32_e32 v112, v33, v103
	v_cndmask_b32_e32 v35, v35, v33, vcc
	v_cndmask_b32_e32 v33, v112, v33, vcc
	v_cndmask_b32_e64 v35, v35, v103, s[60:61]
	v_cndmask_b32_e64 v33, v33, v103, s[60:61]
	v_cmp_neq_f32_e32 vcc, v35, v33
	v_cmp_class_f32_e64 s[60:61], v35, s13
	s_or_b64 vcc, vcc, s[60:61]
	s_and_saveexec_b64 s[60:61], vcc
	s_cbranch_execz .LBB353_139
; %bb.138:
	v_sub_f32_e32 v34, v35, v33
	s_mov_b32 s13, 0x3fb8aa3b
	v_mul_f32_e32 v35, 0x3fb8aa3b, v34
	v_fma_f32 v103, v34, s13, -v35
	v_rndne_f32_e32 v112, v35
	v_fmac_f32_e32 v103, 0x32a5705f, v34
	v_sub_f32_e32 v35, v35, v112
	v_add_f32_e32 v35, v35, v103
	v_exp_f32_e32 v35, v35
	v_cvt_i32_f32_e32 v103, v112
	s_mov_b32 s13, 0xc2ce8ed0
	v_cmp_ngt_f32_e32 vcc, s13, v34
	s_mov_b32 s13, 0x42b17218
	v_ldexp_f32 v35, v35, v103
	v_cndmask_b32_e32 v35, 0, v35, vcc
	v_mov_b32_e32 v103, 0x7f800000
	v_cmp_nlt_f32_e32 vcc, s13, v34
	v_cndmask_b32_e32 v134, v103, v35, vcc
	v_add_f32_e32 v103, 1.0, v134
	v_add_f32_e32 v34, -1.0, v103
	v_sub_f32_e32 v35, v34, v103
	v_add_f32_e32 v35, 1.0, v35
	v_sub_f32_e32 v34, v134, v34
	v_add_f32_e32 v112, v34, v35
	v_frexp_mant_f32_e32 v113, v103
	s_mov_b32 s13, 0x3f2aaaab
	v_cvt_f64_f32_e32 v[34:35], v103
	v_frexp_exp_i32_f64_e32 v34, v[34:35]
	v_cmp_gt_f32_e32 vcc, s13, v113
	v_subbrev_co_u32_e32 v118, vcc, 0, v34, vcc
	v_sub_u32_e32 v34, 0, v118
	v_ldexp_f32 v35, v103, v34
	v_add_f32_e32 v103, -1.0, v35
	v_add_f32_e32 v113, 1.0, v35
	v_ldexp_f32 v34, v112, v34
	v_add_f32_e32 v112, 1.0, v103
	v_add_f32_e32 v114, -1.0, v113
	v_sub_f32_e32 v112, v35, v112
	v_sub_f32_e32 v35, v35, v114
	v_add_f32_e32 v112, v34, v112
	v_add_f32_e32 v34, v34, v35
	v_add_f32_e32 v119, v113, v34
	v_rcp_f32_e32 v129, v119
	v_sub_f32_e32 v35, v113, v119
	v_add_f32_e32 v128, v34, v35
	v_add_f32_e32 v35, v103, v112
	v_sub_f32_e32 v34, v103, v35
	v_mul_f32_e32 v130, v35, v129
	v_add_f32_e32 v103, v112, v34
	v_mul_f32_e32 v112, v119, v130
	v_fma_f32 v114, v130, v119, -v112
	v_fmac_f32_e32 v114, v130, v128
	v_add_f32_e32 v34, v112, v114
	v_sub_f32_e32 v113, v35, v34
	v_pk_add_f32 v[116:117], v[34:35], v[112:113] neg_lo:[0,1] neg_hi:[0,1]
	v_mov_b32_e32 v115, v34
	v_pk_add_f32 v[34:35], v[116:117], v[114:115] neg_lo:[0,1] neg_hi:[0,1]
	v_add_f32_e32 v35, v103, v35
	v_add_f32_e32 v34, v34, v35
	;; [unrolled: 1-line block ×3, first 2 shown]
	v_mul_f32_e32 v103, v129, v35
	v_mul_f32_e32 v112, v119, v103
	v_fma_f32 v114, v103, v119, -v112
	v_fmac_f32_e32 v114, v103, v128
	v_sub_f32_e32 v113, v113, v35
	v_add_f32_e32 v119, v34, v113
	v_add_f32_e32 v34, v112, v114
	v_sub_f32_e32 v113, v35, v34
	v_pk_add_f32 v[116:117], v[34:35], v[112:113] neg_lo:[0,1] neg_hi:[0,1]
	v_mov_b32_e32 v115, v34
	v_pk_add_f32 v[34:35], v[116:117], v[114:115] neg_lo:[0,1] neg_hi:[0,1]
	v_add_f32_e32 v35, v119, v35
	v_add_f32_e32 v34, v34, v35
	;; [unrolled: 1-line block ×4, first 2 shown]
	v_sub_f32_e32 v35, v113, v130
	v_mul_f32_e32 v34, v129, v34
	v_sub_f32_e32 v35, v103, v35
	v_add_f32_e32 v34, v35, v34
	v_add_f32_e32 v103, v113, v34
	v_mul_f32_e32 v114, v103, v103
	v_mov_b32_e32 v112, 0x3ecc95a3
	v_fmac_f32_e32 v112, 0x3e9b6dac, v114
	v_mov_b32_e32 v35, 0x3f2aaada
	v_fmac_f32_e32 v35, v114, v112
	v_cvt_f32_i32_e32 v112, v118
	v_sub_f32_e32 v113, v103, v113
	v_sub_f32_e32 v34, v34, v113
	v_ldexp_f32 v116, v34, 1
	v_mul_f32_e32 v113, v103, v114
	v_mov_b32_e32 v34, 0x3f317218
	s_mov_b32 s13, 0x3f317218
	v_pk_mul_f32 v[34:35], v[112:113], v[34:35]
	v_fma_f32 v114, v112, s13, -v34
	v_ldexp_f32 v115, v103, 1
	v_fmac_f32_e32 v114, 0xb102e308, v112
	v_pk_add_f32 v[112:113], v[34:35], v[114:115]
	v_sub_f32_e32 v103, v113, v115
	v_sub_f32_e32 v103, v35, v103
	v_add_f32_e32 v117, v116, v103
	v_mov_b32_e32 v116, v34
	v_pk_add_f32 v[34:35], v[112:113], v[34:35] neg_lo:[0,1] neg_hi:[0,1]
	v_pk_add_f32 v[118:119], v[112:113], v[116:117]
	v_mov_b32_e32 v35, v119
	v_mov_b32_e32 v115, v112
	v_pk_add_f32 v[128:129], v[114:115], v[34:35] neg_lo:[0,1] neg_hi:[0,1]
	v_pk_add_f32 v[34:35], v[114:115], v[34:35]
	v_mov_b32_e32 v114, v35
	v_pk_add_f32 v[130:131], v[114:115], v[112:113] neg_lo:[0,1] neg_hi:[0,1]
	v_mov_b32_e32 v103, v130
	v_pk_add_f32 v[132:133], v[118:119], v[102:103] neg_lo:[0,1] neg_hi:[0,1]
	v_mov_b32_e32 v34, v119
	v_mov_b32_e32 v118, v113
	;; [unrolled: 1-line block ×4, first 2 shown]
	v_pk_add_f32 v[34:35], v[34:35], v[118:119] neg_lo:[0,1] neg_hi:[0,1]
	v_mov_b32_e32 v116, v117
	v_mov_b32_e32 v117, v112
	v_pk_add_f32 v[34:35], v[116:117], v[34:35] neg_lo:[0,1] neg_hi:[0,1]
	v_mov_b32_e32 v132, v128
	v_pk_add_f32 v[112:113], v[132:133], v[34:35]
	v_mov_b32_e32 v116, v113
	v_pk_add_f32 v[116:117], v[112:113], v[116:117]
	v_pk_add_f32 v[114:115], v[114:115], v[116:117]
	v_mov_b32_e32 v113, v114
	v_pk_add_f32 v[118:119], v[112:113], v[128:129] neg_lo:[0,1] neg_hi:[0,1]
	v_mov_b32_e32 v35, v116
	v_sub_f32_e32 v103, v112, v118
	v_pk_add_f32 v[34:35], v[34:35], v[118:119] neg_lo:[0,1] neg_hi:[0,1]
	v_sub_f32_e32 v103, v128, v103
	s_mov_b32 s68, 0x7f800000
	v_add_f32_e32 v34, v34, v103
	s_mov_b32 s13, 0x33800000
	v_add_f32_e32 v34, v34, v35
	v_cmp_eq_f32_e32 vcc, s68, v134
	v_cmp_lt_f32_e64 s[68:69], |v134|, s13
	v_add_f32_e32 v34, v114, v34
	s_or_b64 vcc, vcc, s[68:69]
	v_cndmask_b32_e32 v34, v34, v134, vcc
	v_add_f32_e32 v33, v33, v34
	v_cvt_f16_f32_e32 v34, v33
.LBB353_139:
	s_or_b64 exec, exec, s[60:61]
	v_and_b32_e32 v33, 0xffff, v34
	v_mov_b32_e32 v131, v34
.LBB353_140:
	s_or_b64 exec, exec, s[66:67]
	v_cmp_gt_u32_e32 vcc, 60, v99
	s_waitcnt lgkmcnt(0)
	v_cndmask_b32_e64 v34, 0, 1, vcc
	v_lshlrev_b32_e32 v34, 2, v34
	v_add_lshl_u32 v103, v34, v27, 2
	ds_bpermute_b32 v34, v103, v33
	v_add_u32_e32 v112, 4, v99
	v_cmp_le_u32_e32 vcc, v112, v32
	s_and_saveexec_b64 s[66:67], vcc
	s_cbranch_execz .LBB353_144
; %bb.141:
	s_waitcnt lgkmcnt(0)
	v_cvt_f32_f16_e32 v33, v34
	v_cvt_f32_f16_e32 v113, v131
	v_cmp_u_f16_e32 vcc, v34, v34
	v_cmp_u_f16_e64 s[60:61], v131, v131
	s_movk_i32 s13, 0x1f8
	v_min_f32_e32 v35, v33, v113
	v_max_f32_e32 v114, v33, v113
	v_cndmask_b32_e32 v35, v35, v33, vcc
	v_cndmask_b32_e32 v33, v114, v33, vcc
	v_cndmask_b32_e64 v35, v35, v113, s[60:61]
	v_cndmask_b32_e64 v33, v33, v113, s[60:61]
	v_cmp_neq_f32_e32 vcc, v35, v33
	v_cmp_class_f32_e64 s[60:61], v35, s13
	s_or_b64 vcc, vcc, s[60:61]
	s_and_saveexec_b64 s[60:61], vcc
	s_cbranch_execz .LBB353_143
; %bb.142:
	v_sub_f32_e32 v34, v35, v33
	s_mov_b32 s13, 0x3fb8aa3b
	v_mul_f32_e32 v35, 0x3fb8aa3b, v34
	v_fma_f32 v113, v34, s13, -v35
	v_rndne_f32_e32 v114, v35
	v_fmac_f32_e32 v113, 0x32a5705f, v34
	v_sub_f32_e32 v35, v35, v114
	v_add_f32_e32 v35, v35, v113
	v_exp_f32_e32 v35, v35
	v_cvt_i32_f32_e32 v113, v114
	s_mov_b32 s13, 0xc2ce8ed0
	v_cmp_ngt_f32_e32 vcc, s13, v34
	s_mov_b32 s13, 0x42b17218
	v_ldexp_f32 v35, v35, v113
	v_cndmask_b32_e32 v35, 0, v35, vcc
	v_mov_b32_e32 v113, 0x7f800000
	v_cmp_nlt_f32_e32 vcc, s13, v34
	v_cndmask_b32_e32 v144, v113, v35, vcc
	v_add_f32_e32 v113, 1.0, v144
	v_add_f32_e32 v34, -1.0, v113
	v_sub_f32_e32 v35, v34, v113
	v_add_f32_e32 v35, 1.0, v35
	v_sub_f32_e32 v34, v144, v34
	v_add_f32_e32 v114, v34, v35
	v_frexp_mant_f32_e32 v115, v113
	s_mov_b32 s13, 0x3f2aaaab
	v_cvt_f64_f32_e32 v[34:35], v113
	v_frexp_exp_i32_f64_e32 v34, v[34:35]
	v_cmp_gt_f32_e32 vcc, s13, v115
	v_subbrev_co_u32_e32 v128, vcc, 0, v34, vcc
	v_sub_u32_e32 v34, 0, v128
	v_ldexp_f32 v35, v113, v34
	v_add_f32_e32 v113, -1.0, v35
	v_add_f32_e32 v115, 1.0, v35
	v_ldexp_f32 v34, v114, v34
	v_add_f32_e32 v114, 1.0, v113
	v_add_f32_e32 v116, -1.0, v115
	v_sub_f32_e32 v114, v35, v114
	v_sub_f32_e32 v35, v35, v116
	v_add_f32_e32 v114, v34, v114
	v_add_f32_e32 v34, v34, v35
	;; [unrolled: 1-line block ×3, first 2 shown]
	v_rcp_f32_e32 v131, v129
	v_sub_f32_e32 v35, v115, v129
	v_add_f32_e32 v130, v34, v35
	v_add_f32_e32 v35, v113, v114
	v_sub_f32_e32 v34, v113, v35
	v_mul_f32_e32 v132, v35, v131
	v_add_f32_e32 v113, v114, v34
	v_mul_f32_e32 v114, v129, v132
	v_fma_f32 v116, v132, v129, -v114
	v_fmac_f32_e32 v116, v132, v130
	v_add_f32_e32 v34, v114, v116
	v_sub_f32_e32 v115, v35, v34
	v_pk_add_f32 v[118:119], v[34:35], v[114:115] neg_lo:[0,1] neg_hi:[0,1]
	v_mov_b32_e32 v117, v34
	v_pk_add_f32 v[34:35], v[118:119], v[116:117] neg_lo:[0,1] neg_hi:[0,1]
	v_add_f32_e32 v35, v113, v35
	v_add_f32_e32 v34, v34, v35
	;; [unrolled: 1-line block ×3, first 2 shown]
	v_mul_f32_e32 v113, v131, v35
	v_mul_f32_e32 v114, v129, v113
	v_fma_f32 v116, v113, v129, -v114
	v_fmac_f32_e32 v116, v113, v130
	v_sub_f32_e32 v115, v115, v35
	v_add_f32_e32 v129, v34, v115
	v_add_f32_e32 v34, v114, v116
	v_sub_f32_e32 v115, v35, v34
	v_pk_add_f32 v[118:119], v[34:35], v[114:115] neg_lo:[0,1] neg_hi:[0,1]
	v_mov_b32_e32 v117, v34
	v_pk_add_f32 v[34:35], v[118:119], v[116:117] neg_lo:[0,1] neg_hi:[0,1]
	v_add_f32_e32 v35, v129, v35
	v_add_f32_e32 v34, v34, v35
	;; [unrolled: 1-line block ×4, first 2 shown]
	v_sub_f32_e32 v35, v115, v132
	v_mul_f32_e32 v34, v131, v34
	v_sub_f32_e32 v35, v113, v35
	v_add_f32_e32 v34, v35, v34
	v_add_f32_e32 v113, v115, v34
	v_mul_f32_e32 v116, v113, v113
	v_mov_b32_e32 v114, 0x3ecc95a3
	v_fmac_f32_e32 v114, 0x3e9b6dac, v116
	v_mov_b32_e32 v35, 0x3f2aaada
	v_fmac_f32_e32 v35, v116, v114
	v_cvt_f32_i32_e32 v114, v128
	v_sub_f32_e32 v115, v113, v115
	v_sub_f32_e32 v34, v34, v115
	v_ldexp_f32 v118, v34, 1
	v_mul_f32_e32 v115, v113, v116
	v_mov_b32_e32 v34, 0x3f317218
	s_mov_b32 s13, 0x3f317218
	v_pk_mul_f32 v[34:35], v[114:115], v[34:35]
	v_fma_f32 v116, v114, s13, -v34
	v_ldexp_f32 v117, v113, 1
	v_fmac_f32_e32 v116, 0xb102e308, v114
	v_pk_add_f32 v[114:115], v[34:35], v[116:117]
	v_sub_f32_e32 v113, v115, v117
	v_sub_f32_e32 v113, v35, v113
	v_add_f32_e32 v119, v118, v113
	v_mov_b32_e32 v118, v34
	v_pk_add_f32 v[34:35], v[114:115], v[34:35] neg_lo:[0,1] neg_hi:[0,1]
	v_pk_add_f32 v[128:129], v[114:115], v[118:119]
	v_mov_b32_e32 v35, v129
	v_mov_b32_e32 v117, v114
	v_pk_add_f32 v[130:131], v[116:117], v[34:35] neg_lo:[0,1] neg_hi:[0,1]
	v_pk_add_f32 v[34:35], v[116:117], v[34:35]
	v_mov_b32_e32 v116, v35
	v_pk_add_f32 v[132:133], v[116:117], v[114:115] neg_lo:[0,1] neg_hi:[0,1]
	v_mov_b32_e32 v113, v132
	v_pk_add_f32 v[134:135], v[128:129], v[112:113] neg_lo:[0,1] neg_hi:[0,1]
	v_mov_b32_e32 v34, v129
	v_mov_b32_e32 v128, v115
	;; [unrolled: 1-line block ×4, first 2 shown]
	v_pk_add_f32 v[34:35], v[34:35], v[128:129] neg_lo:[0,1] neg_hi:[0,1]
	v_mov_b32_e32 v118, v119
	v_mov_b32_e32 v119, v114
	v_pk_add_f32 v[34:35], v[118:119], v[34:35] neg_lo:[0,1] neg_hi:[0,1]
	v_mov_b32_e32 v134, v130
	v_pk_add_f32 v[114:115], v[134:135], v[34:35]
	v_mov_b32_e32 v118, v115
	v_pk_add_f32 v[118:119], v[114:115], v[118:119]
	v_pk_add_f32 v[116:117], v[116:117], v[118:119]
	v_mov_b32_e32 v115, v116
	v_pk_add_f32 v[128:129], v[114:115], v[130:131] neg_lo:[0,1] neg_hi:[0,1]
	v_mov_b32_e32 v35, v118
	v_sub_f32_e32 v113, v114, v128
	v_pk_add_f32 v[34:35], v[34:35], v[128:129] neg_lo:[0,1] neg_hi:[0,1]
	v_sub_f32_e32 v113, v130, v113
	s_mov_b32 s68, 0x7f800000
	v_add_f32_e32 v34, v34, v113
	s_mov_b32 s13, 0x33800000
	v_add_f32_e32 v34, v34, v35
	v_cmp_eq_f32_e32 vcc, s68, v144
	v_cmp_lt_f32_e64 s[68:69], |v144|, s13
	v_add_f32_e32 v34, v116, v34
	s_or_b64 vcc, vcc, s[68:69]
	v_cndmask_b32_e32 v34, v34, v144, vcc
	v_add_f32_e32 v33, v33, v34
	v_cvt_f16_f32_e32 v34, v33
.LBB353_143:
	s_or_b64 exec, exec, s[60:61]
	v_and_b32_e32 v33, 0xffff, v34
	v_mov_b32_e32 v131, v34
.LBB353_144:
	s_or_b64 exec, exec, s[66:67]
	v_cmp_gt_u32_e32 vcc, 56, v99
	s_waitcnt lgkmcnt(0)
	v_cndmask_b32_e64 v34, 0, 1, vcc
	v_lshlrev_b32_e32 v34, 3, v34
	v_add_lshl_u32 v113, v34, v27, 2
	ds_bpermute_b32 v34, v113, v33
	v_add_u32_e32 v114, 8, v99
	v_cmp_le_u32_e32 vcc, v114, v32
	s_and_saveexec_b64 s[66:67], vcc
	s_cbranch_execz .LBB353_148
; %bb.145:
	s_waitcnt lgkmcnt(0)
	v_cvt_f32_f16_e32 v33, v34
	v_cvt_f32_f16_e32 v115, v131
	v_cmp_u_f16_e32 vcc, v34, v34
	v_cmp_u_f16_e64 s[60:61], v131, v131
	s_movk_i32 s13, 0x1f8
	v_min_f32_e32 v35, v33, v115
	v_max_f32_e32 v116, v33, v115
	v_cndmask_b32_e32 v35, v35, v33, vcc
	v_cndmask_b32_e32 v33, v116, v33, vcc
	v_cndmask_b32_e64 v35, v35, v115, s[60:61]
	v_cndmask_b32_e64 v33, v33, v115, s[60:61]
	v_cmp_neq_f32_e32 vcc, v35, v33
	v_cmp_class_f32_e64 s[60:61], v35, s13
	s_or_b64 vcc, vcc, s[60:61]
	s_and_saveexec_b64 s[60:61], vcc
	s_cbranch_execz .LBB353_147
; %bb.146:
	v_sub_f32_e32 v34, v35, v33
	s_mov_b32 s13, 0x3fb8aa3b
	v_mul_f32_e32 v35, 0x3fb8aa3b, v34
	v_fma_f32 v115, v34, s13, -v35
	v_rndne_f32_e32 v116, v35
	v_fmac_f32_e32 v115, 0x32a5705f, v34
	v_sub_f32_e32 v35, v35, v116
	v_add_f32_e32 v35, v35, v115
	v_exp_f32_e32 v35, v35
	v_cvt_i32_f32_e32 v115, v116
	s_mov_b32 s13, 0xc2ce8ed0
	v_cmp_ngt_f32_e32 vcc, s13, v34
	s_mov_b32 s13, 0x42b17218
	v_ldexp_f32 v35, v35, v115
	v_cndmask_b32_e32 v35, 0, v35, vcc
	v_mov_b32_e32 v115, 0x7f800000
	v_cmp_nlt_f32_e32 vcc, s13, v34
	v_cndmask_b32_e32 v146, v115, v35, vcc
	v_add_f32_e32 v115, 1.0, v146
	v_add_f32_e32 v34, -1.0, v115
	v_sub_f32_e32 v35, v34, v115
	v_add_f32_e32 v35, 1.0, v35
	v_sub_f32_e32 v34, v146, v34
	v_add_f32_e32 v116, v34, v35
	v_frexp_mant_f32_e32 v117, v115
	s_mov_b32 s13, 0x3f2aaaab
	v_cvt_f64_f32_e32 v[34:35], v115
	v_frexp_exp_i32_f64_e32 v34, v[34:35]
	v_cmp_gt_f32_e32 vcc, s13, v117
	v_subbrev_co_u32_e32 v130, vcc, 0, v34, vcc
	v_sub_u32_e32 v34, 0, v130
	v_ldexp_f32 v35, v115, v34
	v_add_f32_e32 v115, -1.0, v35
	v_add_f32_e32 v117, 1.0, v35
	v_ldexp_f32 v34, v116, v34
	v_add_f32_e32 v116, 1.0, v115
	v_add_f32_e32 v118, -1.0, v117
	v_sub_f32_e32 v116, v35, v116
	v_sub_f32_e32 v35, v35, v118
	v_add_f32_e32 v116, v34, v116
	v_add_f32_e32 v34, v34, v35
	;; [unrolled: 1-line block ×3, first 2 shown]
	v_rcp_f32_e32 v133, v131
	v_sub_f32_e32 v35, v117, v131
	v_add_f32_e32 v132, v34, v35
	v_add_f32_e32 v35, v115, v116
	v_sub_f32_e32 v34, v115, v35
	v_mul_f32_e32 v134, v35, v133
	v_add_f32_e32 v115, v116, v34
	v_mul_f32_e32 v116, v131, v134
	v_fma_f32 v118, v134, v131, -v116
	v_fmac_f32_e32 v118, v134, v132
	v_add_f32_e32 v34, v116, v118
	v_sub_f32_e32 v117, v35, v34
	v_pk_add_f32 v[128:129], v[34:35], v[116:117] neg_lo:[0,1] neg_hi:[0,1]
	v_mov_b32_e32 v119, v34
	v_pk_add_f32 v[34:35], v[128:129], v[118:119] neg_lo:[0,1] neg_hi:[0,1]
	v_add_f32_e32 v35, v115, v35
	v_add_f32_e32 v34, v34, v35
	;; [unrolled: 1-line block ×3, first 2 shown]
	v_mul_f32_e32 v115, v133, v35
	v_mul_f32_e32 v116, v131, v115
	v_fma_f32 v118, v115, v131, -v116
	v_fmac_f32_e32 v118, v115, v132
	v_sub_f32_e32 v117, v117, v35
	v_add_f32_e32 v131, v34, v117
	v_add_f32_e32 v34, v116, v118
	v_sub_f32_e32 v117, v35, v34
	v_pk_add_f32 v[128:129], v[34:35], v[116:117] neg_lo:[0,1] neg_hi:[0,1]
	v_mov_b32_e32 v119, v34
	v_pk_add_f32 v[34:35], v[128:129], v[118:119] neg_lo:[0,1] neg_hi:[0,1]
	v_add_f32_e32 v35, v131, v35
	v_add_f32_e32 v34, v34, v35
	;; [unrolled: 1-line block ×4, first 2 shown]
	v_sub_f32_e32 v35, v117, v134
	v_mul_f32_e32 v34, v133, v34
	v_sub_f32_e32 v35, v115, v35
	v_add_f32_e32 v34, v35, v34
	v_add_f32_e32 v115, v117, v34
	v_mul_f32_e32 v118, v115, v115
	v_mov_b32_e32 v116, 0x3ecc95a3
	v_fmac_f32_e32 v116, 0x3e9b6dac, v118
	v_mov_b32_e32 v35, 0x3f2aaada
	v_fmac_f32_e32 v35, v118, v116
	v_cvt_f32_i32_e32 v116, v130
	v_sub_f32_e32 v117, v115, v117
	v_sub_f32_e32 v34, v34, v117
	v_ldexp_f32 v128, v34, 1
	v_mul_f32_e32 v117, v115, v118
	v_mov_b32_e32 v34, 0x3f317218
	s_mov_b32 s13, 0x3f317218
	v_pk_mul_f32 v[34:35], v[116:117], v[34:35]
	v_fma_f32 v118, v116, s13, -v34
	v_ldexp_f32 v119, v115, 1
	v_fmac_f32_e32 v118, 0xb102e308, v116
	v_pk_add_f32 v[116:117], v[34:35], v[118:119]
	v_sub_f32_e32 v115, v117, v119
	v_sub_f32_e32 v115, v35, v115
	v_add_f32_e32 v129, v128, v115
	v_mov_b32_e32 v128, v34
	v_pk_add_f32 v[34:35], v[116:117], v[34:35] neg_lo:[0,1] neg_hi:[0,1]
	v_pk_add_f32 v[130:131], v[116:117], v[128:129]
	v_mov_b32_e32 v35, v131
	v_mov_b32_e32 v119, v116
	v_pk_add_f32 v[132:133], v[118:119], v[34:35] neg_lo:[0,1] neg_hi:[0,1]
	v_pk_add_f32 v[34:35], v[118:119], v[34:35]
	v_mov_b32_e32 v118, v35
	v_pk_add_f32 v[134:135], v[118:119], v[116:117] neg_lo:[0,1] neg_hi:[0,1]
	v_mov_b32_e32 v115, v134
	v_pk_add_f32 v[144:145], v[130:131], v[114:115] neg_lo:[0,1] neg_hi:[0,1]
	v_mov_b32_e32 v34, v131
	v_mov_b32_e32 v130, v117
	;; [unrolled: 1-line block ×4, first 2 shown]
	v_pk_add_f32 v[34:35], v[34:35], v[130:131] neg_lo:[0,1] neg_hi:[0,1]
	v_mov_b32_e32 v128, v129
	v_mov_b32_e32 v129, v116
	v_pk_add_f32 v[34:35], v[128:129], v[34:35] neg_lo:[0,1] neg_hi:[0,1]
	v_mov_b32_e32 v144, v132
	v_pk_add_f32 v[116:117], v[144:145], v[34:35]
	v_mov_b32_e32 v128, v117
	v_pk_add_f32 v[128:129], v[116:117], v[128:129]
	v_pk_add_f32 v[118:119], v[118:119], v[128:129]
	v_mov_b32_e32 v117, v118
	v_pk_add_f32 v[130:131], v[116:117], v[132:133] neg_lo:[0,1] neg_hi:[0,1]
	v_mov_b32_e32 v35, v128
	v_sub_f32_e32 v115, v116, v130
	v_pk_add_f32 v[34:35], v[34:35], v[130:131] neg_lo:[0,1] neg_hi:[0,1]
	v_sub_f32_e32 v115, v132, v115
	s_mov_b32 s68, 0x7f800000
	v_add_f32_e32 v34, v34, v115
	s_mov_b32 s13, 0x33800000
	v_add_f32_e32 v34, v34, v35
	v_cmp_eq_f32_e32 vcc, s68, v146
	v_cmp_lt_f32_e64 s[68:69], |v146|, s13
	v_add_f32_e32 v34, v118, v34
	s_or_b64 vcc, vcc, s[68:69]
	v_cndmask_b32_e32 v34, v34, v146, vcc
	v_add_f32_e32 v33, v33, v34
	v_cvt_f16_f32_e32 v34, v33
.LBB353_147:
	s_or_b64 exec, exec, s[60:61]
	v_and_b32_e32 v33, 0xffff, v34
	v_mov_b32_e32 v131, v34
.LBB353_148:
	s_or_b64 exec, exec, s[66:67]
	v_cmp_gt_u32_e32 vcc, 48, v99
	s_waitcnt lgkmcnt(0)
	v_cndmask_b32_e64 v34, 0, 1, vcc
	v_lshlrev_b32_e32 v34, 4, v34
	v_add_lshl_u32 v115, v34, v27, 2
	ds_bpermute_b32 v34, v115, v33
	v_add_u32_e32 v116, 16, v99
	v_cmp_le_u32_e32 vcc, v116, v32
	s_and_saveexec_b64 s[66:67], vcc
	s_cbranch_execz .LBB353_152
; %bb.149:
	s_waitcnt lgkmcnt(0)
	v_cvt_f32_f16_e32 v33, v34
	v_cvt_f32_f16_e32 v117, v131
	v_cmp_u_f16_e32 vcc, v34, v34
	v_cmp_u_f16_e64 s[60:61], v131, v131
	s_movk_i32 s13, 0x1f8
	v_min_f32_e32 v35, v33, v117
	v_max_f32_e32 v118, v33, v117
	v_cndmask_b32_e32 v35, v35, v33, vcc
	v_cndmask_b32_e32 v33, v118, v33, vcc
	v_cndmask_b32_e64 v35, v35, v117, s[60:61]
	v_cndmask_b32_e64 v33, v33, v117, s[60:61]
	v_cmp_neq_f32_e32 vcc, v35, v33
	v_cmp_class_f32_e64 s[60:61], v35, s13
	s_or_b64 vcc, vcc, s[60:61]
	s_and_saveexec_b64 s[60:61], vcc
	s_cbranch_execz .LBB353_151
; %bb.150:
	v_sub_f32_e32 v34, v35, v33
	s_mov_b32 s13, 0x3fb8aa3b
	v_mul_f32_e32 v35, 0x3fb8aa3b, v34
	v_fma_f32 v117, v34, s13, -v35
	v_rndne_f32_e32 v118, v35
	v_fmac_f32_e32 v117, 0x32a5705f, v34
	v_sub_f32_e32 v35, v35, v118
	v_add_f32_e32 v35, v35, v117
	v_exp_f32_e32 v35, v35
	v_cvt_i32_f32_e32 v117, v118
	s_mov_b32 s13, 0xc2ce8ed0
	v_cmp_ngt_f32_e32 vcc, s13, v34
	s_mov_b32 s13, 0x42b17218
	v_ldexp_f32 v35, v35, v117
	v_cndmask_b32_e32 v35, 0, v35, vcc
	v_mov_b32_e32 v117, 0x7f800000
	v_cmp_nlt_f32_e32 vcc, s13, v34
	v_cndmask_b32_e32 v148, v117, v35, vcc
	v_add_f32_e32 v117, 1.0, v148
	v_add_f32_e32 v34, -1.0, v117
	v_sub_f32_e32 v35, v34, v117
	v_add_f32_e32 v35, 1.0, v35
	v_sub_f32_e32 v34, v148, v34
	v_add_f32_e32 v118, v34, v35
	v_frexp_mant_f32_e32 v119, v117
	s_mov_b32 s13, 0x3f2aaaab
	v_cvt_f64_f32_e32 v[34:35], v117
	v_frexp_exp_i32_f64_e32 v34, v[34:35]
	v_cmp_gt_f32_e32 vcc, s13, v119
	v_subbrev_co_u32_e32 v132, vcc, 0, v34, vcc
	v_sub_u32_e32 v34, 0, v132
	v_ldexp_f32 v35, v117, v34
	v_add_f32_e32 v117, -1.0, v35
	v_add_f32_e32 v119, 1.0, v35
	v_ldexp_f32 v34, v118, v34
	v_add_f32_e32 v118, 1.0, v117
	v_add_f32_e32 v128, -1.0, v119
	v_sub_f32_e32 v118, v35, v118
	v_sub_f32_e32 v35, v35, v128
	v_add_f32_e32 v118, v34, v118
	v_add_f32_e32 v34, v34, v35
	;; [unrolled: 1-line block ×3, first 2 shown]
	v_rcp_f32_e32 v135, v133
	v_sub_f32_e32 v35, v119, v133
	v_add_f32_e32 v134, v34, v35
	v_add_f32_e32 v35, v117, v118
	v_sub_f32_e32 v34, v117, v35
	v_mul_f32_e32 v144, v35, v135
	v_add_f32_e32 v117, v118, v34
	v_mul_f32_e32 v118, v133, v144
	v_fma_f32 v128, v144, v133, -v118
	v_fmac_f32_e32 v128, v144, v134
	v_add_f32_e32 v34, v118, v128
	v_sub_f32_e32 v119, v35, v34
	v_pk_add_f32 v[130:131], v[34:35], v[118:119] neg_lo:[0,1] neg_hi:[0,1]
	v_mov_b32_e32 v129, v34
	v_pk_add_f32 v[34:35], v[130:131], v[128:129] neg_lo:[0,1] neg_hi:[0,1]
	v_add_f32_e32 v35, v117, v35
	v_add_f32_e32 v34, v34, v35
	;; [unrolled: 1-line block ×3, first 2 shown]
	v_mul_f32_e32 v117, v135, v35
	v_mul_f32_e32 v118, v133, v117
	v_fma_f32 v128, v117, v133, -v118
	v_fmac_f32_e32 v128, v117, v134
	v_sub_f32_e32 v119, v119, v35
	v_add_f32_e32 v133, v34, v119
	v_add_f32_e32 v34, v118, v128
	v_sub_f32_e32 v119, v35, v34
	v_pk_add_f32 v[130:131], v[34:35], v[118:119] neg_lo:[0,1] neg_hi:[0,1]
	v_mov_b32_e32 v129, v34
	v_pk_add_f32 v[34:35], v[130:131], v[128:129] neg_lo:[0,1] neg_hi:[0,1]
	v_add_f32_e32 v35, v133, v35
	v_add_f32_e32 v34, v34, v35
	;; [unrolled: 1-line block ×4, first 2 shown]
	v_sub_f32_e32 v35, v119, v144
	v_mul_f32_e32 v34, v135, v34
	v_sub_f32_e32 v35, v117, v35
	v_add_f32_e32 v34, v35, v34
	v_add_f32_e32 v117, v119, v34
	v_mul_f32_e32 v128, v117, v117
	v_mov_b32_e32 v118, 0x3ecc95a3
	v_fmac_f32_e32 v118, 0x3e9b6dac, v128
	v_mov_b32_e32 v35, 0x3f2aaada
	v_fmac_f32_e32 v35, v128, v118
	v_cvt_f32_i32_e32 v118, v132
	v_sub_f32_e32 v119, v117, v119
	v_sub_f32_e32 v34, v34, v119
	v_ldexp_f32 v130, v34, 1
	v_mul_f32_e32 v119, v117, v128
	v_mov_b32_e32 v34, 0x3f317218
	s_mov_b32 s13, 0x3f317218
	v_pk_mul_f32 v[34:35], v[118:119], v[34:35]
	v_fma_f32 v128, v118, s13, -v34
	v_ldexp_f32 v129, v117, 1
	v_fmac_f32_e32 v128, 0xb102e308, v118
	v_pk_add_f32 v[118:119], v[34:35], v[128:129]
	v_sub_f32_e32 v117, v119, v129
	v_sub_f32_e32 v117, v35, v117
	v_add_f32_e32 v131, v130, v117
	v_mov_b32_e32 v130, v34
	v_pk_add_f32 v[34:35], v[118:119], v[34:35] neg_lo:[0,1] neg_hi:[0,1]
	v_pk_add_f32 v[132:133], v[118:119], v[130:131]
	v_mov_b32_e32 v35, v133
	v_mov_b32_e32 v129, v118
	v_pk_add_f32 v[134:135], v[128:129], v[34:35] neg_lo:[0,1] neg_hi:[0,1]
	v_pk_add_f32 v[34:35], v[128:129], v[34:35]
	v_mov_b32_e32 v128, v35
	v_pk_add_f32 v[144:145], v[128:129], v[118:119] neg_lo:[0,1] neg_hi:[0,1]
	v_mov_b32_e32 v117, v144
	v_pk_add_f32 v[146:147], v[132:133], v[116:117] neg_lo:[0,1] neg_hi:[0,1]
	v_mov_b32_e32 v34, v133
	v_mov_b32_e32 v132, v119
	;; [unrolled: 1-line block ×4, first 2 shown]
	v_pk_add_f32 v[34:35], v[34:35], v[132:133] neg_lo:[0,1] neg_hi:[0,1]
	v_mov_b32_e32 v130, v131
	v_mov_b32_e32 v131, v118
	v_pk_add_f32 v[34:35], v[130:131], v[34:35] neg_lo:[0,1] neg_hi:[0,1]
	v_mov_b32_e32 v146, v134
	v_pk_add_f32 v[118:119], v[146:147], v[34:35]
	v_mov_b32_e32 v130, v119
	v_pk_add_f32 v[130:131], v[118:119], v[130:131]
	v_pk_add_f32 v[128:129], v[128:129], v[130:131]
	v_mov_b32_e32 v119, v128
	v_pk_add_f32 v[132:133], v[118:119], v[134:135] neg_lo:[0,1] neg_hi:[0,1]
	v_mov_b32_e32 v35, v130
	v_sub_f32_e32 v117, v118, v132
	v_pk_add_f32 v[34:35], v[34:35], v[132:133] neg_lo:[0,1] neg_hi:[0,1]
	v_sub_f32_e32 v117, v134, v117
	s_mov_b32 s68, 0x7f800000
	v_add_f32_e32 v34, v34, v117
	s_mov_b32 s13, 0x33800000
	v_add_f32_e32 v34, v34, v35
	v_cmp_eq_f32_e32 vcc, s68, v148
	v_cmp_lt_f32_e64 s[68:69], |v148|, s13
	v_add_f32_e32 v34, v128, v34
	s_or_b64 vcc, vcc, s[68:69]
	v_cndmask_b32_e32 v34, v34, v148, vcc
	v_add_f32_e32 v33, v33, v34
	v_cvt_f16_f32_e32 v34, v33
.LBB353_151:
	s_or_b64 exec, exec, s[60:61]
	v_and_b32_e32 v33, 0xffff, v34
	v_mov_b32_e32 v131, v34
.LBB353_152:
	s_or_b64 exec, exec, s[66:67]
	v_cmp_gt_u32_e32 vcc, 32, v99
	s_waitcnt lgkmcnt(0)
	v_cndmask_b32_e64 v34, 0, 1, vcc
	v_lshlrev_b32_e32 v34, 5, v34
	v_add_lshl_u32 v117, v34, v27, 2
	ds_bpermute_b32 v33, v117, v33
	v_add_u32_e32 v118, 32, v99
	v_cmp_le_u32_e32 vcc, v118, v32
	s_and_saveexec_b64 s[66:67], vcc
	s_cbranch_execz .LBB353_156
; %bb.153:
	s_waitcnt lgkmcnt(0)
	v_cvt_f32_f16_e32 v27, v33
	v_cvt_f32_f16_e32 v34, v131
	v_cmp_u_f16_e32 vcc, v33, v33
	v_cmp_u_f16_e64 s[60:61], v131, v131
	s_movk_i32 s13, 0x1f8
	v_min_f32_e32 v32, v27, v34
	v_max_f32_e32 v35, v27, v34
	v_cndmask_b32_e32 v32, v32, v27, vcc
	v_cndmask_b32_e32 v27, v35, v27, vcc
	v_cndmask_b32_e64 v32, v32, v34, s[60:61]
	v_cndmask_b32_e64 v27, v27, v34, s[60:61]
	v_cmp_neq_f32_e32 vcc, v32, v27
	v_cmp_class_f32_e64 s[60:61], v32, s13
	s_or_b64 vcc, vcc, s[60:61]
	s_and_saveexec_b64 s[60:61], vcc
	s_cbranch_execz .LBB353_155
; %bb.154:
	v_sub_f32_e32 v32, v32, v27
	s_mov_b32 s13, 0x3fb8aa3b
	v_mul_f32_e32 v33, 0x3fb8aa3b, v32
	v_fma_f32 v34, v32, s13, -v33
	v_rndne_f32_e32 v35, v33
	v_fmac_f32_e32 v34, 0x32a5705f, v32
	v_sub_f32_e32 v33, v33, v35
	v_add_f32_e32 v33, v33, v34
	v_exp_f32_e32 v33, v33
	v_cvt_i32_f32_e32 v34, v35
	s_mov_b32 s13, 0xc2ce8ed0
	v_cmp_ngt_f32_e32 vcc, s13, v32
	s_mov_b32 s13, 0x42b17218
	v_ldexp_f32 v33, v33, v34
	v_cndmask_b32_e32 v33, 0, v33, vcc
	v_mov_b32_e32 v34, 0x7f800000
	v_cmp_nlt_f32_e32 vcc, s13, v32
	v_cndmask_b32_e32 v148, v34, v33, vcc
	v_add_f32_e32 v34, 1.0, v148
	v_add_f32_e32 v32, -1.0, v34
	v_sub_f32_e32 v33, v32, v34
	v_add_f32_e32 v33, 1.0, v33
	v_sub_f32_e32 v32, v148, v32
	v_add_f32_e32 v35, v32, v33
	v_frexp_mant_f32_e32 v119, v34
	s_mov_b32 s13, 0x3f2aaaab
	v_cvt_f64_f32_e32 v[32:33], v34
	v_frexp_exp_i32_f64_e32 v32, v[32:33]
	v_cmp_gt_f32_e32 vcc, s13, v119
	v_subbrev_co_u32_e32 v119, vcc, 0, v32, vcc
	v_sub_u32_e32 v32, 0, v119
	v_ldexp_f32 v33, v34, v32
	v_add_f32_e32 v34, -1.0, v33
	v_add_f32_e32 v128, 1.0, v33
	v_ldexp_f32 v32, v35, v32
	v_add_f32_e32 v35, 1.0, v34
	v_add_f32_e32 v129, -1.0, v128
	v_sub_f32_e32 v35, v33, v35
	v_sub_f32_e32 v33, v33, v129
	v_add_f32_e32 v35, v32, v35
	v_add_f32_e32 v32, v32, v33
	;; [unrolled: 1-line block ×3, first 2 shown]
	v_rcp_f32_e32 v134, v132
	v_sub_f32_e32 v33, v128, v132
	v_add_f32_e32 v133, v32, v33
	v_add_f32_e32 v33, v34, v35
	v_mul_f32_e32 v144, v33, v134
	v_sub_f32_e32 v32, v34, v33
	v_mul_f32_e32 v34, v132, v144
	v_fma_f32 v128, v144, v132, -v34
	v_fmac_f32_e32 v128, v144, v133
	v_add_f32_e32 v135, v35, v32
	v_add_f32_e32 v32, v34, v128
	v_sub_f32_e32 v35, v33, v32
	v_pk_add_f32 v[130:131], v[32:33], v[34:35] neg_lo:[0,1] neg_hi:[0,1]
	v_mov_b32_e32 v129, v32
	v_pk_add_f32 v[32:33], v[130:131], v[128:129] neg_lo:[0,1] neg_hi:[0,1]
	v_add_f32_e32 v33, v135, v33
	v_add_f32_e32 v32, v32, v33
	;; [unrolled: 1-line block ×3, first 2 shown]
	v_mul_f32_e32 v135, v134, v33
	v_mul_f32_e32 v34, v132, v135
	v_fma_f32 v128, v135, v132, -v34
	v_fmac_f32_e32 v128, v135, v133
	v_sub_f32_e32 v35, v35, v33
	v_add_f32_e32 v132, v32, v35
	v_add_f32_e32 v32, v34, v128
	v_sub_f32_e32 v35, v33, v32
	v_pk_add_f32 v[130:131], v[32:33], v[34:35] neg_lo:[0,1] neg_hi:[0,1]
	v_mov_b32_e32 v129, v32
	v_pk_add_f32 v[32:33], v[130:131], v[128:129] neg_lo:[0,1] neg_hi:[0,1]
	v_add_f32_e32 v33, v132, v33
	v_add_f32_e32 v32, v32, v33
	;; [unrolled: 1-line block ×4, first 2 shown]
	v_sub_f32_e32 v33, v35, v144
	v_mul_f32_e32 v32, v134, v32
	v_sub_f32_e32 v33, v135, v33
	v_add_f32_e32 v32, v33, v32
	v_add_f32_e32 v128, v35, v32
	v_mul_f32_e32 v130, v128, v128
	v_mov_b32_e32 v34, 0x3ecc95a3
	v_fmac_f32_e32 v34, 0x3e9b6dac, v130
	v_mov_b32_e32 v33, 0x3f2aaada
	v_fmac_f32_e32 v33, v130, v34
	v_cvt_f32_i32_e32 v34, v119
	v_sub_f32_e32 v35, v128, v35
	v_sub_f32_e32 v32, v32, v35
	v_ldexp_f32 v119, v32, 1
	v_mul_f32_e32 v35, v128, v130
	v_mov_b32_e32 v32, 0x3f317218
	s_mov_b32 s13, 0x3f317218
	v_pk_mul_f32 v[32:33], v[34:35], v[32:33]
	v_ldexp_f32 v129, v128, 1
	v_fma_f32 v128, v34, s13, -v32
	v_fmac_f32_e32 v128, 0xb102e308, v34
	v_pk_add_f32 v[34:35], v[32:33], v[128:129]
	v_sub_f32_e32 v129, v35, v129
	v_sub_f32_e32 v129, v33, v129
	v_add_f32_e32 v131, v119, v129
	v_mov_b32_e32 v130, v32
	v_pk_add_f32 v[32:33], v[34:35], v[32:33] neg_lo:[0,1] neg_hi:[0,1]
	v_pk_add_f32 v[132:133], v[34:35], v[130:131]
	v_mov_b32_e32 v33, v133
	v_mov_b32_e32 v129, v34
	v_pk_add_f32 v[134:135], v[128:129], v[32:33] neg_lo:[0,1] neg_hi:[0,1]
	v_pk_add_f32 v[32:33], v[128:129], v[32:33]
	v_mov_b32_e32 v128, v33
	v_pk_add_f32 v[144:145], v[128:129], v[34:35] neg_lo:[0,1] neg_hi:[0,1]
	v_mov_b32_e32 v119, v144
	v_pk_add_f32 v[146:147], v[132:133], v[118:119] neg_lo:[0,1] neg_hi:[0,1]
	v_mov_b32_e32 v32, v133
	v_mov_b32_e32 v132, v35
	;; [unrolled: 1-line block ×4, first 2 shown]
	v_pk_add_f32 v[32:33], v[32:33], v[132:133] neg_lo:[0,1] neg_hi:[0,1]
	v_mov_b32_e32 v130, v131
	v_mov_b32_e32 v131, v34
	v_pk_add_f32 v[32:33], v[130:131], v[32:33] neg_lo:[0,1] neg_hi:[0,1]
	v_mov_b32_e32 v146, v134
	v_pk_add_f32 v[34:35], v[146:147], v[32:33]
	v_mov_b32_e32 v130, v35
	v_pk_add_f32 v[130:131], v[34:35], v[130:131]
	v_pk_add_f32 v[128:129], v[128:129], v[130:131]
	v_mov_b32_e32 v35, v128
	v_pk_add_f32 v[132:133], v[34:35], v[134:135] neg_lo:[0,1] neg_hi:[0,1]
	v_mov_b32_e32 v33, v130
	v_sub_f32_e32 v34, v34, v132
	v_pk_add_f32 v[32:33], v[32:33], v[132:133] neg_lo:[0,1] neg_hi:[0,1]
	v_sub_f32_e32 v34, v134, v34
	s_mov_b32 s68, 0x7f800000
	v_add_f32_e32 v32, v32, v34
	s_mov_b32 s13, 0x33800000
	v_add_f32_e32 v32, v32, v33
	v_cmp_eq_f32_e32 vcc, s68, v148
	v_cmp_lt_f32_e64 s[68:69], |v148|, s13
	v_add_f32_e32 v32, v128, v32
	s_or_b64 vcc, vcc, s[68:69]
	v_cndmask_b32_e32 v32, v32, v148, vcc
	v_add_f32_e32 v27, v27, v32
	v_cvt_f16_f32_e32 v33, v27
.LBB353_155:
	s_or_b64 exec, exec, s[60:61]
	v_mov_b32_e32 v131, v33
.LBB353_156:
	s_or_b64 exec, exec, s[66:67]
	v_mov_b32_e32 v27, 0
	s_movk_i32 s13, 0x1f8
	s_mov_b32 s68, 0x3fb8aa3b
	s_mov_b32 s69, 0xc2ce8ed0
	;; [unrolled: 1-line block ×5, first 2 shown]
	v_mov_b32_e32 v128, 0x3f2aaada
	s_mov_b32 s73, 0x3f317218
	s_mov_b32 s74, 0x33800000
	v_mov_b32_e32 v129, 2
	v_mov_b32_e32 v130, 0x7f800000
	;; [unrolled: 1-line block ×3, first 2 shown]
	s_branch .LBB353_158
.LBB353_157:                            ;   in Loop: Header=BB353_158 Depth=1
	s_or_b64 exec, exec, s[60:61]
	v_subrev_u32_e32 v26, 64, v26
.LBB353_158:                            ; =>This Loop Header: Depth=1
                                        ;     Child Loop BB353_161 Depth 2
	v_cmp_ne_u16_sdwa vcc, v98, v129 src0_sel:BYTE_0 src1_sel:DWORD
	s_waitcnt lgkmcnt(0)
	v_cndmask_b32_e64 v33, 0, 1, vcc
	;;#ASMSTART
	;;#ASMEND
	v_cmp_ne_u32_e32 vcc, 0, v33
	s_cmp_lg_u64 vcc, exec
	v_mov_b32_e32 v119, v131
	s_cbranch_scc1 .LBB353_189
; %bb.159:                              ;   in Loop: Header=BB353_158 Depth=1
	v_lshlrev_b64 v[34:35], 2, v[26:27]
	v_add_co_u32_e32 v34, vcc, v24, v34
	v_addc_co_u32_e32 v35, vcc, v25, v35, vcc
	flat_load_dword v131, v[34:35] glc
	s_waitcnt vmcnt(0) lgkmcnt(0)
	v_lshrrev_b32_e32 v98, 16, v131
	v_cmp_eq_u16_sdwa s[60:61], v98, v27 src0_sel:BYTE_0 src1_sel:DWORD
	s_and_saveexec_b64 vcc, s[60:61]
	s_cbranch_execz .LBB353_163
; %bb.160:                              ;   in Loop: Header=BB353_158 Depth=1
	s_mov_b64 s[60:61], 0
.LBB353_161:                            ;   Parent Loop BB353_158 Depth=1
                                        ; =>  This Inner Loop Header: Depth=2
	flat_load_dword v131, v[34:35] glc
	s_waitcnt vmcnt(0) lgkmcnt(0)
	v_lshrrev_b32_e32 v98, 16, v131
	v_cmp_ne_u16_sdwa s[66:67], v98, v27 src0_sel:BYTE_0 src1_sel:DWORD
	s_or_b64 s[60:61], s[66:67], s[60:61]
	s_andn2_b64 exec, exec, s[60:61]
	s_cbranch_execnz .LBB353_161
; %bb.162:                              ;   in Loop: Header=BB353_158 Depth=1
	s_or_b64 exec, exec, s[60:61]
.LBB353_163:                            ;   in Loop: Header=BB353_158 Depth=1
	s_or_b64 exec, exec, vcc
	v_cmp_eq_u16_sdwa vcc, v98, v129 src0_sel:BYTE_0 src1_sel:DWORD
	v_and_b32_e32 v33, vcc_hi, v31
	v_or_b32_e32 v33, 0x80000000, v33
	v_ffbl_b32_e32 v35, v33
	v_and_b32_e32 v33, 0xffff, v131
	ds_bpermute_b32 v132, v100, v33
	v_and_b32_e32 v34, vcc_lo, v30
	v_add_u32_e32 v35, 32, v35
	v_ffbl_b32_e32 v34, v34
	v_min_u32_e32 v34, v34, v35
	v_cmp_lt_u32_e32 vcc, v99, v34
	s_and_saveexec_b64 s[66:67], vcc
	s_cbranch_execz .LBB353_167
; %bb.164:                              ;   in Loop: Header=BB353_158 Depth=1
	s_waitcnt lgkmcnt(0)
	v_cvt_f32_f16_e32 v35, v132
	v_cvt_f32_f16_e32 v133, v131
	v_cmp_u_f16_e32 vcc, v132, v132
	v_cmp_u_f16_e64 s[60:61], v131, v131
	v_min_f32_e32 v33, v35, v133
	v_max_f32_e32 v131, v35, v133
	v_cndmask_b32_e32 v33, v33, v35, vcc
	v_cndmask_b32_e32 v35, v131, v35, vcc
	v_cndmask_b32_e64 v33, v33, v133, s[60:61]
	v_cndmask_b32_e64 v35, v35, v133, s[60:61]
	v_cmp_neq_f32_e32 vcc, v33, v35
	v_cmp_class_f32_e64 s[60:61], v33, s13
	s_or_b64 vcc, vcc, s[60:61]
	s_and_saveexec_b64 s[60:61], vcc
	s_cbranch_execz .LBB353_166
; %bb.165:                              ;   in Loop: Header=BB353_158 Depth=1
	v_sub_f32_e32 v33, v33, v35
	v_mul_f32_e32 v131, 0x3fb8aa3b, v33
	v_fma_f32 v132, v33, s68, -v131
	v_rndne_f32_e32 v133, v131
	v_fmac_f32_e32 v132, 0x32a5705f, v33
	v_sub_f32_e32 v131, v131, v133
	v_add_f32_e32 v131, v131, v132
	v_cvt_i32_f32_e32 v132, v133
	v_exp_f32_e32 v131, v131
	v_cmp_ngt_f32_e32 vcc, s69, v33
	v_ldexp_f32 v131, v131, v132
	v_cndmask_b32_e32 v131, 0, v131, vcc
	v_cmp_nlt_f32_e32 vcc, s70, v33
	v_cndmask_b32_e32 v131, v130, v131, vcc
	v_add_f32_e32 v33, 1.0, v131
	v_add_f32_e32 v132, -1.0, v33
	v_sub_f32_e32 v133, v132, v33
	v_add_f32_e32 v133, 1.0, v133
	v_sub_f32_e32 v132, v131, v132
	v_add_f32_e32 v134, v132, v133
	v_frexp_mant_f32_e32 v135, v33
	v_cvt_f64_f32_e32 v[132:133], v33
	v_frexp_exp_i32_f64_e32 v132, v[132:133]
	v_cmp_gt_f32_e32 vcc, s72, v135
	v_subbrev_co_u32_e32 v148, vcc, 0, v132, vcc
	v_sub_u32_e32 v132, 0, v148
	v_ldexp_f32 v33, v33, v132
	v_ldexp_f32 v132, v134, v132
	v_add_f32_e32 v134, -1.0, v33
	v_add_f32_e32 v133, 1.0, v134
	v_sub_f32_e32 v133, v33, v133
	v_add_f32_e32 v135, v132, v133
	v_add_f32_e32 v133, 1.0, v33
	v_add_f32_e32 v144, -1.0, v133
	v_sub_f32_e32 v33, v33, v144
	v_add_f32_e32 v33, v132, v33
	v_add_f32_e32 v149, v133, v33
	v_rcp_f32_e32 v150, v149
	v_sub_f32_e32 v132, v133, v149
	v_add_f32_e32 v133, v134, v135
	v_add_f32_e32 v33, v33, v132
	v_mul_f32_e32 v160, v133, v150
	v_sub_f32_e32 v132, v134, v133
	v_mul_f32_e32 v134, v149, v160
	v_fma_f32 v144, v160, v149, -v134
	v_fmac_f32_e32 v144, v160, v33
	v_add_f32_e32 v151, v135, v132
	v_add_f32_e32 v132, v134, v144
	v_sub_f32_e32 v135, v133, v132
	v_pk_add_f32 v[146:147], v[132:133], v[134:135] neg_lo:[0,1] neg_hi:[0,1]
	v_mov_b32_e32 v145, v132
	v_pk_add_f32 v[132:133], v[146:147], v[144:145] neg_lo:[0,1] neg_hi:[0,1]
	v_add_f32_e32 v133, v151, v133
	v_add_f32_e32 v132, v132, v133
	;; [unrolled: 1-line block ×3, first 2 shown]
	v_mul_f32_e32 v151, v150, v133
	v_mul_f32_e32 v134, v149, v151
	v_fma_f32 v144, v151, v149, -v134
	v_fmac_f32_e32 v144, v151, v33
	v_sub_f32_e32 v33, v135, v133
	v_add_f32_e32 v33, v132, v33
	v_add_f32_e32 v132, v134, v144
	v_sub_f32_e32 v135, v133, v132
	v_pk_add_f32 v[146:147], v[132:133], v[134:135] neg_lo:[0,1] neg_hi:[0,1]
	v_mov_b32_e32 v145, v132
	v_pk_add_f32 v[132:133], v[146:147], v[144:145] neg_lo:[0,1] neg_hi:[0,1]
	v_add_f32_e32 v33, v33, v133
	v_add_f32_e32 v33, v132, v33
	v_add_f32_e32 v133, v160, v151
	v_add_f32_e32 v33, v135, v33
	v_sub_f32_e32 v132, v133, v160
	v_mul_f32_e32 v33, v150, v33
	v_sub_f32_e32 v132, v151, v132
	v_add_f32_e32 v134, v132, v33
	v_add_f32_e32 v144, v133, v134
	v_cvt_f32_i32_e32 v132, v148
	v_mul_f32_e32 v145, v144, v144
	v_mov_b32_e32 v33, 0x3ecc95a3
	v_sub_f32_e32 v133, v144, v133
	v_fmac_f32_e32 v33, 0x3e9b6dac, v145
	v_sub_f32_e32 v133, v134, v133
	v_fma_f32 v33, v145, v33, v128
	v_ldexp_f32 v146, v133, 1
	v_mul_f32_e32 v133, v144, v145
	v_ldexp_f32 v135, v144, 1
	v_pk_mul_f32 v[144:145], v[132:133], v[32:33]
	v_fma_f32 v134, v132, s73, -v144
	v_fmac_f32_e32 v134, 0xb102e308, v132
	v_pk_add_f32 v[132:133], v[144:145], v[134:135]
	v_sub_f32_e32 v33, v133, v135
	v_sub_f32_e32 v33, v145, v33
	v_add_f32_e32 v147, v146, v33
	v_mov_b32_e32 v146, v144
	v_pk_add_f32 v[144:145], v[132:133], v[144:145] neg_lo:[0,1] neg_hi:[0,1]
	v_pk_add_f32 v[148:149], v[132:133], v[146:147]
	v_mov_b32_e32 v145, v149
	v_mov_b32_e32 v135, v132
	v_pk_add_f32 v[150:151], v[134:135], v[144:145] neg_lo:[0,1] neg_hi:[0,1]
	v_pk_add_f32 v[134:135], v[134:135], v[144:145]
	v_mov_b32_e32 v144, v135
	v_pk_add_f32 v[160:161], v[144:145], v[132:133] neg_lo:[0,1] neg_hi:[0,1]
	v_mov_b32_e32 v33, v160
	v_pk_add_f32 v[162:163], v[148:149], v[32:33] neg_lo:[0,1] neg_hi:[0,1]
	v_mov_b32_e32 v134, v149
	v_mov_b32_e32 v148, v133
	;; [unrolled: 1-line block ×4, first 2 shown]
	v_pk_add_f32 v[134:135], v[134:135], v[148:149] neg_lo:[0,1] neg_hi:[0,1]
	v_mov_b32_e32 v146, v147
	v_mov_b32_e32 v147, v132
	v_pk_add_f32 v[132:133], v[146:147], v[134:135] neg_lo:[0,1] neg_hi:[0,1]
	v_mov_b32_e32 v162, v150
	v_pk_add_f32 v[134:135], v[162:163], v[132:133]
	v_mov_b32_e32 v146, v135
	v_pk_add_f32 v[146:147], v[134:135], v[146:147]
	v_pk_add_f32 v[144:145], v[144:145], v[146:147]
	v_mov_b32_e32 v135, v144
	v_pk_add_f32 v[148:149], v[134:135], v[150:151] neg_lo:[0,1] neg_hi:[0,1]
	v_mov_b32_e32 v133, v146
	v_sub_f32_e32 v33, v134, v148
	v_pk_add_f32 v[132:133], v[132:133], v[148:149] neg_lo:[0,1] neg_hi:[0,1]
	v_sub_f32_e32 v33, v150, v33
	v_add_f32_e32 v33, v132, v33
	v_add_f32_e32 v33, v33, v133
	v_cmp_eq_f32_e32 vcc, s71, v131
	v_cmp_lt_f32_e64 s[76:77], |v131|, s74
	v_add_f32_e32 v33, v144, v33
	s_or_b64 vcc, vcc, s[76:77]
	v_cndmask_b32_e32 v33, v33, v131, vcc
	v_add_f32_e32 v33, v35, v33
	v_cvt_f16_f32_e32 v132, v33
.LBB353_166:                            ;   in Loop: Header=BB353_158 Depth=1
	s_or_b64 exec, exec, s[60:61]
	v_and_b32_e32 v33, 0xffff, v132
	v_mov_b32_e32 v131, v132
.LBB353_167:                            ;   in Loop: Header=BB353_158 Depth=1
	s_or_b64 exec, exec, s[66:67]
	s_waitcnt lgkmcnt(0)
	ds_bpermute_b32 v132, v101, v33
	v_cmp_le_u32_e32 vcc, v102, v34
	s_and_saveexec_b64 s[66:67], vcc
	s_cbranch_execz .LBB353_171
; %bb.168:                              ;   in Loop: Header=BB353_158 Depth=1
	s_waitcnt lgkmcnt(0)
	v_cvt_f32_f16_e32 v35, v132
	v_cvt_f32_f16_e32 v133, v131
	v_cmp_u_f16_e32 vcc, v132, v132
	v_cmp_u_f16_e64 s[60:61], v131, v131
	v_min_f32_e32 v33, v35, v133
	v_max_f32_e32 v131, v35, v133
	v_cndmask_b32_e32 v33, v33, v35, vcc
	v_cndmask_b32_e32 v35, v131, v35, vcc
	v_cndmask_b32_e64 v33, v33, v133, s[60:61]
	v_cndmask_b32_e64 v35, v35, v133, s[60:61]
	v_cmp_neq_f32_e32 vcc, v33, v35
	v_cmp_class_f32_e64 s[60:61], v33, s13
	s_or_b64 vcc, vcc, s[60:61]
	s_and_saveexec_b64 s[60:61], vcc
	s_cbranch_execz .LBB353_170
; %bb.169:                              ;   in Loop: Header=BB353_158 Depth=1
	v_sub_f32_e32 v33, v33, v35
	v_mul_f32_e32 v131, 0x3fb8aa3b, v33
	v_fma_f32 v132, v33, s68, -v131
	v_rndne_f32_e32 v133, v131
	v_fmac_f32_e32 v132, 0x32a5705f, v33
	v_sub_f32_e32 v131, v131, v133
	v_add_f32_e32 v131, v131, v132
	v_cvt_i32_f32_e32 v132, v133
	v_exp_f32_e32 v131, v131
	v_cmp_ngt_f32_e32 vcc, s69, v33
	v_ldexp_f32 v131, v131, v132
	v_cndmask_b32_e32 v131, 0, v131, vcc
	v_cmp_nlt_f32_e32 vcc, s70, v33
	v_cndmask_b32_e32 v131, v130, v131, vcc
	v_add_f32_e32 v33, 1.0, v131
	v_add_f32_e32 v132, -1.0, v33
	v_sub_f32_e32 v133, v132, v33
	v_add_f32_e32 v133, 1.0, v133
	v_sub_f32_e32 v132, v131, v132
	v_add_f32_e32 v134, v132, v133
	v_frexp_mant_f32_e32 v135, v33
	v_cvt_f64_f32_e32 v[132:133], v33
	v_frexp_exp_i32_f64_e32 v132, v[132:133]
	v_cmp_gt_f32_e32 vcc, s72, v135
	v_subbrev_co_u32_e32 v148, vcc, 0, v132, vcc
	v_sub_u32_e32 v132, 0, v148
	v_ldexp_f32 v33, v33, v132
	v_ldexp_f32 v132, v134, v132
	v_add_f32_e32 v134, -1.0, v33
	v_add_f32_e32 v133, 1.0, v134
	v_sub_f32_e32 v133, v33, v133
	v_add_f32_e32 v135, v132, v133
	v_add_f32_e32 v133, 1.0, v33
	v_add_f32_e32 v144, -1.0, v133
	v_sub_f32_e32 v33, v33, v144
	v_add_f32_e32 v33, v132, v33
	v_add_f32_e32 v149, v133, v33
	v_rcp_f32_e32 v150, v149
	v_sub_f32_e32 v132, v133, v149
	v_add_f32_e32 v133, v134, v135
	v_add_f32_e32 v33, v33, v132
	v_mul_f32_e32 v160, v133, v150
	v_sub_f32_e32 v132, v134, v133
	v_mul_f32_e32 v134, v149, v160
	v_fma_f32 v144, v160, v149, -v134
	v_fmac_f32_e32 v144, v160, v33
	v_add_f32_e32 v151, v135, v132
	v_add_f32_e32 v132, v134, v144
	v_sub_f32_e32 v135, v133, v132
	v_pk_add_f32 v[146:147], v[132:133], v[134:135] neg_lo:[0,1] neg_hi:[0,1]
	v_mov_b32_e32 v145, v132
	v_pk_add_f32 v[132:133], v[146:147], v[144:145] neg_lo:[0,1] neg_hi:[0,1]
	v_add_f32_e32 v133, v151, v133
	v_add_f32_e32 v132, v132, v133
	;; [unrolled: 1-line block ×3, first 2 shown]
	v_mul_f32_e32 v151, v150, v133
	v_mul_f32_e32 v134, v149, v151
	v_fma_f32 v144, v151, v149, -v134
	v_fmac_f32_e32 v144, v151, v33
	v_sub_f32_e32 v33, v135, v133
	v_add_f32_e32 v33, v132, v33
	v_add_f32_e32 v132, v134, v144
	v_sub_f32_e32 v135, v133, v132
	v_pk_add_f32 v[146:147], v[132:133], v[134:135] neg_lo:[0,1] neg_hi:[0,1]
	v_mov_b32_e32 v145, v132
	v_pk_add_f32 v[132:133], v[146:147], v[144:145] neg_lo:[0,1] neg_hi:[0,1]
	v_add_f32_e32 v33, v33, v133
	v_add_f32_e32 v33, v132, v33
	;; [unrolled: 1-line block ×4, first 2 shown]
	v_sub_f32_e32 v132, v133, v160
	v_mul_f32_e32 v33, v150, v33
	v_sub_f32_e32 v132, v151, v132
	v_add_f32_e32 v134, v132, v33
	v_add_f32_e32 v144, v133, v134
	v_cvt_f32_i32_e32 v132, v148
	v_mul_f32_e32 v145, v144, v144
	v_mov_b32_e32 v33, 0x3ecc95a3
	v_sub_f32_e32 v133, v144, v133
	v_fmac_f32_e32 v33, 0x3e9b6dac, v145
	v_sub_f32_e32 v133, v134, v133
	v_fma_f32 v33, v145, v33, v128
	v_ldexp_f32 v146, v133, 1
	v_mul_f32_e32 v133, v144, v145
	v_ldexp_f32 v135, v144, 1
	v_pk_mul_f32 v[144:145], v[132:133], v[32:33]
	v_fma_f32 v134, v132, s73, -v144
	v_fmac_f32_e32 v134, 0xb102e308, v132
	v_pk_add_f32 v[132:133], v[144:145], v[134:135]
	v_sub_f32_e32 v33, v133, v135
	v_sub_f32_e32 v33, v145, v33
	v_add_f32_e32 v147, v146, v33
	v_mov_b32_e32 v146, v144
	v_pk_add_f32 v[144:145], v[132:133], v[144:145] neg_lo:[0,1] neg_hi:[0,1]
	v_pk_add_f32 v[148:149], v[132:133], v[146:147]
	v_mov_b32_e32 v145, v149
	v_mov_b32_e32 v135, v132
	v_pk_add_f32 v[150:151], v[134:135], v[144:145] neg_lo:[0,1] neg_hi:[0,1]
	v_pk_add_f32 v[134:135], v[134:135], v[144:145]
	v_mov_b32_e32 v144, v135
	v_pk_add_f32 v[160:161], v[144:145], v[132:133] neg_lo:[0,1] neg_hi:[0,1]
	v_mov_b32_e32 v33, v160
	v_pk_add_f32 v[162:163], v[148:149], v[32:33] neg_lo:[0,1] neg_hi:[0,1]
	v_mov_b32_e32 v134, v149
	v_mov_b32_e32 v148, v133
	;; [unrolled: 1-line block ×4, first 2 shown]
	v_pk_add_f32 v[134:135], v[134:135], v[148:149] neg_lo:[0,1] neg_hi:[0,1]
	v_mov_b32_e32 v146, v147
	v_mov_b32_e32 v147, v132
	v_pk_add_f32 v[132:133], v[146:147], v[134:135] neg_lo:[0,1] neg_hi:[0,1]
	v_mov_b32_e32 v162, v150
	v_pk_add_f32 v[134:135], v[162:163], v[132:133]
	v_mov_b32_e32 v146, v135
	v_pk_add_f32 v[146:147], v[134:135], v[146:147]
	v_pk_add_f32 v[144:145], v[144:145], v[146:147]
	v_mov_b32_e32 v135, v144
	v_pk_add_f32 v[148:149], v[134:135], v[150:151] neg_lo:[0,1] neg_hi:[0,1]
	v_mov_b32_e32 v133, v146
	v_sub_f32_e32 v33, v134, v148
	v_pk_add_f32 v[132:133], v[132:133], v[148:149] neg_lo:[0,1] neg_hi:[0,1]
	v_sub_f32_e32 v33, v150, v33
	v_add_f32_e32 v33, v132, v33
	v_add_f32_e32 v33, v33, v133
	v_cmp_eq_f32_e32 vcc, s71, v131
	v_cmp_lt_f32_e64 s[76:77], |v131|, s74
	v_add_f32_e32 v33, v144, v33
	s_or_b64 vcc, vcc, s[76:77]
	v_cndmask_b32_e32 v33, v33, v131, vcc
	v_add_f32_e32 v33, v35, v33
	v_cvt_f16_f32_e32 v132, v33
.LBB353_170:                            ;   in Loop: Header=BB353_158 Depth=1
	s_or_b64 exec, exec, s[60:61]
	v_and_b32_e32 v33, 0xffff, v132
	v_mov_b32_e32 v131, v132
.LBB353_171:                            ;   in Loop: Header=BB353_158 Depth=1
	s_or_b64 exec, exec, s[66:67]
	s_waitcnt lgkmcnt(0)
	ds_bpermute_b32 v132, v103, v33
	v_cmp_le_u32_e32 vcc, v112, v34
	s_and_saveexec_b64 s[66:67], vcc
	s_cbranch_execz .LBB353_175
; %bb.172:                              ;   in Loop: Header=BB353_158 Depth=1
	s_waitcnt lgkmcnt(0)
	v_cvt_f32_f16_e32 v35, v132
	v_cvt_f32_f16_e32 v133, v131
	v_cmp_u_f16_e32 vcc, v132, v132
	v_cmp_u_f16_e64 s[60:61], v131, v131
	v_min_f32_e32 v33, v35, v133
	v_max_f32_e32 v131, v35, v133
	v_cndmask_b32_e32 v33, v33, v35, vcc
	v_cndmask_b32_e32 v35, v131, v35, vcc
	v_cndmask_b32_e64 v33, v33, v133, s[60:61]
	v_cndmask_b32_e64 v35, v35, v133, s[60:61]
	v_cmp_neq_f32_e32 vcc, v33, v35
	v_cmp_class_f32_e64 s[60:61], v33, s13
	s_or_b64 vcc, vcc, s[60:61]
	s_and_saveexec_b64 s[60:61], vcc
	s_cbranch_execz .LBB353_174
; %bb.173:                              ;   in Loop: Header=BB353_158 Depth=1
	v_sub_f32_e32 v33, v33, v35
	v_mul_f32_e32 v131, 0x3fb8aa3b, v33
	v_fma_f32 v132, v33, s68, -v131
	v_rndne_f32_e32 v133, v131
	v_fmac_f32_e32 v132, 0x32a5705f, v33
	v_sub_f32_e32 v131, v131, v133
	v_add_f32_e32 v131, v131, v132
	v_cvt_i32_f32_e32 v132, v133
	v_exp_f32_e32 v131, v131
	v_cmp_ngt_f32_e32 vcc, s69, v33
	v_ldexp_f32 v131, v131, v132
	v_cndmask_b32_e32 v131, 0, v131, vcc
	v_cmp_nlt_f32_e32 vcc, s70, v33
	v_cndmask_b32_e32 v131, v130, v131, vcc
	v_add_f32_e32 v33, 1.0, v131
	v_add_f32_e32 v132, -1.0, v33
	v_sub_f32_e32 v133, v132, v33
	v_add_f32_e32 v133, 1.0, v133
	v_sub_f32_e32 v132, v131, v132
	v_add_f32_e32 v134, v132, v133
	v_frexp_mant_f32_e32 v135, v33
	v_cvt_f64_f32_e32 v[132:133], v33
	v_frexp_exp_i32_f64_e32 v132, v[132:133]
	v_cmp_gt_f32_e32 vcc, s72, v135
	v_subbrev_co_u32_e32 v148, vcc, 0, v132, vcc
	v_sub_u32_e32 v132, 0, v148
	v_ldexp_f32 v33, v33, v132
	v_ldexp_f32 v132, v134, v132
	v_add_f32_e32 v134, -1.0, v33
	v_add_f32_e32 v133, 1.0, v134
	v_sub_f32_e32 v133, v33, v133
	v_add_f32_e32 v135, v132, v133
	v_add_f32_e32 v133, 1.0, v33
	v_add_f32_e32 v144, -1.0, v133
	v_sub_f32_e32 v33, v33, v144
	v_add_f32_e32 v33, v132, v33
	v_add_f32_e32 v149, v133, v33
	v_rcp_f32_e32 v150, v149
	v_sub_f32_e32 v132, v133, v149
	v_add_f32_e32 v133, v134, v135
	v_add_f32_e32 v33, v33, v132
	v_mul_f32_e32 v160, v133, v150
	v_sub_f32_e32 v132, v134, v133
	v_mul_f32_e32 v134, v149, v160
	v_fma_f32 v144, v160, v149, -v134
	v_fmac_f32_e32 v144, v160, v33
	v_add_f32_e32 v151, v135, v132
	v_add_f32_e32 v132, v134, v144
	v_sub_f32_e32 v135, v133, v132
	v_pk_add_f32 v[146:147], v[132:133], v[134:135] neg_lo:[0,1] neg_hi:[0,1]
	v_mov_b32_e32 v145, v132
	v_pk_add_f32 v[132:133], v[146:147], v[144:145] neg_lo:[0,1] neg_hi:[0,1]
	v_add_f32_e32 v133, v151, v133
	v_add_f32_e32 v132, v132, v133
	;; [unrolled: 1-line block ×3, first 2 shown]
	v_mul_f32_e32 v151, v150, v133
	v_mul_f32_e32 v134, v149, v151
	v_fma_f32 v144, v151, v149, -v134
	v_fmac_f32_e32 v144, v151, v33
	v_sub_f32_e32 v33, v135, v133
	v_add_f32_e32 v33, v132, v33
	v_add_f32_e32 v132, v134, v144
	v_sub_f32_e32 v135, v133, v132
	v_pk_add_f32 v[146:147], v[132:133], v[134:135] neg_lo:[0,1] neg_hi:[0,1]
	v_mov_b32_e32 v145, v132
	v_pk_add_f32 v[132:133], v[146:147], v[144:145] neg_lo:[0,1] neg_hi:[0,1]
	v_add_f32_e32 v33, v33, v133
	v_add_f32_e32 v33, v132, v33
	;; [unrolled: 1-line block ×4, first 2 shown]
	v_sub_f32_e32 v132, v133, v160
	v_mul_f32_e32 v33, v150, v33
	v_sub_f32_e32 v132, v151, v132
	v_add_f32_e32 v134, v132, v33
	v_add_f32_e32 v144, v133, v134
	v_cvt_f32_i32_e32 v132, v148
	v_mul_f32_e32 v145, v144, v144
	v_mov_b32_e32 v33, 0x3ecc95a3
	v_sub_f32_e32 v133, v144, v133
	v_fmac_f32_e32 v33, 0x3e9b6dac, v145
	v_sub_f32_e32 v133, v134, v133
	v_fma_f32 v33, v145, v33, v128
	v_ldexp_f32 v146, v133, 1
	v_mul_f32_e32 v133, v144, v145
	v_ldexp_f32 v135, v144, 1
	v_pk_mul_f32 v[144:145], v[132:133], v[32:33]
	v_fma_f32 v134, v132, s73, -v144
	v_fmac_f32_e32 v134, 0xb102e308, v132
	v_pk_add_f32 v[132:133], v[144:145], v[134:135]
	v_sub_f32_e32 v33, v133, v135
	v_sub_f32_e32 v33, v145, v33
	v_add_f32_e32 v147, v146, v33
	v_mov_b32_e32 v146, v144
	v_pk_add_f32 v[144:145], v[132:133], v[144:145] neg_lo:[0,1] neg_hi:[0,1]
	v_pk_add_f32 v[148:149], v[132:133], v[146:147]
	v_mov_b32_e32 v145, v149
	v_mov_b32_e32 v135, v132
	v_pk_add_f32 v[150:151], v[134:135], v[144:145] neg_lo:[0,1] neg_hi:[0,1]
	v_pk_add_f32 v[134:135], v[134:135], v[144:145]
	v_mov_b32_e32 v144, v135
	v_pk_add_f32 v[160:161], v[144:145], v[132:133] neg_lo:[0,1] neg_hi:[0,1]
	v_mov_b32_e32 v33, v160
	v_pk_add_f32 v[162:163], v[148:149], v[32:33] neg_lo:[0,1] neg_hi:[0,1]
	v_mov_b32_e32 v134, v149
	v_mov_b32_e32 v148, v133
	;; [unrolled: 1-line block ×4, first 2 shown]
	v_pk_add_f32 v[134:135], v[134:135], v[148:149] neg_lo:[0,1] neg_hi:[0,1]
	v_mov_b32_e32 v146, v147
	v_mov_b32_e32 v147, v132
	v_pk_add_f32 v[132:133], v[146:147], v[134:135] neg_lo:[0,1] neg_hi:[0,1]
	v_mov_b32_e32 v162, v150
	v_pk_add_f32 v[134:135], v[162:163], v[132:133]
	v_mov_b32_e32 v146, v135
	v_pk_add_f32 v[146:147], v[134:135], v[146:147]
	v_pk_add_f32 v[144:145], v[144:145], v[146:147]
	v_mov_b32_e32 v135, v144
	v_pk_add_f32 v[148:149], v[134:135], v[150:151] neg_lo:[0,1] neg_hi:[0,1]
	v_mov_b32_e32 v133, v146
	v_sub_f32_e32 v33, v134, v148
	v_pk_add_f32 v[132:133], v[132:133], v[148:149] neg_lo:[0,1] neg_hi:[0,1]
	v_sub_f32_e32 v33, v150, v33
	v_add_f32_e32 v33, v132, v33
	v_add_f32_e32 v33, v33, v133
	v_cmp_eq_f32_e32 vcc, s71, v131
	v_cmp_lt_f32_e64 s[76:77], |v131|, s74
	v_add_f32_e32 v33, v144, v33
	s_or_b64 vcc, vcc, s[76:77]
	v_cndmask_b32_e32 v33, v33, v131, vcc
	v_add_f32_e32 v33, v35, v33
	v_cvt_f16_f32_e32 v132, v33
.LBB353_174:                            ;   in Loop: Header=BB353_158 Depth=1
	s_or_b64 exec, exec, s[60:61]
	v_and_b32_e32 v33, 0xffff, v132
	v_mov_b32_e32 v131, v132
.LBB353_175:                            ;   in Loop: Header=BB353_158 Depth=1
	s_or_b64 exec, exec, s[66:67]
	s_waitcnt lgkmcnt(0)
	ds_bpermute_b32 v132, v113, v33
	v_cmp_le_u32_e32 vcc, v114, v34
	s_and_saveexec_b64 s[66:67], vcc
	s_cbranch_execz .LBB353_179
; %bb.176:                              ;   in Loop: Header=BB353_158 Depth=1
	s_waitcnt lgkmcnt(0)
	v_cvt_f32_f16_e32 v35, v132
	v_cvt_f32_f16_e32 v133, v131
	v_cmp_u_f16_e32 vcc, v132, v132
	v_cmp_u_f16_e64 s[60:61], v131, v131
	v_min_f32_e32 v33, v35, v133
	v_max_f32_e32 v131, v35, v133
	v_cndmask_b32_e32 v33, v33, v35, vcc
	v_cndmask_b32_e32 v35, v131, v35, vcc
	v_cndmask_b32_e64 v33, v33, v133, s[60:61]
	v_cndmask_b32_e64 v35, v35, v133, s[60:61]
	v_cmp_neq_f32_e32 vcc, v33, v35
	v_cmp_class_f32_e64 s[60:61], v33, s13
	s_or_b64 vcc, vcc, s[60:61]
	s_and_saveexec_b64 s[60:61], vcc
	s_cbranch_execz .LBB353_178
; %bb.177:                              ;   in Loop: Header=BB353_158 Depth=1
	v_sub_f32_e32 v33, v33, v35
	v_mul_f32_e32 v131, 0x3fb8aa3b, v33
	v_fma_f32 v132, v33, s68, -v131
	v_rndne_f32_e32 v133, v131
	v_fmac_f32_e32 v132, 0x32a5705f, v33
	v_sub_f32_e32 v131, v131, v133
	v_add_f32_e32 v131, v131, v132
	v_cvt_i32_f32_e32 v132, v133
	v_exp_f32_e32 v131, v131
	v_cmp_ngt_f32_e32 vcc, s69, v33
	v_ldexp_f32 v131, v131, v132
	v_cndmask_b32_e32 v131, 0, v131, vcc
	v_cmp_nlt_f32_e32 vcc, s70, v33
	v_cndmask_b32_e32 v131, v130, v131, vcc
	v_add_f32_e32 v33, 1.0, v131
	v_add_f32_e32 v132, -1.0, v33
	v_sub_f32_e32 v133, v132, v33
	v_add_f32_e32 v133, 1.0, v133
	v_sub_f32_e32 v132, v131, v132
	v_add_f32_e32 v134, v132, v133
	v_frexp_mant_f32_e32 v135, v33
	v_cvt_f64_f32_e32 v[132:133], v33
	v_frexp_exp_i32_f64_e32 v132, v[132:133]
	v_cmp_gt_f32_e32 vcc, s72, v135
	v_subbrev_co_u32_e32 v148, vcc, 0, v132, vcc
	v_sub_u32_e32 v132, 0, v148
	v_ldexp_f32 v33, v33, v132
	v_ldexp_f32 v132, v134, v132
	v_add_f32_e32 v134, -1.0, v33
	v_add_f32_e32 v133, 1.0, v134
	v_sub_f32_e32 v133, v33, v133
	v_add_f32_e32 v135, v132, v133
	v_add_f32_e32 v133, 1.0, v33
	v_add_f32_e32 v144, -1.0, v133
	v_sub_f32_e32 v33, v33, v144
	v_add_f32_e32 v33, v132, v33
	v_add_f32_e32 v149, v133, v33
	v_rcp_f32_e32 v150, v149
	v_sub_f32_e32 v132, v133, v149
	v_add_f32_e32 v133, v134, v135
	v_add_f32_e32 v33, v33, v132
	v_mul_f32_e32 v160, v133, v150
	v_sub_f32_e32 v132, v134, v133
	v_mul_f32_e32 v134, v149, v160
	v_fma_f32 v144, v160, v149, -v134
	v_fmac_f32_e32 v144, v160, v33
	v_add_f32_e32 v151, v135, v132
	v_add_f32_e32 v132, v134, v144
	v_sub_f32_e32 v135, v133, v132
	v_pk_add_f32 v[146:147], v[132:133], v[134:135] neg_lo:[0,1] neg_hi:[0,1]
	v_mov_b32_e32 v145, v132
	v_pk_add_f32 v[132:133], v[146:147], v[144:145] neg_lo:[0,1] neg_hi:[0,1]
	v_add_f32_e32 v133, v151, v133
	v_add_f32_e32 v132, v132, v133
	;; [unrolled: 1-line block ×3, first 2 shown]
	v_mul_f32_e32 v151, v150, v133
	v_mul_f32_e32 v134, v149, v151
	v_fma_f32 v144, v151, v149, -v134
	v_fmac_f32_e32 v144, v151, v33
	v_sub_f32_e32 v33, v135, v133
	v_add_f32_e32 v33, v132, v33
	v_add_f32_e32 v132, v134, v144
	v_sub_f32_e32 v135, v133, v132
	v_pk_add_f32 v[146:147], v[132:133], v[134:135] neg_lo:[0,1] neg_hi:[0,1]
	v_mov_b32_e32 v145, v132
	v_pk_add_f32 v[132:133], v[146:147], v[144:145] neg_lo:[0,1] neg_hi:[0,1]
	v_add_f32_e32 v33, v33, v133
	v_add_f32_e32 v33, v132, v33
	;; [unrolled: 1-line block ×4, first 2 shown]
	v_sub_f32_e32 v132, v133, v160
	v_mul_f32_e32 v33, v150, v33
	v_sub_f32_e32 v132, v151, v132
	v_add_f32_e32 v134, v132, v33
	v_add_f32_e32 v144, v133, v134
	v_cvt_f32_i32_e32 v132, v148
	v_mul_f32_e32 v145, v144, v144
	v_mov_b32_e32 v33, 0x3ecc95a3
	v_sub_f32_e32 v133, v144, v133
	v_fmac_f32_e32 v33, 0x3e9b6dac, v145
	v_sub_f32_e32 v133, v134, v133
	v_fma_f32 v33, v145, v33, v128
	v_ldexp_f32 v146, v133, 1
	v_mul_f32_e32 v133, v144, v145
	v_ldexp_f32 v135, v144, 1
	v_pk_mul_f32 v[144:145], v[132:133], v[32:33]
	v_fma_f32 v134, v132, s73, -v144
	v_fmac_f32_e32 v134, 0xb102e308, v132
	v_pk_add_f32 v[132:133], v[144:145], v[134:135]
	v_sub_f32_e32 v33, v133, v135
	v_sub_f32_e32 v33, v145, v33
	v_add_f32_e32 v147, v146, v33
	v_mov_b32_e32 v146, v144
	v_pk_add_f32 v[144:145], v[132:133], v[144:145] neg_lo:[0,1] neg_hi:[0,1]
	v_pk_add_f32 v[148:149], v[132:133], v[146:147]
	v_mov_b32_e32 v145, v149
	v_mov_b32_e32 v135, v132
	v_pk_add_f32 v[150:151], v[134:135], v[144:145] neg_lo:[0,1] neg_hi:[0,1]
	v_pk_add_f32 v[134:135], v[134:135], v[144:145]
	v_mov_b32_e32 v144, v135
	v_pk_add_f32 v[160:161], v[144:145], v[132:133] neg_lo:[0,1] neg_hi:[0,1]
	v_mov_b32_e32 v33, v160
	v_pk_add_f32 v[162:163], v[148:149], v[32:33] neg_lo:[0,1] neg_hi:[0,1]
	v_mov_b32_e32 v134, v149
	v_mov_b32_e32 v148, v133
	;; [unrolled: 1-line block ×4, first 2 shown]
	v_pk_add_f32 v[134:135], v[134:135], v[148:149] neg_lo:[0,1] neg_hi:[0,1]
	v_mov_b32_e32 v146, v147
	v_mov_b32_e32 v147, v132
	v_pk_add_f32 v[132:133], v[146:147], v[134:135] neg_lo:[0,1] neg_hi:[0,1]
	v_mov_b32_e32 v162, v150
	v_pk_add_f32 v[134:135], v[162:163], v[132:133]
	v_mov_b32_e32 v146, v135
	v_pk_add_f32 v[146:147], v[134:135], v[146:147]
	v_pk_add_f32 v[144:145], v[144:145], v[146:147]
	v_mov_b32_e32 v135, v144
	v_pk_add_f32 v[148:149], v[134:135], v[150:151] neg_lo:[0,1] neg_hi:[0,1]
	v_mov_b32_e32 v133, v146
	v_sub_f32_e32 v33, v134, v148
	v_pk_add_f32 v[132:133], v[132:133], v[148:149] neg_lo:[0,1] neg_hi:[0,1]
	v_sub_f32_e32 v33, v150, v33
	v_add_f32_e32 v33, v132, v33
	v_add_f32_e32 v33, v33, v133
	v_cmp_eq_f32_e32 vcc, s71, v131
	v_cmp_lt_f32_e64 s[76:77], |v131|, s74
	v_add_f32_e32 v33, v144, v33
	s_or_b64 vcc, vcc, s[76:77]
	v_cndmask_b32_e32 v33, v33, v131, vcc
	v_add_f32_e32 v33, v35, v33
	v_cvt_f16_f32_e32 v132, v33
.LBB353_178:                            ;   in Loop: Header=BB353_158 Depth=1
	s_or_b64 exec, exec, s[60:61]
	v_and_b32_e32 v33, 0xffff, v132
	v_mov_b32_e32 v131, v132
.LBB353_179:                            ;   in Loop: Header=BB353_158 Depth=1
	s_or_b64 exec, exec, s[66:67]
	s_waitcnt lgkmcnt(0)
	ds_bpermute_b32 v132, v115, v33
	v_cmp_le_u32_e32 vcc, v116, v34
	s_and_saveexec_b64 s[66:67], vcc
	s_cbranch_execz .LBB353_183
; %bb.180:                              ;   in Loop: Header=BB353_158 Depth=1
	s_waitcnt lgkmcnt(0)
	v_cvt_f32_f16_e32 v35, v132
	v_cvt_f32_f16_e32 v133, v131
	v_cmp_u_f16_e32 vcc, v132, v132
	v_cmp_u_f16_e64 s[60:61], v131, v131
	v_min_f32_e32 v33, v35, v133
	v_max_f32_e32 v131, v35, v133
	v_cndmask_b32_e32 v33, v33, v35, vcc
	v_cndmask_b32_e32 v35, v131, v35, vcc
	v_cndmask_b32_e64 v33, v33, v133, s[60:61]
	v_cndmask_b32_e64 v35, v35, v133, s[60:61]
	v_cmp_neq_f32_e32 vcc, v33, v35
	v_cmp_class_f32_e64 s[60:61], v33, s13
	s_or_b64 vcc, vcc, s[60:61]
	s_and_saveexec_b64 s[60:61], vcc
	s_cbranch_execz .LBB353_182
; %bb.181:                              ;   in Loop: Header=BB353_158 Depth=1
	v_sub_f32_e32 v33, v33, v35
	v_mul_f32_e32 v131, 0x3fb8aa3b, v33
	v_fma_f32 v132, v33, s68, -v131
	v_rndne_f32_e32 v133, v131
	v_fmac_f32_e32 v132, 0x32a5705f, v33
	v_sub_f32_e32 v131, v131, v133
	v_add_f32_e32 v131, v131, v132
	v_cvt_i32_f32_e32 v132, v133
	v_exp_f32_e32 v131, v131
	v_cmp_ngt_f32_e32 vcc, s69, v33
	v_ldexp_f32 v131, v131, v132
	v_cndmask_b32_e32 v131, 0, v131, vcc
	v_cmp_nlt_f32_e32 vcc, s70, v33
	v_cndmask_b32_e32 v131, v130, v131, vcc
	v_add_f32_e32 v33, 1.0, v131
	v_add_f32_e32 v132, -1.0, v33
	v_sub_f32_e32 v133, v132, v33
	v_add_f32_e32 v133, 1.0, v133
	v_sub_f32_e32 v132, v131, v132
	v_add_f32_e32 v134, v132, v133
	v_frexp_mant_f32_e32 v135, v33
	v_cvt_f64_f32_e32 v[132:133], v33
	v_frexp_exp_i32_f64_e32 v132, v[132:133]
	v_cmp_gt_f32_e32 vcc, s72, v135
	v_subbrev_co_u32_e32 v148, vcc, 0, v132, vcc
	v_sub_u32_e32 v132, 0, v148
	v_ldexp_f32 v33, v33, v132
	v_ldexp_f32 v132, v134, v132
	v_add_f32_e32 v134, -1.0, v33
	v_add_f32_e32 v133, 1.0, v134
	v_sub_f32_e32 v133, v33, v133
	v_add_f32_e32 v135, v132, v133
	v_add_f32_e32 v133, 1.0, v33
	v_add_f32_e32 v144, -1.0, v133
	v_sub_f32_e32 v33, v33, v144
	v_add_f32_e32 v33, v132, v33
	v_add_f32_e32 v149, v133, v33
	v_rcp_f32_e32 v150, v149
	v_sub_f32_e32 v132, v133, v149
	v_add_f32_e32 v133, v134, v135
	v_add_f32_e32 v33, v33, v132
	v_mul_f32_e32 v160, v133, v150
	v_sub_f32_e32 v132, v134, v133
	v_mul_f32_e32 v134, v149, v160
	v_fma_f32 v144, v160, v149, -v134
	v_fmac_f32_e32 v144, v160, v33
	v_add_f32_e32 v151, v135, v132
	v_add_f32_e32 v132, v134, v144
	v_sub_f32_e32 v135, v133, v132
	v_pk_add_f32 v[146:147], v[132:133], v[134:135] neg_lo:[0,1] neg_hi:[0,1]
	v_mov_b32_e32 v145, v132
	v_pk_add_f32 v[132:133], v[146:147], v[144:145] neg_lo:[0,1] neg_hi:[0,1]
	v_add_f32_e32 v133, v151, v133
	v_add_f32_e32 v132, v132, v133
	;; [unrolled: 1-line block ×3, first 2 shown]
	v_mul_f32_e32 v151, v150, v133
	v_mul_f32_e32 v134, v149, v151
	v_fma_f32 v144, v151, v149, -v134
	v_fmac_f32_e32 v144, v151, v33
	v_sub_f32_e32 v33, v135, v133
	v_add_f32_e32 v33, v132, v33
	v_add_f32_e32 v132, v134, v144
	v_sub_f32_e32 v135, v133, v132
	v_pk_add_f32 v[146:147], v[132:133], v[134:135] neg_lo:[0,1] neg_hi:[0,1]
	v_mov_b32_e32 v145, v132
	v_pk_add_f32 v[132:133], v[146:147], v[144:145] neg_lo:[0,1] neg_hi:[0,1]
	v_add_f32_e32 v33, v33, v133
	v_add_f32_e32 v33, v132, v33
	;; [unrolled: 1-line block ×4, first 2 shown]
	v_sub_f32_e32 v132, v133, v160
	v_mul_f32_e32 v33, v150, v33
	v_sub_f32_e32 v132, v151, v132
	v_add_f32_e32 v134, v132, v33
	v_add_f32_e32 v144, v133, v134
	v_cvt_f32_i32_e32 v132, v148
	v_mul_f32_e32 v145, v144, v144
	v_mov_b32_e32 v33, 0x3ecc95a3
	v_sub_f32_e32 v133, v144, v133
	v_fmac_f32_e32 v33, 0x3e9b6dac, v145
	v_sub_f32_e32 v133, v134, v133
	v_fma_f32 v33, v145, v33, v128
	v_ldexp_f32 v146, v133, 1
	v_mul_f32_e32 v133, v144, v145
	v_ldexp_f32 v135, v144, 1
	v_pk_mul_f32 v[144:145], v[132:133], v[32:33]
	v_fma_f32 v134, v132, s73, -v144
	v_fmac_f32_e32 v134, 0xb102e308, v132
	v_pk_add_f32 v[132:133], v[144:145], v[134:135]
	v_sub_f32_e32 v33, v133, v135
	v_sub_f32_e32 v33, v145, v33
	v_add_f32_e32 v147, v146, v33
	v_mov_b32_e32 v146, v144
	v_pk_add_f32 v[144:145], v[132:133], v[144:145] neg_lo:[0,1] neg_hi:[0,1]
	v_pk_add_f32 v[148:149], v[132:133], v[146:147]
	v_mov_b32_e32 v145, v149
	v_mov_b32_e32 v135, v132
	v_pk_add_f32 v[150:151], v[134:135], v[144:145] neg_lo:[0,1] neg_hi:[0,1]
	v_pk_add_f32 v[134:135], v[134:135], v[144:145]
	v_mov_b32_e32 v144, v135
	v_pk_add_f32 v[160:161], v[144:145], v[132:133] neg_lo:[0,1] neg_hi:[0,1]
	v_mov_b32_e32 v33, v160
	v_pk_add_f32 v[162:163], v[148:149], v[32:33] neg_lo:[0,1] neg_hi:[0,1]
	v_mov_b32_e32 v134, v149
	v_mov_b32_e32 v148, v133
	;; [unrolled: 1-line block ×4, first 2 shown]
	v_pk_add_f32 v[134:135], v[134:135], v[148:149] neg_lo:[0,1] neg_hi:[0,1]
	v_mov_b32_e32 v146, v147
	v_mov_b32_e32 v147, v132
	v_pk_add_f32 v[132:133], v[146:147], v[134:135] neg_lo:[0,1] neg_hi:[0,1]
	v_mov_b32_e32 v162, v150
	v_pk_add_f32 v[134:135], v[162:163], v[132:133]
	v_mov_b32_e32 v146, v135
	v_pk_add_f32 v[146:147], v[134:135], v[146:147]
	v_pk_add_f32 v[144:145], v[144:145], v[146:147]
	v_mov_b32_e32 v135, v144
	v_pk_add_f32 v[148:149], v[134:135], v[150:151] neg_lo:[0,1] neg_hi:[0,1]
	v_mov_b32_e32 v133, v146
	v_sub_f32_e32 v33, v134, v148
	v_pk_add_f32 v[132:133], v[132:133], v[148:149] neg_lo:[0,1] neg_hi:[0,1]
	v_sub_f32_e32 v33, v150, v33
	v_add_f32_e32 v33, v132, v33
	v_add_f32_e32 v33, v33, v133
	v_cmp_eq_f32_e32 vcc, s71, v131
	v_cmp_lt_f32_e64 s[76:77], |v131|, s74
	v_add_f32_e32 v33, v144, v33
	s_or_b64 vcc, vcc, s[76:77]
	v_cndmask_b32_e32 v33, v33, v131, vcc
	v_add_f32_e32 v33, v35, v33
	v_cvt_f16_f32_e32 v132, v33
.LBB353_182:                            ;   in Loop: Header=BB353_158 Depth=1
	s_or_b64 exec, exec, s[60:61]
	v_and_b32_e32 v33, 0xffff, v132
	v_mov_b32_e32 v131, v132
.LBB353_183:                            ;   in Loop: Header=BB353_158 Depth=1
	s_or_b64 exec, exec, s[66:67]
	ds_bpermute_b32 v33, v117, v33
	v_cmp_le_u32_e32 vcc, v118, v34
	s_and_saveexec_b64 s[66:67], vcc
	s_cbranch_execz .LBB353_187
; %bb.184:                              ;   in Loop: Header=BB353_158 Depth=1
	s_waitcnt lgkmcnt(0)
	v_cvt_f32_f16_e32 v34, v33
	v_cvt_f32_f16_e32 v132, v131
	v_cmp_u_f16_e32 vcc, v33, v33
	v_cmp_u_f16_e64 s[60:61], v131, v131
	v_min_f32_e32 v35, v34, v132
	v_max_f32_e32 v131, v34, v132
	v_cndmask_b32_e32 v35, v35, v34, vcc
	v_cndmask_b32_e32 v34, v131, v34, vcc
	v_cndmask_b32_e64 v35, v35, v132, s[60:61]
	v_cndmask_b32_e64 v34, v34, v132, s[60:61]
	v_cmp_neq_f32_e32 vcc, v35, v34
	v_cmp_class_f32_e64 s[60:61], v35, s13
	s_or_b64 vcc, vcc, s[60:61]
	s_and_saveexec_b64 s[60:61], vcc
	s_cbranch_execz .LBB353_186
; %bb.185:                              ;   in Loop: Header=BB353_158 Depth=1
	v_sub_f32_e32 v33, v35, v34
	v_mul_f32_e32 v35, 0x3fb8aa3b, v33
	v_fma_f32 v131, v33, s68, -v35
	v_rndne_f32_e32 v132, v35
	v_fmac_f32_e32 v131, 0x32a5705f, v33
	v_sub_f32_e32 v35, v35, v132
	v_add_f32_e32 v35, v35, v131
	v_cvt_i32_f32_e32 v131, v132
	v_exp_f32_e32 v35, v35
	v_cmp_ngt_f32_e32 vcc, s69, v33
	v_ldexp_f32 v35, v35, v131
	v_cndmask_b32_e32 v35, 0, v35, vcc
	v_cmp_nlt_f32_e32 vcc, s70, v33
	v_cndmask_b32_e32 v35, v130, v35, vcc
	v_add_f32_e32 v33, 1.0, v35
	v_add_f32_e32 v131, -1.0, v33
	v_sub_f32_e32 v132, v131, v33
	v_add_f32_e32 v132, 1.0, v132
	v_sub_f32_e32 v131, v35, v131
	v_add_f32_e32 v131, v131, v132
	v_frexp_mant_f32_e32 v134, v33
	v_cvt_f64_f32_e32 v[132:133], v33
	v_frexp_exp_i32_f64_e32 v132, v[132:133]
	v_cmp_gt_f32_e32 vcc, s72, v134
	v_subbrev_co_u32_e32 v148, vcc, 0, v132, vcc
	v_sub_u32_e32 v132, 0, v148
	v_ldexp_f32 v33, v33, v132
	v_ldexp_f32 v131, v131, v132
	v_add_f32_e32 v132, -1.0, v33
	v_add_f32_e32 v133, 1.0, v132
	v_sub_f32_e32 v133, v33, v133
	v_add_f32_e32 v134, v131, v133
	v_add_f32_e32 v133, 1.0, v33
	v_add_f32_e32 v135, -1.0, v133
	v_sub_f32_e32 v33, v33, v135
	v_add_f32_e32 v33, v131, v33
	v_add_f32_e32 v131, v133, v33
	v_rcp_f32_e32 v149, v131
	v_sub_f32_e32 v133, v133, v131
	v_add_f32_e32 v33, v33, v133
	v_add_f32_e32 v133, v132, v134
	v_sub_f32_e32 v132, v132, v133
	v_mul_f32_e32 v151, v133, v149
	v_add_f32_e32 v150, v134, v132
	v_mul_f32_e32 v134, v131, v151
	v_fma_f32 v144, v151, v131, -v134
	v_fmac_f32_e32 v144, v151, v33
	v_add_f32_e32 v132, v134, v144
	v_sub_f32_e32 v135, v133, v132
	v_pk_add_f32 v[146:147], v[132:133], v[134:135] neg_lo:[0,1] neg_hi:[0,1]
	v_mov_b32_e32 v145, v132
	v_pk_add_f32 v[132:133], v[146:147], v[144:145] neg_lo:[0,1] neg_hi:[0,1]
	v_add_f32_e32 v133, v150, v133
	v_add_f32_e32 v132, v132, v133
	;; [unrolled: 1-line block ×3, first 2 shown]
	v_mul_f32_e32 v150, v149, v133
	v_mul_f32_e32 v134, v131, v150
	v_fma_f32 v144, v150, v131, -v134
	v_fmac_f32_e32 v144, v150, v33
	v_sub_f32_e32 v33, v135, v133
	v_add_f32_e32 v33, v132, v33
	v_add_f32_e32 v132, v134, v144
	v_sub_f32_e32 v135, v133, v132
	v_pk_add_f32 v[146:147], v[132:133], v[134:135] neg_lo:[0,1] neg_hi:[0,1]
	v_mov_b32_e32 v145, v132
	v_pk_add_f32 v[132:133], v[146:147], v[144:145] neg_lo:[0,1] neg_hi:[0,1]
	v_add_f32_e32 v33, v33, v133
	v_add_f32_e32 v33, v132, v33
	;; [unrolled: 1-line block ×4, first 2 shown]
	v_sub_f32_e32 v132, v131, v151
	v_mul_f32_e32 v33, v149, v33
	v_sub_f32_e32 v132, v150, v132
	v_add_f32_e32 v133, v132, v33
	v_add_f32_e32 v134, v131, v133
	v_cvt_f32_i32_e32 v132, v148
	v_mul_f32_e32 v144, v134, v134
	v_mov_b32_e32 v33, 0x3ecc95a3
	v_fmac_f32_e32 v33, 0x3e9b6dac, v144
	v_sub_f32_e32 v131, v134, v131
	v_fma_f32 v33, v144, v33, v128
	v_sub_f32_e32 v131, v133, v131
	v_mul_f32_e32 v133, v134, v144
	v_pk_mul_f32 v[144:145], v[132:133], v[32:33]
	v_ldexp_f32 v135, v134, 1
	v_fma_f32 v134, v132, s73, -v144
	v_fmac_f32_e32 v134, 0xb102e308, v132
	v_pk_add_f32 v[132:133], v[144:145], v[134:135]
	v_sub_f32_e32 v33, v133, v135
	v_ldexp_f32 v131, v131, 1
	v_sub_f32_e32 v33, v145, v33
	v_add_f32_e32 v147, v131, v33
	v_mov_b32_e32 v146, v144
	v_pk_add_f32 v[144:145], v[132:133], v[144:145] neg_lo:[0,1] neg_hi:[0,1]
	v_pk_add_f32 v[148:149], v[132:133], v[146:147]
	v_mov_b32_e32 v145, v149
	v_mov_b32_e32 v135, v132
	v_pk_add_f32 v[150:151], v[134:135], v[144:145] neg_lo:[0,1] neg_hi:[0,1]
	v_pk_add_f32 v[134:135], v[134:135], v[144:145]
	v_mov_b32_e32 v144, v135
	v_pk_add_f32 v[160:161], v[144:145], v[132:133] neg_lo:[0,1] neg_hi:[0,1]
	v_mov_b32_e32 v33, v160
	v_pk_add_f32 v[162:163], v[148:149], v[32:33] neg_lo:[0,1] neg_hi:[0,1]
	v_mov_b32_e32 v134, v149
	v_mov_b32_e32 v148, v133
	;; [unrolled: 1-line block ×4, first 2 shown]
	v_pk_add_f32 v[134:135], v[134:135], v[148:149] neg_lo:[0,1] neg_hi:[0,1]
	v_mov_b32_e32 v146, v147
	v_mov_b32_e32 v147, v132
	v_pk_add_f32 v[132:133], v[146:147], v[134:135] neg_lo:[0,1] neg_hi:[0,1]
	v_mov_b32_e32 v162, v150
	v_pk_add_f32 v[134:135], v[162:163], v[132:133]
	v_mov_b32_e32 v146, v135
	v_pk_add_f32 v[146:147], v[134:135], v[146:147]
	v_pk_add_f32 v[144:145], v[144:145], v[146:147]
	v_mov_b32_e32 v135, v144
	v_pk_add_f32 v[148:149], v[134:135], v[150:151] neg_lo:[0,1] neg_hi:[0,1]
	v_mov_b32_e32 v133, v146
	v_sub_f32_e32 v33, v134, v148
	v_pk_add_f32 v[132:133], v[132:133], v[148:149] neg_lo:[0,1] neg_hi:[0,1]
	v_sub_f32_e32 v33, v150, v33
	v_add_f32_e32 v33, v132, v33
	v_add_f32_e32 v33, v33, v133
	v_cmp_eq_f32_e32 vcc, s71, v35
	v_cmp_lt_f32_e64 s[76:77], |v35|, s74
	v_add_f32_e32 v33, v144, v33
	s_or_b64 vcc, vcc, s[76:77]
	v_cndmask_b32_e32 v33, v33, v35, vcc
	v_add_f32_e32 v33, v34, v33
	v_cvt_f16_f32_e32 v33, v33
.LBB353_186:                            ;   in Loop: Header=BB353_158 Depth=1
	s_or_b64 exec, exec, s[60:61]
	v_mov_b32_e32 v131, v33
.LBB353_187:                            ;   in Loop: Header=BB353_158 Depth=1
	s_or_b64 exec, exec, s[66:67]
	v_cvt_f32_f16_e32 v34, v131
	v_cvt_f32_f16_e32 v35, v119
	v_cmp_u_f16_e32 vcc, v131, v131
	v_cmp_u_f16_e64 s[60:61], v119, v119
	s_waitcnt lgkmcnt(0)
	v_min_f32_e32 v33, v34, v35
	v_max_f32_e32 v132, v34, v35
	v_cndmask_b32_e32 v33, v33, v34, vcc
	v_cndmask_b32_e32 v34, v132, v34, vcc
	v_cndmask_b32_e64 v33, v33, v35, s[60:61]
	v_cndmask_b32_e64 v34, v34, v35, s[60:61]
	v_cmp_neq_f32_e32 vcc, v33, v34
	v_cmp_class_f32_e64 s[60:61], v33, s13
	s_or_b64 vcc, vcc, s[60:61]
	s_and_saveexec_b64 s[60:61], vcc
	s_xor_b64 s[60:61], exec, s[60:61]
	s_cbranch_execz .LBB353_157
; %bb.188:                              ;   in Loop: Header=BB353_158 Depth=1
	v_sub_f32_e32 v33, v33, v34
	v_mul_f32_e32 v35, 0x3fb8aa3b, v33
	v_fma_f32 v131, v33, s68, -v35
	v_rndne_f32_e32 v132, v35
	v_fmac_f32_e32 v131, 0x32a5705f, v33
	v_sub_f32_e32 v35, v35, v132
	v_add_f32_e32 v35, v35, v131
	v_cvt_i32_f32_e32 v131, v132
	v_exp_f32_e32 v35, v35
	v_cmp_ngt_f32_e32 vcc, s69, v33
	v_ldexp_f32 v35, v35, v131
	v_cndmask_b32_e32 v35, 0, v35, vcc
	v_cmp_nlt_f32_e32 vcc, s70, v33
	v_cndmask_b32_e32 v35, v130, v35, vcc
	v_add_f32_e32 v33, 1.0, v35
	v_add_f32_e32 v131, -1.0, v33
	v_sub_f32_e32 v132, v131, v33
	v_add_f32_e32 v132, 1.0, v132
	v_sub_f32_e32 v131, v35, v131
	v_add_f32_e32 v131, v131, v132
	v_frexp_mant_f32_e32 v134, v33
	v_cvt_f64_f32_e32 v[132:133], v33
	v_frexp_exp_i32_f64_e32 v132, v[132:133]
	v_cmp_gt_f32_e32 vcc, s72, v134
	v_subbrev_co_u32_e32 v132, vcc, 0, v132, vcc
	v_sub_u32_e32 v133, 0, v132
	v_ldexp_f32 v33, v33, v133
	v_ldexp_f32 v131, v131, v133
	v_add_f32_e32 v133, -1.0, v33
	v_add_f32_e32 v144, 1.0, v33
	v_add_f32_e32 v134, 1.0, v133
	v_add_f32_e32 v145, -1.0, v144
	v_sub_f32_e32 v134, v33, v134
	v_sub_f32_e32 v33, v33, v145
	v_add_f32_e32 v33, v131, v33
	v_add_f32_e32 v134, v131, v134
	;; [unrolled: 1-line block ×3, first 2 shown]
	v_rcp_f32_e32 v145, v131
	v_add_f32_e32 v135, v133, v134
	v_sub_f32_e32 v133, v133, v135
	v_add_f32_e32 v133, v134, v133
	v_sub_f32_e32 v134, v144, v131
	v_add_f32_e32 v33, v33, v134
	v_mul_f32_e32 v134, v135, v145
	v_mul_f32_e32 v144, v131, v134
	v_fma_f32 v146, v134, v131, -v144
	v_fmac_f32_e32 v146, v134, v33
	v_add_f32_e32 v147, v144, v146
	v_sub_f32_e32 v148, v135, v147
	v_sub_f32_e32 v135, v135, v148
	;; [unrolled: 1-line block ×4, first 2 shown]
	v_add_f32_e32 v133, v133, v135
	v_sub_f32_e32 v135, v144, v146
	v_add_f32_e32 v133, v135, v133
	v_add_f32_e32 v135, v148, v133
	v_mul_f32_e32 v144, v145, v135
	v_mul_f32_e32 v146, v131, v144
	v_fma_f32 v131, v144, v131, -v146
	v_fmac_f32_e32 v131, v144, v33
	v_sub_f32_e32 v33, v148, v135
	v_add_f32_e32 v33, v133, v33
	v_add_f32_e32 v133, v146, v131
	v_sub_f32_e32 v147, v135, v133
	v_sub_f32_e32 v135, v135, v147
	;; [unrolled: 1-line block ×4, first 2 shown]
	v_add_f32_e32 v33, v33, v133
	v_sub_f32_e32 v131, v146, v131
	v_add_f32_e32 v33, v131, v33
	v_add_f32_e32 v131, v134, v144
	;; [unrolled: 1-line block ×3, first 2 shown]
	v_sub_f32_e32 v133, v131, v134
	v_mul_f32_e32 v33, v145, v33
	v_sub_f32_e32 v133, v144, v133
	v_add_f32_e32 v133, v133, v33
	v_add_f32_e32 v134, v131, v133
	v_cvt_f32_i32_e32 v132, v132
	v_mul_f32_e32 v144, v134, v134
	v_mov_b32_e32 v33, 0x3ecc95a3
	v_fmac_f32_e32 v33, 0x3e9b6dac, v144
	v_sub_f32_e32 v131, v134, v131
	v_fma_f32 v33, v144, v33, v128
	v_sub_f32_e32 v131, v133, v131
	v_mul_f32_e32 v133, v134, v144
	v_pk_mul_f32 v[144:145], v[132:133], v[32:33]
	v_ldexp_f32 v135, v134, 1
	v_fma_f32 v134, v132, s73, -v144
	v_fmac_f32_e32 v134, 0xb102e308, v132
	v_pk_add_f32 v[132:133], v[144:145], v[134:135]
	v_sub_f32_e32 v33, v133, v135
	v_ldexp_f32 v131, v131, 1
	v_sub_f32_e32 v33, v145, v33
	v_add_f32_e32 v147, v131, v33
	v_mov_b32_e32 v146, v144
	v_pk_add_f32 v[144:145], v[132:133], v[144:145] neg_lo:[0,1] neg_hi:[0,1]
	v_pk_add_f32 v[148:149], v[132:133], v[146:147]
	v_mov_b32_e32 v145, v149
	v_mov_b32_e32 v135, v132
	v_pk_add_f32 v[150:151], v[134:135], v[144:145] neg_lo:[0,1] neg_hi:[0,1]
	v_pk_add_f32 v[134:135], v[134:135], v[144:145]
	v_mov_b32_e32 v144, v135
	v_pk_add_f32 v[160:161], v[144:145], v[132:133] neg_lo:[0,1] neg_hi:[0,1]
	v_mov_b32_e32 v33, v160
	v_pk_add_f32 v[162:163], v[148:149], v[32:33] neg_lo:[0,1] neg_hi:[0,1]
	v_mov_b32_e32 v134, v149
	v_mov_b32_e32 v148, v133
	;; [unrolled: 1-line block ×4, first 2 shown]
	v_pk_add_f32 v[134:135], v[134:135], v[148:149] neg_lo:[0,1] neg_hi:[0,1]
	v_mov_b32_e32 v146, v147
	v_mov_b32_e32 v147, v132
	v_pk_add_f32 v[132:133], v[146:147], v[134:135] neg_lo:[0,1] neg_hi:[0,1]
	v_mov_b32_e32 v162, v150
	v_pk_add_f32 v[134:135], v[162:163], v[132:133]
	v_mov_b32_e32 v146, v135
	v_pk_add_f32 v[146:147], v[134:135], v[146:147]
	v_pk_add_f32 v[144:145], v[144:145], v[146:147]
	v_mov_b32_e32 v135, v144
	v_pk_add_f32 v[148:149], v[134:135], v[150:151] neg_lo:[0,1] neg_hi:[0,1]
	v_mov_b32_e32 v133, v146
	v_sub_f32_e32 v33, v134, v148
	v_pk_add_f32 v[132:133], v[132:133], v[148:149] neg_lo:[0,1] neg_hi:[0,1]
	v_sub_f32_e32 v33, v150, v33
	v_add_f32_e32 v33, v132, v33
	v_add_f32_e32 v33, v33, v133
	v_cmp_eq_f32_e32 vcc, s71, v35
	v_cmp_lt_f32_e64 s[66:67], |v35|, s74
	v_add_f32_e32 v33, v144, v33
	s_or_b64 vcc, vcc, s[66:67]
	v_cndmask_b32_e32 v33, v33, v35, vcc
	v_add_f32_e32 v33, v34, v33
	v_cvt_f16_f32_e32 v131, v33
	s_branch .LBB353_157
.LBB353_189:                            ;   in Loop: Header=BB353_158 Depth=1
                                        ; implicit-def: $vgpr131
                                        ; implicit-def: $vgpr98
	s_cbranch_execz .LBB353_158
; %bb.190:
	s_and_saveexec_b64 s[60:61], s[56:57]
	s_cbranch_execz .LBB353_194
; %bb.191:
	v_cvt_f32_f16_e32 v26, v119
	v_cvt_f32_f16_e32 v27, v97
	v_cmp_u_f16_e32 vcc, v119, v119
	v_cmp_u_f16_e64 s[56:57], v97, v97
	s_movk_i32 s13, 0x1f8
	v_min_f32_e32 v30, v26, v27
	v_max_f32_e32 v31, v26, v27
	v_cndmask_b32_e32 v30, v30, v26, vcc
	v_cndmask_b32_e32 v26, v31, v26, vcc
	v_cndmask_b32_e64 v30, v30, v27, s[56:57]
	v_cndmask_b32_e64 v26, v26, v27, s[56:57]
	v_cmp_neq_f32_e32 vcc, v30, v26
	v_cmp_class_f32_e64 s[56:57], v30, s13
	s_or_b64 vcc, vcc, s[56:57]
	v_mov_b32_e32 v27, v119
	s_and_saveexec_b64 s[56:57], vcc
	s_cbranch_execz .LBB353_193
; %bb.192:
	v_sub_f32_e32 v27, v30, v26
	s_mov_b32 s13, 0x3fb8aa3b
	v_mul_f32_e32 v30, 0x3fb8aa3b, v27
	v_fma_f32 v31, v27, s13, -v30
	v_rndne_f32_e32 v32, v30
	v_fmac_f32_e32 v31, 0x32a5705f, v27
	v_sub_f32_e32 v30, v30, v32
	v_add_f32_e32 v30, v30, v31
	v_exp_f32_e32 v30, v30
	v_cvt_i32_f32_e32 v31, v32
	s_mov_b32 s13, 0xc2ce8ed0
	v_cmp_ngt_f32_e32 vcc, s13, v27
	s_mov_b32 s13, 0x42b17218
	v_ldexp_f32 v30, v30, v31
	v_cndmask_b32_e32 v30, 0, v30, vcc
	v_mov_b32_e32 v31, 0x7f800000
	v_cmp_nlt_f32_e32 vcc, s13, v27
	v_cndmask_b32_e32 v97, v31, v30, vcc
	v_add_f32_e32 v27, 1.0, v97
	v_add_f32_e32 v30, -1.0, v27
	v_sub_f32_e32 v31, v30, v27
	v_add_f32_e32 v31, 1.0, v31
	v_sub_f32_e32 v30, v97, v30
	v_add_f32_e32 v32, v30, v31
	v_frexp_mant_f32_e32 v33, v27
	s_mov_b32 s13, 0x3f2aaaab
	v_cvt_f64_f32_e32 v[30:31], v27
	v_frexp_exp_i32_f64_e32 v30, v[30:31]
	v_cmp_gt_f32_e32 vcc, s13, v33
	v_subbrev_co_u32_e32 v100, vcc, 0, v30, vcc
	v_sub_u32_e32 v30, 0, v100
	v_ldexp_f32 v27, v27, v30
	v_ldexp_f32 v30, v32, v30
	v_add_f32_e32 v32, -1.0, v27
	v_add_f32_e32 v31, 1.0, v32
	v_sub_f32_e32 v31, v27, v31
	v_add_f32_e32 v33, v30, v31
	v_add_f32_e32 v31, 1.0, v27
	v_add_f32_e32 v34, -1.0, v31
	v_sub_f32_e32 v27, v27, v34
	v_add_f32_e32 v27, v30, v27
	v_add_f32_e32 v101, v31, v27
	v_rcp_f32_e32 v102, v101
	v_sub_f32_e32 v30, v31, v101
	v_add_f32_e32 v31, v32, v33
	v_add_f32_e32 v27, v27, v30
	v_mul_f32_e32 v112, v31, v102
	v_sub_f32_e32 v30, v32, v31
	v_mul_f32_e32 v32, v101, v112
	v_fma_f32 v34, v112, v101, -v32
	v_fmac_f32_e32 v34, v112, v27
	v_add_f32_e32 v103, v33, v30
	v_add_f32_e32 v30, v32, v34
	v_sub_f32_e32 v33, v31, v30
	v_pk_add_f32 v[98:99], v[30:31], v[32:33] neg_lo:[0,1] neg_hi:[0,1]
	v_mov_b32_e32 v35, v30
	v_pk_add_f32 v[30:31], v[98:99], v[34:35] neg_lo:[0,1] neg_hi:[0,1]
	v_add_f32_e32 v31, v103, v31
	v_add_f32_e32 v30, v30, v31
	;; [unrolled: 1-line block ×3, first 2 shown]
	v_mul_f32_e32 v103, v102, v31
	v_mul_f32_e32 v32, v101, v103
	v_fma_f32 v34, v103, v101, -v32
	v_fmac_f32_e32 v34, v103, v27
	v_sub_f32_e32 v27, v33, v31
	v_add_f32_e32 v27, v30, v27
	v_add_f32_e32 v30, v32, v34
	v_sub_f32_e32 v33, v31, v30
	v_pk_add_f32 v[98:99], v[30:31], v[32:33] neg_lo:[0,1] neg_hi:[0,1]
	v_mov_b32_e32 v35, v30
	v_pk_add_f32 v[30:31], v[98:99], v[34:35] neg_lo:[0,1] neg_hi:[0,1]
	v_add_f32_e32 v27, v27, v31
	v_add_f32_e32 v27, v30, v27
	;; [unrolled: 1-line block ×4, first 2 shown]
	v_sub_f32_e32 v31, v30, v112
	v_mul_f32_e32 v27, v102, v27
	v_sub_f32_e32 v31, v103, v31
	v_add_f32_e32 v27, v31, v27
	v_add_f32_e32 v33, v30, v27
	v_mul_f32_e32 v34, v33, v33
	v_mov_b32_e32 v32, 0x3ecc95a3
	v_fmac_f32_e32 v32, 0x3e9b6dac, v34
	v_mov_b32_e32 v31, 0x3f2aaada
	v_fmac_f32_e32 v31, v34, v32
	v_cvt_f32_i32_e32 v32, v100
	v_sub_f32_e32 v30, v33, v30
	v_sub_f32_e32 v27, v27, v30
	v_ldexp_f32 v35, v33, 1
	v_mul_f32_e32 v33, v33, v34
	v_mov_b32_e32 v30, 0x3f317218
	s_mov_b32 s13, 0x3f317218
	v_pk_mul_f32 v[30:31], v[32:33], v[30:31]
	v_fma_f32 v34, v32, s13, -v30
	v_fmac_f32_e32 v34, 0xb102e308, v32
	v_pk_add_f32 v[32:33], v[30:31], v[34:35]
	v_sub_f32_e32 v35, v33, v35
	v_ldexp_f32 v27, v27, 1
	v_sub_f32_e32 v35, v31, v35
	v_add_f32_e32 v99, v27, v35
	v_mov_b32_e32 v98, v30
	v_pk_add_f32 v[30:31], v[32:33], v[30:31] neg_lo:[0,1] neg_hi:[0,1]
	v_pk_add_f32 v[100:101], v[32:33], v[98:99]
	v_mov_b32_e32 v31, v101
	v_mov_b32_e32 v35, v32
	v_pk_add_f32 v[102:103], v[34:35], v[30:31] neg_lo:[0,1] neg_hi:[0,1]
	v_pk_add_f32 v[30:31], v[34:35], v[30:31]
	v_mov_b32_e32 v34, v31
	v_pk_add_f32 v[112:113], v[34:35], v[32:33] neg_lo:[0,1] neg_hi:[0,1]
	v_mov_b32_e32 v27, v112
	v_pk_add_f32 v[114:115], v[100:101], v[26:27] neg_lo:[0,1] neg_hi:[0,1]
	v_mov_b32_e32 v30, v101
	v_mov_b32_e32 v100, v33
	v_mov_b32_e32 v101, v112
	v_mov_b32_e32 v103, v31
	v_pk_add_f32 v[30:31], v[30:31], v[100:101] neg_lo:[0,1] neg_hi:[0,1]
	v_mov_b32_e32 v98, v99
	v_mov_b32_e32 v99, v32
	v_pk_add_f32 v[30:31], v[98:99], v[30:31] neg_lo:[0,1] neg_hi:[0,1]
	v_mov_b32_e32 v114, v102
	v_pk_add_f32 v[32:33], v[114:115], v[30:31]
	v_mov_b32_e32 v98, v33
	v_pk_add_f32 v[98:99], v[32:33], v[98:99]
	v_pk_add_f32 v[34:35], v[34:35], v[98:99]
	v_mov_b32_e32 v33, v34
	v_pk_add_f32 v[100:101], v[32:33], v[102:103] neg_lo:[0,1] neg_hi:[0,1]
	v_mov_b32_e32 v31, v98
	v_sub_f32_e32 v27, v32, v100
	v_pk_add_f32 v[30:31], v[30:31], v[100:101] neg_lo:[0,1] neg_hi:[0,1]
	v_sub_f32_e32 v27, v102, v27
	s_mov_b32 s66, 0x7f800000
	v_add_f32_e32 v27, v30, v27
	s_mov_b32 s13, 0x33800000
	v_add_f32_e32 v27, v27, v31
	v_cmp_eq_f32_e32 vcc, s66, v97
	v_cmp_lt_f32_e64 s[66:67], |v97|, s13
	v_add_f32_e32 v27, v34, v27
	s_or_b64 vcc, vcc, s[66:67]
	v_cndmask_b32_e32 v27, v27, v97, vcc
	v_add_f32_e32 v26, v26, v27
	v_cvt_f16_f32_e32 v27, v26
.LBB353_193:
	s_or_b64 exec, exec, s[56:57]
	s_add_i32 s12, s12, 64
	s_mov_b32 s13, 0
	s_lshl_b64 s[12:13], s[12:13], 2
	v_mov_b32_e32 v26, s13
	v_add_co_u32_e32 v30, vcc, s12, v24
	s_mov_b32 s12, 0x20000
	v_addc_co_u32_e32 v31, vcc, v25, v26, vcc
	v_or_b32_sdwa v26, v27, s12 dst_sel:DWORD dst_unused:UNUSED_PAD src0_sel:WORD_0 src1_sel:DWORD
	flat_store_dword v[30:31], v26
.LBB353_194:
	s_or_b64 exec, exec, s[60:61]
	v_cmp_eq_u32_e32 vcc, 0, v0
	s_and_b64 exec, exec, vcc
	s_cbranch_execz .LBB353_196
; %bb.195:
	v_mov_b32_e32 v26, 0
	ds_write_b16 v26, v119
.LBB353_196:
	s_or_b64 exec, exec, s[64:65]
	v_mov_b32_e32 v26, 0
	s_waitcnt lgkmcnt(0)
	; wave barrier
	s_waitcnt lgkmcnt(0)
	ds_read_u16 v26, v26
	v_cmp_ne_u32_e32 vcc, 0, v0
	v_mov_b32_e32 v27, v20
	s_and_saveexec_b64 s[12:13], vcc
	s_cbranch_execz .LBB353_200
; %bb.197:
	v_cvt_f32_f16_e32 v30, v96
	v_max_f32_e32 v27, v87, v87
	v_cmp_u_f16_e32 vcc, v96, v96
	v_min_f32_e32 v31, v30, v27
	v_max_f32_e32 v27, v30, v27
	v_cndmask_b32_e32 v31, v31, v30, vcc
	v_cndmask_b32_e32 v27, v27, v30, vcc
	v_cndmask_b32_e64 v31, v31, v87, s[54:55]
	v_cndmask_b32_e64 v27, v27, v87, s[54:55]
	s_movk_i32 s54, 0x1f8
	v_cmp_neq_f32_e32 vcc, v31, v27
	v_cmp_class_f32_e64 s[54:55], v31, s54
	s_or_b64 vcc, vcc, s[54:55]
	s_and_saveexec_b64 s[54:55], vcc
	s_cbranch_execz .LBB353_199
; %bb.198:
	v_sub_f32_e32 v30, v31, v27
	s_mov_b32 s56, 0x3fb8aa3b
	v_mul_f32_e32 v31, 0x3fb8aa3b, v30
	v_fma_f32 v32, v30, s56, -v31
	v_rndne_f32_e32 v33, v31
	v_fmac_f32_e32 v32, 0x32a5705f, v30
	v_sub_f32_e32 v31, v31, v33
	v_add_f32_e32 v31, v31, v32
	v_exp_f32_e32 v31, v31
	v_cvt_i32_f32_e32 v32, v33
	s_mov_b32 s56, 0xc2ce8ed0
	v_cmp_ngt_f32_e32 vcc, s56, v30
	s_mov_b32 s56, 0x42b17218
	v_ldexp_f32 v31, v31, v32
	v_cndmask_b32_e32 v31, 0, v31, vcc
	v_mov_b32_e32 v32, 0x7f800000
	v_cmp_nlt_f32_e32 vcc, s56, v30
	v_cndmask_b32_e32 v87, v32, v31, vcc
	v_add_f32_e32 v32, 1.0, v87
	v_add_f32_e32 v30, -1.0, v32
	v_sub_f32_e32 v31, v30, v32
	v_add_f32_e32 v31, 1.0, v31
	v_sub_f32_e32 v30, v87, v30
	v_add_f32_e32 v33, v30, v31
	v_frexp_mant_f32_e32 v34, v32
	s_mov_b32 s56, 0x3f2aaaab
	v_cvt_f64_f32_e32 v[30:31], v32
	v_frexp_exp_i32_f64_e32 v30, v[30:31]
	v_cmp_gt_f32_e32 vcc, s56, v34
	v_subbrev_co_u32_e32 v98, vcc, 0, v30, vcc
	v_sub_u32_e32 v30, 0, v98
	v_ldexp_f32 v31, v32, v30
	v_add_f32_e32 v32, -1.0, v31
	v_add_f32_e32 v34, 1.0, v31
	v_ldexp_f32 v30, v33, v30
	v_add_f32_e32 v33, 1.0, v32
	v_add_f32_e32 v35, -1.0, v34
	v_sub_f32_e32 v33, v31, v33
	v_sub_f32_e32 v31, v31, v35
	v_add_f32_e32 v33, v30, v33
	v_add_f32_e32 v30, v30, v31
	;; [unrolled: 1-line block ×3, first 2 shown]
	v_rcp_f32_e32 v101, v99
	v_sub_f32_e32 v31, v34, v99
	v_add_f32_e32 v100, v30, v31
	v_add_f32_e32 v31, v32, v33
	v_mul_f32_e32 v103, v31, v101
	v_sub_f32_e32 v30, v32, v31
	v_mul_f32_e32 v32, v99, v103
	v_fma_f32 v34, v103, v99, -v32
	v_fmac_f32_e32 v34, v103, v100
	v_add_f32_e32 v102, v33, v30
	v_add_f32_e32 v30, v32, v34
	v_sub_f32_e32 v33, v31, v30
	v_pk_add_f32 v[96:97], v[30:31], v[32:33] neg_lo:[0,1] neg_hi:[0,1]
	v_mov_b32_e32 v35, v30
	v_pk_add_f32 v[30:31], v[96:97], v[34:35] neg_lo:[0,1] neg_hi:[0,1]
	v_add_f32_e32 v31, v102, v31
	v_add_f32_e32 v30, v30, v31
	;; [unrolled: 1-line block ×3, first 2 shown]
	v_mul_f32_e32 v102, v101, v31
	v_mul_f32_e32 v32, v99, v102
	v_fma_f32 v34, v102, v99, -v32
	v_fmac_f32_e32 v34, v102, v100
	v_sub_f32_e32 v33, v33, v31
	v_add_f32_e32 v99, v30, v33
	v_add_f32_e32 v30, v32, v34
	v_sub_f32_e32 v33, v31, v30
	v_pk_add_f32 v[96:97], v[30:31], v[32:33] neg_lo:[0,1] neg_hi:[0,1]
	v_mov_b32_e32 v35, v30
	v_pk_add_f32 v[30:31], v[96:97], v[34:35] neg_lo:[0,1] neg_hi:[0,1]
	v_add_f32_e32 v31, v99, v31
	v_add_f32_e32 v30, v30, v31
	;; [unrolled: 1-line block ×4, first 2 shown]
	v_sub_f32_e32 v31, v33, v103
	v_mul_f32_e32 v30, v101, v30
	v_sub_f32_e32 v31, v102, v31
	v_add_f32_e32 v30, v31, v30
	v_add_f32_e32 v34, v33, v30
	v_mul_f32_e32 v96, v34, v34
	v_mov_b32_e32 v32, 0x3ecc95a3
	v_fmac_f32_e32 v32, 0x3e9b6dac, v96
	v_mov_b32_e32 v31, 0x3f2aaada
	v_fmac_f32_e32 v31, v96, v32
	v_cvt_f32_i32_e32 v32, v98
	v_sub_f32_e32 v33, v34, v33
	v_sub_f32_e32 v30, v30, v33
	v_ldexp_f32 v97, v30, 1
	v_mul_f32_e32 v33, v34, v96
	v_mov_b32_e32 v30, 0x3f317218
	s_mov_b32 s56, 0x3f317218
	v_pk_mul_f32 v[30:31], v[32:33], v[30:31]
	v_ldexp_f32 v35, v34, 1
	v_fma_f32 v34, v32, s56, -v30
	v_fmac_f32_e32 v34, 0xb102e308, v32
	v_pk_add_f32 v[32:33], v[30:31], v[34:35]
	v_sub_f32_e32 v35, v33, v35
	v_sub_f32_e32 v35, v31, v35
	v_add_f32_e32 v97, v97, v35
	v_mov_b32_e32 v96, v30
	v_pk_add_f32 v[30:31], v[32:33], v[30:31] neg_lo:[0,1] neg_hi:[0,1]
	v_pk_add_f32 v[98:99], v[32:33], v[96:97]
	v_mov_b32_e32 v31, v99
	v_mov_b32_e32 v35, v32
	v_pk_add_f32 v[100:101], v[34:35], v[30:31] neg_lo:[0,1] neg_hi:[0,1]
	v_pk_add_f32 v[30:31], v[34:35], v[30:31]
	v_mov_b32_e32 v34, v31
	v_pk_add_f32 v[102:103], v[34:35], v[32:33] neg_lo:[0,1] neg_hi:[0,1]
	v_mov_b32_e32 v35, v102
	v_pk_add_f32 v[112:113], v[98:99], v[34:35] neg_lo:[0,1] neg_hi:[0,1]
	v_mov_b32_e32 v30, v99
	v_mov_b32_e32 v98, v33
	;; [unrolled: 1-line block ×4, first 2 shown]
	v_pk_add_f32 v[30:31], v[30:31], v[98:99] neg_lo:[0,1] neg_hi:[0,1]
	v_mov_b32_e32 v96, v97
	v_mov_b32_e32 v97, v32
	v_pk_add_f32 v[30:31], v[96:97], v[30:31] neg_lo:[0,1] neg_hi:[0,1]
	v_mov_b32_e32 v112, v100
	v_pk_add_f32 v[32:33], v[112:113], v[30:31]
	v_mov_b32_e32 v96, v33
	v_pk_add_f32 v[96:97], v[32:33], v[96:97]
	v_pk_add_f32 v[34:35], v[34:35], v[96:97]
	v_mov_b32_e32 v33, v34
	v_pk_add_f32 v[98:99], v[32:33], v[100:101] neg_lo:[0,1] neg_hi:[0,1]
	v_mov_b32_e32 v31, v96
	v_sub_f32_e32 v32, v32, v98
	v_pk_add_f32 v[30:31], v[30:31], v[98:99] neg_lo:[0,1] neg_hi:[0,1]
	v_sub_f32_e32 v32, v100, v32
	s_mov_b32 s57, 0x7f800000
	v_add_f32_e32 v30, v30, v32
	s_mov_b32 s56, 0x33800000
	v_add_f32_e32 v30, v30, v31
	v_cmp_eq_f32_e32 vcc, s57, v87
	v_cmp_lt_f32_e64 s[56:57], |v87|, s56
	v_add_f32_e32 v30, v34, v30
	s_or_b64 vcc, vcc, s[56:57]
	v_cndmask_b32_e32 v30, v30, v87, vcc
	v_add_f32_e32 v27, v27, v30
	v_cvt_f16_f32_e32 v96, v27
	v_cvt_f32_f16_e32 v30, v96
.LBB353_199:
	s_or_b64 exec, exec, s[54:55]
	v_mov_b32_e32 v87, v30
	v_mov_b32_e32 v27, v96
.LBB353_200:
	s_or_b64 exec, exec, s[12:13]
	s_waitcnt lgkmcnt(0)
	v_cvt_f32_f16_e32 v96, v26
	v_max_f32_e32 v31, v87, v87
	v_cmp_u_f16_e32 vcc, v26, v26
	v_cmp_u_f16_e64 s[12:13], v27, v27
	v_min_f32_e32 v30, v96, v31
	v_max_f32_e32 v27, v96, v31
	v_cndmask_b32_e32 v30, v30, v96, vcc
	v_cndmask_b32_e32 v27, v27, v96, vcc
	v_cndmask_b32_e64 v30, v30, v87, s[12:13]
	v_cndmask_b32_e64 v27, v27, v87, s[12:13]
	s_movk_i32 s54, 0x1f8
	v_cmp_neq_f32_e32 vcc, v30, v27
	v_cmp_class_f32_e64 s[12:13], v30, s54
	s_or_b64 vcc, vcc, s[12:13]
	s_and_saveexec_b64 s[12:13], vcc
	s_cbranch_execz .LBB353_202
; %bb.201:
	v_sub_f32_e32 v26, v30, v27
	s_mov_b32 s55, 0x3fb8aa3b
	v_mul_f32_e32 v30, 0x3fb8aa3b, v26
	v_fma_f32 v31, v26, s55, -v30
	v_rndne_f32_e32 v32, v30
	v_fmac_f32_e32 v31, 0x32a5705f, v26
	v_sub_f32_e32 v30, v30, v32
	v_add_f32_e32 v30, v30, v31
	v_exp_f32_e32 v30, v30
	v_cvt_i32_f32_e32 v31, v32
	s_mov_b32 s55, 0xc2ce8ed0
	v_cmp_ngt_f32_e32 vcc, s55, v26
	s_mov_b32 s55, 0x42b17218
	v_ldexp_f32 v30, v30, v31
	v_cndmask_b32_e32 v30, 0, v30, vcc
	v_mov_b32_e32 v31, 0x7f800000
	v_cmp_nlt_f32_e32 vcc, s55, v26
	v_cndmask_b32_e32 v87, v31, v30, vcc
	v_add_f32_e32 v26, 1.0, v87
	v_add_f32_e32 v30, -1.0, v26
	v_sub_f32_e32 v31, v30, v26
	v_add_f32_e32 v31, 1.0, v31
	v_sub_f32_e32 v30, v87, v30
	v_add_f32_e32 v32, v30, v31
	v_frexp_mant_f32_e32 v33, v26
	s_mov_b32 s55, 0x3f2aaaab
	v_cvt_f64_f32_e32 v[30:31], v26
	v_frexp_exp_i32_f64_e32 v30, v[30:31]
	v_cmp_gt_f32_e32 vcc, s55, v33
	v_subbrev_co_u32_e32 v98, vcc, 0, v30, vcc
	v_sub_u32_e32 v30, 0, v98
	v_ldexp_f32 v26, v26, v30
	v_ldexp_f32 v30, v32, v30
	v_add_f32_e32 v32, -1.0, v26
	v_add_f32_e32 v31, 1.0, v32
	v_sub_f32_e32 v31, v26, v31
	v_add_f32_e32 v33, v30, v31
	v_add_f32_e32 v31, 1.0, v26
	v_add_f32_e32 v34, -1.0, v31
	v_sub_f32_e32 v26, v26, v34
	v_add_f32_e32 v26, v30, v26
	v_add_f32_e32 v99, v31, v26
	v_rcp_f32_e32 v100, v99
	v_sub_f32_e32 v30, v31, v99
	v_add_f32_e32 v31, v32, v33
	v_add_f32_e32 v26, v26, v30
	v_mul_f32_e32 v102, v31, v100
	v_sub_f32_e32 v30, v32, v31
	v_mul_f32_e32 v32, v99, v102
	v_fma_f32 v34, v102, v99, -v32
	v_fmac_f32_e32 v34, v102, v26
	v_add_f32_e32 v101, v33, v30
	v_add_f32_e32 v30, v32, v34
	v_sub_f32_e32 v33, v31, v30
	v_pk_add_f32 v[96:97], v[30:31], v[32:33] neg_lo:[0,1] neg_hi:[0,1]
	v_mov_b32_e32 v35, v30
	v_pk_add_f32 v[30:31], v[96:97], v[34:35] neg_lo:[0,1] neg_hi:[0,1]
	v_add_f32_e32 v31, v101, v31
	v_add_f32_e32 v30, v30, v31
	;; [unrolled: 1-line block ×3, first 2 shown]
	v_mul_f32_e32 v101, v100, v31
	v_mul_f32_e32 v32, v99, v101
	v_fma_f32 v34, v101, v99, -v32
	v_fmac_f32_e32 v34, v101, v26
	v_sub_f32_e32 v26, v33, v31
	v_add_f32_e32 v26, v30, v26
	v_add_f32_e32 v30, v32, v34
	v_sub_f32_e32 v33, v31, v30
	v_pk_add_f32 v[96:97], v[30:31], v[32:33] neg_lo:[0,1] neg_hi:[0,1]
	v_mov_b32_e32 v35, v30
	v_pk_add_f32 v[30:31], v[96:97], v[34:35] neg_lo:[0,1] neg_hi:[0,1]
	v_add_f32_e32 v26, v26, v31
	v_add_f32_e32 v26, v30, v26
	;; [unrolled: 1-line block ×4, first 2 shown]
	v_sub_f32_e32 v31, v30, v102
	v_mul_f32_e32 v26, v100, v26
	v_sub_f32_e32 v31, v101, v31
	v_add_f32_e32 v26, v31, v26
	v_add_f32_e32 v33, v30, v26
	v_mul_f32_e32 v34, v33, v33
	v_mov_b32_e32 v32, 0x3ecc95a3
	v_fmac_f32_e32 v32, 0x3e9b6dac, v34
	v_mov_b32_e32 v31, 0x3f2aaada
	v_fmac_f32_e32 v31, v34, v32
	v_cvt_f32_i32_e32 v32, v98
	v_sub_f32_e32 v30, v33, v30
	v_sub_f32_e32 v26, v26, v30
	v_ldexp_f32 v35, v33, 1
	v_mul_f32_e32 v33, v33, v34
	v_mov_b32_e32 v30, 0x3f317218
	s_mov_b32 s55, 0x3f317218
	v_pk_mul_f32 v[30:31], v[32:33], v[30:31]
	v_fma_f32 v34, v32, s55, -v30
	v_fmac_f32_e32 v34, 0xb102e308, v32
	v_pk_add_f32 v[32:33], v[30:31], v[34:35]
	v_sub_f32_e32 v35, v33, v35
	v_ldexp_f32 v26, v26, 1
	v_sub_f32_e32 v35, v31, v35
	v_add_f32_e32 v97, v26, v35
	v_mov_b32_e32 v96, v30
	v_pk_add_f32 v[30:31], v[32:33], v[30:31] neg_lo:[0,1] neg_hi:[0,1]
	v_pk_add_f32 v[98:99], v[32:33], v[96:97]
	v_mov_b32_e32 v31, v99
	v_mov_b32_e32 v35, v32
	v_pk_add_f32 v[100:101], v[34:35], v[30:31] neg_lo:[0,1] neg_hi:[0,1]
	v_pk_add_f32 v[30:31], v[34:35], v[30:31]
	v_mov_b32_e32 v26, v31
	v_pk_add_f32 v[34:35], v[26:27], v[32:33] neg_lo:[0,1] neg_hi:[0,1]
	v_mov_b32_e32 v35, v34
	v_pk_add_f32 v[102:103], v[98:99], v[34:35] neg_lo:[0,1] neg_hi:[0,1]
	v_mov_b32_e32 v30, v99
	v_mov_b32_e32 v98, v33
	;; [unrolled: 1-line block ×4, first 2 shown]
	v_pk_add_f32 v[30:31], v[30:31], v[98:99] neg_lo:[0,1] neg_hi:[0,1]
	v_mov_b32_e32 v34, v97
	v_mov_b32_e32 v35, v32
	v_pk_add_f32 v[30:31], v[34:35], v[30:31] neg_lo:[0,1] neg_hi:[0,1]
	v_mov_b32_e32 v102, v100
	v_pk_add_f32 v[32:33], v[102:103], v[30:31]
	v_mov_b32_e32 v34, v33
	v_pk_add_f32 v[34:35], v[32:33], v[34:35]
	v_pk_add_f32 v[96:97], v[26:27], v[34:35]
	v_mov_b32_e32 v33, v96
	v_pk_add_f32 v[98:99], v[32:33], v[100:101] neg_lo:[0,1] neg_hi:[0,1]
	v_mov_b32_e32 v31, v34
	v_sub_f32_e32 v26, v32, v98
	v_pk_add_f32 v[30:31], v[30:31], v[98:99] neg_lo:[0,1] neg_hi:[0,1]
	v_sub_f32_e32 v26, v100, v26
	s_mov_b32 s56, 0x7f800000
	v_add_f32_e32 v26, v30, v26
	s_mov_b32 s55, 0x33800000
	v_add_f32_e32 v26, v26, v31
	v_cmp_eq_f32_e32 vcc, s56, v87
	v_cmp_lt_f32_e64 s[56:57], |v87|, s55
	v_add_f32_e32 v26, v96, v26
	s_or_b64 vcc, vcc, s[56:57]
	v_cndmask_b32_e32 v26, v26, v87, vcc
	v_add_f32_e32 v26, v27, v26
	v_cvt_f16_f32_e32 v26, v26
	v_cvt_f32_f16_e32 v96, v26
.LBB353_202:
	s_or_b64 exec, exec, s[12:13]
	v_max_f32_e32 v27, v48, v48
	v_max_f32_e32 v30, v96, v96
	v_min_f32_e32 v31, v30, v27
	v_cmp_u_f16_e32 vcc, v26, v26
	v_max_f32_e32 v27, v30, v27
	v_cndmask_b32_e32 v31, v31, v96, vcc
	v_cndmask_b32_e32 v27, v27, v96, vcc
	v_cndmask_b32_e64 v31, v31, v48, s[6:7]
	v_cndmask_b32_e64 v30, v27, v48, s[6:7]
	v_cmp_neq_f32_e32 vcc, v31, v30
	v_cmp_class_f32_e64 s[6:7], v31, s54
	s_or_b64 s[12:13], vcc, s[6:7]
	v_mov_b32_e32 v97, v26
	v_mov_b32_e32 v27, v26
	s_and_saveexec_b64 s[6:7], s[12:13]
	s_cbranch_execz .LBB353_204
; %bb.203:
	v_sub_f32_e32 v27, v31, v30
	s_mov_b32 s12, 0x3fb8aa3b
	v_mul_f32_e32 v31, 0x3fb8aa3b, v27
	v_fma_f32 v32, v27, s12, -v31
	v_rndne_f32_e32 v33, v31
	v_fmac_f32_e32 v32, 0x32a5705f, v27
	v_sub_f32_e32 v31, v31, v33
	v_add_f32_e32 v31, v31, v32
	v_exp_f32_e32 v31, v31
	v_cvt_i32_f32_e32 v32, v33
	s_mov_b32 s12, 0xc2ce8ed0
	v_cmp_ngt_f32_e32 vcc, s12, v27
	s_mov_b32 s12, 0x42b17218
	v_ldexp_f32 v31, v31, v32
	v_cndmask_b32_e32 v31, 0, v31, vcc
	v_mov_b32_e32 v32, 0x7f800000
	v_cmp_nlt_f32_e32 vcc, s12, v27
	v_cndmask_b32_e32 v31, v32, v31, vcc
	v_add_f32_e32 v27, 1.0, v31
	v_add_f32_e32 v32, -1.0, v27
	v_sub_f32_e32 v33, v32, v27
	v_add_f32_e32 v33, 1.0, v33
	v_sub_f32_e32 v32, v31, v32
	v_add_f32_e32 v34, v32, v33
	v_frexp_mant_f32_e32 v35, v27
	s_mov_b32 s12, 0x3f2aaaab
	v_cvt_f64_f32_e32 v[32:33], v27
	v_frexp_exp_i32_f64_e32 v32, v[32:33]
	v_cmp_gt_f32_e32 vcc, s12, v35
	v_subbrev_co_u32_e32 v87, vcc, 0, v32, vcc
	v_sub_u32_e32 v32, 0, v87
	v_ldexp_f32 v27, v27, v32
	v_ldexp_f32 v32, v34, v32
	v_add_f32_e32 v34, -1.0, v27
	v_add_f32_e32 v33, 1.0, v34
	v_sub_f32_e32 v33, v27, v33
	v_add_f32_e32 v35, v32, v33
	v_add_f32_e32 v33, 1.0, v27
	v_add_f32_e32 v96, -1.0, v33
	v_sub_f32_e32 v27, v27, v96
	v_add_f32_e32 v27, v32, v27
	v_add_f32_e32 v100, v33, v27
	v_rcp_f32_e32 v101, v100
	v_sub_f32_e32 v32, v33, v100
	v_add_f32_e32 v33, v34, v35
	v_add_f32_e32 v27, v27, v32
	v_mul_f32_e32 v103, v33, v101
	v_sub_f32_e32 v32, v34, v33
	v_mul_f32_e32 v34, v100, v103
	v_fma_f32 v96, v103, v100, -v34
	v_fmac_f32_e32 v96, v103, v27
	v_add_f32_e32 v102, v35, v32
	v_add_f32_e32 v32, v34, v96
	v_sub_f32_e32 v35, v33, v32
	v_pk_add_f32 v[98:99], v[32:33], v[34:35] neg_lo:[0,1] neg_hi:[0,1]
	v_mov_b32_e32 v97, v32
	v_pk_add_f32 v[32:33], v[98:99], v[96:97] neg_lo:[0,1] neg_hi:[0,1]
	v_add_f32_e32 v33, v102, v33
	v_add_f32_e32 v32, v32, v33
	;; [unrolled: 1-line block ×3, first 2 shown]
	v_mul_f32_e32 v102, v101, v33
	v_mul_f32_e32 v34, v100, v102
	v_fma_f32 v96, v102, v100, -v34
	v_fmac_f32_e32 v96, v102, v27
	v_sub_f32_e32 v27, v35, v33
	v_add_f32_e32 v27, v32, v27
	v_add_f32_e32 v32, v34, v96
	v_sub_f32_e32 v35, v33, v32
	v_pk_add_f32 v[98:99], v[32:33], v[34:35] neg_lo:[0,1] neg_hi:[0,1]
	v_mov_b32_e32 v97, v32
	v_pk_add_f32 v[32:33], v[98:99], v[96:97] neg_lo:[0,1] neg_hi:[0,1]
	v_add_f32_e32 v27, v27, v33
	v_add_f32_e32 v27, v32, v27
	v_add_f32_e32 v32, v103, v102
	v_add_f32_e32 v27, v35, v27
	v_sub_f32_e32 v33, v32, v103
	v_mul_f32_e32 v27, v101, v27
	v_sub_f32_e32 v33, v102, v33
	v_add_f32_e32 v27, v33, v27
	v_add_f32_e32 v35, v32, v27
	v_mul_f32_e32 v96, v35, v35
	v_mov_b32_e32 v34, 0x3ecc95a3
	v_fmac_f32_e32 v34, 0x3e9b6dac, v96
	v_mov_b32_e32 v33, 0x3f2aaada
	v_fmac_f32_e32 v33, v96, v34
	v_cvt_f32_i32_e32 v34, v87
	v_sub_f32_e32 v32, v35, v32
	v_sub_f32_e32 v27, v27, v32
	v_ldexp_f32 v97, v35, 1
	v_mul_f32_e32 v35, v35, v96
	v_mov_b32_e32 v32, 0x3f317218
	s_mov_b32 s12, 0x3f317218
	v_pk_mul_f32 v[32:33], v[34:35], v[32:33]
	v_fma_f32 v96, v34, s12, -v32
	v_fmac_f32_e32 v96, 0xb102e308, v34
	v_pk_add_f32 v[34:35], v[32:33], v[96:97]
	v_sub_f32_e32 v87, v35, v97
	v_ldexp_f32 v27, v27, 1
	v_sub_f32_e32 v87, v33, v87
	v_add_f32_e32 v99, v27, v87
	v_mov_b32_e32 v98, v32
	v_pk_add_f32 v[32:33], v[34:35], v[32:33] neg_lo:[0,1] neg_hi:[0,1]
	v_pk_add_f32 v[100:101], v[34:35], v[98:99]
	v_mov_b32_e32 v33, v101
	v_mov_b32_e32 v97, v34
	v_pk_add_f32 v[102:103], v[96:97], v[32:33] neg_lo:[0,1] neg_hi:[0,1]
	v_pk_add_f32 v[32:33], v[96:97], v[32:33]
	v_mov_b32_e32 v96, v33
	v_pk_add_f32 v[112:113], v[96:97], v[34:35] neg_lo:[0,1] neg_hi:[0,1]
	v_mov_b32_e32 v27, v112
	v_pk_add_f32 v[114:115], v[100:101], v[26:27] neg_lo:[0,1] neg_hi:[0,1]
	v_mov_b32_e32 v32, v101
	v_mov_b32_e32 v100, v35
	;; [unrolled: 1-line block ×4, first 2 shown]
	v_pk_add_f32 v[32:33], v[32:33], v[100:101] neg_lo:[0,1] neg_hi:[0,1]
	v_mov_b32_e32 v98, v99
	v_mov_b32_e32 v99, v34
	v_pk_add_f32 v[32:33], v[98:99], v[32:33] neg_lo:[0,1] neg_hi:[0,1]
	v_mov_b32_e32 v114, v102
	v_pk_add_f32 v[34:35], v[114:115], v[32:33]
	v_mov_b32_e32 v98, v35
	v_pk_add_f32 v[98:99], v[34:35], v[98:99]
	v_pk_add_f32 v[96:97], v[96:97], v[98:99]
	v_mov_b32_e32 v35, v96
	v_pk_add_f32 v[100:101], v[34:35], v[102:103] neg_lo:[0,1] neg_hi:[0,1]
	v_mov_b32_e32 v33, v98
	v_sub_f32_e32 v27, v34, v100
	v_pk_add_f32 v[32:33], v[32:33], v[100:101] neg_lo:[0,1] neg_hi:[0,1]
	v_sub_f32_e32 v27, v102, v27
	s_mov_b32 s13, 0x7f800000
	v_add_f32_e32 v27, v32, v27
	s_mov_b32 s12, 0x33800000
	v_add_f32_e32 v27, v27, v33
	v_cmp_eq_f32_e32 vcc, s13, v31
	v_cmp_lt_f32_e64 s[12:13], |v31|, s12
	v_add_f32_e32 v27, v96, v27
	s_or_b64 vcc, vcc, s[12:13]
	v_cndmask_b32_e32 v27, v27, v31, vcc
	v_add_f32_e32 v27, v30, v27
	v_cvt_f16_f32_e32 v97, v27
	v_cvt_f32_f16_e32 v96, v97
	v_mov_b32_e32 v27, v97
.LBB353_204:
	s_or_b64 exec, exec, s[6:7]
	v_max_f32_e32 v30, v49, v49
	v_max_f32_e32 v31, v96, v96
	v_min_f32_e32 v32, v31, v30
	v_cmp_u_f16_e32 vcc, v97, v97
	v_max_f32_e32 v30, v31, v30
	v_cndmask_b32_e32 v32, v32, v96, vcc
	v_cndmask_b32_e32 v30, v30, v96, vcc
	v_cndmask_b32_e64 v32, v32, v49, s[8:9]
	v_cndmask_b32_e64 v31, v30, v49, s[8:9]
	s_movk_i32 s8, 0x1f8
	v_cmp_neq_f32_e32 vcc, v32, v31
	v_cmp_class_f32_e64 s[6:7], v32, s8
	s_or_b64 s[12:13], vcc, s[6:7]
	v_mov_b32_e32 v30, v27
	s_and_saveexec_b64 s[6:7], s[12:13]
	s_cbranch_execz .LBB353_206
; %bb.205:
	v_sub_f32_e32 v30, v32, v31
	s_mov_b32 s9, 0x3fb8aa3b
	v_mul_f32_e32 v32, 0x3fb8aa3b, v30
	v_fma_f32 v33, v30, s9, -v32
	v_rndne_f32_e32 v34, v32
	v_fmac_f32_e32 v33, 0x32a5705f, v30
	v_sub_f32_e32 v32, v32, v34
	v_add_f32_e32 v32, v32, v33
	v_exp_f32_e32 v32, v32
	v_cvt_i32_f32_e32 v33, v34
	s_mov_b32 s9, 0xc2ce8ed0
	v_cmp_ngt_f32_e32 vcc, s9, v30
	s_mov_b32 s9, 0x42b17218
	v_ldexp_f32 v32, v32, v33
	v_cndmask_b32_e32 v32, 0, v32, vcc
	v_mov_b32_e32 v33, 0x7f800000
	v_cmp_nlt_f32_e32 vcc, s9, v30
	v_cndmask_b32_e32 v87, v33, v32, vcc
	v_add_f32_e32 v30, 1.0, v87
	v_add_f32_e32 v32, -1.0, v30
	v_sub_f32_e32 v33, v32, v30
	v_add_f32_e32 v33, 1.0, v33
	v_sub_f32_e32 v32, v87, v32
	v_add_f32_e32 v34, v32, v33
	v_frexp_mant_f32_e32 v35, v30
	s_mov_b32 s9, 0x3f2aaaab
	v_cvt_f64_f32_e32 v[32:33], v30
	v_frexp_exp_i32_f64_e32 v32, v[32:33]
	v_cmp_gt_f32_e32 vcc, s9, v35
	v_subbrev_co_u32_e32 v49, vcc, 0, v32, vcc
	v_sub_u32_e32 v32, 0, v49
	v_ldexp_f32 v30, v30, v32
	v_ldexp_f32 v32, v34, v32
	v_add_f32_e32 v34, -1.0, v30
	v_add_f32_e32 v33, 1.0, v34
	v_sub_f32_e32 v33, v30, v33
	v_add_f32_e32 v35, v32, v33
	v_add_f32_e32 v33, 1.0, v30
	v_add_f32_e32 v96, -1.0, v33
	v_sub_f32_e32 v30, v30, v96
	v_add_f32_e32 v30, v32, v30
	v_add_f32_e32 v100, v33, v30
	v_rcp_f32_e32 v101, v100
	v_sub_f32_e32 v32, v33, v100
	v_add_f32_e32 v33, v34, v35
	v_add_f32_e32 v30, v30, v32
	v_mul_f32_e32 v103, v33, v101
	v_sub_f32_e32 v32, v34, v33
	v_mul_f32_e32 v34, v100, v103
	v_fma_f32 v96, v103, v100, -v34
	v_fmac_f32_e32 v96, v103, v30
	v_add_f32_e32 v102, v35, v32
	v_add_f32_e32 v32, v34, v96
	v_sub_f32_e32 v35, v33, v32
	v_pk_add_f32 v[98:99], v[32:33], v[34:35] neg_lo:[0,1] neg_hi:[0,1]
	v_mov_b32_e32 v97, v32
	v_pk_add_f32 v[32:33], v[98:99], v[96:97] neg_lo:[0,1] neg_hi:[0,1]
	v_add_f32_e32 v33, v102, v33
	v_add_f32_e32 v32, v32, v33
	;; [unrolled: 1-line block ×3, first 2 shown]
	v_mul_f32_e32 v102, v101, v33
	v_mul_f32_e32 v34, v100, v102
	v_fma_f32 v96, v102, v100, -v34
	v_fmac_f32_e32 v96, v102, v30
	v_sub_f32_e32 v30, v35, v33
	v_add_f32_e32 v30, v32, v30
	v_add_f32_e32 v32, v34, v96
	v_sub_f32_e32 v35, v33, v32
	v_pk_add_f32 v[98:99], v[32:33], v[34:35] neg_lo:[0,1] neg_hi:[0,1]
	v_mov_b32_e32 v97, v32
	v_pk_add_f32 v[32:33], v[98:99], v[96:97] neg_lo:[0,1] neg_hi:[0,1]
	v_add_f32_e32 v30, v30, v33
	v_add_f32_e32 v30, v32, v30
	;; [unrolled: 1-line block ×4, first 2 shown]
	v_sub_f32_e32 v33, v32, v103
	v_mul_f32_e32 v30, v101, v30
	v_sub_f32_e32 v33, v102, v33
	v_add_f32_e32 v30, v33, v30
	v_add_f32_e32 v35, v32, v30
	v_mul_f32_e32 v96, v35, v35
	v_mov_b32_e32 v34, 0x3ecc95a3
	v_fmac_f32_e32 v34, 0x3e9b6dac, v96
	v_mov_b32_e32 v33, 0x3f2aaada
	v_fmac_f32_e32 v33, v96, v34
	v_cvt_f32_i32_e32 v34, v49
	v_sub_f32_e32 v32, v35, v32
	v_sub_f32_e32 v30, v30, v32
	v_ldexp_f32 v97, v35, 1
	v_mul_f32_e32 v35, v35, v96
	v_mov_b32_e32 v32, 0x3f317218
	s_mov_b32 s9, 0x3f317218
	v_pk_mul_f32 v[32:33], v[34:35], v[32:33]
	v_fma_f32 v96, v34, s9, -v32
	v_fmac_f32_e32 v96, 0xb102e308, v34
	v_pk_add_f32 v[34:35], v[32:33], v[96:97]
	v_sub_f32_e32 v49, v35, v97
	v_ldexp_f32 v30, v30, 1
	v_sub_f32_e32 v49, v33, v49
	v_add_f32_e32 v99, v30, v49
	v_mov_b32_e32 v98, v32
	v_pk_add_f32 v[32:33], v[34:35], v[32:33] neg_lo:[0,1] neg_hi:[0,1]
	v_pk_add_f32 v[100:101], v[34:35], v[98:99]
	v_mov_b32_e32 v33, v101
	v_mov_b32_e32 v97, v34
	v_pk_add_f32 v[102:103], v[96:97], v[32:33] neg_lo:[0,1] neg_hi:[0,1]
	v_pk_add_f32 v[32:33], v[96:97], v[32:33]
	v_mov_b32_e32 v30, v33
	v_pk_add_f32 v[96:97], v[30:31], v[34:35] neg_lo:[0,1] neg_hi:[0,1]
	v_mov_b32_e32 v49, v96
	v_pk_add_f32 v[112:113], v[100:101], v[48:49] neg_lo:[0,1] neg_hi:[0,1]
	v_mov_b32_e32 v32, v101
	v_mov_b32_e32 v100, v35
	;; [unrolled: 1-line block ×4, first 2 shown]
	v_pk_add_f32 v[32:33], v[32:33], v[100:101] neg_lo:[0,1] neg_hi:[0,1]
	v_mov_b32_e32 v96, v99
	v_mov_b32_e32 v97, v34
	v_pk_add_f32 v[32:33], v[96:97], v[32:33] neg_lo:[0,1] neg_hi:[0,1]
	v_mov_b32_e32 v112, v102
	v_pk_add_f32 v[34:35], v[112:113], v[32:33]
	v_mov_b32_e32 v96, v35
	v_pk_add_f32 v[96:97], v[34:35], v[96:97]
	v_pk_add_f32 v[98:99], v[30:31], v[96:97]
	v_mov_b32_e32 v35, v98
	v_pk_add_f32 v[100:101], v[34:35], v[102:103] neg_lo:[0,1] neg_hi:[0,1]
	v_mov_b32_e32 v33, v96
	v_sub_f32_e32 v30, v34, v100
	v_pk_add_f32 v[32:33], v[32:33], v[100:101] neg_lo:[0,1] neg_hi:[0,1]
	v_sub_f32_e32 v30, v102, v30
	s_mov_b32 s12, 0x7f800000
	v_add_f32_e32 v30, v32, v30
	s_mov_b32 s9, 0x33800000
	v_add_f32_e32 v30, v30, v33
	v_cmp_eq_f32_e32 vcc, s12, v87
	v_cmp_lt_f32_e64 s[12:13], |v87|, s9
	v_add_f32_e32 v30, v98, v30
	s_or_b64 vcc, vcc, s[12:13]
	v_cndmask_b32_e32 v30, v30, v87, vcc
	v_add_f32_e32 v30, v31, v30
	v_cvt_f16_f32_e32 v97, v30
	v_cvt_f32_f16_e32 v96, v97
	v_mov_b32_e32 v30, v97
.LBB353_206:
	s_or_b64 exec, exec, s[6:7]
	v_max_f32_e32 v31, v50, v50
	v_max_f32_e32 v32, v96, v96
	v_min_f32_e32 v33, v32, v31
	v_cmp_u_f16_e32 vcc, v97, v97
	v_max_f32_e32 v31, v32, v31
	v_cndmask_b32_e32 v33, v33, v96, vcc
	v_cndmask_b32_e32 v31, v31, v96, vcc
	v_cndmask_b32_e64 v33, v33, v50, s[10:11]
	v_cndmask_b32_e64 v32, v31, v50, s[10:11]
	v_cmp_neq_f32_e32 vcc, v33, v32
	v_cmp_class_f32_e64 s[6:7], v33, s8
	s_or_b64 s[8:9], vcc, s[6:7]
	v_mov_b32_e32 v31, v30
	s_and_saveexec_b64 s[6:7], s[8:9]
	s_cbranch_execz .LBB353_208
; %bb.207:
	v_sub_f32_e32 v31, v33, v32
	s_mov_b32 s8, 0x3fb8aa3b
	v_mul_f32_e32 v33, 0x3fb8aa3b, v31
	v_fma_f32 v34, v31, s8, -v33
	v_rndne_f32_e32 v35, v33
	v_fmac_f32_e32 v34, 0x32a5705f, v31
	v_sub_f32_e32 v33, v33, v35
	v_add_f32_e32 v33, v33, v34
	v_exp_f32_e32 v33, v33
	v_cvt_i32_f32_e32 v34, v35
	s_mov_b32 s8, 0xc2ce8ed0
	v_cmp_ngt_f32_e32 vcc, s8, v31
	s_mov_b32 s8, 0x42b17218
	v_ldexp_f32 v33, v33, v34
	v_cndmask_b32_e32 v33, 0, v33, vcc
	v_mov_b32_e32 v34, 0x7f800000
	v_cmp_nlt_f32_e32 vcc, s8, v31
	v_cndmask_b32_e32 v33, v34, v33, vcc
	v_add_f32_e32 v31, 1.0, v33
	v_add_f32_e32 v34, -1.0, v31
	v_sub_f32_e32 v35, v34, v31
	v_add_f32_e32 v35, 1.0, v35
	v_sub_f32_e32 v34, v33, v34
	v_add_f32_e32 v49, v34, v35
	v_frexp_mant_f32_e32 v50, v31
	s_mov_b32 s8, 0x3f2aaaab
	v_cvt_f64_f32_e32 v[34:35], v31
	v_frexp_exp_i32_f64_e32 v34, v[34:35]
	v_cmp_gt_f32_e32 vcc, s8, v50
	v_subbrev_co_u32_e32 v50, vcc, 0, v34, vcc
	v_sub_u32_e32 v34, 0, v50
	v_ldexp_f32 v31, v31, v34
	v_ldexp_f32 v34, v49, v34
	v_add_f32_e32 v49, -1.0, v31
	v_add_f32_e32 v35, 1.0, v49
	v_sub_f32_e32 v35, v31, v35
	v_add_f32_e32 v87, v34, v35
	v_add_f32_e32 v35, 1.0, v31
	v_add_f32_e32 v96, -1.0, v35
	v_sub_f32_e32 v31, v31, v96
	v_add_f32_e32 v31, v34, v31
	v_add_f32_e32 v102, v35, v31
	v_rcp_f32_e32 v103, v102
	v_sub_f32_e32 v34, v35, v102
	v_add_f32_e32 v35, v49, v87
	v_add_f32_e32 v31, v31, v34
	v_sub_f32_e32 v34, v49, v35
	v_add_f32_e32 v49, v87, v34
	v_mul_f32_e32 v87, v35, v103
	v_mul_f32_e32 v96, v102, v87
	v_fma_f32 v98, v87, v102, -v96
	v_fmac_f32_e32 v98, v87, v31
	v_add_f32_e32 v34, v96, v98
	v_sub_f32_e32 v97, v35, v34
	v_pk_add_f32 v[100:101], v[34:35], v[96:97] neg_lo:[0,1] neg_hi:[0,1]
	v_mov_b32_e32 v99, v34
	v_pk_add_f32 v[34:35], v[100:101], v[98:99] neg_lo:[0,1] neg_hi:[0,1]
	v_add_f32_e32 v35, v49, v35
	v_add_f32_e32 v34, v34, v35
	v_add_f32_e32 v35, v97, v34
	v_mul_f32_e32 v49, v103, v35
	v_mul_f32_e32 v96, v102, v49
	v_fma_f32 v98, v49, v102, -v96
	v_fmac_f32_e32 v98, v49, v31
	v_sub_f32_e32 v31, v97, v35
	v_add_f32_e32 v31, v34, v31
	v_add_f32_e32 v34, v96, v98
	v_sub_f32_e32 v97, v35, v34
	v_pk_add_f32 v[100:101], v[34:35], v[96:97] neg_lo:[0,1] neg_hi:[0,1]
	v_mov_b32_e32 v99, v34
	v_pk_add_f32 v[34:35], v[100:101], v[98:99] neg_lo:[0,1] neg_hi:[0,1]
	v_add_f32_e32 v31, v31, v35
	v_add_f32_e32 v31, v34, v31
	;; [unrolled: 1-line block ×4, first 2 shown]
	v_sub_f32_e32 v35, v34, v87
	v_mul_f32_e32 v31, v103, v31
	v_sub_f32_e32 v35, v49, v35
	v_add_f32_e32 v31, v35, v31
	v_add_f32_e32 v49, v34, v31
	v_mul_f32_e32 v87, v49, v49
	v_mov_b32_e32 v96, 0x3ecc95a3
	v_fmac_f32_e32 v96, 0x3e9b6dac, v87
	v_mov_b32_e32 v35, 0x3f2aaada
	v_fmac_f32_e32 v35, v87, v96
	v_cvt_f32_i32_e32 v96, v50
	v_sub_f32_e32 v34, v49, v34
	v_sub_f32_e32 v31, v31, v34
	v_mul_f32_e32 v97, v49, v87
	v_mov_b32_e32 v34, 0x3f317218
	s_mov_b32 s8, 0x3f317218
	v_pk_mul_f32 v[34:35], v[96:97], v[34:35]
	v_fma_f32 v98, v96, s8, -v34
	v_ldexp_f32 v99, v49, 1
	v_fmac_f32_e32 v98, 0xb102e308, v96
	v_pk_add_f32 v[96:97], v[34:35], v[98:99]
	v_sub_f32_e32 v49, v97, v99
	v_ldexp_f32 v31, v31, 1
	v_sub_f32_e32 v49, v35, v49
	v_add_f32_e32 v101, v31, v49
	v_mov_b32_e32 v100, v34
	v_pk_add_f32 v[34:35], v[96:97], v[34:35] neg_lo:[0,1] neg_hi:[0,1]
	v_pk_add_f32 v[102:103], v[96:97], v[100:101]
	v_mov_b32_e32 v35, v103
	v_mov_b32_e32 v99, v96
	v_pk_add_f32 v[112:113], v[98:99], v[34:35] neg_lo:[0,1] neg_hi:[0,1]
	v_pk_add_f32 v[34:35], v[98:99], v[34:35]
	v_mov_b32_e32 v50, v35
	v_pk_add_f32 v[98:99], v[50:51], v[96:97] neg_lo:[0,1] neg_hi:[0,1]
	v_mov_b32_e32 v31, v98
	v_pk_add_f32 v[114:115], v[102:103], v[30:31] neg_lo:[0,1] neg_hi:[0,1]
	v_mov_b32_e32 v34, v103
	v_mov_b32_e32 v102, v97
	;; [unrolled: 1-line block ×4, first 2 shown]
	v_pk_add_f32 v[34:35], v[34:35], v[102:103] neg_lo:[0,1] neg_hi:[0,1]
	v_mov_b32_e32 v98, v101
	v_mov_b32_e32 v99, v96
	v_pk_add_f32 v[34:35], v[98:99], v[34:35] neg_lo:[0,1] neg_hi:[0,1]
	v_mov_b32_e32 v114, v112
	v_pk_add_f32 v[96:97], v[114:115], v[34:35]
	v_mov_b32_e32 v98, v97
	v_pk_add_f32 v[98:99], v[96:97], v[98:99]
	v_pk_add_f32 v[100:101], v[50:51], v[98:99]
	v_mov_b32_e32 v97, v100
	v_pk_add_f32 v[102:103], v[96:97], v[112:113] neg_lo:[0,1] neg_hi:[0,1]
	v_mov_b32_e32 v35, v98
	v_sub_f32_e32 v31, v96, v102
	v_pk_add_f32 v[34:35], v[34:35], v[102:103] neg_lo:[0,1] neg_hi:[0,1]
	v_sub_f32_e32 v31, v112, v31
	s_mov_b32 s9, 0x7f800000
	v_add_f32_e32 v31, v34, v31
	s_mov_b32 s8, 0x33800000
	v_add_f32_e32 v31, v31, v35
	v_cmp_eq_f32_e32 vcc, s9, v33
	v_cmp_lt_f32_e64 s[8:9], |v33|, s8
	v_add_f32_e32 v31, v100, v31
	s_or_b64 vcc, vcc, s[8:9]
	v_cndmask_b32_e32 v31, v31, v33, vcc
	v_add_f32_e32 v31, v32, v31
	v_cvt_f16_f32_e32 v97, v31
	v_cvt_f32_f16_e32 v96, v97
	v_mov_b32_e32 v31, v97
.LBB353_208:
	s_or_b64 exec, exec, s[6:7]
	v_max_f32_e32 v32, v51, v51
	v_max_f32_e32 v33, v96, v96
	v_min_f32_e32 v34, v33, v32
	v_cmp_u_f16_e32 vcc, v97, v97
	v_max_f32_e32 v32, v33, v32
	v_cndmask_b32_e32 v34, v34, v96, vcc
	v_cndmask_b32_e32 v32, v32, v96, vcc
	v_cndmask_b32_e64 v34, v34, v51, s[58:59]
	v_cndmask_b32_e64 v33, v32, v51, s[58:59]
	s_movk_i32 s8, 0x1f8
	v_cmp_neq_f32_e32 vcc, v34, v33
	v_cmp_class_f32_e64 s[6:7], v34, s8
	s_or_b64 s[10:11], vcc, s[6:7]
	v_mov_b32_e32 v32, v31
	s_and_saveexec_b64 s[6:7], s[10:11]
	s_cbranch_execz .LBB353_210
; %bb.209:
	v_sub_f32_e32 v32, v34, v33
	s_mov_b32 s9, 0x3fb8aa3b
	v_mul_f32_e32 v34, 0x3fb8aa3b, v32
	v_fma_f32 v35, v32, s9, -v34
	v_rndne_f32_e32 v49, v34
	v_fmac_f32_e32 v35, 0x32a5705f, v32
	v_sub_f32_e32 v34, v34, v49
	v_add_f32_e32 v34, v34, v35
	v_exp_f32_e32 v34, v34
	v_cvt_i32_f32_e32 v35, v49
	s_mov_b32 s9, 0xc2ce8ed0
	v_cmp_ngt_f32_e32 vcc, s9, v32
	s_mov_b32 s9, 0x42b17218
	v_ldexp_f32 v34, v34, v35
	v_cndmask_b32_e32 v34, 0, v34, vcc
	v_mov_b32_e32 v35, 0x7f800000
	v_cmp_nlt_f32_e32 vcc, s9, v32
	v_cndmask_b32_e32 v87, v35, v34, vcc
	v_add_f32_e32 v32, 1.0, v87
	v_add_f32_e32 v34, -1.0, v32
	v_sub_f32_e32 v35, v34, v32
	v_add_f32_e32 v35, 1.0, v35
	v_sub_f32_e32 v34, v87, v34
	v_add_f32_e32 v49, v34, v35
	v_frexp_mant_f32_e32 v50, v32
	s_mov_b32 s9, 0x3f2aaaab
	v_cvt_f64_f32_e32 v[34:35], v32
	v_frexp_exp_i32_f64_e32 v34, v[34:35]
	v_cmp_gt_f32_e32 vcc, s9, v50
	v_subbrev_co_u32_e32 v100, vcc, 0, v34, vcc
	v_sub_u32_e32 v34, 0, v100
	v_ldexp_f32 v32, v32, v34
	v_ldexp_f32 v34, v49, v34
	v_add_f32_e32 v49, -1.0, v32
	v_add_f32_e32 v35, 1.0, v49
	v_sub_f32_e32 v35, v32, v35
	v_add_f32_e32 v50, v34, v35
	v_add_f32_e32 v35, 1.0, v32
	v_add_f32_e32 v51, -1.0, v35
	v_sub_f32_e32 v32, v32, v51
	v_add_f32_e32 v32, v34, v32
	v_add_f32_e32 v101, v35, v32
	v_rcp_f32_e32 v102, v101
	v_sub_f32_e32 v34, v35, v101
	v_add_f32_e32 v35, v49, v50
	v_add_f32_e32 v32, v32, v34
	v_sub_f32_e32 v34, v49, v35
	v_mul_f32_e32 v103, v35, v102
	v_add_f32_e32 v49, v50, v34
	v_mul_f32_e32 v50, v101, v103
	v_fma_f32 v96, v103, v101, -v50
	v_fmac_f32_e32 v96, v103, v32
	v_add_f32_e32 v34, v50, v96
	v_sub_f32_e32 v51, v35, v34
	v_pk_add_f32 v[98:99], v[34:35], v[50:51] neg_lo:[0,1] neg_hi:[0,1]
	v_mov_b32_e32 v97, v34
	v_pk_add_f32 v[34:35], v[98:99], v[96:97] neg_lo:[0,1] neg_hi:[0,1]
	v_add_f32_e32 v35, v49, v35
	v_add_f32_e32 v34, v34, v35
	;; [unrolled: 1-line block ×3, first 2 shown]
	v_mul_f32_e32 v49, v102, v35
	v_mul_f32_e32 v50, v101, v49
	v_fma_f32 v96, v49, v101, -v50
	v_fmac_f32_e32 v96, v49, v32
	v_sub_f32_e32 v32, v51, v35
	v_add_f32_e32 v32, v34, v32
	v_add_f32_e32 v34, v50, v96
	v_sub_f32_e32 v51, v35, v34
	v_pk_add_f32 v[98:99], v[34:35], v[50:51] neg_lo:[0,1] neg_hi:[0,1]
	v_mov_b32_e32 v97, v34
	v_pk_add_f32 v[34:35], v[98:99], v[96:97] neg_lo:[0,1] neg_hi:[0,1]
	v_add_f32_e32 v32, v32, v35
	v_add_f32_e32 v32, v34, v32
	;; [unrolled: 1-line block ×4, first 2 shown]
	v_sub_f32_e32 v35, v34, v103
	v_mul_f32_e32 v32, v102, v32
	v_sub_f32_e32 v35, v49, v35
	v_add_f32_e32 v32, v35, v32
	v_add_f32_e32 v49, v34, v32
	v_mul_f32_e32 v51, v49, v49
	v_mov_b32_e32 v50, 0x3ecc95a3
	v_fmac_f32_e32 v50, 0x3e9b6dac, v51
	v_mov_b32_e32 v35, 0x3f2aaada
	v_fmac_f32_e32 v35, v51, v50
	v_cvt_f32_i32_e32 v50, v100
	v_sub_f32_e32 v34, v49, v34
	v_sub_f32_e32 v32, v32, v34
	v_mul_f32_e32 v51, v49, v51
	v_mov_b32_e32 v34, 0x3f317218
	s_mov_b32 s9, 0x3f317218
	v_pk_mul_f32 v[34:35], v[50:51], v[34:35]
	v_fma_f32 v96, v50, s9, -v34
	v_ldexp_f32 v97, v49, 1
	v_fmac_f32_e32 v96, 0xb102e308, v50
	v_pk_add_f32 v[50:51], v[34:35], v[96:97]
	v_sub_f32_e32 v49, v51, v97
	v_ldexp_f32 v32, v32, 1
	v_sub_f32_e32 v49, v35, v49
	v_add_f32_e32 v99, v32, v49
	v_mov_b32_e32 v98, v34
	v_pk_add_f32 v[34:35], v[50:51], v[34:35] neg_lo:[0,1] neg_hi:[0,1]
	v_pk_add_f32 v[100:101], v[50:51], v[98:99]
	v_mov_b32_e32 v35, v101
	v_mov_b32_e32 v97, v50
	v_pk_add_f32 v[102:103], v[96:97], v[34:35] neg_lo:[0,1] neg_hi:[0,1]
	v_pk_add_f32 v[34:35], v[96:97], v[34:35]
	v_mov_b32_e32 v32, v35
	v_pk_add_f32 v[96:97], v[32:33], v[50:51] neg_lo:[0,1] neg_hi:[0,1]
	v_mov_b32_e32 v49, v96
	v_pk_add_f32 v[112:113], v[100:101], v[48:49] neg_lo:[0,1] neg_hi:[0,1]
	v_mov_b32_e32 v34, v101
	v_mov_b32_e32 v100, v51
	;; [unrolled: 1-line block ×4, first 2 shown]
	v_pk_add_f32 v[34:35], v[34:35], v[100:101] neg_lo:[0,1] neg_hi:[0,1]
	v_mov_b32_e32 v96, v99
	v_mov_b32_e32 v97, v50
	v_pk_add_f32 v[34:35], v[96:97], v[34:35] neg_lo:[0,1] neg_hi:[0,1]
	v_mov_b32_e32 v112, v102
	v_pk_add_f32 v[50:51], v[112:113], v[34:35]
	v_mov_b32_e32 v96, v51
	v_pk_add_f32 v[96:97], v[50:51], v[96:97]
	v_pk_add_f32 v[98:99], v[32:33], v[96:97]
	v_mov_b32_e32 v51, v98
	v_pk_add_f32 v[100:101], v[50:51], v[102:103] neg_lo:[0,1] neg_hi:[0,1]
	v_mov_b32_e32 v35, v96
	v_sub_f32_e32 v32, v50, v100
	v_pk_add_f32 v[34:35], v[34:35], v[100:101] neg_lo:[0,1] neg_hi:[0,1]
	v_sub_f32_e32 v32, v102, v32
	s_mov_b32 s10, 0x7f800000
	v_add_f32_e32 v32, v34, v32
	s_mov_b32 s9, 0x33800000
	v_add_f32_e32 v32, v32, v35
	v_cmp_eq_f32_e32 vcc, s10, v87
	v_cmp_lt_f32_e64 s[10:11], |v87|, s9
	v_add_f32_e32 v32, v98, v32
	s_or_b64 vcc, vcc, s[10:11]
	v_cndmask_b32_e32 v32, v32, v87, vcc
	v_add_f32_e32 v32, v33, v32
	v_cvt_f16_f32_e32 v97, v32
	v_cvt_f32_f16_e32 v96, v97
	v_mov_b32_e32 v32, v97
.LBB353_210:
	s_or_b64 exec, exec, s[6:7]
	v_max_f32_e32 v33, v52, v52
	v_max_f32_e32 v34, v96, v96
	v_min_f32_e32 v35, v34, v33
	v_cmp_u_f16_e32 vcc, v97, v97
	v_max_f32_e32 v33, v34, v33
	v_cndmask_b32_e32 v35, v35, v96, vcc
	v_cndmask_b32_e32 v33, v33, v96, vcc
	v_cndmask_b32_e64 v35, v35, v52, s[14:15]
	v_cndmask_b32_e64 v34, v33, v52, s[14:15]
	v_cmp_neq_f32_e32 vcc, v35, v34
	v_cmp_class_f32_e64 s[6:7], v35, s8
	s_or_b64 s[8:9], vcc, s[6:7]
	v_mov_b32_e32 v33, v32
	s_and_saveexec_b64 s[6:7], s[8:9]
	s_cbranch_execz .LBB353_212
; %bb.211:
	v_sub_f32_e32 v33, v35, v34
	s_mov_b32 s8, 0x3fb8aa3b
	v_mul_f32_e32 v35, 0x3fb8aa3b, v33
	v_fma_f32 v49, v33, s8, -v35
	v_rndne_f32_e32 v50, v35
	v_fmac_f32_e32 v49, 0x32a5705f, v33
	v_sub_f32_e32 v35, v35, v50
	v_add_f32_e32 v35, v35, v49
	v_exp_f32_e32 v35, v35
	v_cvt_i32_f32_e32 v49, v50
	s_mov_b32 s8, 0xc2ce8ed0
	v_cmp_ngt_f32_e32 vcc, s8, v33
	s_mov_b32 s8, 0x42b17218
	v_ldexp_f32 v35, v35, v49
	v_cndmask_b32_e32 v35, 0, v35, vcc
	v_mov_b32_e32 v49, 0x7f800000
	v_cmp_nlt_f32_e32 vcc, s8, v33
	v_cndmask_b32_e32 v35, v49, v35, vcc
	v_add_f32_e32 v33, 1.0, v35
	v_add_f32_e32 v49, -1.0, v33
	v_sub_f32_e32 v50, v49, v33
	v_add_f32_e32 v50, 1.0, v50
	v_sub_f32_e32 v49, v35, v49
	v_add_f32_e32 v49, v49, v50
	v_frexp_mant_f32_e32 v52, v33
	s_mov_b32 s8, 0x3f2aaaab
	v_cvt_f64_f32_e32 v[50:51], v33
	v_frexp_exp_i32_f64_e32 v50, v[50:51]
	v_cmp_gt_f32_e32 vcc, s8, v52
	v_subbrev_co_u32_e32 v52, vcc, 0, v50, vcc
	v_sub_u32_e32 v50, 0, v52
	v_ldexp_f32 v33, v33, v50
	v_ldexp_f32 v49, v49, v50
	v_add_f32_e32 v50, -1.0, v33
	v_add_f32_e32 v51, 1.0, v50
	v_sub_f32_e32 v51, v33, v51
	v_add_f32_e32 v87, v49, v51
	v_add_f32_e32 v51, 1.0, v33
	v_add_f32_e32 v96, -1.0, v51
	v_sub_f32_e32 v33, v33, v96
	v_add_f32_e32 v33, v49, v33
	v_add_f32_e32 v49, v51, v33
	v_rcp_f32_e32 v102, v49
	v_sub_f32_e32 v51, v51, v49
	v_add_f32_e32 v33, v33, v51
	v_add_f32_e32 v51, v50, v87
	v_mul_f32_e32 v103, v51, v102
	v_mul_f32_e32 v96, v49, v103
	v_fma_f32 v98, v103, v49, -v96
	v_sub_f32_e32 v50, v50, v51
	v_fmac_f32_e32 v98, v103, v33
	v_add_f32_e32 v87, v87, v50
	v_add_f32_e32 v50, v96, v98
	v_sub_f32_e32 v97, v51, v50
	v_pk_add_f32 v[100:101], v[50:51], v[96:97] neg_lo:[0,1] neg_hi:[0,1]
	v_mov_b32_e32 v99, v50
	v_pk_add_f32 v[50:51], v[100:101], v[98:99] neg_lo:[0,1] neg_hi:[0,1]
	v_add_f32_e32 v51, v87, v51
	v_add_f32_e32 v50, v50, v51
	;; [unrolled: 1-line block ×3, first 2 shown]
	v_mul_f32_e32 v87, v102, v51
	v_mul_f32_e32 v96, v49, v87
	v_fma_f32 v98, v87, v49, -v96
	v_fmac_f32_e32 v98, v87, v33
	v_sub_f32_e32 v33, v97, v51
	v_add_f32_e32 v33, v50, v33
	v_add_f32_e32 v50, v96, v98
	v_sub_f32_e32 v97, v51, v50
	v_pk_add_f32 v[100:101], v[50:51], v[96:97] neg_lo:[0,1] neg_hi:[0,1]
	v_mov_b32_e32 v99, v50
	v_pk_add_f32 v[50:51], v[100:101], v[98:99] neg_lo:[0,1] neg_hi:[0,1]
	v_add_f32_e32 v33, v33, v51
	v_add_f32_e32 v33, v50, v33
	;; [unrolled: 1-line block ×4, first 2 shown]
	v_sub_f32_e32 v50, v49, v103
	v_mul_f32_e32 v33, v102, v33
	v_sub_f32_e32 v50, v87, v50
	v_add_f32_e32 v33, v50, v33
	v_add_f32_e32 v50, v49, v33
	v_mul_f32_e32 v87, v50, v50
	v_mov_b32_e32 v96, 0x3ecc95a3
	v_fmac_f32_e32 v96, 0x3e9b6dac, v87
	v_mov_b32_e32 v51, 0x3f2aaada
	v_fmac_f32_e32 v51, v87, v96
	v_cvt_f32_i32_e32 v96, v52
	v_sub_f32_e32 v49, v50, v49
	v_ldexp_f32 v99, v50, 1
	v_mul_f32_e32 v97, v50, v87
	v_mov_b32_e32 v50, 0x3f317218
	s_mov_b32 s8, 0x3f317218
	v_pk_mul_f32 v[50:51], v[96:97], v[50:51]
	v_fma_f32 v98, v96, s8, -v50
	v_fmac_f32_e32 v98, 0xb102e308, v96
	v_pk_add_f32 v[96:97], v[50:51], v[98:99]
	v_sub_f32_e32 v33, v33, v49
	v_sub_f32_e32 v49, v97, v99
	v_ldexp_f32 v33, v33, 1
	v_sub_f32_e32 v49, v51, v49
	v_add_f32_e32 v101, v33, v49
	v_mov_b32_e32 v100, v50
	v_pk_add_f32 v[50:51], v[96:97], v[50:51] neg_lo:[0,1] neg_hi:[0,1]
	v_pk_add_f32 v[102:103], v[96:97], v[100:101]
	v_mov_b32_e32 v51, v103
	v_mov_b32_e32 v99, v96
	v_pk_add_f32 v[112:113], v[98:99], v[50:51] neg_lo:[0,1] neg_hi:[0,1]
	v_pk_add_f32 v[50:51], v[98:99], v[50:51]
	v_mov_b32_e32 v52, v51
	v_pk_add_f32 v[98:99], v[52:53], v[96:97] neg_lo:[0,1] neg_hi:[0,1]
	v_mov_b32_e32 v33, v98
	v_pk_add_f32 v[114:115], v[102:103], v[32:33] neg_lo:[0,1] neg_hi:[0,1]
	v_mov_b32_e32 v50, v103
	v_mov_b32_e32 v102, v97
	;; [unrolled: 1-line block ×4, first 2 shown]
	v_pk_add_f32 v[50:51], v[50:51], v[102:103] neg_lo:[0,1] neg_hi:[0,1]
	v_mov_b32_e32 v98, v101
	v_mov_b32_e32 v99, v96
	v_pk_add_f32 v[50:51], v[98:99], v[50:51] neg_lo:[0,1] neg_hi:[0,1]
	v_mov_b32_e32 v114, v112
	v_pk_add_f32 v[96:97], v[114:115], v[50:51]
	v_mov_b32_e32 v98, v97
	v_pk_add_f32 v[98:99], v[96:97], v[98:99]
	v_pk_add_f32 v[100:101], v[52:53], v[98:99]
	v_mov_b32_e32 v97, v100
	v_pk_add_f32 v[102:103], v[96:97], v[112:113] neg_lo:[0,1] neg_hi:[0,1]
	v_mov_b32_e32 v51, v98
	v_sub_f32_e32 v33, v96, v102
	v_pk_add_f32 v[50:51], v[50:51], v[102:103] neg_lo:[0,1] neg_hi:[0,1]
	v_sub_f32_e32 v33, v112, v33
	s_mov_b32 s9, 0x7f800000
	v_add_f32_e32 v33, v50, v33
	s_mov_b32 s8, 0x33800000
	v_add_f32_e32 v33, v33, v51
	v_cmp_eq_f32_e32 vcc, s9, v35
	v_cmp_lt_f32_e64 s[8:9], |v35|, s8
	v_add_f32_e32 v33, v100, v33
	s_or_b64 vcc, vcc, s[8:9]
	v_cndmask_b32_e32 v33, v33, v35, vcc
	v_add_f32_e32 v33, v34, v33
	v_cvt_f16_f32_e32 v97, v33
	v_cvt_f32_f16_e32 v96, v97
	v_mov_b32_e32 v33, v97
.LBB353_212:
	s_or_b64 exec, exec, s[6:7]
	v_max_f32_e32 v34, v53, v53
	v_max_f32_e32 v35, v96, v96
	v_min_f32_e32 v49, v35, v34
	v_cmp_u_f16_e32 vcc, v97, v97
	v_max_f32_e32 v34, v35, v34
	v_cndmask_b32_e32 v49, v49, v96, vcc
	v_cndmask_b32_e32 v34, v34, v96, vcc
	v_cndmask_b32_e64 v49, v49, v53, s[16:17]
	v_cndmask_b32_e64 v35, v34, v53, s[16:17]
	s_movk_i32 s8, 0x1f8
	v_cmp_neq_f32_e32 vcc, v49, v35
	v_cmp_class_f32_e64 s[6:7], v49, s8
	s_or_b64 s[10:11], vcc, s[6:7]
	v_mov_b32_e32 v34, v33
	s_and_saveexec_b64 s[6:7], s[10:11]
	s_cbranch_execz .LBB353_214
; %bb.213:
	v_sub_f32_e32 v34, v49, v35
	s_mov_b32 s9, 0x3fb8aa3b
	v_mul_f32_e32 v49, 0x3fb8aa3b, v34
	v_fma_f32 v50, v34, s9, -v49
	v_rndne_f32_e32 v51, v49
	v_fmac_f32_e32 v50, 0x32a5705f, v34
	v_sub_f32_e32 v49, v49, v51
	v_add_f32_e32 v49, v49, v50
	v_exp_f32_e32 v49, v49
	v_cvt_i32_f32_e32 v50, v51
	s_mov_b32 s9, 0xc2ce8ed0
	v_cmp_ngt_f32_e32 vcc, s9, v34
	s_mov_b32 s9, 0x42b17218
	v_ldexp_f32 v49, v49, v50
	v_cndmask_b32_e32 v49, 0, v49, vcc
	v_mov_b32_e32 v50, 0x7f800000
	v_cmp_nlt_f32_e32 vcc, s9, v34
	v_cndmask_b32_e32 v87, v50, v49, vcc
	v_add_f32_e32 v34, 1.0, v87
	v_add_f32_e32 v49, -1.0, v34
	v_sub_f32_e32 v50, v49, v34
	v_add_f32_e32 v50, 1.0, v50
	v_sub_f32_e32 v49, v87, v49
	v_add_f32_e32 v49, v49, v50
	v_frexp_mant_f32_e32 v52, v34
	s_mov_b32 s9, 0x3f2aaaab
	v_cvt_f64_f32_e32 v[50:51], v34
	v_frexp_exp_i32_f64_e32 v50, v[50:51]
	v_cmp_gt_f32_e32 vcc, s9, v52
	v_subbrev_co_u32_e32 v100, vcc, 0, v50, vcc
	v_sub_u32_e32 v50, 0, v100
	v_ldexp_f32 v34, v34, v50
	v_ldexp_f32 v49, v49, v50
	v_add_f32_e32 v50, -1.0, v34
	v_add_f32_e32 v51, 1.0, v50
	v_sub_f32_e32 v51, v34, v51
	v_add_f32_e32 v52, v49, v51
	v_add_f32_e32 v51, 1.0, v34
	v_add_f32_e32 v53, -1.0, v51
	v_sub_f32_e32 v34, v34, v53
	v_add_f32_e32 v34, v49, v34
	v_add_f32_e32 v49, v51, v34
	v_rcp_f32_e32 v101, v49
	v_sub_f32_e32 v51, v51, v49
	v_add_f32_e32 v34, v34, v51
	v_add_f32_e32 v51, v50, v52
	v_sub_f32_e32 v50, v50, v51
	v_mul_f32_e32 v103, v51, v101
	v_add_f32_e32 v102, v52, v50
	v_mul_f32_e32 v52, v49, v103
	v_fma_f32 v96, v103, v49, -v52
	v_fmac_f32_e32 v96, v103, v34
	v_add_f32_e32 v50, v52, v96
	v_sub_f32_e32 v53, v51, v50
	v_pk_add_f32 v[98:99], v[50:51], v[52:53] neg_lo:[0,1] neg_hi:[0,1]
	v_mov_b32_e32 v97, v50
	v_pk_add_f32 v[50:51], v[98:99], v[96:97] neg_lo:[0,1] neg_hi:[0,1]
	v_add_f32_e32 v51, v102, v51
	v_add_f32_e32 v50, v50, v51
	;; [unrolled: 1-line block ×3, first 2 shown]
	v_mul_f32_e32 v102, v101, v51
	v_mul_f32_e32 v52, v49, v102
	v_fma_f32 v96, v102, v49, -v52
	v_fmac_f32_e32 v96, v102, v34
	v_sub_f32_e32 v34, v53, v51
	v_add_f32_e32 v34, v50, v34
	v_add_f32_e32 v50, v52, v96
	v_sub_f32_e32 v53, v51, v50
	v_pk_add_f32 v[98:99], v[50:51], v[52:53] neg_lo:[0,1] neg_hi:[0,1]
	v_mov_b32_e32 v97, v50
	v_pk_add_f32 v[50:51], v[98:99], v[96:97] neg_lo:[0,1] neg_hi:[0,1]
	v_add_f32_e32 v34, v34, v51
	v_add_f32_e32 v34, v50, v34
	;; [unrolled: 1-line block ×4, first 2 shown]
	v_sub_f32_e32 v50, v49, v103
	v_mul_f32_e32 v34, v101, v34
	v_sub_f32_e32 v50, v102, v50
	v_add_f32_e32 v34, v50, v34
	v_add_f32_e32 v50, v49, v34
	v_mul_f32_e32 v53, v50, v50
	v_mov_b32_e32 v52, 0x3ecc95a3
	v_fmac_f32_e32 v52, 0x3e9b6dac, v53
	v_mov_b32_e32 v51, 0x3f2aaada
	v_fmac_f32_e32 v51, v53, v52
	v_cvt_f32_i32_e32 v52, v100
	v_sub_f32_e32 v49, v50, v49
	v_ldexp_f32 v97, v50, 1
	v_mul_f32_e32 v53, v50, v53
	v_mov_b32_e32 v50, 0x3f317218
	s_mov_b32 s9, 0x3f317218
	v_pk_mul_f32 v[50:51], v[52:53], v[50:51]
	v_fma_f32 v96, v52, s9, -v50
	v_fmac_f32_e32 v96, 0xb102e308, v52
	v_pk_add_f32 v[52:53], v[50:51], v[96:97]
	v_sub_f32_e32 v34, v34, v49
	v_sub_f32_e32 v49, v53, v97
	v_ldexp_f32 v34, v34, 1
	v_sub_f32_e32 v49, v51, v49
	v_add_f32_e32 v99, v34, v49
	v_mov_b32_e32 v98, v50
	v_pk_add_f32 v[50:51], v[52:53], v[50:51] neg_lo:[0,1] neg_hi:[0,1]
	v_pk_add_f32 v[100:101], v[52:53], v[98:99]
	v_mov_b32_e32 v51, v101
	v_mov_b32_e32 v97, v52
	v_pk_add_f32 v[102:103], v[96:97], v[50:51] neg_lo:[0,1] neg_hi:[0,1]
	v_pk_add_f32 v[50:51], v[96:97], v[50:51]
	v_mov_b32_e32 v34, v51
	v_pk_add_f32 v[96:97], v[34:35], v[52:53] neg_lo:[0,1] neg_hi:[0,1]
	v_mov_b32_e32 v49, v96
	v_pk_add_f32 v[112:113], v[100:101], v[48:49] neg_lo:[0,1] neg_hi:[0,1]
	v_mov_b32_e32 v50, v101
	v_mov_b32_e32 v100, v53
	;; [unrolled: 1-line block ×4, first 2 shown]
	v_pk_add_f32 v[50:51], v[50:51], v[100:101] neg_lo:[0,1] neg_hi:[0,1]
	v_mov_b32_e32 v96, v99
	v_mov_b32_e32 v97, v52
	v_pk_add_f32 v[50:51], v[96:97], v[50:51] neg_lo:[0,1] neg_hi:[0,1]
	v_mov_b32_e32 v112, v102
	v_pk_add_f32 v[52:53], v[112:113], v[50:51]
	v_mov_b32_e32 v96, v53
	v_pk_add_f32 v[96:97], v[52:53], v[96:97]
	v_pk_add_f32 v[98:99], v[34:35], v[96:97]
	v_mov_b32_e32 v53, v98
	v_pk_add_f32 v[100:101], v[52:53], v[102:103] neg_lo:[0,1] neg_hi:[0,1]
	v_mov_b32_e32 v51, v96
	v_sub_f32_e32 v34, v52, v100
	v_pk_add_f32 v[50:51], v[50:51], v[100:101] neg_lo:[0,1] neg_hi:[0,1]
	v_sub_f32_e32 v34, v102, v34
	s_mov_b32 s10, 0x7f800000
	v_add_f32_e32 v34, v50, v34
	s_mov_b32 s9, 0x33800000
	v_add_f32_e32 v34, v34, v51
	v_cmp_eq_f32_e32 vcc, s10, v87
	v_cmp_lt_f32_e64 s[10:11], |v87|, s9
	v_add_f32_e32 v34, v98, v34
	s_or_b64 vcc, vcc, s[10:11]
	v_cndmask_b32_e32 v34, v34, v87, vcc
	v_add_f32_e32 v34, v35, v34
	v_cvt_f16_f32_e32 v97, v34
	v_cvt_f32_f16_e32 v96, v97
	v_mov_b32_e32 v34, v97
.LBB353_214:
	s_or_b64 exec, exec, s[6:7]
	v_max_f32_e32 v35, v54, v54
	v_max_f32_e32 v49, v96, v96
	v_min_f32_e32 v50, v49, v35
	v_cmp_u_f16_e32 vcc, v97, v97
	v_max_f32_e32 v35, v49, v35
	v_cndmask_b32_e32 v50, v50, v96, vcc
	v_cndmask_b32_e32 v35, v35, v96, vcc
	v_cndmask_b32_e64 v50, v50, v54, s[18:19]
	v_cndmask_b32_e64 v49, v35, v54, s[18:19]
	v_cmp_neq_f32_e32 vcc, v50, v49
	v_cmp_class_f32_e64 s[6:7], v50, s8
	s_or_b64 s[8:9], vcc, s[6:7]
	v_mov_b32_e32 v35, v34
	s_and_saveexec_b64 s[6:7], s[8:9]
	s_cbranch_execz .LBB353_216
; %bb.215:
	v_sub_f32_e32 v35, v50, v49
	s_mov_b32 s8, 0x3fb8aa3b
	v_mul_f32_e32 v50, 0x3fb8aa3b, v35
	v_fma_f32 v51, v35, s8, -v50
	v_rndne_f32_e32 v52, v50
	v_fmac_f32_e32 v51, 0x32a5705f, v35
	v_sub_f32_e32 v50, v50, v52
	v_add_f32_e32 v50, v50, v51
	v_exp_f32_e32 v50, v50
	v_cvt_i32_f32_e32 v51, v52
	s_mov_b32 s8, 0xc2ce8ed0
	v_cmp_ngt_f32_e32 vcc, s8, v35
	s_mov_b32 s8, 0x42b17218
	v_ldexp_f32 v50, v50, v51
	v_cndmask_b32_e32 v50, 0, v50, vcc
	v_mov_b32_e32 v51, 0x7f800000
	v_cmp_nlt_f32_e32 vcc, s8, v35
	v_cndmask_b32_e32 v87, v51, v50, vcc
	v_add_f32_e32 v35, 1.0, v87
	v_add_f32_e32 v50, -1.0, v35
	v_sub_f32_e32 v51, v50, v35
	v_add_f32_e32 v51, 1.0, v51
	v_sub_f32_e32 v50, v87, v50
	v_add_f32_e32 v52, v50, v51
	v_frexp_mant_f32_e32 v53, v35
	s_mov_b32 s8, 0x3f2aaaab
	v_cvt_f64_f32_e32 v[50:51], v35
	v_frexp_exp_i32_f64_e32 v50, v[50:51]
	v_cmp_gt_f32_e32 vcc, s8, v53
	v_subbrev_co_u32_e32 v54, vcc, 0, v50, vcc
	v_sub_u32_e32 v50, 0, v54
	v_ldexp_f32 v35, v35, v50
	v_ldexp_f32 v50, v52, v50
	v_add_f32_e32 v52, -1.0, v35
	v_add_f32_e32 v51, 1.0, v52
	v_sub_f32_e32 v51, v35, v51
	v_add_f32_e32 v53, v50, v51
	v_add_f32_e32 v51, 1.0, v35
	v_add_f32_e32 v96, -1.0, v51
	v_sub_f32_e32 v35, v35, v96
	v_add_f32_e32 v35, v50, v35
	v_add_f32_e32 v100, v51, v35
	v_rcp_f32_e32 v101, v100
	v_sub_f32_e32 v50, v51, v100
	v_add_f32_e32 v51, v52, v53
	v_add_f32_e32 v35, v35, v50
	v_mul_f32_e32 v103, v51, v101
	v_sub_f32_e32 v50, v52, v51
	v_mul_f32_e32 v52, v100, v103
	v_fma_f32 v96, v103, v100, -v52
	v_fmac_f32_e32 v96, v103, v35
	v_add_f32_e32 v102, v53, v50
	v_add_f32_e32 v50, v52, v96
	v_sub_f32_e32 v53, v51, v50
	v_pk_add_f32 v[98:99], v[50:51], v[52:53] neg_lo:[0,1] neg_hi:[0,1]
	v_mov_b32_e32 v97, v50
	v_pk_add_f32 v[50:51], v[98:99], v[96:97] neg_lo:[0,1] neg_hi:[0,1]
	v_add_f32_e32 v51, v102, v51
	v_add_f32_e32 v50, v50, v51
	;; [unrolled: 1-line block ×3, first 2 shown]
	v_mul_f32_e32 v102, v101, v51
	v_mul_f32_e32 v52, v100, v102
	v_fma_f32 v96, v102, v100, -v52
	v_fmac_f32_e32 v96, v102, v35
	v_sub_f32_e32 v35, v53, v51
	v_add_f32_e32 v35, v50, v35
	v_add_f32_e32 v50, v52, v96
	v_sub_f32_e32 v53, v51, v50
	v_pk_add_f32 v[98:99], v[50:51], v[52:53] neg_lo:[0,1] neg_hi:[0,1]
	v_mov_b32_e32 v97, v50
	v_pk_add_f32 v[50:51], v[98:99], v[96:97] neg_lo:[0,1] neg_hi:[0,1]
	v_add_f32_e32 v35, v35, v51
	v_add_f32_e32 v35, v50, v35
	;; [unrolled: 1-line block ×4, first 2 shown]
	v_sub_f32_e32 v51, v50, v103
	v_mul_f32_e32 v35, v101, v35
	v_sub_f32_e32 v51, v102, v51
	v_add_f32_e32 v35, v51, v35
	v_add_f32_e32 v53, v50, v35
	v_mul_f32_e32 v96, v53, v53
	v_mov_b32_e32 v52, 0x3ecc95a3
	v_fmac_f32_e32 v52, 0x3e9b6dac, v96
	v_mov_b32_e32 v51, 0x3f2aaada
	v_fmac_f32_e32 v51, v96, v52
	v_cvt_f32_i32_e32 v52, v54
	v_sub_f32_e32 v50, v53, v50
	v_sub_f32_e32 v35, v35, v50
	v_ldexp_f32 v97, v53, 1
	v_mul_f32_e32 v53, v53, v96
	v_mov_b32_e32 v50, 0x3f317218
	s_mov_b32 s8, 0x3f317218
	v_pk_mul_f32 v[50:51], v[52:53], v[50:51]
	v_fma_f32 v96, v52, s8, -v50
	v_fmac_f32_e32 v96, 0xb102e308, v52
	v_pk_add_f32 v[52:53], v[50:51], v[96:97]
	v_sub_f32_e32 v54, v53, v97
	v_ldexp_f32 v35, v35, 1
	v_sub_f32_e32 v54, v51, v54
	v_add_f32_e32 v99, v35, v54
	v_mov_b32_e32 v98, v50
	v_pk_add_f32 v[50:51], v[52:53], v[50:51] neg_lo:[0,1] neg_hi:[0,1]
	v_pk_add_f32 v[100:101], v[52:53], v[98:99]
	v_mov_b32_e32 v51, v101
	v_mov_b32_e32 v97, v52
	v_pk_add_f32 v[102:103], v[96:97], v[50:51] neg_lo:[0,1] neg_hi:[0,1]
	v_pk_add_f32 v[50:51], v[96:97], v[50:51]
	v_mov_b32_e32 v54, v51
	v_pk_add_f32 v[96:97], v[54:55], v[52:53] neg_lo:[0,1] neg_hi:[0,1]
	v_mov_b32_e32 v35, v96
	v_pk_add_f32 v[112:113], v[100:101], v[34:35] neg_lo:[0,1] neg_hi:[0,1]
	v_mov_b32_e32 v50, v101
	v_mov_b32_e32 v100, v53
	;; [unrolled: 1-line block ×4, first 2 shown]
	v_pk_add_f32 v[50:51], v[50:51], v[100:101] neg_lo:[0,1] neg_hi:[0,1]
	v_mov_b32_e32 v96, v99
	v_mov_b32_e32 v97, v52
	v_pk_add_f32 v[50:51], v[96:97], v[50:51] neg_lo:[0,1] neg_hi:[0,1]
	v_mov_b32_e32 v112, v102
	v_pk_add_f32 v[52:53], v[112:113], v[50:51]
	v_mov_b32_e32 v96, v53
	v_pk_add_f32 v[96:97], v[52:53], v[96:97]
	v_pk_add_f32 v[98:99], v[54:55], v[96:97]
	v_mov_b32_e32 v53, v98
	v_pk_add_f32 v[100:101], v[52:53], v[102:103] neg_lo:[0,1] neg_hi:[0,1]
	v_mov_b32_e32 v51, v96
	v_sub_f32_e32 v35, v52, v100
	v_pk_add_f32 v[50:51], v[50:51], v[100:101] neg_lo:[0,1] neg_hi:[0,1]
	v_sub_f32_e32 v35, v102, v35
	s_mov_b32 s9, 0x7f800000
	v_add_f32_e32 v35, v50, v35
	s_mov_b32 s8, 0x33800000
	v_add_f32_e32 v35, v35, v51
	v_cmp_eq_f32_e32 vcc, s9, v87
	v_cmp_lt_f32_e64 s[8:9], |v87|, s8
	v_add_f32_e32 v35, v98, v35
	s_or_b64 vcc, vcc, s[8:9]
	v_cndmask_b32_e32 v35, v35, v87, vcc
	v_add_f32_e32 v35, v49, v35
	v_cvt_f16_f32_e32 v97, v35
	v_cvt_f32_f16_e32 v96, v97
	v_mov_b32_e32 v35, v97
.LBB353_216:
	s_or_b64 exec, exec, s[6:7]
	v_max_f32_e32 v49, v55, v55
	v_max_f32_e32 v50, v96, v96
	v_min_f32_e32 v51, v50, v49
	v_cmp_u_f16_e32 vcc, v97, v97
	v_max_f32_e32 v49, v50, v49
	v_cndmask_b32_e32 v51, v51, v96, vcc
	v_cndmask_b32_e32 v49, v49, v96, vcc
	v_cndmask_b32_e64 v51, v51, v55, s[20:21]
	v_cndmask_b32_e64 v50, v49, v55, s[20:21]
	s_movk_i32 s8, 0x1f8
	v_cmp_neq_f32_e32 vcc, v51, v50
	v_cmp_class_f32_e64 s[6:7], v51, s8
	s_or_b64 s[10:11], vcc, s[6:7]
	v_mov_b32_e32 v49, v35
	s_and_saveexec_b64 s[6:7], s[10:11]
	s_cbranch_execz .LBB353_218
; %bb.217:
	v_sub_f32_e32 v49, v51, v50
	s_mov_b32 s9, 0x3fb8aa3b
	v_mul_f32_e32 v51, 0x3fb8aa3b, v49
	v_fma_f32 v52, v49, s9, -v51
	v_rndne_f32_e32 v53, v51
	v_fmac_f32_e32 v52, 0x32a5705f, v49
	v_sub_f32_e32 v51, v51, v53
	v_add_f32_e32 v51, v51, v52
	v_exp_f32_e32 v51, v51
	v_cvt_i32_f32_e32 v52, v53
	s_mov_b32 s9, 0xc2ce8ed0
	v_cmp_ngt_f32_e32 vcc, s9, v49
	s_mov_b32 s9, 0x42b17218
	v_ldexp_f32 v51, v51, v52
	v_cndmask_b32_e32 v51, 0, v51, vcc
	v_mov_b32_e32 v52, 0x7f800000
	v_cmp_nlt_f32_e32 vcc, s9, v49
	v_cndmask_b32_e32 v51, v52, v51, vcc
	v_add_f32_e32 v49, 1.0, v51
	v_add_f32_e32 v52, -1.0, v49
	v_sub_f32_e32 v53, v52, v49
	v_add_f32_e32 v53, 1.0, v53
	v_sub_f32_e32 v52, v51, v52
	v_add_f32_e32 v54, v52, v53
	v_frexp_mant_f32_e32 v55, v49
	s_mov_b32 s9, 0x3f2aaaab
	v_cvt_f64_f32_e32 v[52:53], v49
	v_frexp_exp_i32_f64_e32 v52, v[52:53]
	v_cmp_gt_f32_e32 vcc, s9, v55
	v_subbrev_co_u32_e32 v87, vcc, 0, v52, vcc
	v_sub_u32_e32 v52, 0, v87
	v_ldexp_f32 v49, v49, v52
	v_ldexp_f32 v52, v54, v52
	v_add_f32_e32 v54, -1.0, v49
	v_add_f32_e32 v53, 1.0, v54
	v_sub_f32_e32 v53, v49, v53
	v_add_f32_e32 v55, v52, v53
	v_add_f32_e32 v53, 1.0, v49
	v_add_f32_e32 v96, -1.0, v53
	v_sub_f32_e32 v49, v49, v96
	v_add_f32_e32 v49, v52, v49
	v_add_f32_e32 v100, v53, v49
	v_rcp_f32_e32 v101, v100
	v_sub_f32_e32 v52, v53, v100
	v_add_f32_e32 v53, v54, v55
	v_add_f32_e32 v49, v49, v52
	v_mul_f32_e32 v103, v53, v101
	v_sub_f32_e32 v52, v54, v53
	v_mul_f32_e32 v54, v100, v103
	v_fma_f32 v96, v103, v100, -v54
	v_fmac_f32_e32 v96, v103, v49
	v_add_f32_e32 v102, v55, v52
	v_add_f32_e32 v52, v54, v96
	v_sub_f32_e32 v55, v53, v52
	v_pk_add_f32 v[98:99], v[52:53], v[54:55] neg_lo:[0,1] neg_hi:[0,1]
	v_mov_b32_e32 v97, v52
	v_pk_add_f32 v[52:53], v[98:99], v[96:97] neg_lo:[0,1] neg_hi:[0,1]
	v_add_f32_e32 v53, v102, v53
	v_add_f32_e32 v52, v52, v53
	;; [unrolled: 1-line block ×3, first 2 shown]
	v_mul_f32_e32 v102, v101, v53
	v_mul_f32_e32 v54, v100, v102
	v_fma_f32 v96, v102, v100, -v54
	v_fmac_f32_e32 v96, v102, v49
	v_sub_f32_e32 v49, v55, v53
	v_add_f32_e32 v49, v52, v49
	v_add_f32_e32 v52, v54, v96
	v_sub_f32_e32 v55, v53, v52
	v_pk_add_f32 v[98:99], v[52:53], v[54:55] neg_lo:[0,1] neg_hi:[0,1]
	v_mov_b32_e32 v97, v52
	v_pk_add_f32 v[52:53], v[98:99], v[96:97] neg_lo:[0,1] neg_hi:[0,1]
	v_add_f32_e32 v49, v49, v53
	v_add_f32_e32 v49, v52, v49
	;; [unrolled: 1-line block ×4, first 2 shown]
	v_sub_f32_e32 v53, v52, v103
	v_mul_f32_e32 v49, v101, v49
	v_sub_f32_e32 v53, v102, v53
	v_add_f32_e32 v49, v53, v49
	v_add_f32_e32 v55, v52, v49
	v_mul_f32_e32 v96, v55, v55
	v_mov_b32_e32 v54, 0x3ecc95a3
	v_fmac_f32_e32 v54, 0x3e9b6dac, v96
	v_mov_b32_e32 v53, 0x3f2aaada
	v_fmac_f32_e32 v53, v96, v54
	v_cvt_f32_i32_e32 v54, v87
	v_sub_f32_e32 v52, v55, v52
	v_sub_f32_e32 v49, v49, v52
	v_ldexp_f32 v97, v55, 1
	v_mul_f32_e32 v55, v55, v96
	v_mov_b32_e32 v52, 0x3f317218
	s_mov_b32 s9, 0x3f317218
	v_pk_mul_f32 v[52:53], v[54:55], v[52:53]
	v_fma_f32 v96, v54, s9, -v52
	v_fmac_f32_e32 v96, 0xb102e308, v54
	v_pk_add_f32 v[54:55], v[52:53], v[96:97]
	v_sub_f32_e32 v87, v55, v97
	v_ldexp_f32 v49, v49, 1
	v_sub_f32_e32 v87, v53, v87
	v_add_f32_e32 v99, v49, v87
	v_mov_b32_e32 v98, v52
	v_pk_add_f32 v[52:53], v[54:55], v[52:53] neg_lo:[0,1] neg_hi:[0,1]
	v_pk_add_f32 v[100:101], v[54:55], v[98:99]
	v_mov_b32_e32 v53, v101
	v_mov_b32_e32 v97, v54
	v_pk_add_f32 v[102:103], v[96:97], v[52:53] neg_lo:[0,1] neg_hi:[0,1]
	v_pk_add_f32 v[52:53], v[96:97], v[52:53]
	v_mov_b32_e32 v96, v53
	v_pk_add_f32 v[112:113], v[96:97], v[54:55] neg_lo:[0,1] neg_hi:[0,1]
	v_mov_b32_e32 v49, v112
	v_pk_add_f32 v[114:115], v[100:101], v[48:49] neg_lo:[0,1] neg_hi:[0,1]
	v_mov_b32_e32 v52, v101
	v_mov_b32_e32 v100, v55
	;; [unrolled: 1-line block ×4, first 2 shown]
	v_pk_add_f32 v[52:53], v[52:53], v[100:101] neg_lo:[0,1] neg_hi:[0,1]
	v_mov_b32_e32 v98, v99
	v_mov_b32_e32 v99, v54
	v_pk_add_f32 v[52:53], v[98:99], v[52:53] neg_lo:[0,1] neg_hi:[0,1]
	v_mov_b32_e32 v114, v102
	v_pk_add_f32 v[54:55], v[114:115], v[52:53]
	v_mov_b32_e32 v98, v55
	v_pk_add_f32 v[98:99], v[54:55], v[98:99]
	v_pk_add_f32 v[96:97], v[96:97], v[98:99]
	v_mov_b32_e32 v55, v96
	v_pk_add_f32 v[100:101], v[54:55], v[102:103] neg_lo:[0,1] neg_hi:[0,1]
	v_mov_b32_e32 v53, v98
	v_sub_f32_e32 v49, v54, v100
	v_pk_add_f32 v[52:53], v[52:53], v[100:101] neg_lo:[0,1] neg_hi:[0,1]
	v_sub_f32_e32 v49, v102, v49
	s_mov_b32 s10, 0x7f800000
	v_add_f32_e32 v49, v52, v49
	s_mov_b32 s9, 0x33800000
	v_add_f32_e32 v49, v49, v53
	v_cmp_eq_f32_e32 vcc, s10, v51
	v_cmp_lt_f32_e64 s[10:11], |v51|, s9
	v_add_f32_e32 v49, v96, v49
	s_or_b64 vcc, vcc, s[10:11]
	v_cndmask_b32_e32 v49, v49, v51, vcc
	v_add_f32_e32 v49, v50, v49
	v_cvt_f16_f32_e32 v97, v49
	v_cvt_f32_f16_e32 v96, v97
	v_mov_b32_e32 v49, v97
.LBB353_218:
	s_or_b64 exec, exec, s[6:7]
	v_max_f32_e32 v50, v64, v64
	v_max_f32_e32 v51, v96, v96
	v_min_f32_e32 v52, v51, v50
	v_cmp_u_f16_e32 vcc, v97, v97
	v_max_f32_e32 v50, v51, v50
	v_cndmask_b32_e32 v52, v52, v96, vcc
	v_cndmask_b32_e32 v50, v50, v96, vcc
	v_cndmask_b32_e64 v52, v52, v64, s[22:23]
	v_cndmask_b32_e64 v51, v50, v64, s[22:23]
	v_cmp_neq_f32_e32 vcc, v52, v51
	v_cmp_class_f32_e64 s[6:7], v52, s8
	s_or_b64 s[8:9], vcc, s[6:7]
	v_mov_b32_e32 v50, v49
	s_and_saveexec_b64 s[6:7], s[8:9]
	s_cbranch_execz .LBB353_220
; %bb.219:
	v_sub_f32_e32 v50, v52, v51
	s_mov_b32 s8, 0x3fb8aa3b
	v_mul_f32_e32 v52, 0x3fb8aa3b, v50
	v_fma_f32 v53, v50, s8, -v52
	v_rndne_f32_e32 v54, v52
	v_fmac_f32_e32 v53, 0x32a5705f, v50
	v_sub_f32_e32 v52, v52, v54
	v_add_f32_e32 v52, v52, v53
	v_exp_f32_e32 v52, v52
	v_cvt_i32_f32_e32 v53, v54
	s_mov_b32 s8, 0xc2ce8ed0
	v_cmp_ngt_f32_e32 vcc, s8, v50
	s_mov_b32 s8, 0x42b17218
	v_ldexp_f32 v52, v52, v53
	v_cndmask_b32_e32 v52, 0, v52, vcc
	v_mov_b32_e32 v53, 0x7f800000
	v_cmp_nlt_f32_e32 vcc, s8, v50
	v_cndmask_b32_e32 v114, v53, v52, vcc
	v_add_f32_e32 v50, 1.0, v114
	v_add_f32_e32 v52, -1.0, v50
	v_sub_f32_e32 v53, v52, v50
	v_add_f32_e32 v53, 1.0, v53
	v_sub_f32_e32 v52, v114, v52
	v_add_f32_e32 v54, v52, v53
	v_frexp_mant_f32_e32 v55, v50
	s_mov_b32 s8, 0x3f2aaaab
	v_cvt_f64_f32_e32 v[52:53], v50
	v_frexp_exp_i32_f64_e32 v52, v[52:53]
	v_cmp_gt_f32_e32 vcc, s8, v55
	v_subbrev_co_u32_e32 v64, vcc, 0, v52, vcc
	v_sub_u32_e32 v52, 0, v64
	v_ldexp_f32 v50, v50, v52
	v_ldexp_f32 v52, v54, v52
	v_add_f32_e32 v54, -1.0, v50
	v_add_f32_e32 v53, 1.0, v54
	v_sub_f32_e32 v53, v50, v53
	v_add_f32_e32 v55, v52, v53
	v_add_f32_e32 v53, 1.0, v50
	v_add_f32_e32 v87, -1.0, v53
	v_sub_f32_e32 v50, v50, v87
	v_add_f32_e32 v50, v52, v50
	v_add_f32_e32 v87, v53, v50
	v_rcp_f32_e32 v100, v87
	v_sub_f32_e32 v52, v53, v87
	v_add_f32_e32 v53, v54, v55
	v_add_f32_e32 v50, v50, v52
	v_mul_f32_e32 v102, v53, v100
	v_sub_f32_e32 v52, v54, v53
	v_mul_f32_e32 v54, v87, v102
	v_fma_f32 v96, v102, v87, -v54
	v_fmac_f32_e32 v96, v102, v50
	v_add_f32_e32 v101, v55, v52
	v_add_f32_e32 v52, v54, v96
	v_sub_f32_e32 v55, v53, v52
	v_pk_add_f32 v[98:99], v[52:53], v[54:55] neg_lo:[0,1] neg_hi:[0,1]
	v_mov_b32_e32 v97, v52
	v_pk_add_f32 v[52:53], v[98:99], v[96:97] neg_lo:[0,1] neg_hi:[0,1]
	v_add_f32_e32 v53, v101, v53
	v_add_f32_e32 v52, v52, v53
	;; [unrolled: 1-line block ×3, first 2 shown]
	v_mul_f32_e32 v101, v100, v53
	v_mul_f32_e32 v54, v87, v101
	v_fma_f32 v96, v101, v87, -v54
	v_fmac_f32_e32 v96, v101, v50
	v_sub_f32_e32 v50, v55, v53
	v_add_f32_e32 v50, v52, v50
	v_add_f32_e32 v52, v54, v96
	v_sub_f32_e32 v55, v53, v52
	v_pk_add_f32 v[98:99], v[52:53], v[54:55] neg_lo:[0,1] neg_hi:[0,1]
	v_mov_b32_e32 v97, v52
	v_pk_add_f32 v[52:53], v[98:99], v[96:97] neg_lo:[0,1] neg_hi:[0,1]
	v_add_f32_e32 v50, v50, v53
	v_add_f32_e32 v50, v52, v50
	;; [unrolled: 1-line block ×4, first 2 shown]
	v_sub_f32_e32 v53, v52, v102
	v_mul_f32_e32 v50, v100, v50
	v_sub_f32_e32 v53, v101, v53
	v_add_f32_e32 v50, v53, v50
	v_add_f32_e32 v55, v52, v50
	v_mul_f32_e32 v87, v55, v55
	v_mov_b32_e32 v54, 0x3ecc95a3
	v_fmac_f32_e32 v54, 0x3e9b6dac, v87
	v_mov_b32_e32 v53, 0x3f2aaada
	v_fmac_f32_e32 v53, v87, v54
	v_cvt_f32_i32_e32 v54, v64
	v_sub_f32_e32 v52, v55, v52
	v_sub_f32_e32 v50, v50, v52
	v_ldexp_f32 v97, v55, 1
	v_mul_f32_e32 v55, v55, v87
	v_mov_b32_e32 v52, 0x3f317218
	s_mov_b32 s8, 0x3f317218
	v_pk_mul_f32 v[52:53], v[54:55], v[52:53]
	v_fma_f32 v96, v54, s8, -v52
	v_fmac_f32_e32 v96, 0xb102e308, v54
	v_pk_add_f32 v[54:55], v[52:53], v[96:97]
	v_sub_f32_e32 v64, v55, v97
	v_ldexp_f32 v50, v50, 1
	v_sub_f32_e32 v64, v53, v64
	v_add_f32_e32 v99, v50, v64
	v_mov_b32_e32 v98, v52
	v_pk_add_f32 v[52:53], v[54:55], v[52:53] neg_lo:[0,1] neg_hi:[0,1]
	v_pk_add_f32 v[100:101], v[54:55], v[98:99]
	v_mov_b32_e32 v53, v101
	v_mov_b32_e32 v97, v54
	v_pk_add_f32 v[102:103], v[96:97], v[52:53] neg_lo:[0,1] neg_hi:[0,1]
	v_pk_add_f32 v[52:53], v[96:97], v[52:53]
	v_mov_b32_e32 v50, v53
	v_pk_add_f32 v[96:97], v[50:51], v[54:55] neg_lo:[0,1] neg_hi:[0,1]
	v_mov_b32_e32 v87, v96
	v_pk_add_f32 v[112:113], v[100:101], v[86:87] neg_lo:[0,1] neg_hi:[0,1]
	v_mov_b32_e32 v52, v101
	v_mov_b32_e32 v100, v55
	;; [unrolled: 1-line block ×4, first 2 shown]
	v_pk_add_f32 v[52:53], v[52:53], v[100:101] neg_lo:[0,1] neg_hi:[0,1]
	v_mov_b32_e32 v96, v99
	v_mov_b32_e32 v97, v54
	v_pk_add_f32 v[52:53], v[96:97], v[52:53] neg_lo:[0,1] neg_hi:[0,1]
	v_mov_b32_e32 v112, v102
	v_pk_add_f32 v[54:55], v[112:113], v[52:53]
	v_mov_b32_e32 v64, v55
	v_pk_add_f32 v[96:97], v[54:55], v[64:65]
	v_pk_add_f32 v[98:99], v[50:51], v[96:97]
	v_mov_b32_e32 v55, v98
	v_pk_add_f32 v[100:101], v[54:55], v[102:103] neg_lo:[0,1] neg_hi:[0,1]
	v_mov_b32_e32 v53, v96
	v_sub_f32_e32 v50, v54, v100
	v_pk_add_f32 v[52:53], v[52:53], v[100:101] neg_lo:[0,1] neg_hi:[0,1]
	v_sub_f32_e32 v50, v102, v50
	s_mov_b32 s9, 0x7f800000
	v_add_f32_e32 v50, v52, v50
	s_mov_b32 s8, 0x33800000
	v_add_f32_e32 v50, v50, v53
	v_cmp_eq_f32_e32 vcc, s9, v114
	v_cmp_lt_f32_e64 s[8:9], |v114|, s8
	v_add_f32_e32 v50, v98, v50
	s_or_b64 vcc, vcc, s[8:9]
	v_cndmask_b32_e32 v50, v50, v114, vcc
	v_add_f32_e32 v50, v51, v50
	v_cvt_f16_f32_e32 v97, v50
	v_cvt_f32_f16_e32 v96, v97
	v_mov_b32_e32 v50, v97
.LBB353_220:
	s_or_b64 exec, exec, s[6:7]
	v_max_f32_e32 v51, v65, v65
	v_max_f32_e32 v53, v96, v96
	v_min_f32_e32 v52, v53, v51
	v_cmp_u_f16_e32 vcc, v97, v97
	v_max_f32_e32 v51, v53, v51
	v_cndmask_b32_e32 v52, v52, v96, vcc
	v_cndmask_b32_e32 v51, v51, v96, vcc
	v_cndmask_b32_e64 v52, v52, v65, s[24:25]
	v_cndmask_b32_e64 v51, v51, v65, s[24:25]
	s_movk_i32 s8, 0x1f8
	v_cmp_neq_f32_e32 vcc, v52, v51
	v_cmp_class_f32_e64 s[6:7], v52, s8
	s_or_b64 s[10:11], vcc, s[6:7]
	v_mov_b32_e32 v87, v50
	s_and_saveexec_b64 s[6:7], s[10:11]
	s_cbranch_execz .LBB353_222
; %bb.221:
	v_sub_f32_e32 v52, v52, v51
	s_mov_b32 s9, 0x3fb8aa3b
	v_mul_f32_e32 v53, 0x3fb8aa3b, v52
	v_fma_f32 v54, v52, s9, -v53
	v_rndne_f32_e32 v55, v53
	v_fmac_f32_e32 v54, 0x32a5705f, v52
	v_sub_f32_e32 v53, v53, v55
	v_add_f32_e32 v53, v53, v54
	v_exp_f32_e32 v53, v53
	v_cvt_i32_f32_e32 v54, v55
	s_mov_b32 s9, 0xc2ce8ed0
	v_cmp_ngt_f32_e32 vcc, s9, v52
	s_mov_b32 s9, 0x42b17218
	v_ldexp_f32 v53, v53, v54
	v_cndmask_b32_e32 v53, 0, v53, vcc
	v_mov_b32_e32 v54, 0x7f800000
	v_cmp_nlt_f32_e32 vcc, s9, v52
	v_cndmask_b32_e32 v87, v54, v53, vcc
	v_add_f32_e32 v54, 1.0, v87
	v_add_f32_e32 v52, -1.0, v54
	v_sub_f32_e32 v53, v52, v54
	v_add_f32_e32 v53, 1.0, v53
	v_sub_f32_e32 v52, v87, v52
	v_add_f32_e32 v55, v52, v53
	v_frexp_mant_f32_e32 v64, v54
	s_mov_b32 s9, 0x3f2aaaab
	v_cvt_f64_f32_e32 v[52:53], v54
	v_frexp_exp_i32_f64_e32 v52, v[52:53]
	v_cmp_gt_f32_e32 vcc, s9, v64
	v_subbrev_co_u32_e32 v98, vcc, 0, v52, vcc
	v_sub_u32_e32 v52, 0, v98
	v_ldexp_f32 v53, v54, v52
	v_add_f32_e32 v54, -1.0, v53
	v_add_f32_e32 v64, 1.0, v53
	v_ldexp_f32 v52, v55, v52
	v_add_f32_e32 v55, 1.0, v54
	v_add_f32_e32 v65, -1.0, v64
	v_sub_f32_e32 v55, v53, v55
	v_sub_f32_e32 v53, v53, v65
	v_add_f32_e32 v55, v52, v55
	v_add_f32_e32 v52, v52, v53
	;; [unrolled: 1-line block ×3, first 2 shown]
	v_rcp_f32_e32 v101, v99
	v_sub_f32_e32 v53, v64, v99
	v_add_f32_e32 v100, v52, v53
	v_add_f32_e32 v53, v54, v55
	v_mul_f32_e32 v103, v53, v101
	v_sub_f32_e32 v52, v54, v53
	v_mul_f32_e32 v54, v99, v103
	v_fma_f32 v64, v103, v99, -v54
	v_fmac_f32_e32 v64, v103, v100
	v_add_f32_e32 v102, v55, v52
	v_add_f32_e32 v52, v54, v64
	v_sub_f32_e32 v55, v53, v52
	v_pk_add_f32 v[96:97], v[52:53], v[54:55] neg_lo:[0,1] neg_hi:[0,1]
	v_mov_b32_e32 v65, v52
	v_pk_add_f32 v[52:53], v[96:97], v[64:65] neg_lo:[0,1] neg_hi:[0,1]
	v_add_f32_e32 v53, v102, v53
	v_add_f32_e32 v52, v52, v53
	;; [unrolled: 1-line block ×3, first 2 shown]
	v_mul_f32_e32 v102, v101, v53
	v_mul_f32_e32 v54, v99, v102
	v_fma_f32 v64, v102, v99, -v54
	v_fmac_f32_e32 v64, v102, v100
	v_sub_f32_e32 v55, v55, v53
	v_add_f32_e32 v99, v52, v55
	v_add_f32_e32 v52, v54, v64
	v_sub_f32_e32 v55, v53, v52
	v_pk_add_f32 v[96:97], v[52:53], v[54:55] neg_lo:[0,1] neg_hi:[0,1]
	v_mov_b32_e32 v65, v52
	v_pk_add_f32 v[52:53], v[96:97], v[64:65] neg_lo:[0,1] neg_hi:[0,1]
	v_add_f32_e32 v53, v99, v53
	v_add_f32_e32 v52, v52, v53
	;; [unrolled: 1-line block ×4, first 2 shown]
	v_sub_f32_e32 v53, v55, v103
	v_mul_f32_e32 v52, v101, v52
	v_sub_f32_e32 v53, v102, v53
	v_add_f32_e32 v52, v53, v52
	v_add_f32_e32 v64, v55, v52
	v_mul_f32_e32 v96, v64, v64
	v_mov_b32_e32 v54, 0x3ecc95a3
	v_fmac_f32_e32 v54, 0x3e9b6dac, v96
	v_mov_b32_e32 v53, 0x3f2aaada
	v_fmac_f32_e32 v53, v96, v54
	v_cvt_f32_i32_e32 v54, v98
	v_sub_f32_e32 v55, v64, v55
	v_sub_f32_e32 v52, v52, v55
	v_ldexp_f32 v97, v52, 1
	v_mul_f32_e32 v55, v64, v96
	v_mov_b32_e32 v52, 0x3f317218
	s_mov_b32 s9, 0x3f317218
	v_pk_mul_f32 v[52:53], v[54:55], v[52:53]
	v_ldexp_f32 v65, v64, 1
	v_fma_f32 v64, v54, s9, -v52
	v_fmac_f32_e32 v64, 0xb102e308, v54
	v_pk_add_f32 v[54:55], v[52:53], v[64:65]
	v_sub_f32_e32 v65, v55, v65
	v_sub_f32_e32 v65, v53, v65
	v_add_f32_e32 v97, v97, v65
	v_mov_b32_e32 v96, v52
	v_pk_add_f32 v[52:53], v[54:55], v[52:53] neg_lo:[0,1] neg_hi:[0,1]
	v_pk_add_f32 v[98:99], v[54:55], v[96:97]
	v_mov_b32_e32 v53, v99
	v_mov_b32_e32 v65, v54
	v_pk_add_f32 v[100:101], v[64:65], v[52:53] neg_lo:[0,1] neg_hi:[0,1]
	v_pk_add_f32 v[52:53], v[64:65], v[52:53]
	v_mov_b32_e32 v64, v53
	v_pk_add_f32 v[102:103], v[64:65], v[54:55] neg_lo:[0,1] neg_hi:[0,1]
	v_mov_b32_e32 v65, v102
	v_pk_add_f32 v[112:113], v[98:99], v[64:65] neg_lo:[0,1] neg_hi:[0,1]
	v_mov_b32_e32 v52, v99
	v_mov_b32_e32 v98, v55
	;; [unrolled: 1-line block ×4, first 2 shown]
	v_pk_add_f32 v[52:53], v[52:53], v[98:99] neg_lo:[0,1] neg_hi:[0,1]
	v_mov_b32_e32 v96, v97
	v_mov_b32_e32 v97, v54
	v_pk_add_f32 v[52:53], v[96:97], v[52:53] neg_lo:[0,1] neg_hi:[0,1]
	v_mov_b32_e32 v112, v100
	v_pk_add_f32 v[54:55], v[112:113], v[52:53]
	v_mov_b32_e32 v96, v55
	v_pk_add_f32 v[96:97], v[54:55], v[96:97]
	v_pk_add_f32 v[64:65], v[64:65], v[96:97]
	v_mov_b32_e32 v55, v64
	v_pk_add_f32 v[98:99], v[54:55], v[100:101] neg_lo:[0,1] neg_hi:[0,1]
	v_mov_b32_e32 v53, v96
	v_sub_f32_e32 v54, v54, v98
	v_pk_add_f32 v[52:53], v[52:53], v[98:99] neg_lo:[0,1] neg_hi:[0,1]
	v_sub_f32_e32 v54, v100, v54
	s_mov_b32 s10, 0x7f800000
	v_add_f32_e32 v52, v52, v54
	s_mov_b32 s9, 0x33800000
	v_add_f32_e32 v52, v52, v53
	v_cmp_eq_f32_e32 vcc, s10, v87
	v_cmp_lt_f32_e64 s[10:11], |v87|, s9
	v_add_f32_e32 v52, v64, v52
	s_or_b64 vcc, vcc, s[10:11]
	v_cndmask_b32_e32 v52, v52, v87, vcc
	v_add_f32_e32 v51, v51, v52
	v_cvt_f16_f32_e32 v97, v51
	v_cvt_f32_f16_e32 v96, v97
	v_mov_b32_e32 v87, v97
.LBB353_222:
	s_or_b64 exec, exec, s[6:7]
	v_max_f32_e32 v51, v66, v66
	v_max_f32_e32 v52, v96, v96
	v_min_f32_e32 v53, v52, v51
	v_cmp_u_f16_e32 vcc, v97, v97
	v_max_f32_e32 v51, v52, v51
	v_cndmask_b32_e32 v53, v53, v96, vcc
	v_cndmask_b32_e32 v51, v51, v96, vcc
	v_cndmask_b32_e64 v53, v53, v66, s[26:27]
	v_cndmask_b32_e64 v52, v51, v66, s[26:27]
	v_cmp_neq_f32_e32 vcc, v53, v52
	v_cmp_class_f32_e64 s[6:7], v53, s8
	s_or_b64 s[8:9], vcc, s[6:7]
	v_mov_b32_e32 v51, v87
	s_and_saveexec_b64 s[6:7], s[8:9]
	s_cbranch_execz .LBB353_224
; %bb.223:
	v_sub_f32_e32 v51, v53, v52
	s_mov_b32 s8, 0x3fb8aa3b
	v_mul_f32_e32 v53, 0x3fb8aa3b, v51
	v_fma_f32 v54, v51, s8, -v53
	v_rndne_f32_e32 v55, v53
	v_fmac_f32_e32 v54, 0x32a5705f, v51
	v_sub_f32_e32 v53, v53, v55
	v_add_f32_e32 v53, v53, v54
	v_exp_f32_e32 v53, v53
	v_cvt_i32_f32_e32 v54, v55
	s_mov_b32 s8, 0xc2ce8ed0
	v_cmp_ngt_f32_e32 vcc, s8, v51
	s_mov_b32 s8, 0x42b17218
	v_ldexp_f32 v53, v53, v54
	v_cndmask_b32_e32 v53, 0, v53, vcc
	v_mov_b32_e32 v54, 0x7f800000
	v_cmp_nlt_f32_e32 vcc, s8, v51
	v_cndmask_b32_e32 v53, v54, v53, vcc
	v_add_f32_e32 v51, 1.0, v53
	v_add_f32_e32 v54, -1.0, v51
	v_sub_f32_e32 v55, v54, v51
	v_add_f32_e32 v55, 1.0, v55
	v_sub_f32_e32 v54, v53, v54
	v_add_f32_e32 v64, v54, v55
	v_frexp_mant_f32_e32 v65, v51
	s_mov_b32 s8, 0x3f2aaaab
	v_cvt_f64_f32_e32 v[54:55], v51
	v_frexp_exp_i32_f64_e32 v54, v[54:55]
	v_cmp_gt_f32_e32 vcc, s8, v65
	v_subbrev_co_u32_e32 v66, vcc, 0, v54, vcc
	v_sub_u32_e32 v54, 0, v66
	v_ldexp_f32 v51, v51, v54
	v_ldexp_f32 v54, v64, v54
	v_add_f32_e32 v64, -1.0, v51
	v_add_f32_e32 v55, 1.0, v64
	v_sub_f32_e32 v55, v51, v55
	v_add_f32_e32 v65, v54, v55
	v_add_f32_e32 v55, 1.0, v51
	v_add_f32_e32 v96, -1.0, v55
	v_sub_f32_e32 v51, v51, v96
	v_add_f32_e32 v51, v54, v51
	v_add_f32_e32 v100, v55, v51
	v_rcp_f32_e32 v101, v100
	v_sub_f32_e32 v54, v55, v100
	v_add_f32_e32 v55, v64, v65
	v_add_f32_e32 v51, v51, v54
	v_mul_f32_e32 v103, v55, v101
	v_sub_f32_e32 v54, v64, v55
	v_mul_f32_e32 v64, v100, v103
	v_fma_f32 v96, v103, v100, -v64
	v_fmac_f32_e32 v96, v103, v51
	v_add_f32_e32 v102, v65, v54
	v_add_f32_e32 v54, v64, v96
	v_sub_f32_e32 v65, v55, v54
	v_pk_add_f32 v[98:99], v[54:55], v[64:65] neg_lo:[0,1] neg_hi:[0,1]
	v_mov_b32_e32 v97, v54
	v_pk_add_f32 v[54:55], v[98:99], v[96:97] neg_lo:[0,1] neg_hi:[0,1]
	v_add_f32_e32 v55, v102, v55
	v_add_f32_e32 v54, v54, v55
	;; [unrolled: 1-line block ×3, first 2 shown]
	v_mul_f32_e32 v102, v101, v55
	v_mul_f32_e32 v64, v100, v102
	v_fma_f32 v96, v102, v100, -v64
	v_fmac_f32_e32 v96, v102, v51
	v_sub_f32_e32 v51, v65, v55
	v_add_f32_e32 v51, v54, v51
	v_add_f32_e32 v54, v64, v96
	v_sub_f32_e32 v65, v55, v54
	v_pk_add_f32 v[98:99], v[54:55], v[64:65] neg_lo:[0,1] neg_hi:[0,1]
	v_mov_b32_e32 v97, v54
	v_pk_add_f32 v[54:55], v[98:99], v[96:97] neg_lo:[0,1] neg_hi:[0,1]
	v_add_f32_e32 v51, v51, v55
	v_add_f32_e32 v51, v54, v51
	;; [unrolled: 1-line block ×4, first 2 shown]
	v_sub_f32_e32 v55, v54, v103
	v_mul_f32_e32 v51, v101, v51
	v_sub_f32_e32 v55, v102, v55
	v_add_f32_e32 v51, v55, v51
	v_add_f32_e32 v65, v54, v51
	v_mul_f32_e32 v96, v65, v65
	v_mov_b32_e32 v64, 0x3ecc95a3
	v_fmac_f32_e32 v64, 0x3e9b6dac, v96
	v_mov_b32_e32 v55, 0x3f2aaada
	v_fmac_f32_e32 v55, v96, v64
	v_cvt_f32_i32_e32 v64, v66
	v_sub_f32_e32 v54, v65, v54
	v_sub_f32_e32 v51, v51, v54
	v_ldexp_f32 v97, v65, 1
	v_mul_f32_e32 v65, v65, v96
	v_mov_b32_e32 v54, 0x3f317218
	s_mov_b32 s8, 0x3f317218
	v_pk_mul_f32 v[54:55], v[64:65], v[54:55]
	v_fma_f32 v96, v64, s8, -v54
	v_fmac_f32_e32 v96, 0xb102e308, v64
	v_pk_add_f32 v[64:65], v[54:55], v[96:97]
	v_sub_f32_e32 v66, v65, v97
	v_ldexp_f32 v51, v51, 1
	v_sub_f32_e32 v66, v55, v66
	v_add_f32_e32 v99, v51, v66
	v_mov_b32_e32 v98, v54
	v_pk_add_f32 v[54:55], v[64:65], v[54:55] neg_lo:[0,1] neg_hi:[0,1]
	v_pk_add_f32 v[100:101], v[64:65], v[98:99]
	v_mov_b32_e32 v55, v101
	v_mov_b32_e32 v97, v64
	v_pk_add_f32 v[102:103], v[96:97], v[54:55] neg_lo:[0,1] neg_hi:[0,1]
	v_pk_add_f32 v[54:55], v[96:97], v[54:55]
	v_mov_b32_e32 v66, v55
	v_pk_add_f32 v[96:97], v[66:67], v[64:65] neg_lo:[0,1] neg_hi:[0,1]
	v_mov_b32_e32 v51, v96
	v_pk_add_f32 v[112:113], v[100:101], v[50:51] neg_lo:[0,1] neg_hi:[0,1]
	v_mov_b32_e32 v54, v101
	v_mov_b32_e32 v100, v65
	;; [unrolled: 1-line block ×4, first 2 shown]
	v_pk_add_f32 v[54:55], v[54:55], v[100:101] neg_lo:[0,1] neg_hi:[0,1]
	v_mov_b32_e32 v96, v99
	v_mov_b32_e32 v97, v64
	v_pk_add_f32 v[54:55], v[96:97], v[54:55] neg_lo:[0,1] neg_hi:[0,1]
	v_mov_b32_e32 v112, v102
	v_pk_add_f32 v[64:65], v[112:113], v[54:55]
	v_mov_b32_e32 v96, v65
	v_pk_add_f32 v[96:97], v[64:65], v[96:97]
	v_pk_add_f32 v[98:99], v[66:67], v[96:97]
	v_mov_b32_e32 v65, v98
	v_pk_add_f32 v[100:101], v[64:65], v[102:103] neg_lo:[0,1] neg_hi:[0,1]
	v_mov_b32_e32 v55, v96
	v_sub_f32_e32 v51, v64, v100
	v_pk_add_f32 v[54:55], v[54:55], v[100:101] neg_lo:[0,1] neg_hi:[0,1]
	v_sub_f32_e32 v51, v102, v51
	s_mov_b32 s9, 0x7f800000
	v_add_f32_e32 v51, v54, v51
	s_mov_b32 s8, 0x33800000
	v_add_f32_e32 v51, v51, v55
	v_cmp_eq_f32_e32 vcc, s9, v53
	v_cmp_lt_f32_e64 s[8:9], |v53|, s8
	v_add_f32_e32 v51, v98, v51
	s_or_b64 vcc, vcc, s[8:9]
	v_cndmask_b32_e32 v51, v51, v53, vcc
	v_add_f32_e32 v51, v52, v51
	v_cvt_f16_f32_e32 v97, v51
	v_cvt_f32_f16_e32 v96, v97
	v_mov_b32_e32 v51, v97
.LBB353_224:
	s_or_b64 exec, exec, s[6:7]
	v_max_f32_e32 v52, v67, v67
	v_max_f32_e32 v54, v96, v96
	v_min_f32_e32 v53, v54, v52
	v_cmp_u_f16_e32 vcc, v97, v97
	v_max_f32_e32 v52, v54, v52
	v_cndmask_b32_e32 v53, v53, v96, vcc
	v_cndmask_b32_e32 v52, v52, v96, vcc
	v_cndmask_b32_e64 v53, v53, v67, s[28:29]
	v_cndmask_b32_e64 v52, v52, v67, s[28:29]
	s_movk_i32 s8, 0x1f8
	v_cmp_neq_f32_e32 vcc, v53, v52
	v_cmp_class_f32_e64 s[6:7], v53, s8
	s_or_b64 s[10:11], vcc, s[6:7]
	v_mov_b32_e32 v66, v51
	s_and_saveexec_b64 s[6:7], s[10:11]
	s_cbranch_execz .LBB353_226
; %bb.225:
	v_sub_f32_e32 v53, v53, v52
	s_mov_b32 s9, 0x3fb8aa3b
	v_mul_f32_e32 v54, 0x3fb8aa3b, v53
	v_fma_f32 v55, v53, s9, -v54
	v_rndne_f32_e32 v64, v54
	v_fmac_f32_e32 v55, 0x32a5705f, v53
	v_sub_f32_e32 v54, v54, v64
	v_add_f32_e32 v54, v54, v55
	v_exp_f32_e32 v54, v54
	v_cvt_i32_f32_e32 v55, v64
	s_mov_b32 s9, 0xc2ce8ed0
	v_cmp_ngt_f32_e32 vcc, s9, v53
	s_mov_b32 s9, 0x42b17218
	v_ldexp_f32 v54, v54, v55
	v_cndmask_b32_e32 v54, 0, v54, vcc
	v_mov_b32_e32 v55, 0x7f800000
	v_cmp_nlt_f32_e32 vcc, s9, v53
	v_cndmask_b32_e32 v114, v55, v54, vcc
	v_add_f32_e32 v53, 1.0, v114
	v_add_f32_e32 v54, -1.0, v53
	v_sub_f32_e32 v55, v54, v53
	v_add_f32_e32 v55, 1.0, v55
	v_sub_f32_e32 v54, v114, v54
	v_add_f32_e32 v64, v54, v55
	v_frexp_mant_f32_e32 v65, v53
	s_mov_b32 s9, 0x3f2aaaab
	v_cvt_f64_f32_e32 v[54:55], v53
	v_frexp_exp_i32_f64_e32 v54, v[54:55]
	v_cmp_gt_f32_e32 vcc, s9, v65
	v_subbrev_co_u32_e32 v98, vcc, 0, v54, vcc
	v_sub_u32_e32 v54, 0, v98
	v_ldexp_f32 v53, v53, v54
	v_ldexp_f32 v54, v64, v54
	v_add_f32_e32 v64, -1.0, v53
	v_add_f32_e32 v55, 1.0, v64
	v_sub_f32_e32 v55, v53, v55
	v_add_f32_e32 v65, v54, v55
	v_add_f32_e32 v55, 1.0, v53
	v_add_f32_e32 v66, -1.0, v55
	v_sub_f32_e32 v53, v53, v66
	v_add_f32_e32 v53, v54, v53
	v_add_f32_e32 v99, v55, v53
	v_rcp_f32_e32 v100, v99
	v_sub_f32_e32 v54, v55, v99
	v_add_f32_e32 v55, v64, v65
	v_add_f32_e32 v53, v53, v54
	v_mul_f32_e32 v102, v55, v100
	v_sub_f32_e32 v54, v64, v55
	v_mul_f32_e32 v64, v99, v102
	v_fma_f32 v66, v102, v99, -v64
	v_fmac_f32_e32 v66, v102, v53
	v_add_f32_e32 v101, v65, v54
	v_add_f32_e32 v54, v64, v66
	v_sub_f32_e32 v65, v55, v54
	v_pk_add_f32 v[96:97], v[54:55], v[64:65] neg_lo:[0,1] neg_hi:[0,1]
	v_mov_b32_e32 v67, v54
	v_pk_add_f32 v[54:55], v[96:97], v[66:67] neg_lo:[0,1] neg_hi:[0,1]
	v_add_f32_e32 v55, v101, v55
	v_add_f32_e32 v54, v54, v55
	;; [unrolled: 1-line block ×3, first 2 shown]
	v_mul_f32_e32 v101, v100, v55
	v_mul_f32_e32 v64, v99, v101
	v_fma_f32 v66, v101, v99, -v64
	v_fmac_f32_e32 v66, v101, v53
	v_sub_f32_e32 v53, v65, v55
	v_add_f32_e32 v53, v54, v53
	v_add_f32_e32 v54, v64, v66
	v_sub_f32_e32 v65, v55, v54
	v_pk_add_f32 v[96:97], v[54:55], v[64:65] neg_lo:[0,1] neg_hi:[0,1]
	v_mov_b32_e32 v67, v54
	v_pk_add_f32 v[54:55], v[96:97], v[66:67] neg_lo:[0,1] neg_hi:[0,1]
	v_add_f32_e32 v53, v53, v55
	v_add_f32_e32 v53, v54, v53
	;; [unrolled: 1-line block ×4, first 2 shown]
	v_sub_f32_e32 v55, v54, v102
	v_mul_f32_e32 v53, v100, v53
	v_sub_f32_e32 v55, v101, v55
	v_add_f32_e32 v53, v55, v53
	v_add_f32_e32 v65, v54, v53
	v_mul_f32_e32 v66, v65, v65
	v_mov_b32_e32 v64, 0x3ecc95a3
	v_fmac_f32_e32 v64, 0x3e9b6dac, v66
	v_mov_b32_e32 v55, 0x3f2aaada
	v_fmac_f32_e32 v55, v66, v64
	v_cvt_f32_i32_e32 v64, v98
	v_sub_f32_e32 v54, v65, v54
	v_sub_f32_e32 v53, v53, v54
	v_ldexp_f32 v67, v65, 1
	v_mul_f32_e32 v65, v65, v66
	v_mov_b32_e32 v54, 0x3f317218
	s_mov_b32 s9, 0x3f317218
	v_pk_mul_f32 v[54:55], v[64:65], v[54:55]
	v_fma_f32 v66, v64, s9, -v54
	v_fmac_f32_e32 v66, 0xb102e308, v64
	v_pk_add_f32 v[64:65], v[54:55], v[66:67]
	v_sub_f32_e32 v67, v65, v67
	v_ldexp_f32 v53, v53, 1
	v_sub_f32_e32 v67, v55, v67
	v_add_f32_e32 v97, v53, v67
	v_mov_b32_e32 v96, v54
	v_pk_add_f32 v[54:55], v[64:65], v[54:55] neg_lo:[0,1] neg_hi:[0,1]
	v_pk_add_f32 v[98:99], v[64:65], v[96:97]
	v_mov_b32_e32 v55, v99
	v_mov_b32_e32 v67, v64
	v_pk_add_f32 v[100:101], v[66:67], v[54:55] neg_lo:[0,1] neg_hi:[0,1]
	v_pk_add_f32 v[54:55], v[66:67], v[54:55]
	v_mov_b32_e32 v66, v55
	v_pk_add_f32 v[102:103], v[66:67], v[64:65] neg_lo:[0,1] neg_hi:[0,1]
	v_mov_b32_e32 v53, v102
	v_pk_add_f32 v[112:113], v[98:99], v[52:53] neg_lo:[0,1] neg_hi:[0,1]
	v_mov_b32_e32 v54, v99
	v_mov_b32_e32 v98, v65
	;; [unrolled: 1-line block ×4, first 2 shown]
	v_pk_add_f32 v[54:55], v[54:55], v[98:99] neg_lo:[0,1] neg_hi:[0,1]
	v_mov_b32_e32 v96, v97
	v_mov_b32_e32 v97, v64
	v_pk_add_f32 v[54:55], v[96:97], v[54:55] neg_lo:[0,1] neg_hi:[0,1]
	v_mov_b32_e32 v112, v100
	v_pk_add_f32 v[64:65], v[112:113], v[54:55]
	v_mov_b32_e32 v96, v65
	v_pk_add_f32 v[96:97], v[64:65], v[96:97]
	v_pk_add_f32 v[66:67], v[66:67], v[96:97]
	v_mov_b32_e32 v65, v66
	v_pk_add_f32 v[98:99], v[64:65], v[100:101] neg_lo:[0,1] neg_hi:[0,1]
	v_mov_b32_e32 v55, v96
	v_sub_f32_e32 v53, v64, v98
	v_pk_add_f32 v[54:55], v[54:55], v[98:99] neg_lo:[0,1] neg_hi:[0,1]
	v_sub_f32_e32 v53, v100, v53
	s_mov_b32 s10, 0x7f800000
	v_add_f32_e32 v53, v54, v53
	s_mov_b32 s9, 0x33800000
	v_add_f32_e32 v53, v53, v55
	v_cmp_eq_f32_e32 vcc, s10, v114
	v_cmp_lt_f32_e64 s[10:11], |v114|, s9
	v_add_f32_e32 v53, v66, v53
	s_or_b64 vcc, vcc, s[10:11]
	v_cndmask_b32_e32 v53, v53, v114, vcc
	v_add_f32_e32 v52, v52, v53
	v_cvt_f16_f32_e32 v97, v52
	v_cvt_f32_f16_e32 v96, v97
	v_mov_b32_e32 v66, v97
.LBB353_226:
	s_or_b64 exec, exec, s[6:7]
	v_max_f32_e32 v52, v68, v68
	v_max_f32_e32 v53, v96, v96
	v_min_f32_e32 v54, v53, v52
	v_cmp_u_f16_e32 vcc, v97, v97
	v_max_f32_e32 v52, v53, v52
	v_cndmask_b32_e32 v54, v54, v96, vcc
	v_cndmask_b32_e32 v52, v52, v96, vcc
	v_cndmask_b32_e64 v54, v54, v68, s[30:31]
	v_cndmask_b32_e64 v53, v52, v68, s[30:31]
	v_cmp_neq_f32_e32 vcc, v54, v53
	v_cmp_class_f32_e64 s[6:7], v54, s8
	s_or_b64 s[8:9], vcc, s[6:7]
	v_mov_b32_e32 v52, v66
	s_and_saveexec_b64 s[6:7], s[8:9]
	s_cbranch_execz .LBB353_228
; %bb.227:
	v_sub_f32_e32 v52, v54, v53
	s_mov_b32 s8, 0x3fb8aa3b
	v_mul_f32_e32 v54, 0x3fb8aa3b, v52
	v_fma_f32 v55, v52, s8, -v54
	v_rndne_f32_e32 v64, v54
	v_fmac_f32_e32 v55, 0x32a5705f, v52
	v_sub_f32_e32 v54, v54, v64
	v_add_f32_e32 v54, v54, v55
	v_exp_f32_e32 v54, v54
	v_cvt_i32_f32_e32 v55, v64
	s_mov_b32 s8, 0xc2ce8ed0
	v_cmp_ngt_f32_e32 vcc, s8, v52
	s_mov_b32 s8, 0x42b17218
	v_ldexp_f32 v54, v54, v55
	v_cndmask_b32_e32 v54, 0, v54, vcc
	v_mov_b32_e32 v55, 0x7f800000
	v_cmp_nlt_f32_e32 vcc, s8, v52
	v_cndmask_b32_e32 v114, v55, v54, vcc
	v_add_f32_e32 v52, 1.0, v114
	v_add_f32_e32 v54, -1.0, v52
	v_sub_f32_e32 v55, v54, v52
	v_add_f32_e32 v55, 1.0, v55
	v_sub_f32_e32 v54, v114, v54
	v_add_f32_e32 v64, v54, v55
	v_frexp_mant_f32_e32 v65, v52
	s_mov_b32 s8, 0x3f2aaaab
	v_cvt_f64_f32_e32 v[54:55], v52
	v_frexp_exp_i32_f64_e32 v54, v[54:55]
	v_cmp_gt_f32_e32 vcc, s8, v65
	v_subbrev_co_u32_e32 v67, vcc, 0, v54, vcc
	v_sub_u32_e32 v54, 0, v67
	v_ldexp_f32 v52, v52, v54
	v_ldexp_f32 v54, v64, v54
	v_add_f32_e32 v64, -1.0, v52
	v_add_f32_e32 v55, 1.0, v64
	v_sub_f32_e32 v55, v52, v55
	v_add_f32_e32 v65, v54, v55
	v_add_f32_e32 v55, 1.0, v52
	v_add_f32_e32 v68, -1.0, v55
	v_sub_f32_e32 v52, v52, v68
	v_add_f32_e32 v52, v54, v52
	v_add_f32_e32 v68, v55, v52
	v_rcp_f32_e32 v100, v68
	v_sub_f32_e32 v54, v55, v68
	v_add_f32_e32 v55, v64, v65
	v_add_f32_e32 v52, v52, v54
	v_mul_f32_e32 v102, v55, v100
	v_sub_f32_e32 v54, v64, v55
	v_mul_f32_e32 v64, v68, v102
	v_fma_f32 v96, v102, v68, -v64
	v_fmac_f32_e32 v96, v102, v52
	v_add_f32_e32 v101, v65, v54
	v_add_f32_e32 v54, v64, v96
	v_sub_f32_e32 v65, v55, v54
	v_pk_add_f32 v[98:99], v[54:55], v[64:65] neg_lo:[0,1] neg_hi:[0,1]
	v_mov_b32_e32 v97, v54
	v_pk_add_f32 v[54:55], v[98:99], v[96:97] neg_lo:[0,1] neg_hi:[0,1]
	v_add_f32_e32 v55, v101, v55
	v_add_f32_e32 v54, v54, v55
	;; [unrolled: 1-line block ×3, first 2 shown]
	v_mul_f32_e32 v101, v100, v55
	v_mul_f32_e32 v64, v68, v101
	v_fma_f32 v96, v101, v68, -v64
	v_fmac_f32_e32 v96, v101, v52
	v_sub_f32_e32 v52, v65, v55
	v_add_f32_e32 v52, v54, v52
	v_add_f32_e32 v54, v64, v96
	v_sub_f32_e32 v65, v55, v54
	v_pk_add_f32 v[98:99], v[54:55], v[64:65] neg_lo:[0,1] neg_hi:[0,1]
	v_mov_b32_e32 v97, v54
	v_pk_add_f32 v[54:55], v[98:99], v[96:97] neg_lo:[0,1] neg_hi:[0,1]
	v_add_f32_e32 v52, v52, v55
	v_add_f32_e32 v52, v54, v52
	;; [unrolled: 1-line block ×4, first 2 shown]
	v_sub_f32_e32 v55, v54, v102
	v_mul_f32_e32 v52, v100, v52
	v_sub_f32_e32 v55, v101, v55
	v_add_f32_e32 v52, v55, v52
	v_add_f32_e32 v65, v54, v52
	v_mul_f32_e32 v68, v65, v65
	v_mov_b32_e32 v64, 0x3ecc95a3
	v_fmac_f32_e32 v64, 0x3e9b6dac, v68
	v_mov_b32_e32 v55, 0x3f2aaada
	v_fmac_f32_e32 v55, v68, v64
	v_cvt_f32_i32_e32 v64, v67
	v_sub_f32_e32 v54, v65, v54
	v_sub_f32_e32 v52, v52, v54
	v_ldexp_f32 v97, v65, 1
	v_mul_f32_e32 v65, v65, v68
	v_mov_b32_e32 v54, 0x3f317218
	s_mov_b32 s8, 0x3f317218
	v_pk_mul_f32 v[54:55], v[64:65], v[54:55]
	v_fma_f32 v96, v64, s8, -v54
	v_fmac_f32_e32 v96, 0xb102e308, v64
	v_pk_add_f32 v[64:65], v[54:55], v[96:97]
	v_sub_f32_e32 v67, v65, v97
	v_ldexp_f32 v52, v52, 1
	v_sub_f32_e32 v67, v55, v67
	v_add_f32_e32 v99, v52, v67
	v_mov_b32_e32 v98, v54
	v_pk_add_f32 v[54:55], v[64:65], v[54:55] neg_lo:[0,1] neg_hi:[0,1]
	v_pk_add_f32 v[100:101], v[64:65], v[98:99]
	v_mov_b32_e32 v55, v101
	v_mov_b32_e32 v97, v64
	v_pk_add_f32 v[102:103], v[96:97], v[54:55] neg_lo:[0,1] neg_hi:[0,1]
	v_pk_add_f32 v[54:55], v[96:97], v[54:55]
	v_mov_b32_e32 v52, v55
	v_pk_add_f32 v[96:97], v[52:53], v[64:65] neg_lo:[0,1] neg_hi:[0,1]
	v_mov_b32_e32 v67, v96
	v_pk_add_f32 v[112:113], v[100:101], v[66:67] neg_lo:[0,1] neg_hi:[0,1]
	v_mov_b32_e32 v54, v101
	v_mov_b32_e32 v100, v65
	;; [unrolled: 1-line block ×4, first 2 shown]
	v_pk_add_f32 v[54:55], v[54:55], v[100:101] neg_lo:[0,1] neg_hi:[0,1]
	v_mov_b32_e32 v96, v99
	v_mov_b32_e32 v97, v64
	v_pk_add_f32 v[54:55], v[96:97], v[54:55] neg_lo:[0,1] neg_hi:[0,1]
	v_mov_b32_e32 v112, v102
	v_pk_add_f32 v[64:65], v[112:113], v[54:55]
	v_mov_b32_e32 v68, v65
	v_pk_add_f32 v[96:97], v[64:65], v[68:69]
	v_pk_add_f32 v[98:99], v[52:53], v[96:97]
	v_mov_b32_e32 v65, v98
	v_pk_add_f32 v[100:101], v[64:65], v[102:103] neg_lo:[0,1] neg_hi:[0,1]
	v_mov_b32_e32 v55, v96
	v_sub_f32_e32 v52, v64, v100
	v_pk_add_f32 v[54:55], v[54:55], v[100:101] neg_lo:[0,1] neg_hi:[0,1]
	v_sub_f32_e32 v52, v102, v52
	s_mov_b32 s9, 0x7f800000
	v_add_f32_e32 v52, v54, v52
	s_mov_b32 s8, 0x33800000
	v_add_f32_e32 v52, v52, v55
	v_cmp_eq_f32_e32 vcc, s9, v114
	v_cmp_lt_f32_e64 s[8:9], |v114|, s8
	v_add_f32_e32 v52, v98, v52
	s_or_b64 vcc, vcc, s[8:9]
	v_cndmask_b32_e32 v52, v52, v114, vcc
	v_add_f32_e32 v52, v53, v52
	v_cvt_f16_f32_e32 v97, v52
	v_cvt_f32_f16_e32 v96, v97
	v_mov_b32_e32 v52, v97
.LBB353_228:
	s_or_b64 exec, exec, s[6:7]
	v_max_f32_e32 v53, v69, v69
	v_max_f32_e32 v55, v96, v96
	v_min_f32_e32 v54, v55, v53
	v_cmp_u_f16_e32 vcc, v97, v97
	v_max_f32_e32 v53, v55, v53
	v_cndmask_b32_e32 v54, v54, v96, vcc
	v_cndmask_b32_e32 v53, v53, v96, vcc
	v_cndmask_b32_e64 v54, v54, v69, s[34:35]
	v_cndmask_b32_e64 v53, v53, v69, s[34:35]
	s_movk_i32 s8, 0x1f8
	v_cmp_neq_f32_e32 vcc, v54, v53
	v_cmp_class_f32_e64 s[6:7], v54, s8
	s_or_b64 s[10:11], vcc, s[6:7]
	v_mov_b32_e32 v67, v52
	s_and_saveexec_b64 s[6:7], s[10:11]
	s_cbranch_execz .LBB353_230
; %bb.229:
	v_sub_f32_e32 v54, v54, v53
	s_mov_b32 s9, 0x3fb8aa3b
	v_mul_f32_e32 v55, 0x3fb8aa3b, v54
	v_fma_f32 v64, v54, s9, -v55
	v_rndne_f32_e32 v65, v55
	v_fmac_f32_e32 v64, 0x32a5705f, v54
	v_sub_f32_e32 v55, v55, v65
	v_add_f32_e32 v55, v55, v64
	v_exp_f32_e32 v55, v55
	v_cvt_i32_f32_e32 v64, v65
	s_mov_b32 s9, 0xc2ce8ed0
	v_cmp_ngt_f32_e32 vcc, s9, v54
	s_mov_b32 s9, 0x42b17218
	v_ldexp_f32 v55, v55, v64
	v_cndmask_b32_e32 v55, 0, v55, vcc
	v_mov_b32_e32 v64, 0x7f800000
	v_cmp_nlt_f32_e32 vcc, s9, v54
	v_cndmask_b32_e32 v114, v64, v55, vcc
	v_add_f32_e32 v64, 1.0, v114
	v_add_f32_e32 v54, -1.0, v64
	v_sub_f32_e32 v55, v54, v64
	v_add_f32_e32 v55, 1.0, v55
	v_sub_f32_e32 v54, v114, v54
	v_add_f32_e32 v65, v54, v55
	v_frexp_mant_f32_e32 v67, v64
	s_mov_b32 s9, 0x3f2aaaab
	v_cvt_f64_f32_e32 v[54:55], v64
	v_frexp_exp_i32_f64_e32 v54, v[54:55]
	v_cmp_gt_f32_e32 vcc, s9, v67
	v_subbrev_co_u32_e32 v67, vcc, 0, v54, vcc
	v_sub_u32_e32 v54, 0, v67
	v_ldexp_f32 v55, v64, v54
	v_add_f32_e32 v64, -1.0, v55
	v_add_f32_e32 v68, 1.0, v55
	v_ldexp_f32 v54, v65, v54
	v_add_f32_e32 v65, 1.0, v64
	v_add_f32_e32 v69, -1.0, v68
	v_sub_f32_e32 v65, v55, v65
	v_sub_f32_e32 v55, v55, v69
	v_add_f32_e32 v65, v54, v65
	v_add_f32_e32 v54, v54, v55
	;; [unrolled: 1-line block ×3, first 2 shown]
	v_rcp_f32_e32 v100, v98
	v_sub_f32_e32 v55, v68, v98
	v_add_f32_e32 v99, v54, v55
	v_add_f32_e32 v55, v64, v65
	v_mul_f32_e32 v102, v55, v100
	v_sub_f32_e32 v54, v64, v55
	v_mul_f32_e32 v64, v98, v102
	v_fma_f32 v68, v102, v98, -v64
	v_fmac_f32_e32 v68, v102, v99
	v_add_f32_e32 v101, v65, v54
	v_add_f32_e32 v54, v64, v68
	v_sub_f32_e32 v65, v55, v54
	v_pk_add_f32 v[96:97], v[54:55], v[64:65] neg_lo:[0,1] neg_hi:[0,1]
	v_mov_b32_e32 v69, v54
	v_pk_add_f32 v[54:55], v[96:97], v[68:69] neg_lo:[0,1] neg_hi:[0,1]
	v_add_f32_e32 v55, v101, v55
	v_add_f32_e32 v54, v54, v55
	;; [unrolled: 1-line block ×3, first 2 shown]
	v_mul_f32_e32 v101, v100, v55
	v_mul_f32_e32 v64, v98, v101
	v_fma_f32 v68, v101, v98, -v64
	v_fmac_f32_e32 v68, v101, v99
	v_sub_f32_e32 v65, v65, v55
	v_add_f32_e32 v98, v54, v65
	v_add_f32_e32 v54, v64, v68
	v_sub_f32_e32 v65, v55, v54
	v_pk_add_f32 v[96:97], v[54:55], v[64:65] neg_lo:[0,1] neg_hi:[0,1]
	v_mov_b32_e32 v69, v54
	v_pk_add_f32 v[54:55], v[96:97], v[68:69] neg_lo:[0,1] neg_hi:[0,1]
	v_add_f32_e32 v55, v98, v55
	v_add_f32_e32 v54, v54, v55
	;; [unrolled: 1-line block ×4, first 2 shown]
	v_sub_f32_e32 v55, v65, v102
	v_mul_f32_e32 v54, v100, v54
	v_sub_f32_e32 v55, v101, v55
	v_add_f32_e32 v54, v55, v54
	v_add_f32_e32 v68, v65, v54
	v_mul_f32_e32 v96, v68, v68
	v_mov_b32_e32 v64, 0x3ecc95a3
	v_fmac_f32_e32 v64, 0x3e9b6dac, v96
	v_mov_b32_e32 v55, 0x3f2aaada
	v_fmac_f32_e32 v55, v96, v64
	v_cvt_f32_i32_e32 v64, v67
	v_sub_f32_e32 v65, v68, v65
	v_sub_f32_e32 v54, v54, v65
	v_ldexp_f32 v67, v54, 1
	v_mul_f32_e32 v65, v68, v96
	v_mov_b32_e32 v54, 0x3f317218
	s_mov_b32 s9, 0x3f317218
	v_pk_mul_f32 v[54:55], v[64:65], v[54:55]
	v_ldexp_f32 v69, v68, 1
	v_fma_f32 v68, v64, s9, -v54
	v_fmac_f32_e32 v68, 0xb102e308, v64
	v_pk_add_f32 v[64:65], v[54:55], v[68:69]
	v_sub_f32_e32 v69, v65, v69
	v_sub_f32_e32 v69, v55, v69
	v_add_f32_e32 v97, v67, v69
	v_mov_b32_e32 v96, v54
	v_pk_add_f32 v[54:55], v[64:65], v[54:55] neg_lo:[0,1] neg_hi:[0,1]
	v_pk_add_f32 v[98:99], v[64:65], v[96:97]
	v_mov_b32_e32 v55, v99
	v_mov_b32_e32 v69, v64
	v_pk_add_f32 v[100:101], v[68:69], v[54:55] neg_lo:[0,1] neg_hi:[0,1]
	v_pk_add_f32 v[54:55], v[68:69], v[54:55]
	v_mov_b32_e32 v68, v55
	v_pk_add_f32 v[102:103], v[68:69], v[64:65] neg_lo:[0,1] neg_hi:[0,1]
	v_mov_b32_e32 v67, v102
	v_pk_add_f32 v[112:113], v[98:99], v[66:67] neg_lo:[0,1] neg_hi:[0,1]
	v_mov_b32_e32 v54, v99
	v_mov_b32_e32 v98, v65
	;; [unrolled: 1-line block ×4, first 2 shown]
	v_pk_add_f32 v[54:55], v[54:55], v[98:99] neg_lo:[0,1] neg_hi:[0,1]
	v_mov_b32_e32 v96, v97
	v_mov_b32_e32 v97, v64
	v_pk_add_f32 v[54:55], v[96:97], v[54:55] neg_lo:[0,1] neg_hi:[0,1]
	v_mov_b32_e32 v112, v100
	v_pk_add_f32 v[64:65], v[112:113], v[54:55]
	v_mov_b32_e32 v96, v65
	v_pk_add_f32 v[96:97], v[64:65], v[96:97]
	v_pk_add_f32 v[68:69], v[68:69], v[96:97]
	v_mov_b32_e32 v65, v68
	v_pk_add_f32 v[98:99], v[64:65], v[100:101] neg_lo:[0,1] neg_hi:[0,1]
	v_mov_b32_e32 v55, v96
	v_sub_f32_e32 v64, v64, v98
	v_pk_add_f32 v[54:55], v[54:55], v[98:99] neg_lo:[0,1] neg_hi:[0,1]
	v_sub_f32_e32 v64, v100, v64
	s_mov_b32 s10, 0x7f800000
	v_add_f32_e32 v54, v54, v64
	s_mov_b32 s9, 0x33800000
	v_add_f32_e32 v54, v54, v55
	v_cmp_eq_f32_e32 vcc, s10, v114
	v_cmp_lt_f32_e64 s[10:11], |v114|, s9
	v_add_f32_e32 v54, v68, v54
	s_or_b64 vcc, vcc, s[10:11]
	v_cndmask_b32_e32 v54, v54, v114, vcc
	v_add_f32_e32 v53, v53, v54
	v_cvt_f16_f32_e32 v97, v53
	v_cvt_f32_f16_e32 v96, v97
	v_mov_b32_e32 v67, v97
.LBB353_230:
	s_or_b64 exec, exec, s[6:7]
	v_max_f32_e32 v53, v70, v70
	v_max_f32_e32 v54, v96, v96
	v_min_f32_e32 v55, v54, v53
	v_cmp_u_f16_e32 vcc, v97, v97
	v_max_f32_e32 v53, v54, v53
	v_cndmask_b32_e32 v55, v55, v96, vcc
	v_cndmask_b32_e32 v53, v53, v96, vcc
	v_cndmask_b32_e64 v55, v55, v70, s[36:37]
	v_cndmask_b32_e64 v54, v53, v70, s[36:37]
	v_cmp_neq_f32_e32 vcc, v55, v54
	v_cmp_class_f32_e64 s[6:7], v55, s8
	s_or_b64 s[8:9], vcc, s[6:7]
	v_mov_b32_e32 v53, v67
	s_and_saveexec_b64 s[6:7], s[8:9]
	s_cbranch_execz .LBB353_232
; %bb.231:
	v_sub_f32_e32 v53, v55, v54
	s_mov_b32 s8, 0x3fb8aa3b
	v_mul_f32_e32 v55, 0x3fb8aa3b, v53
	v_fma_f32 v64, v53, s8, -v55
	v_rndne_f32_e32 v65, v55
	v_fmac_f32_e32 v64, 0x32a5705f, v53
	v_sub_f32_e32 v55, v55, v65
	v_add_f32_e32 v55, v55, v64
	v_exp_f32_e32 v55, v55
	v_cvt_i32_f32_e32 v64, v65
	s_mov_b32 s8, 0xc2ce8ed0
	v_cmp_ngt_f32_e32 vcc, s8, v53
	s_mov_b32 s8, 0x42b17218
	v_ldexp_f32 v55, v55, v64
	v_cndmask_b32_e32 v55, 0, v55, vcc
	v_mov_b32_e32 v64, 0x7f800000
	v_cmp_nlt_f32_e32 vcc, s8, v53
	v_cndmask_b32_e32 v55, v64, v55, vcc
	v_add_f32_e32 v53, 1.0, v55
	v_add_f32_e32 v64, -1.0, v53
	v_sub_f32_e32 v65, v64, v53
	v_add_f32_e32 v65, 1.0, v65
	v_sub_f32_e32 v64, v55, v64
	v_add_f32_e32 v68, v64, v65
	v_frexp_mant_f32_e32 v69, v53
	s_mov_b32 s8, 0x3f2aaaab
	v_cvt_f64_f32_e32 v[64:65], v53
	v_frexp_exp_i32_f64_e32 v64, v[64:65]
	v_cmp_gt_f32_e32 vcc, s8, v69
	v_subbrev_co_u32_e32 v70, vcc, 0, v64, vcc
	v_sub_u32_e32 v64, 0, v70
	v_ldexp_f32 v53, v53, v64
	v_ldexp_f32 v64, v68, v64
	v_add_f32_e32 v68, -1.0, v53
	v_add_f32_e32 v65, 1.0, v68
	v_sub_f32_e32 v65, v53, v65
	v_add_f32_e32 v69, v64, v65
	v_add_f32_e32 v65, 1.0, v53
	v_add_f32_e32 v96, -1.0, v65
	v_sub_f32_e32 v53, v53, v96
	v_add_f32_e32 v53, v64, v53
	v_add_f32_e32 v100, v65, v53
	v_rcp_f32_e32 v101, v100
	v_sub_f32_e32 v64, v65, v100
	v_add_f32_e32 v65, v68, v69
	v_add_f32_e32 v53, v53, v64
	v_mul_f32_e32 v103, v65, v101
	v_sub_f32_e32 v64, v68, v65
	v_mul_f32_e32 v68, v100, v103
	v_fma_f32 v96, v103, v100, -v68
	v_fmac_f32_e32 v96, v103, v53
	v_add_f32_e32 v102, v69, v64
	v_add_f32_e32 v64, v68, v96
	v_sub_f32_e32 v69, v65, v64
	v_pk_add_f32 v[98:99], v[64:65], v[68:69] neg_lo:[0,1] neg_hi:[0,1]
	v_mov_b32_e32 v97, v64
	v_pk_add_f32 v[64:65], v[98:99], v[96:97] neg_lo:[0,1] neg_hi:[0,1]
	v_add_f32_e32 v65, v102, v65
	v_add_f32_e32 v64, v64, v65
	;; [unrolled: 1-line block ×3, first 2 shown]
	v_mul_f32_e32 v102, v101, v65
	v_mul_f32_e32 v68, v100, v102
	v_fma_f32 v96, v102, v100, -v68
	v_fmac_f32_e32 v96, v102, v53
	v_sub_f32_e32 v53, v69, v65
	v_add_f32_e32 v53, v64, v53
	v_add_f32_e32 v64, v68, v96
	v_sub_f32_e32 v69, v65, v64
	v_pk_add_f32 v[98:99], v[64:65], v[68:69] neg_lo:[0,1] neg_hi:[0,1]
	v_mov_b32_e32 v97, v64
	v_pk_add_f32 v[64:65], v[98:99], v[96:97] neg_lo:[0,1] neg_hi:[0,1]
	v_add_f32_e32 v53, v53, v65
	v_add_f32_e32 v53, v64, v53
	;; [unrolled: 1-line block ×4, first 2 shown]
	v_sub_f32_e32 v65, v64, v103
	v_mul_f32_e32 v53, v101, v53
	v_sub_f32_e32 v65, v102, v65
	v_add_f32_e32 v53, v65, v53
	v_add_f32_e32 v69, v64, v53
	v_mul_f32_e32 v96, v69, v69
	v_mov_b32_e32 v68, 0x3ecc95a3
	v_fmac_f32_e32 v68, 0x3e9b6dac, v96
	v_mov_b32_e32 v65, 0x3f2aaada
	v_fmac_f32_e32 v65, v96, v68
	v_cvt_f32_i32_e32 v68, v70
	v_sub_f32_e32 v64, v69, v64
	v_sub_f32_e32 v53, v53, v64
	v_ldexp_f32 v97, v69, 1
	v_mul_f32_e32 v69, v69, v96
	v_mov_b32_e32 v64, 0x3f317218
	s_mov_b32 s8, 0x3f317218
	v_pk_mul_f32 v[64:65], v[68:69], v[64:65]
	v_fma_f32 v96, v68, s8, -v64
	v_fmac_f32_e32 v96, 0xb102e308, v68
	v_pk_add_f32 v[68:69], v[64:65], v[96:97]
	v_sub_f32_e32 v70, v69, v97
	v_ldexp_f32 v53, v53, 1
	v_sub_f32_e32 v70, v65, v70
	v_add_f32_e32 v99, v53, v70
	v_mov_b32_e32 v98, v64
	v_pk_add_f32 v[64:65], v[68:69], v[64:65] neg_lo:[0,1] neg_hi:[0,1]
	v_pk_add_f32 v[100:101], v[68:69], v[98:99]
	v_mov_b32_e32 v65, v101
	v_mov_b32_e32 v97, v68
	v_pk_add_f32 v[102:103], v[96:97], v[64:65] neg_lo:[0,1] neg_hi:[0,1]
	v_pk_add_f32 v[64:65], v[96:97], v[64:65]
	v_mov_b32_e32 v70, v65
	v_pk_add_f32 v[96:97], v[70:71], v[68:69] neg_lo:[0,1] neg_hi:[0,1]
	v_mov_b32_e32 v53, v96
	v_pk_add_f32 v[112:113], v[100:101], v[52:53] neg_lo:[0,1] neg_hi:[0,1]
	v_mov_b32_e32 v64, v101
	v_mov_b32_e32 v100, v69
	;; [unrolled: 1-line block ×4, first 2 shown]
	v_pk_add_f32 v[64:65], v[64:65], v[100:101] neg_lo:[0,1] neg_hi:[0,1]
	v_mov_b32_e32 v96, v99
	v_mov_b32_e32 v97, v68
	v_pk_add_f32 v[64:65], v[96:97], v[64:65] neg_lo:[0,1] neg_hi:[0,1]
	v_mov_b32_e32 v112, v102
	v_pk_add_f32 v[68:69], v[112:113], v[64:65]
	v_mov_b32_e32 v96, v69
	v_pk_add_f32 v[96:97], v[68:69], v[96:97]
	v_pk_add_f32 v[98:99], v[70:71], v[96:97]
	v_mov_b32_e32 v69, v98
	v_pk_add_f32 v[100:101], v[68:69], v[102:103] neg_lo:[0,1] neg_hi:[0,1]
	v_mov_b32_e32 v65, v96
	v_sub_f32_e32 v53, v68, v100
	v_pk_add_f32 v[64:65], v[64:65], v[100:101] neg_lo:[0,1] neg_hi:[0,1]
	v_sub_f32_e32 v53, v102, v53
	s_mov_b32 s9, 0x7f800000
	v_add_f32_e32 v53, v64, v53
	s_mov_b32 s8, 0x33800000
	v_add_f32_e32 v53, v53, v65
	v_cmp_eq_f32_e32 vcc, s9, v55
	v_cmp_lt_f32_e64 s[8:9], |v55|, s8
	v_add_f32_e32 v53, v98, v53
	s_or_b64 vcc, vcc, s[8:9]
	v_cndmask_b32_e32 v53, v53, v55, vcc
	v_add_f32_e32 v53, v54, v53
	v_cvt_f16_f32_e32 v97, v53
	v_cvt_f32_f16_e32 v96, v97
	v_mov_b32_e32 v53, v97
.LBB353_232:
	s_or_b64 exec, exec, s[6:7]
	v_max_f32_e32 v54, v71, v71
	v_max_f32_e32 v64, v96, v96
	v_min_f32_e32 v55, v64, v54
	v_cmp_u_f16_e32 vcc, v97, v97
	v_max_f32_e32 v54, v64, v54
	v_cndmask_b32_e32 v55, v55, v96, vcc
	v_cndmask_b32_e32 v54, v54, v96, vcc
	v_cndmask_b32_e64 v55, v55, v71, s[38:39]
	v_cndmask_b32_e64 v54, v54, v71, s[38:39]
	s_movk_i32 s8, 0x1f8
	v_cmp_neq_f32_e32 vcc, v55, v54
	v_cmp_class_f32_e64 s[6:7], v55, s8
	s_or_b64 s[10:11], vcc, s[6:7]
	v_mov_b32_e32 v68, v53
	s_and_saveexec_b64 s[6:7], s[10:11]
	s_cbranch_execz .LBB353_234
; %bb.233:
	v_sub_f32_e32 v55, v55, v54
	s_mov_b32 s9, 0x3fb8aa3b
	v_mul_f32_e32 v64, 0x3fb8aa3b, v55
	v_fma_f32 v65, v55, s9, -v64
	v_rndne_f32_e32 v68, v64
	v_fmac_f32_e32 v65, 0x32a5705f, v55
	v_sub_f32_e32 v64, v64, v68
	v_add_f32_e32 v64, v64, v65
	v_exp_f32_e32 v64, v64
	v_cvt_i32_f32_e32 v65, v68
	s_mov_b32 s9, 0xc2ce8ed0
	v_cmp_ngt_f32_e32 vcc, s9, v55
	s_mov_b32 s9, 0x42b17218
	v_ldexp_f32 v64, v64, v65
	v_cndmask_b32_e32 v64, 0, v64, vcc
	v_mov_b32_e32 v65, 0x7f800000
	v_cmp_nlt_f32_e32 vcc, s9, v55
	v_cndmask_b32_e32 v114, v65, v64, vcc
	v_add_f32_e32 v55, 1.0, v114
	v_add_f32_e32 v64, -1.0, v55
	v_sub_f32_e32 v65, v64, v55
	v_add_f32_e32 v65, 1.0, v65
	v_sub_f32_e32 v64, v114, v64
	v_add_f32_e32 v68, v64, v65
	v_frexp_mant_f32_e32 v69, v55
	s_mov_b32 s9, 0x3f2aaaab
	v_cvt_f64_f32_e32 v[64:65], v55
	v_frexp_exp_i32_f64_e32 v64, v[64:65]
	v_cmp_gt_f32_e32 vcc, s9, v69
	v_subbrev_co_u32_e32 v98, vcc, 0, v64, vcc
	v_sub_u32_e32 v64, 0, v98
	v_ldexp_f32 v55, v55, v64
	v_ldexp_f32 v64, v68, v64
	v_add_f32_e32 v68, -1.0, v55
	v_add_f32_e32 v65, 1.0, v68
	v_sub_f32_e32 v65, v55, v65
	v_add_f32_e32 v69, v64, v65
	v_add_f32_e32 v65, 1.0, v55
	v_add_f32_e32 v70, -1.0, v65
	v_sub_f32_e32 v55, v55, v70
	v_add_f32_e32 v55, v64, v55
	v_add_f32_e32 v99, v65, v55
	v_rcp_f32_e32 v100, v99
	v_sub_f32_e32 v64, v65, v99
	v_add_f32_e32 v65, v68, v69
	v_add_f32_e32 v55, v55, v64
	v_mul_f32_e32 v102, v65, v100
	v_sub_f32_e32 v64, v68, v65
	v_mul_f32_e32 v68, v99, v102
	v_fma_f32 v70, v102, v99, -v68
	v_fmac_f32_e32 v70, v102, v55
	v_add_f32_e32 v101, v69, v64
	v_add_f32_e32 v64, v68, v70
	v_sub_f32_e32 v69, v65, v64
	v_pk_add_f32 v[96:97], v[64:65], v[68:69] neg_lo:[0,1] neg_hi:[0,1]
	v_mov_b32_e32 v71, v64
	v_pk_add_f32 v[64:65], v[96:97], v[70:71] neg_lo:[0,1] neg_hi:[0,1]
	v_add_f32_e32 v65, v101, v65
	v_add_f32_e32 v64, v64, v65
	;; [unrolled: 1-line block ×3, first 2 shown]
	v_mul_f32_e32 v101, v100, v65
	v_mul_f32_e32 v68, v99, v101
	v_fma_f32 v70, v101, v99, -v68
	v_fmac_f32_e32 v70, v101, v55
	v_sub_f32_e32 v55, v69, v65
	v_add_f32_e32 v55, v64, v55
	v_add_f32_e32 v64, v68, v70
	v_sub_f32_e32 v69, v65, v64
	v_pk_add_f32 v[96:97], v[64:65], v[68:69] neg_lo:[0,1] neg_hi:[0,1]
	v_mov_b32_e32 v71, v64
	v_pk_add_f32 v[64:65], v[96:97], v[70:71] neg_lo:[0,1] neg_hi:[0,1]
	v_add_f32_e32 v55, v55, v65
	v_add_f32_e32 v55, v64, v55
	;; [unrolled: 1-line block ×4, first 2 shown]
	v_sub_f32_e32 v65, v64, v102
	v_mul_f32_e32 v55, v100, v55
	v_sub_f32_e32 v65, v101, v65
	v_add_f32_e32 v55, v65, v55
	v_add_f32_e32 v69, v64, v55
	v_mul_f32_e32 v70, v69, v69
	v_mov_b32_e32 v68, 0x3ecc95a3
	v_fmac_f32_e32 v68, 0x3e9b6dac, v70
	v_mov_b32_e32 v65, 0x3f2aaada
	v_fmac_f32_e32 v65, v70, v68
	v_cvt_f32_i32_e32 v68, v98
	v_sub_f32_e32 v64, v69, v64
	v_sub_f32_e32 v55, v55, v64
	v_ldexp_f32 v71, v69, 1
	v_mul_f32_e32 v69, v69, v70
	v_mov_b32_e32 v64, 0x3f317218
	s_mov_b32 s9, 0x3f317218
	v_pk_mul_f32 v[64:65], v[68:69], v[64:65]
	v_fma_f32 v70, v68, s9, -v64
	v_fmac_f32_e32 v70, 0xb102e308, v68
	v_pk_add_f32 v[68:69], v[64:65], v[70:71]
	v_sub_f32_e32 v71, v69, v71
	v_ldexp_f32 v55, v55, 1
	v_sub_f32_e32 v71, v65, v71
	v_add_f32_e32 v97, v55, v71
	v_mov_b32_e32 v96, v64
	v_pk_add_f32 v[64:65], v[68:69], v[64:65] neg_lo:[0,1] neg_hi:[0,1]
	v_pk_add_f32 v[98:99], v[68:69], v[96:97]
	v_mov_b32_e32 v65, v99
	v_mov_b32_e32 v71, v68
	v_pk_add_f32 v[100:101], v[70:71], v[64:65] neg_lo:[0,1] neg_hi:[0,1]
	v_pk_add_f32 v[64:65], v[70:71], v[64:65]
	v_mov_b32_e32 v70, v65
	v_pk_add_f32 v[102:103], v[70:71], v[68:69] neg_lo:[0,1] neg_hi:[0,1]
	v_mov_b32_e32 v55, v102
	v_pk_add_f32 v[112:113], v[98:99], v[54:55] neg_lo:[0,1] neg_hi:[0,1]
	v_mov_b32_e32 v64, v99
	v_mov_b32_e32 v98, v69
	;; [unrolled: 1-line block ×4, first 2 shown]
	v_pk_add_f32 v[64:65], v[64:65], v[98:99] neg_lo:[0,1] neg_hi:[0,1]
	v_mov_b32_e32 v96, v97
	v_mov_b32_e32 v97, v68
	v_pk_add_f32 v[64:65], v[96:97], v[64:65] neg_lo:[0,1] neg_hi:[0,1]
	v_mov_b32_e32 v112, v100
	v_pk_add_f32 v[68:69], v[112:113], v[64:65]
	v_mov_b32_e32 v96, v69
	v_pk_add_f32 v[96:97], v[68:69], v[96:97]
	v_pk_add_f32 v[70:71], v[70:71], v[96:97]
	v_mov_b32_e32 v69, v70
	v_pk_add_f32 v[98:99], v[68:69], v[100:101] neg_lo:[0,1] neg_hi:[0,1]
	v_mov_b32_e32 v65, v96
	v_sub_f32_e32 v55, v68, v98
	v_pk_add_f32 v[64:65], v[64:65], v[98:99] neg_lo:[0,1] neg_hi:[0,1]
	v_sub_f32_e32 v55, v100, v55
	s_mov_b32 s10, 0x7f800000
	v_add_f32_e32 v55, v64, v55
	s_mov_b32 s9, 0x33800000
	v_add_f32_e32 v55, v55, v65
	v_cmp_eq_f32_e32 vcc, s10, v114
	v_cmp_lt_f32_e64 s[10:11], |v114|, s9
	v_add_f32_e32 v55, v70, v55
	s_or_b64 vcc, vcc, s[10:11]
	v_cndmask_b32_e32 v55, v55, v114, vcc
	v_add_f32_e32 v54, v54, v55
	v_cvt_f16_f32_e32 v97, v54
	v_cvt_f32_f16_e32 v96, v97
	v_mov_b32_e32 v68, v97
.LBB353_234:
	s_or_b64 exec, exec, s[6:7]
	v_max_f32_e32 v54, v80, v80
	v_max_f32_e32 v55, v96, v96
	v_min_f32_e32 v64, v55, v54
	v_cmp_u_f16_e32 vcc, v97, v97
	v_max_f32_e32 v54, v55, v54
	v_cndmask_b32_e32 v64, v64, v96, vcc
	v_cndmask_b32_e32 v54, v54, v96, vcc
	v_cndmask_b32_e64 v64, v64, v80, s[40:41]
	v_cndmask_b32_e64 v55, v54, v80, s[40:41]
	v_cmp_neq_f32_e32 vcc, v64, v55
	v_cmp_class_f32_e64 s[6:7], v64, s8
	s_or_b64 s[8:9], vcc, s[6:7]
	v_mov_b32_e32 v54, v68
	s_and_saveexec_b64 s[6:7], s[8:9]
	s_cbranch_execz .LBB353_236
; %bb.235:
	v_sub_f32_e32 v54, v64, v55
	s_mov_b32 s8, 0x3fb8aa3b
	v_mul_f32_e32 v64, 0x3fb8aa3b, v54
	v_fma_f32 v65, v54, s8, -v64
	v_rndne_f32_e32 v69, v64
	v_fmac_f32_e32 v65, 0x32a5705f, v54
	v_sub_f32_e32 v64, v64, v69
	v_add_f32_e32 v64, v64, v65
	v_exp_f32_e32 v64, v64
	v_cvt_i32_f32_e32 v65, v69
	s_mov_b32 s8, 0xc2ce8ed0
	v_cmp_ngt_f32_e32 vcc, s8, v54
	s_mov_b32 s8, 0x42b17218
	v_ldexp_f32 v64, v64, v65
	v_cndmask_b32_e32 v64, 0, v64, vcc
	v_mov_b32_e32 v65, 0x7f800000
	v_cmp_nlt_f32_e32 vcc, s8, v54
	v_cndmask_b32_e32 v114, v65, v64, vcc
	v_add_f32_e32 v54, 1.0, v114
	v_add_f32_e32 v64, -1.0, v54
	v_sub_f32_e32 v65, v64, v54
	v_add_f32_e32 v65, 1.0, v65
	v_sub_f32_e32 v64, v114, v64
	v_add_f32_e32 v69, v64, v65
	v_frexp_mant_f32_e32 v70, v54
	s_mov_b32 s8, 0x3f2aaaab
	v_cvt_f64_f32_e32 v[64:65], v54
	v_frexp_exp_i32_f64_e32 v64, v[64:65]
	v_cmp_gt_f32_e32 vcc, s8, v70
	v_subbrev_co_u32_e32 v80, vcc, 0, v64, vcc
	v_sub_u32_e32 v64, 0, v80
	v_ldexp_f32 v54, v54, v64
	v_ldexp_f32 v64, v69, v64
	v_add_f32_e32 v69, -1.0, v54
	v_add_f32_e32 v65, 1.0, v69
	v_sub_f32_e32 v65, v54, v65
	v_add_f32_e32 v70, v64, v65
	v_add_f32_e32 v65, 1.0, v54
	v_add_f32_e32 v71, -1.0, v65
	v_sub_f32_e32 v54, v54, v71
	v_add_f32_e32 v54, v64, v54
	v_add_f32_e32 v100, v65, v54
	v_rcp_f32_e32 v101, v100
	v_sub_f32_e32 v64, v65, v100
	v_add_f32_e32 v65, v69, v70
	v_add_f32_e32 v54, v54, v64
	v_sub_f32_e32 v64, v69, v65
	v_mul_f32_e32 v102, v65, v101
	v_add_f32_e32 v69, v70, v64
	v_mul_f32_e32 v70, v100, v102
	v_fma_f32 v96, v102, v100, -v70
	v_fmac_f32_e32 v96, v102, v54
	v_add_f32_e32 v64, v70, v96
	v_sub_f32_e32 v71, v65, v64
	v_pk_add_f32 v[98:99], v[64:65], v[70:71] neg_lo:[0,1] neg_hi:[0,1]
	v_mov_b32_e32 v97, v64
	v_pk_add_f32 v[64:65], v[98:99], v[96:97] neg_lo:[0,1] neg_hi:[0,1]
	v_add_f32_e32 v65, v69, v65
	v_add_f32_e32 v64, v64, v65
	v_add_f32_e32 v65, v71, v64
	v_mul_f32_e32 v69, v101, v65
	v_mul_f32_e32 v70, v100, v69
	v_fma_f32 v96, v69, v100, -v70
	v_fmac_f32_e32 v96, v69, v54
	v_sub_f32_e32 v54, v71, v65
	v_add_f32_e32 v54, v64, v54
	v_add_f32_e32 v64, v70, v96
	v_sub_f32_e32 v71, v65, v64
	v_pk_add_f32 v[98:99], v[64:65], v[70:71] neg_lo:[0,1] neg_hi:[0,1]
	v_mov_b32_e32 v97, v64
	v_pk_add_f32 v[64:65], v[98:99], v[96:97] neg_lo:[0,1] neg_hi:[0,1]
	v_add_f32_e32 v54, v54, v65
	v_add_f32_e32 v54, v64, v54
	;; [unrolled: 1-line block ×4, first 2 shown]
	v_sub_f32_e32 v65, v64, v102
	v_mul_f32_e32 v54, v101, v54
	v_sub_f32_e32 v65, v69, v65
	v_add_f32_e32 v54, v65, v54
	v_add_f32_e32 v69, v64, v54
	v_mul_f32_e32 v71, v69, v69
	v_mov_b32_e32 v70, 0x3ecc95a3
	v_fmac_f32_e32 v70, 0x3e9b6dac, v71
	v_mov_b32_e32 v65, 0x3f2aaada
	v_fmac_f32_e32 v65, v71, v70
	v_cvt_f32_i32_e32 v70, v80
	v_sub_f32_e32 v64, v69, v64
	v_sub_f32_e32 v54, v54, v64
	v_mul_f32_e32 v71, v69, v71
	v_mov_b32_e32 v64, 0x3f317218
	s_mov_b32 s8, 0x3f317218
	v_pk_mul_f32 v[64:65], v[70:71], v[64:65]
	v_fma_f32 v96, v70, s8, -v64
	v_ldexp_f32 v97, v69, 1
	v_fmac_f32_e32 v96, 0xb102e308, v70
	v_pk_add_f32 v[70:71], v[64:65], v[96:97]
	v_sub_f32_e32 v69, v71, v97
	v_ldexp_f32 v54, v54, 1
	v_sub_f32_e32 v69, v65, v69
	v_add_f32_e32 v99, v54, v69
	v_mov_b32_e32 v98, v64
	v_pk_add_f32 v[64:65], v[70:71], v[64:65] neg_lo:[0,1] neg_hi:[0,1]
	v_pk_add_f32 v[100:101], v[70:71], v[98:99]
	v_mov_b32_e32 v65, v101
	v_mov_b32_e32 v97, v70
	v_pk_add_f32 v[102:103], v[96:97], v[64:65] neg_lo:[0,1] neg_hi:[0,1]
	v_pk_add_f32 v[64:65], v[96:97], v[64:65]
	v_mov_b32_e32 v54, v65
	v_pk_add_f32 v[96:97], v[54:55], v[70:71] neg_lo:[0,1] neg_hi:[0,1]
	v_mov_b32_e32 v69, v96
	v_pk_add_f32 v[112:113], v[100:101], v[68:69] neg_lo:[0,1] neg_hi:[0,1]
	v_mov_b32_e32 v64, v101
	v_mov_b32_e32 v100, v71
	;; [unrolled: 1-line block ×4, first 2 shown]
	v_pk_add_f32 v[64:65], v[64:65], v[100:101] neg_lo:[0,1] neg_hi:[0,1]
	v_mov_b32_e32 v96, v99
	v_mov_b32_e32 v97, v70
	v_pk_add_f32 v[64:65], v[96:97], v[64:65] neg_lo:[0,1] neg_hi:[0,1]
	v_mov_b32_e32 v112, v102
	v_pk_add_f32 v[70:71], v[112:113], v[64:65]
	v_mov_b32_e32 v80, v71
	v_pk_add_f32 v[96:97], v[70:71], v[80:81]
	v_pk_add_f32 v[98:99], v[54:55], v[96:97]
	v_mov_b32_e32 v71, v98
	v_pk_add_f32 v[100:101], v[70:71], v[102:103] neg_lo:[0,1] neg_hi:[0,1]
	v_mov_b32_e32 v65, v96
	v_sub_f32_e32 v54, v70, v100
	v_pk_add_f32 v[64:65], v[64:65], v[100:101] neg_lo:[0,1] neg_hi:[0,1]
	v_sub_f32_e32 v54, v102, v54
	s_mov_b32 s9, 0x7f800000
	v_add_f32_e32 v54, v64, v54
	s_mov_b32 s8, 0x33800000
	v_add_f32_e32 v54, v54, v65
	v_cmp_eq_f32_e32 vcc, s9, v114
	v_cmp_lt_f32_e64 s[8:9], |v114|, s8
	v_add_f32_e32 v54, v98, v54
	s_or_b64 vcc, vcc, s[8:9]
	v_cndmask_b32_e32 v54, v54, v114, vcc
	v_add_f32_e32 v54, v55, v54
	v_cvt_f16_f32_e32 v97, v54
	v_cvt_f32_f16_e32 v96, v97
	v_mov_b32_e32 v54, v97
.LBB353_236:
	s_or_b64 exec, exec, s[6:7]
	v_max_f32_e32 v55, v81, v81
	v_max_f32_e32 v65, v96, v96
	v_min_f32_e32 v64, v65, v55
	v_cmp_u_f16_e32 vcc, v97, v97
	v_max_f32_e32 v55, v65, v55
	v_cndmask_b32_e32 v64, v64, v96, vcc
	v_cndmask_b32_e32 v55, v55, v96, vcc
	v_cndmask_b32_e64 v64, v64, v81, s[42:43]
	v_cndmask_b32_e64 v55, v55, v81, s[42:43]
	s_movk_i32 s8, 0x1f8
	v_cmp_neq_f32_e32 vcc, v64, v55
	v_cmp_class_f32_e64 s[6:7], v64, s8
	s_or_b64 s[10:11], vcc, s[6:7]
	v_mov_b32_e32 v69, v54
	s_and_saveexec_b64 s[6:7], s[10:11]
	s_cbranch_execz .LBB353_238
; %bb.237:
	v_sub_f32_e32 v64, v64, v55
	s_mov_b32 s9, 0x3fb8aa3b
	v_mul_f32_e32 v65, 0x3fb8aa3b, v64
	v_fma_f32 v69, v64, s9, -v65
	v_rndne_f32_e32 v70, v65
	v_fmac_f32_e32 v69, 0x32a5705f, v64
	v_sub_f32_e32 v65, v65, v70
	v_add_f32_e32 v65, v65, v69
	v_exp_f32_e32 v65, v65
	v_cvt_i32_f32_e32 v69, v70
	s_mov_b32 s9, 0xc2ce8ed0
	v_cmp_ngt_f32_e32 vcc, s9, v64
	s_mov_b32 s9, 0x42b17218
	v_ldexp_f32 v65, v65, v69
	v_cndmask_b32_e32 v65, 0, v65, vcc
	v_mov_b32_e32 v69, 0x7f800000
	v_cmp_nlt_f32_e32 vcc, s9, v64
	v_cndmask_b32_e32 v114, v69, v65, vcc
	v_add_f32_e32 v69, 1.0, v114
	v_add_f32_e32 v64, -1.0, v69
	v_sub_f32_e32 v65, v64, v69
	v_add_f32_e32 v65, 1.0, v65
	v_sub_f32_e32 v64, v114, v64
	v_add_f32_e32 v70, v64, v65
	v_frexp_mant_f32_e32 v71, v69
	s_mov_b32 s9, 0x3f2aaaab
	v_cvt_f64_f32_e32 v[64:65], v69
	v_frexp_exp_i32_f64_e32 v64, v[64:65]
	v_cmp_gt_f32_e32 vcc, s9, v71
	v_subbrev_co_u32_e32 v98, vcc, 0, v64, vcc
	v_sub_u32_e32 v64, 0, v98
	v_ldexp_f32 v65, v69, v64
	v_add_f32_e32 v69, -1.0, v65
	v_add_f32_e32 v71, 1.0, v65
	v_ldexp_f32 v64, v70, v64
	v_add_f32_e32 v70, 1.0, v69
	v_add_f32_e32 v80, -1.0, v71
	v_sub_f32_e32 v70, v65, v70
	v_sub_f32_e32 v65, v65, v80
	v_add_f32_e32 v70, v64, v70
	v_add_f32_e32 v64, v64, v65
	;; [unrolled: 1-line block ×3, first 2 shown]
	v_rcp_f32_e32 v101, v99
	v_sub_f32_e32 v65, v71, v99
	v_add_f32_e32 v100, v64, v65
	v_add_f32_e32 v65, v69, v70
	v_sub_f32_e32 v64, v69, v65
	v_mul_f32_e32 v102, v65, v101
	v_add_f32_e32 v69, v70, v64
	v_mul_f32_e32 v70, v99, v102
	v_fma_f32 v80, v102, v99, -v70
	v_fmac_f32_e32 v80, v102, v100
	v_add_f32_e32 v64, v70, v80
	v_sub_f32_e32 v71, v65, v64
	v_pk_add_f32 v[96:97], v[64:65], v[70:71] neg_lo:[0,1] neg_hi:[0,1]
	v_mov_b32_e32 v81, v64
	v_pk_add_f32 v[64:65], v[96:97], v[80:81] neg_lo:[0,1] neg_hi:[0,1]
	v_add_f32_e32 v65, v69, v65
	v_add_f32_e32 v64, v64, v65
	;; [unrolled: 1-line block ×3, first 2 shown]
	v_mul_f32_e32 v69, v101, v65
	v_mul_f32_e32 v70, v99, v69
	v_fma_f32 v80, v69, v99, -v70
	v_fmac_f32_e32 v80, v69, v100
	v_sub_f32_e32 v71, v71, v65
	v_add_f32_e32 v99, v64, v71
	v_add_f32_e32 v64, v70, v80
	v_sub_f32_e32 v71, v65, v64
	v_pk_add_f32 v[96:97], v[64:65], v[70:71] neg_lo:[0,1] neg_hi:[0,1]
	v_mov_b32_e32 v81, v64
	v_pk_add_f32 v[64:65], v[96:97], v[80:81] neg_lo:[0,1] neg_hi:[0,1]
	v_add_f32_e32 v65, v99, v65
	v_add_f32_e32 v64, v64, v65
	;; [unrolled: 1-line block ×4, first 2 shown]
	v_sub_f32_e32 v65, v71, v102
	v_mul_f32_e32 v64, v101, v64
	v_sub_f32_e32 v65, v69, v65
	v_add_f32_e32 v64, v65, v64
	v_add_f32_e32 v69, v71, v64
	v_mul_f32_e32 v80, v69, v69
	v_mov_b32_e32 v70, 0x3ecc95a3
	v_fmac_f32_e32 v70, 0x3e9b6dac, v80
	v_mov_b32_e32 v65, 0x3f2aaada
	v_fmac_f32_e32 v65, v80, v70
	v_cvt_f32_i32_e32 v70, v98
	v_sub_f32_e32 v71, v69, v71
	v_sub_f32_e32 v64, v64, v71
	v_ldexp_f32 v96, v64, 1
	v_mul_f32_e32 v71, v69, v80
	v_mov_b32_e32 v64, 0x3f317218
	s_mov_b32 s9, 0x3f317218
	v_pk_mul_f32 v[64:65], v[70:71], v[64:65]
	v_fma_f32 v80, v70, s9, -v64
	v_ldexp_f32 v81, v69, 1
	v_fmac_f32_e32 v80, 0xb102e308, v70
	v_pk_add_f32 v[70:71], v[64:65], v[80:81]
	v_sub_f32_e32 v69, v71, v81
	v_sub_f32_e32 v69, v65, v69
	v_add_f32_e32 v97, v96, v69
	v_mov_b32_e32 v96, v64
	v_pk_add_f32 v[64:65], v[70:71], v[64:65] neg_lo:[0,1] neg_hi:[0,1]
	v_pk_add_f32 v[98:99], v[70:71], v[96:97]
	v_mov_b32_e32 v65, v99
	v_mov_b32_e32 v81, v70
	v_pk_add_f32 v[100:101], v[80:81], v[64:65] neg_lo:[0,1] neg_hi:[0,1]
	v_pk_add_f32 v[64:65], v[80:81], v[64:65]
	v_mov_b32_e32 v80, v65
	v_pk_add_f32 v[102:103], v[80:81], v[70:71] neg_lo:[0,1] neg_hi:[0,1]
	v_mov_b32_e32 v69, v102
	v_pk_add_f32 v[112:113], v[98:99], v[68:69] neg_lo:[0,1] neg_hi:[0,1]
	v_mov_b32_e32 v64, v99
	v_mov_b32_e32 v98, v71
	;; [unrolled: 1-line block ×4, first 2 shown]
	v_pk_add_f32 v[64:65], v[64:65], v[98:99] neg_lo:[0,1] neg_hi:[0,1]
	v_mov_b32_e32 v96, v97
	v_mov_b32_e32 v97, v70
	v_pk_add_f32 v[64:65], v[96:97], v[64:65] neg_lo:[0,1] neg_hi:[0,1]
	v_mov_b32_e32 v112, v100
	v_pk_add_f32 v[70:71], v[112:113], v[64:65]
	v_mov_b32_e32 v96, v71
	v_pk_add_f32 v[96:97], v[70:71], v[96:97]
	v_pk_add_f32 v[80:81], v[80:81], v[96:97]
	v_mov_b32_e32 v71, v80
	v_pk_add_f32 v[98:99], v[70:71], v[100:101] neg_lo:[0,1] neg_hi:[0,1]
	v_mov_b32_e32 v65, v96
	v_sub_f32_e32 v69, v70, v98
	v_pk_add_f32 v[64:65], v[64:65], v[98:99] neg_lo:[0,1] neg_hi:[0,1]
	v_sub_f32_e32 v69, v100, v69
	s_mov_b32 s10, 0x7f800000
	v_add_f32_e32 v64, v64, v69
	s_mov_b32 s9, 0x33800000
	v_add_f32_e32 v64, v64, v65
	v_cmp_eq_f32_e32 vcc, s10, v114
	v_cmp_lt_f32_e64 s[10:11], |v114|, s9
	v_add_f32_e32 v64, v80, v64
	s_or_b64 vcc, vcc, s[10:11]
	v_cndmask_b32_e32 v64, v64, v114, vcc
	v_add_f32_e32 v55, v55, v64
	v_cvt_f16_f32_e32 v97, v55
	v_cvt_f32_f16_e32 v96, v97
	v_mov_b32_e32 v69, v97
.LBB353_238:
	s_or_b64 exec, exec, s[6:7]
	v_max_f32_e32 v55, v82, v82
	v_max_f32_e32 v64, v96, v96
	v_min_f32_e32 v65, v64, v55
	v_cmp_u_f16_e32 vcc, v97, v97
	v_max_f32_e32 v55, v64, v55
	v_cndmask_b32_e32 v65, v65, v96, vcc
	v_cndmask_b32_e32 v55, v55, v96, vcc
	v_cndmask_b32_e64 v65, v65, v82, s[44:45]
	v_cndmask_b32_e64 v64, v55, v82, s[44:45]
	v_cmp_neq_f32_e32 vcc, v65, v64
	v_cmp_class_f32_e64 s[6:7], v65, s8
	s_or_b64 s[8:9], vcc, s[6:7]
	v_mov_b32_e32 v55, v69
	s_and_saveexec_b64 s[6:7], s[8:9]
	s_cbranch_execz .LBB353_240
; %bb.239:
	v_sub_f32_e32 v55, v65, v64
	s_mov_b32 s8, 0x3fb8aa3b
	v_mul_f32_e32 v65, 0x3fb8aa3b, v55
	v_fma_f32 v70, v55, s8, -v65
	v_rndne_f32_e32 v71, v65
	v_fmac_f32_e32 v70, 0x32a5705f, v55
	v_sub_f32_e32 v65, v65, v71
	v_add_f32_e32 v65, v65, v70
	v_exp_f32_e32 v65, v65
	v_cvt_i32_f32_e32 v70, v71
	s_mov_b32 s8, 0xc2ce8ed0
	v_cmp_ngt_f32_e32 vcc, s8, v55
	s_mov_b32 s8, 0x42b17218
	v_ldexp_f32 v65, v65, v70
	v_cndmask_b32_e32 v65, 0, v65, vcc
	v_mov_b32_e32 v70, 0x7f800000
	v_cmp_nlt_f32_e32 vcc, s8, v55
	v_cndmask_b32_e32 v65, v70, v65, vcc
	v_add_f32_e32 v55, 1.0, v65
	v_add_f32_e32 v70, -1.0, v55
	v_sub_f32_e32 v71, v70, v55
	v_add_f32_e32 v71, 1.0, v71
	v_sub_f32_e32 v70, v65, v70
	v_add_f32_e32 v80, v70, v71
	v_frexp_mant_f32_e32 v81, v55
	s_mov_b32 s8, 0x3f2aaaab
	v_cvt_f64_f32_e32 v[70:71], v55
	v_frexp_exp_i32_f64_e32 v70, v[70:71]
	v_cmp_gt_f32_e32 vcc, s8, v81
	v_subbrev_co_u32_e32 v82, vcc, 0, v70, vcc
	v_sub_u32_e32 v70, 0, v82
	v_ldexp_f32 v55, v55, v70
	v_ldexp_f32 v70, v80, v70
	v_add_f32_e32 v80, -1.0, v55
	v_add_f32_e32 v71, 1.0, v80
	v_sub_f32_e32 v71, v55, v71
	v_add_f32_e32 v81, v70, v71
	v_add_f32_e32 v71, 1.0, v55
	v_add_f32_e32 v96, -1.0, v71
	v_sub_f32_e32 v55, v55, v96
	v_add_f32_e32 v55, v70, v55
	v_add_f32_e32 v100, v71, v55
	v_rcp_f32_e32 v101, v100
	v_sub_f32_e32 v70, v71, v100
	v_add_f32_e32 v71, v80, v81
	v_add_f32_e32 v55, v55, v70
	v_mul_f32_e32 v103, v71, v101
	v_sub_f32_e32 v70, v80, v71
	v_mul_f32_e32 v80, v100, v103
	v_fma_f32 v96, v103, v100, -v80
	v_fmac_f32_e32 v96, v103, v55
	v_add_f32_e32 v102, v81, v70
	v_add_f32_e32 v70, v80, v96
	v_sub_f32_e32 v81, v71, v70
	v_pk_add_f32 v[98:99], v[70:71], v[80:81] neg_lo:[0,1] neg_hi:[0,1]
	v_mov_b32_e32 v97, v70
	v_pk_add_f32 v[70:71], v[98:99], v[96:97] neg_lo:[0,1] neg_hi:[0,1]
	v_add_f32_e32 v71, v102, v71
	v_add_f32_e32 v70, v70, v71
	;; [unrolled: 1-line block ×3, first 2 shown]
	v_mul_f32_e32 v102, v101, v71
	v_mul_f32_e32 v80, v100, v102
	v_fma_f32 v96, v102, v100, -v80
	v_fmac_f32_e32 v96, v102, v55
	v_sub_f32_e32 v55, v81, v71
	v_add_f32_e32 v55, v70, v55
	v_add_f32_e32 v70, v80, v96
	v_sub_f32_e32 v81, v71, v70
	v_pk_add_f32 v[98:99], v[70:71], v[80:81] neg_lo:[0,1] neg_hi:[0,1]
	v_mov_b32_e32 v97, v70
	v_pk_add_f32 v[70:71], v[98:99], v[96:97] neg_lo:[0,1] neg_hi:[0,1]
	v_add_f32_e32 v55, v55, v71
	v_add_f32_e32 v55, v70, v55
	;; [unrolled: 1-line block ×4, first 2 shown]
	v_sub_f32_e32 v71, v70, v103
	v_mul_f32_e32 v55, v101, v55
	v_sub_f32_e32 v71, v102, v71
	v_add_f32_e32 v55, v71, v55
	v_add_f32_e32 v81, v70, v55
	v_mul_f32_e32 v96, v81, v81
	v_mov_b32_e32 v80, 0x3ecc95a3
	v_fmac_f32_e32 v80, 0x3e9b6dac, v96
	v_mov_b32_e32 v71, 0x3f2aaada
	v_fmac_f32_e32 v71, v96, v80
	v_cvt_f32_i32_e32 v80, v82
	v_sub_f32_e32 v70, v81, v70
	v_sub_f32_e32 v55, v55, v70
	v_ldexp_f32 v97, v81, 1
	v_mul_f32_e32 v81, v81, v96
	v_mov_b32_e32 v70, 0x3f317218
	s_mov_b32 s8, 0x3f317218
	v_pk_mul_f32 v[70:71], v[80:81], v[70:71]
	v_fma_f32 v96, v80, s8, -v70
	v_fmac_f32_e32 v96, 0xb102e308, v80
	v_pk_add_f32 v[80:81], v[70:71], v[96:97]
	v_sub_f32_e32 v82, v81, v97
	v_ldexp_f32 v55, v55, 1
	v_sub_f32_e32 v82, v71, v82
	v_add_f32_e32 v99, v55, v82
	v_mov_b32_e32 v98, v70
	v_pk_add_f32 v[70:71], v[80:81], v[70:71] neg_lo:[0,1] neg_hi:[0,1]
	v_pk_add_f32 v[100:101], v[80:81], v[98:99]
	v_mov_b32_e32 v71, v101
	v_mov_b32_e32 v97, v80
	v_pk_add_f32 v[102:103], v[96:97], v[70:71] neg_lo:[0,1] neg_hi:[0,1]
	v_pk_add_f32 v[70:71], v[96:97], v[70:71]
	v_mov_b32_e32 v82, v71
	v_pk_add_f32 v[96:97], v[82:83], v[80:81] neg_lo:[0,1] neg_hi:[0,1]
	v_mov_b32_e32 v55, v96
	v_pk_add_f32 v[112:113], v[100:101], v[54:55] neg_lo:[0,1] neg_hi:[0,1]
	v_mov_b32_e32 v70, v101
	v_mov_b32_e32 v100, v81
	;; [unrolled: 1-line block ×4, first 2 shown]
	v_pk_add_f32 v[70:71], v[70:71], v[100:101] neg_lo:[0,1] neg_hi:[0,1]
	v_mov_b32_e32 v96, v99
	v_mov_b32_e32 v97, v80
	v_pk_add_f32 v[70:71], v[96:97], v[70:71] neg_lo:[0,1] neg_hi:[0,1]
	v_mov_b32_e32 v112, v102
	v_pk_add_f32 v[80:81], v[112:113], v[70:71]
	v_mov_b32_e32 v96, v81
	v_pk_add_f32 v[96:97], v[80:81], v[96:97]
	v_pk_add_f32 v[98:99], v[82:83], v[96:97]
	v_mov_b32_e32 v81, v98
	v_pk_add_f32 v[100:101], v[80:81], v[102:103] neg_lo:[0,1] neg_hi:[0,1]
	v_mov_b32_e32 v71, v96
	v_sub_f32_e32 v55, v80, v100
	v_pk_add_f32 v[70:71], v[70:71], v[100:101] neg_lo:[0,1] neg_hi:[0,1]
	v_sub_f32_e32 v55, v102, v55
	s_mov_b32 s9, 0x7f800000
	v_add_f32_e32 v55, v70, v55
	s_mov_b32 s8, 0x33800000
	v_add_f32_e32 v55, v55, v71
	v_cmp_eq_f32_e32 vcc, s9, v65
	v_cmp_lt_f32_e64 s[8:9], |v65|, s8
	v_add_f32_e32 v55, v98, v55
	s_or_b64 vcc, vcc, s[8:9]
	v_cndmask_b32_e32 v55, v55, v65, vcc
	v_add_f32_e32 v55, v64, v55
	v_cvt_f16_f32_e32 v97, v55
	v_cvt_f32_f16_e32 v96, v97
	v_mov_b32_e32 v55, v97
.LBB353_240:
	s_or_b64 exec, exec, s[6:7]
	v_max_f32_e32 v64, v83, v83
	v_max_f32_e32 v70, v96, v96
	v_min_f32_e32 v65, v70, v64
	v_cmp_u_f16_e32 vcc, v97, v97
	v_max_f32_e32 v64, v70, v64
	v_cndmask_b32_e32 v65, v65, v96, vcc
	v_cndmask_b32_e32 v64, v64, v96, vcc
	v_cndmask_b32_e64 v65, v65, v83, s[46:47]
	v_cndmask_b32_e64 v64, v64, v83, s[46:47]
	s_movk_i32 s8, 0x1f8
	v_cmp_neq_f32_e32 vcc, v65, v64
	v_cmp_class_f32_e64 s[6:7], v65, s8
	s_or_b64 s[10:11], vcc, s[6:7]
	v_mov_b32_e32 v70, v55
	s_and_saveexec_b64 s[6:7], s[10:11]
	s_cbranch_execz .LBB353_242
; %bb.241:
	v_sub_f32_e32 v65, v65, v64
	s_mov_b32 s9, 0x3fb8aa3b
	v_mul_f32_e32 v70, 0x3fb8aa3b, v65
	v_fma_f32 v71, v65, s9, -v70
	v_rndne_f32_e32 v80, v70
	v_fmac_f32_e32 v71, 0x32a5705f, v65
	v_sub_f32_e32 v70, v70, v80
	v_add_f32_e32 v70, v70, v71
	v_exp_f32_e32 v70, v70
	v_cvt_i32_f32_e32 v71, v80
	s_mov_b32 s9, 0xc2ce8ed0
	v_cmp_ngt_f32_e32 vcc, s9, v65
	s_mov_b32 s9, 0x42b17218
	v_ldexp_f32 v70, v70, v71
	v_cndmask_b32_e32 v70, 0, v70, vcc
	v_mov_b32_e32 v71, 0x7f800000
	v_cmp_nlt_f32_e32 vcc, s9, v65
	v_cndmask_b32_e32 v114, v71, v70, vcc
	v_add_f32_e32 v65, 1.0, v114
	v_add_f32_e32 v70, -1.0, v65
	v_sub_f32_e32 v71, v70, v65
	v_add_f32_e32 v71, 1.0, v71
	v_sub_f32_e32 v70, v114, v70
	v_add_f32_e32 v80, v70, v71
	v_frexp_mant_f32_e32 v81, v65
	s_mov_b32 s9, 0x3f2aaaab
	v_cvt_f64_f32_e32 v[70:71], v65
	v_frexp_exp_i32_f64_e32 v70, v[70:71]
	v_cmp_gt_f32_e32 vcc, s9, v81
	v_subbrev_co_u32_e32 v98, vcc, 0, v70, vcc
	v_sub_u32_e32 v70, 0, v98
	v_ldexp_f32 v65, v65, v70
	v_ldexp_f32 v70, v80, v70
	v_add_f32_e32 v80, -1.0, v65
	v_add_f32_e32 v71, 1.0, v80
	v_sub_f32_e32 v71, v65, v71
	v_add_f32_e32 v81, v70, v71
	v_add_f32_e32 v71, 1.0, v65
	v_add_f32_e32 v82, -1.0, v71
	v_sub_f32_e32 v65, v65, v82
	v_add_f32_e32 v65, v70, v65
	v_add_f32_e32 v99, v71, v65
	v_rcp_f32_e32 v100, v99
	v_sub_f32_e32 v70, v71, v99
	v_add_f32_e32 v71, v80, v81
	v_add_f32_e32 v65, v65, v70
	v_mul_f32_e32 v102, v71, v100
	v_sub_f32_e32 v70, v80, v71
	v_mul_f32_e32 v80, v99, v102
	v_fma_f32 v82, v102, v99, -v80
	v_fmac_f32_e32 v82, v102, v65
	v_add_f32_e32 v101, v81, v70
	v_add_f32_e32 v70, v80, v82
	v_sub_f32_e32 v81, v71, v70
	v_pk_add_f32 v[96:97], v[70:71], v[80:81] neg_lo:[0,1] neg_hi:[0,1]
	v_mov_b32_e32 v83, v70
	v_pk_add_f32 v[70:71], v[96:97], v[82:83] neg_lo:[0,1] neg_hi:[0,1]
	v_add_f32_e32 v71, v101, v71
	v_add_f32_e32 v70, v70, v71
	;; [unrolled: 1-line block ×3, first 2 shown]
	v_mul_f32_e32 v101, v100, v71
	v_mul_f32_e32 v80, v99, v101
	v_fma_f32 v82, v101, v99, -v80
	v_fmac_f32_e32 v82, v101, v65
	v_sub_f32_e32 v65, v81, v71
	v_add_f32_e32 v65, v70, v65
	v_add_f32_e32 v70, v80, v82
	v_sub_f32_e32 v81, v71, v70
	v_pk_add_f32 v[96:97], v[70:71], v[80:81] neg_lo:[0,1] neg_hi:[0,1]
	v_mov_b32_e32 v83, v70
	v_pk_add_f32 v[70:71], v[96:97], v[82:83] neg_lo:[0,1] neg_hi:[0,1]
	v_add_f32_e32 v65, v65, v71
	v_add_f32_e32 v65, v70, v65
	;; [unrolled: 1-line block ×4, first 2 shown]
	v_sub_f32_e32 v71, v70, v102
	v_mul_f32_e32 v65, v100, v65
	v_sub_f32_e32 v71, v101, v71
	v_add_f32_e32 v65, v71, v65
	v_add_f32_e32 v81, v70, v65
	v_mul_f32_e32 v82, v81, v81
	v_mov_b32_e32 v80, 0x3ecc95a3
	v_fmac_f32_e32 v80, 0x3e9b6dac, v82
	v_mov_b32_e32 v71, 0x3f2aaada
	v_fmac_f32_e32 v71, v82, v80
	v_cvt_f32_i32_e32 v80, v98
	v_sub_f32_e32 v70, v81, v70
	v_sub_f32_e32 v65, v65, v70
	v_ldexp_f32 v83, v81, 1
	v_mul_f32_e32 v81, v81, v82
	v_mov_b32_e32 v70, 0x3f317218
	s_mov_b32 s9, 0x3f317218
	v_pk_mul_f32 v[70:71], v[80:81], v[70:71]
	v_fma_f32 v82, v80, s9, -v70
	v_fmac_f32_e32 v82, 0xb102e308, v80
	v_pk_add_f32 v[80:81], v[70:71], v[82:83]
	v_sub_f32_e32 v83, v81, v83
	v_ldexp_f32 v65, v65, 1
	v_sub_f32_e32 v83, v71, v83
	v_add_f32_e32 v97, v65, v83
	v_mov_b32_e32 v96, v70
	v_pk_add_f32 v[70:71], v[80:81], v[70:71] neg_lo:[0,1] neg_hi:[0,1]
	v_pk_add_f32 v[98:99], v[80:81], v[96:97]
	v_mov_b32_e32 v71, v99
	v_mov_b32_e32 v83, v80
	v_pk_add_f32 v[100:101], v[82:83], v[70:71] neg_lo:[0,1] neg_hi:[0,1]
	v_pk_add_f32 v[70:71], v[82:83], v[70:71]
	v_mov_b32_e32 v82, v71
	v_pk_add_f32 v[102:103], v[82:83], v[80:81] neg_lo:[0,1] neg_hi:[0,1]
	v_mov_b32_e32 v65, v102
	v_pk_add_f32 v[112:113], v[98:99], v[64:65] neg_lo:[0,1] neg_hi:[0,1]
	v_mov_b32_e32 v70, v99
	v_mov_b32_e32 v98, v81
	;; [unrolled: 1-line block ×4, first 2 shown]
	v_pk_add_f32 v[70:71], v[70:71], v[98:99] neg_lo:[0,1] neg_hi:[0,1]
	v_mov_b32_e32 v96, v97
	v_mov_b32_e32 v97, v80
	v_pk_add_f32 v[70:71], v[96:97], v[70:71] neg_lo:[0,1] neg_hi:[0,1]
	v_mov_b32_e32 v112, v100
	v_pk_add_f32 v[80:81], v[112:113], v[70:71]
	v_mov_b32_e32 v96, v81
	v_pk_add_f32 v[96:97], v[80:81], v[96:97]
	v_pk_add_f32 v[82:83], v[82:83], v[96:97]
	v_mov_b32_e32 v81, v82
	v_pk_add_f32 v[98:99], v[80:81], v[100:101] neg_lo:[0,1] neg_hi:[0,1]
	v_mov_b32_e32 v71, v96
	v_sub_f32_e32 v65, v80, v98
	v_pk_add_f32 v[70:71], v[70:71], v[98:99] neg_lo:[0,1] neg_hi:[0,1]
	v_sub_f32_e32 v65, v100, v65
	s_mov_b32 s10, 0x7f800000
	v_add_f32_e32 v65, v70, v65
	s_mov_b32 s9, 0x33800000
	v_add_f32_e32 v65, v65, v71
	v_cmp_eq_f32_e32 vcc, s10, v114
	v_cmp_lt_f32_e64 s[10:11], |v114|, s9
	v_add_f32_e32 v65, v82, v65
	s_or_b64 vcc, vcc, s[10:11]
	v_cndmask_b32_e32 v65, v65, v114, vcc
	v_add_f32_e32 v64, v64, v65
	v_cvt_f16_f32_e32 v97, v64
	v_cvt_f32_f16_e32 v96, v97
	v_mov_b32_e32 v70, v97
.LBB353_242:
	s_or_b64 exec, exec, s[6:7]
	v_max_f32_e32 v64, v84, v84
	v_max_f32_e32 v65, v96, v96
	v_min_f32_e32 v71, v65, v64
	v_cmp_u_f16_e32 vcc, v97, v97
	v_max_f32_e32 v64, v65, v64
	v_cndmask_b32_e32 v71, v71, v96, vcc
	v_cndmask_b32_e32 v64, v64, v96, vcc
	v_cndmask_b32_e64 v71, v71, v84, s[48:49]
	v_cndmask_b32_e64 v65, v64, v84, s[48:49]
	v_cmp_neq_f32_e32 vcc, v71, v65
	v_cmp_class_f32_e64 s[6:7], v71, s8
	s_or_b64 s[8:9], vcc, s[6:7]
	v_mov_b32_e32 v64, v70
	s_and_saveexec_b64 s[6:7], s[8:9]
	s_cbranch_execz .LBB353_244
; %bb.243:
	v_sub_f32_e32 v64, v71, v65
	s_mov_b32 s8, 0x3fb8aa3b
	v_mul_f32_e32 v71, 0x3fb8aa3b, v64
	v_fma_f32 v80, v64, s8, -v71
	v_rndne_f32_e32 v81, v71
	v_fmac_f32_e32 v80, 0x32a5705f, v64
	v_sub_f32_e32 v71, v71, v81
	v_add_f32_e32 v71, v71, v80
	v_exp_f32_e32 v71, v71
	v_cvt_i32_f32_e32 v80, v81
	s_mov_b32 s8, 0xc2ce8ed0
	v_cmp_ngt_f32_e32 vcc, s8, v64
	s_mov_b32 s8, 0x42b17218
	v_ldexp_f32 v71, v71, v80
	v_cndmask_b32_e32 v71, 0, v71, vcc
	v_mov_b32_e32 v80, 0x7f800000
	v_cmp_nlt_f32_e32 vcc, s8, v64
	v_cndmask_b32_e32 v114, v80, v71, vcc
	v_add_f32_e32 v64, 1.0, v114
	v_add_f32_e32 v71, -1.0, v64
	v_sub_f32_e32 v80, v71, v64
	v_add_f32_e32 v80, 1.0, v80
	v_sub_f32_e32 v71, v114, v71
	v_add_f32_e32 v71, v71, v80
	v_frexp_mant_f32_e32 v82, v64
	s_mov_b32 s8, 0x3f2aaaab
	v_cvt_f64_f32_e32 v[80:81], v64
	v_frexp_exp_i32_f64_e32 v80, v[80:81]
	v_cmp_gt_f32_e32 vcc, s8, v82
	v_subbrev_co_u32_e32 v84, vcc, 0, v80, vcc
	v_sub_u32_e32 v80, 0, v84
	v_ldexp_f32 v64, v64, v80
	v_ldexp_f32 v71, v71, v80
	v_add_f32_e32 v80, -1.0, v64
	v_add_f32_e32 v81, 1.0, v80
	v_sub_f32_e32 v81, v64, v81
	v_add_f32_e32 v82, v71, v81
	v_add_f32_e32 v81, 1.0, v64
	v_add_f32_e32 v83, -1.0, v81
	v_sub_f32_e32 v64, v64, v83
	v_add_f32_e32 v64, v71, v64
	v_add_f32_e32 v71, v81, v64
	v_rcp_f32_e32 v100, v71
	v_sub_f32_e32 v81, v81, v71
	v_add_f32_e32 v64, v64, v81
	v_add_f32_e32 v81, v80, v82
	v_sub_f32_e32 v80, v80, v81
	v_mul_f32_e32 v102, v81, v100
	v_add_f32_e32 v101, v82, v80
	v_mul_f32_e32 v82, v71, v102
	v_fma_f32 v96, v102, v71, -v82
	v_fmac_f32_e32 v96, v102, v64
	v_add_f32_e32 v80, v82, v96
	v_sub_f32_e32 v83, v81, v80
	v_pk_add_f32 v[98:99], v[80:81], v[82:83] neg_lo:[0,1] neg_hi:[0,1]
	v_mov_b32_e32 v97, v80
	v_pk_add_f32 v[80:81], v[98:99], v[96:97] neg_lo:[0,1] neg_hi:[0,1]
	v_add_f32_e32 v81, v101, v81
	v_add_f32_e32 v80, v80, v81
	v_add_f32_e32 v81, v83, v80
	v_mul_f32_e32 v101, v100, v81
	v_mul_f32_e32 v82, v71, v101
	v_fma_f32 v96, v101, v71, -v82
	v_fmac_f32_e32 v96, v101, v64
	v_sub_f32_e32 v64, v83, v81
	v_add_f32_e32 v64, v80, v64
	v_add_f32_e32 v80, v82, v96
	v_sub_f32_e32 v83, v81, v80
	v_pk_add_f32 v[98:99], v[80:81], v[82:83] neg_lo:[0,1] neg_hi:[0,1]
	v_mov_b32_e32 v97, v80
	v_pk_add_f32 v[80:81], v[98:99], v[96:97] neg_lo:[0,1] neg_hi:[0,1]
	v_add_f32_e32 v64, v64, v81
	v_add_f32_e32 v64, v80, v64
	;; [unrolled: 1-line block ×4, first 2 shown]
	v_sub_f32_e32 v80, v71, v102
	v_mul_f32_e32 v64, v100, v64
	v_sub_f32_e32 v80, v101, v80
	v_add_f32_e32 v64, v80, v64
	v_add_f32_e32 v80, v71, v64
	v_mul_f32_e32 v83, v80, v80
	v_mov_b32_e32 v82, 0x3ecc95a3
	v_fmac_f32_e32 v82, 0x3e9b6dac, v83
	v_mov_b32_e32 v81, 0x3f2aaada
	v_fmac_f32_e32 v81, v83, v82
	v_cvt_f32_i32_e32 v82, v84
	v_sub_f32_e32 v71, v80, v71
	v_ldexp_f32 v97, v80, 1
	v_mul_f32_e32 v83, v80, v83
	v_mov_b32_e32 v80, 0x3f317218
	s_mov_b32 s8, 0x3f317218
	v_pk_mul_f32 v[80:81], v[82:83], v[80:81]
	v_fma_f32 v96, v82, s8, -v80
	v_fmac_f32_e32 v96, 0xb102e308, v82
	v_pk_add_f32 v[82:83], v[80:81], v[96:97]
	v_sub_f32_e32 v64, v64, v71
	v_sub_f32_e32 v71, v83, v97
	v_ldexp_f32 v64, v64, 1
	v_sub_f32_e32 v71, v81, v71
	v_add_f32_e32 v99, v64, v71
	v_mov_b32_e32 v98, v80
	v_pk_add_f32 v[80:81], v[82:83], v[80:81] neg_lo:[0,1] neg_hi:[0,1]
	v_pk_add_f32 v[100:101], v[82:83], v[98:99]
	v_mov_b32_e32 v81, v101
	v_mov_b32_e32 v97, v82
	v_pk_add_f32 v[102:103], v[96:97], v[80:81] neg_lo:[0,1] neg_hi:[0,1]
	v_pk_add_f32 v[80:81], v[96:97], v[80:81]
	v_mov_b32_e32 v64, v81
	v_pk_add_f32 v[96:97], v[64:65], v[82:83] neg_lo:[0,1] neg_hi:[0,1]
	v_mov_b32_e32 v71, v96
	v_pk_add_f32 v[112:113], v[100:101], v[70:71] neg_lo:[0,1] neg_hi:[0,1]
	v_mov_b32_e32 v80, v101
	v_mov_b32_e32 v100, v83
	;; [unrolled: 1-line block ×4, first 2 shown]
	v_pk_add_f32 v[80:81], v[80:81], v[100:101] neg_lo:[0,1] neg_hi:[0,1]
	v_mov_b32_e32 v96, v99
	v_mov_b32_e32 v97, v82
	v_pk_add_f32 v[80:81], v[96:97], v[80:81] neg_lo:[0,1] neg_hi:[0,1]
	v_mov_b32_e32 v112, v102
	v_pk_add_f32 v[82:83], v[112:113], v[80:81]
	v_mov_b32_e32 v84, v83
	v_pk_add_f32 v[96:97], v[82:83], v[84:85]
	v_pk_add_f32 v[98:99], v[64:65], v[96:97]
	v_mov_b32_e32 v83, v98
	v_pk_add_f32 v[100:101], v[82:83], v[102:103] neg_lo:[0,1] neg_hi:[0,1]
	v_mov_b32_e32 v81, v96
	v_sub_f32_e32 v64, v82, v100
	v_pk_add_f32 v[80:81], v[80:81], v[100:101] neg_lo:[0,1] neg_hi:[0,1]
	v_sub_f32_e32 v64, v102, v64
	s_mov_b32 s9, 0x7f800000
	v_add_f32_e32 v64, v80, v64
	s_mov_b32 s8, 0x33800000
	v_add_f32_e32 v64, v64, v81
	v_cmp_eq_f32_e32 vcc, s9, v114
	v_cmp_lt_f32_e64 s[8:9], |v114|, s8
	v_add_f32_e32 v64, v98, v64
	s_or_b64 vcc, vcc, s[8:9]
	v_cndmask_b32_e32 v64, v64, v114, vcc
	v_add_f32_e32 v64, v65, v64
	v_cvt_f16_f32_e32 v97, v64
	v_cvt_f32_f16_e32 v96, v97
	v_mov_b32_e32 v64, v97
.LBB353_244:
	s_or_b64 exec, exec, s[6:7]
	v_max_f32_e32 v65, v85, v85
	v_max_f32_e32 v71, v96, v96
	v_min_f32_e32 v80, v71, v65
	v_cmp_u_f16_e32 vcc, v97, v97
	v_max_f32_e32 v65, v71, v65
	v_cndmask_b32_e32 v80, v80, v96, vcc
	v_cndmask_b32_e32 v65, v65, v96, vcc
	v_cndmask_b32_e64 v80, v80, v85, s[50:51]
	v_cndmask_b32_e64 v65, v65, v85, s[50:51]
	s_movk_i32 s8, 0x1f8
	v_cmp_neq_f32_e32 vcc, v80, v65
	v_cmp_class_f32_e64 s[6:7], v80, s8
	s_or_b64 s[10:11], vcc, s[6:7]
	v_mov_b32_e32 v71, v64
	s_and_saveexec_b64 s[6:7], s[10:11]
	s_cbranch_execz .LBB353_246
; %bb.245:
	v_sub_f32_e32 v71, v80, v65
	s_mov_b32 s9, 0x3fb8aa3b
	v_mul_f32_e32 v80, 0x3fb8aa3b, v71
	v_fma_f32 v81, v71, s9, -v80
	v_rndne_f32_e32 v82, v80
	v_fmac_f32_e32 v81, 0x32a5705f, v71
	v_sub_f32_e32 v80, v80, v82
	v_add_f32_e32 v80, v80, v81
	v_exp_f32_e32 v80, v80
	v_cvt_i32_f32_e32 v81, v82
	s_mov_b32 s9, 0xc2ce8ed0
	v_cmp_ngt_f32_e32 vcc, s9, v71
	s_mov_b32 s9, 0x42b17218
	v_ldexp_f32 v80, v80, v81
	v_cndmask_b32_e32 v80, 0, v80, vcc
	v_mov_b32_e32 v81, 0x7f800000
	v_cmp_nlt_f32_e32 vcc, s9, v71
	v_cndmask_b32_e32 v114, v81, v80, vcc
	v_add_f32_e32 v71, 1.0, v114
	v_add_f32_e32 v80, -1.0, v71
	v_sub_f32_e32 v81, v80, v71
	v_add_f32_e32 v81, 1.0, v81
	v_sub_f32_e32 v80, v114, v80
	v_add_f32_e32 v82, v80, v81
	v_frexp_mant_f32_e32 v83, v71
	s_mov_b32 s9, 0x3f2aaaab
	v_cvt_f64_f32_e32 v[80:81], v71
	v_frexp_exp_i32_f64_e32 v80, v[80:81]
	v_cmp_gt_f32_e32 vcc, s9, v83
	v_subbrev_co_u32_e32 v98, vcc, 0, v80, vcc
	v_sub_u32_e32 v80, 0, v98
	v_ldexp_f32 v71, v71, v80
	v_ldexp_f32 v80, v82, v80
	v_add_f32_e32 v82, -1.0, v71
	v_add_f32_e32 v81, 1.0, v82
	v_sub_f32_e32 v81, v71, v81
	v_add_f32_e32 v83, v80, v81
	v_add_f32_e32 v81, 1.0, v71
	v_add_f32_e32 v84, -1.0, v81
	v_sub_f32_e32 v71, v71, v84
	v_add_f32_e32 v71, v80, v71
	v_add_f32_e32 v99, v81, v71
	v_rcp_f32_e32 v100, v99
	v_sub_f32_e32 v80, v81, v99
	v_add_f32_e32 v81, v82, v83
	v_add_f32_e32 v71, v71, v80
	v_mul_f32_e32 v102, v81, v100
	v_sub_f32_e32 v80, v82, v81
	v_mul_f32_e32 v82, v99, v102
	v_fma_f32 v84, v102, v99, -v82
	v_fmac_f32_e32 v84, v102, v71
	v_add_f32_e32 v101, v83, v80
	v_add_f32_e32 v80, v82, v84
	v_sub_f32_e32 v83, v81, v80
	v_pk_add_f32 v[96:97], v[80:81], v[82:83] neg_lo:[0,1] neg_hi:[0,1]
	v_mov_b32_e32 v85, v80
	v_pk_add_f32 v[80:81], v[96:97], v[84:85] neg_lo:[0,1] neg_hi:[0,1]
	v_add_f32_e32 v81, v101, v81
	v_add_f32_e32 v80, v80, v81
	v_add_f32_e32 v81, v83, v80
	v_mul_f32_e32 v101, v100, v81
	v_mul_f32_e32 v82, v99, v101
	v_fma_f32 v84, v101, v99, -v82
	v_fmac_f32_e32 v84, v101, v71
	v_sub_f32_e32 v71, v83, v81
	v_add_f32_e32 v71, v80, v71
	v_add_f32_e32 v80, v82, v84
	v_sub_f32_e32 v83, v81, v80
	v_pk_add_f32 v[96:97], v[80:81], v[82:83] neg_lo:[0,1] neg_hi:[0,1]
	v_mov_b32_e32 v85, v80
	v_pk_add_f32 v[80:81], v[96:97], v[84:85] neg_lo:[0,1] neg_hi:[0,1]
	v_add_f32_e32 v71, v71, v81
	v_add_f32_e32 v71, v80, v71
	v_add_f32_e32 v80, v102, v101
	v_add_f32_e32 v71, v83, v71
	v_sub_f32_e32 v81, v80, v102
	v_mul_f32_e32 v71, v100, v71
	v_sub_f32_e32 v81, v101, v81
	v_add_f32_e32 v71, v81, v71
	v_add_f32_e32 v83, v80, v71
	v_mul_f32_e32 v84, v83, v83
	v_mov_b32_e32 v82, 0x3ecc95a3
	v_fmac_f32_e32 v82, 0x3e9b6dac, v84
	v_mov_b32_e32 v81, 0x3f2aaada
	v_fmac_f32_e32 v81, v84, v82
	v_cvt_f32_i32_e32 v82, v98
	v_sub_f32_e32 v80, v83, v80
	v_sub_f32_e32 v71, v71, v80
	v_ldexp_f32 v85, v83, 1
	v_mul_f32_e32 v83, v83, v84
	v_mov_b32_e32 v80, 0x3f317218
	s_mov_b32 s9, 0x3f317218
	v_pk_mul_f32 v[80:81], v[82:83], v[80:81]
	v_fma_f32 v84, v82, s9, -v80
	v_fmac_f32_e32 v84, 0xb102e308, v82
	v_pk_add_f32 v[82:83], v[80:81], v[84:85]
	v_sub_f32_e32 v85, v83, v85
	v_ldexp_f32 v71, v71, 1
	v_sub_f32_e32 v85, v81, v85
	v_add_f32_e32 v97, v71, v85
	v_mov_b32_e32 v96, v80
	v_pk_add_f32 v[80:81], v[82:83], v[80:81] neg_lo:[0,1] neg_hi:[0,1]
	v_pk_add_f32 v[98:99], v[82:83], v[96:97]
	v_mov_b32_e32 v81, v99
	v_mov_b32_e32 v85, v82
	v_pk_add_f32 v[100:101], v[84:85], v[80:81] neg_lo:[0,1] neg_hi:[0,1]
	v_pk_add_f32 v[80:81], v[84:85], v[80:81]
	v_mov_b32_e32 v84, v81
	v_pk_add_f32 v[102:103], v[84:85], v[82:83] neg_lo:[0,1] neg_hi:[0,1]
	v_mov_b32_e32 v71, v102
	v_pk_add_f32 v[112:113], v[98:99], v[70:71] neg_lo:[0,1] neg_hi:[0,1]
	v_mov_b32_e32 v80, v99
	v_mov_b32_e32 v98, v83
	;; [unrolled: 1-line block ×4, first 2 shown]
	v_pk_add_f32 v[80:81], v[80:81], v[98:99] neg_lo:[0,1] neg_hi:[0,1]
	v_mov_b32_e32 v96, v97
	v_mov_b32_e32 v97, v82
	v_pk_add_f32 v[80:81], v[96:97], v[80:81] neg_lo:[0,1] neg_hi:[0,1]
	v_mov_b32_e32 v112, v100
	v_pk_add_f32 v[82:83], v[112:113], v[80:81]
	v_mov_b32_e32 v96, v83
	v_pk_add_f32 v[96:97], v[82:83], v[96:97]
	v_pk_add_f32 v[84:85], v[84:85], v[96:97]
	v_mov_b32_e32 v83, v84
	v_pk_add_f32 v[98:99], v[82:83], v[100:101] neg_lo:[0,1] neg_hi:[0,1]
	v_mov_b32_e32 v81, v96
	v_sub_f32_e32 v71, v82, v98
	v_pk_add_f32 v[80:81], v[80:81], v[98:99] neg_lo:[0,1] neg_hi:[0,1]
	v_sub_f32_e32 v71, v100, v71
	s_mov_b32 s10, 0x7f800000
	v_add_f32_e32 v71, v80, v71
	s_mov_b32 s9, 0x33800000
	v_add_f32_e32 v71, v71, v81
	v_cmp_eq_f32_e32 vcc, s10, v114
	v_cmp_lt_f32_e64 s[10:11], |v114|, s9
	v_add_f32_e32 v71, v84, v71
	s_or_b64 vcc, vcc, s[10:11]
	v_cndmask_b32_e32 v71, v71, v114, vcc
	v_add_f32_e32 v65, v65, v71
	v_cvt_f16_f32_e32 v97, v65
	v_cvt_f32_f16_e32 v96, v97
	v_mov_b32_e32 v71, v97
.LBB353_246:
	s_or_b64 exec, exec, s[6:7]
	v_max_f32_e32 v65, v86, v86
	v_max_f32_e32 v80, v96, v96
	v_min_f32_e32 v81, v80, v65
	v_cmp_u_f16_e32 vcc, v97, v97
	v_max_f32_e32 v65, v80, v65
	v_cndmask_b32_e32 v81, v81, v96, vcc
	v_cndmask_b32_e32 v65, v65, v96, vcc
	v_cndmask_b32_e64 v81, v81, v86, s[52:53]
	v_cndmask_b32_e64 v80, v65, v86, s[52:53]
	v_cmp_neq_f32_e32 vcc, v81, v80
	v_cmp_class_f32_e64 s[6:7], v81, s8
	s_or_b64 s[8:9], vcc, s[6:7]
	v_mov_b32_e32 v65, v71
	s_and_saveexec_b64 s[6:7], s[8:9]
	s_cbranch_execz .LBB353_248
; %bb.247:
	v_sub_f32_e32 v65, v81, v80
	s_mov_b32 s8, 0x3fb8aa3b
	v_mul_f32_e32 v81, 0x3fb8aa3b, v65
	v_fma_f32 v82, v65, s8, -v81
	v_rndne_f32_e32 v83, v81
	v_fmac_f32_e32 v82, 0x32a5705f, v65
	v_sub_f32_e32 v81, v81, v83
	v_add_f32_e32 v81, v81, v82
	v_exp_f32_e32 v81, v81
	v_cvt_i32_f32_e32 v82, v83
	s_mov_b32 s8, 0xc2ce8ed0
	v_cmp_ngt_f32_e32 vcc, s8, v65
	s_mov_b32 s8, 0x42b17218
	v_ldexp_f32 v81, v81, v82
	v_cndmask_b32_e32 v81, 0, v81, vcc
	v_mov_b32_e32 v82, 0x7f800000
	v_cmp_nlt_f32_e32 vcc, s8, v65
	v_cndmask_b32_e32 v81, v82, v81, vcc
	v_add_f32_e32 v65, 1.0, v81
	v_add_f32_e32 v82, -1.0, v65
	v_sub_f32_e32 v83, v82, v65
	v_add_f32_e32 v83, 1.0, v83
	v_sub_f32_e32 v82, v81, v82
	v_add_f32_e32 v84, v82, v83
	v_frexp_mant_f32_e32 v85, v65
	s_mov_b32 s8, 0x3f2aaaab
	v_cvt_f64_f32_e32 v[82:83], v65
	v_frexp_exp_i32_f64_e32 v82, v[82:83]
	v_cmp_gt_f32_e32 vcc, s8, v85
	v_subbrev_co_u32_e32 v86, vcc, 0, v82, vcc
	v_sub_u32_e32 v82, 0, v86
	v_ldexp_f32 v65, v65, v82
	v_ldexp_f32 v82, v84, v82
	v_add_f32_e32 v84, -1.0, v65
	v_add_f32_e32 v83, 1.0, v84
	v_sub_f32_e32 v83, v65, v83
	v_add_f32_e32 v85, v82, v83
	v_add_f32_e32 v83, 1.0, v65
	v_add_f32_e32 v96, -1.0, v83
	v_sub_f32_e32 v65, v65, v96
	v_add_f32_e32 v65, v82, v65
	v_add_f32_e32 v100, v83, v65
	v_rcp_f32_e32 v101, v100
	v_sub_f32_e32 v82, v83, v100
	v_add_f32_e32 v83, v84, v85
	v_add_f32_e32 v65, v65, v82
	v_mul_f32_e32 v103, v83, v101
	v_sub_f32_e32 v82, v84, v83
	v_mul_f32_e32 v84, v100, v103
	v_fma_f32 v96, v103, v100, -v84
	v_fmac_f32_e32 v96, v103, v65
	v_add_f32_e32 v102, v85, v82
	v_add_f32_e32 v82, v84, v96
	v_sub_f32_e32 v85, v83, v82
	v_pk_add_f32 v[98:99], v[82:83], v[84:85] neg_lo:[0,1] neg_hi:[0,1]
	v_mov_b32_e32 v97, v82
	v_pk_add_f32 v[82:83], v[98:99], v[96:97] neg_lo:[0,1] neg_hi:[0,1]
	v_add_f32_e32 v83, v102, v83
	v_add_f32_e32 v82, v82, v83
	;; [unrolled: 1-line block ×3, first 2 shown]
	v_mul_f32_e32 v102, v101, v83
	v_mul_f32_e32 v84, v100, v102
	v_fma_f32 v96, v102, v100, -v84
	v_fmac_f32_e32 v96, v102, v65
	v_sub_f32_e32 v65, v85, v83
	v_add_f32_e32 v65, v82, v65
	v_add_f32_e32 v82, v84, v96
	v_sub_f32_e32 v85, v83, v82
	v_pk_add_f32 v[98:99], v[82:83], v[84:85] neg_lo:[0,1] neg_hi:[0,1]
	v_mov_b32_e32 v97, v82
	v_pk_add_f32 v[82:83], v[98:99], v[96:97] neg_lo:[0,1] neg_hi:[0,1]
	v_add_f32_e32 v65, v65, v83
	v_add_f32_e32 v65, v82, v65
	;; [unrolled: 1-line block ×4, first 2 shown]
	v_sub_f32_e32 v83, v82, v103
	v_mul_f32_e32 v65, v101, v65
	v_sub_f32_e32 v83, v102, v83
	v_add_f32_e32 v65, v83, v65
	v_add_f32_e32 v85, v82, v65
	v_mul_f32_e32 v96, v85, v85
	v_mov_b32_e32 v84, 0x3ecc95a3
	v_fmac_f32_e32 v84, 0x3e9b6dac, v96
	v_mov_b32_e32 v83, 0x3f2aaada
	v_fmac_f32_e32 v83, v96, v84
	v_cvt_f32_i32_e32 v84, v86
	v_sub_f32_e32 v82, v85, v82
	v_sub_f32_e32 v65, v65, v82
	v_ldexp_f32 v97, v85, 1
	v_mul_f32_e32 v85, v85, v96
	v_mov_b32_e32 v82, 0x3f317218
	s_mov_b32 s8, 0x3f317218
	v_pk_mul_f32 v[82:83], v[84:85], v[82:83]
	v_fma_f32 v96, v84, s8, -v82
	v_fmac_f32_e32 v96, 0xb102e308, v84
	v_pk_add_f32 v[84:85], v[82:83], v[96:97]
	v_sub_f32_e32 v86, v85, v97
	v_ldexp_f32 v65, v65, 1
	v_sub_f32_e32 v86, v83, v86
	v_add_f32_e32 v99, v65, v86
	v_mov_b32_e32 v98, v82
	v_pk_add_f32 v[82:83], v[84:85], v[82:83] neg_lo:[0,1] neg_hi:[0,1]
	v_pk_add_f32 v[100:101], v[84:85], v[98:99]
	v_mov_b32_e32 v83, v101
	v_mov_b32_e32 v97, v84
	v_pk_add_f32 v[102:103], v[96:97], v[82:83] neg_lo:[0,1] neg_hi:[0,1]
	v_pk_add_f32 v[82:83], v[96:97], v[82:83]
	v_mov_b32_e32 v86, v83
	v_pk_add_f32 v[96:97], v[86:87], v[84:85] neg_lo:[0,1] neg_hi:[0,1]
	v_mov_b32_e32 v65, v96
	v_pk_add_f32 v[112:113], v[100:101], v[64:65] neg_lo:[0,1] neg_hi:[0,1]
	v_mov_b32_e32 v82, v101
	v_mov_b32_e32 v100, v85
	;; [unrolled: 1-line block ×4, first 2 shown]
	v_pk_add_f32 v[82:83], v[82:83], v[100:101] neg_lo:[0,1] neg_hi:[0,1]
	v_mov_b32_e32 v96, v99
	v_mov_b32_e32 v97, v84
	v_pk_add_f32 v[82:83], v[96:97], v[82:83] neg_lo:[0,1] neg_hi:[0,1]
	v_mov_b32_e32 v112, v102
	v_pk_add_f32 v[84:85], v[112:113], v[82:83]
	v_mov_b32_e32 v96, v85
	v_pk_add_f32 v[96:97], v[84:85], v[96:97]
	v_pk_add_f32 v[98:99], v[86:87], v[96:97]
	v_mov_b32_e32 v85, v98
	v_pk_add_f32 v[100:101], v[84:85], v[102:103] neg_lo:[0,1] neg_hi:[0,1]
	v_mov_b32_e32 v83, v96
	v_sub_f32_e32 v65, v84, v100
	v_pk_add_f32 v[82:83], v[82:83], v[100:101] neg_lo:[0,1] neg_hi:[0,1]
	v_sub_f32_e32 v65, v102, v65
	s_mov_b32 s9, 0x7f800000
	v_add_f32_e32 v65, v82, v65
	s_mov_b32 s8, 0x33800000
	v_add_f32_e32 v65, v65, v83
	v_cmp_eq_f32_e32 vcc, s9, v81
	v_cmp_lt_f32_e64 s[8:9], |v81|, s8
	v_add_f32_e32 v65, v98, v65
	s_or_b64 vcc, vcc, s[8:9]
	v_cndmask_b32_e32 v65, v65, v81, vcc
	v_add_f32_e32 v65, v80, v65
	v_cvt_f16_f32_e32 v65, v65
.LBB353_248:
	s_or_b64 exec, exec, s[6:7]
	s_branch .LBB353_379
.LBB353_249:
                                        ; implicit-def: $vgpr26
                                        ; implicit-def: $vgpr27
                                        ; implicit-def: $vgpr30
                                        ; implicit-def: $vgpr31
                                        ; implicit-def: $vgpr32
                                        ; implicit-def: $vgpr33
                                        ; implicit-def: $vgpr34
                                        ; implicit-def: $vgpr35
                                        ; implicit-def: $vgpr49
                                        ; implicit-def: $vgpr50
                                        ; implicit-def: $vgpr87
                                        ; implicit-def: $vgpr51
                                        ; implicit-def: $vgpr66
                                        ; implicit-def: $vgpr52
                                        ; implicit-def: $vgpr67
                                        ; implicit-def: $vgpr53
                                        ; implicit-def: $vgpr68
                                        ; implicit-def: $vgpr54
                                        ; implicit-def: $vgpr69
                                        ; implicit-def: $vgpr55
                                        ; implicit-def: $vgpr70
                                        ; implicit-def: $vgpr64
                                        ; implicit-def: $vgpr71
                                        ; implicit-def: $vgpr65
	s_cbranch_execz .LBB353_379
; %bb.250:
	v_cmp_ne_u64_e32 vcc, 0, v[6:7]
	v_cmp_eq_u32_e64 s[6:7], 0, v0
	v_cmp_ne_u32_e64 s[8:9], 0, v0
	s_and_b64 s[10:11], s[6:7], vcc
	v_mov_b32_e32 v26, v20
	s_and_saveexec_b64 s[6:7], s[10:11]
	s_cbranch_execz .LBB353_254
; %bb.251:
	flat_load_ushort v26, v[2:3]
	v_cvt_f32_f16_e32 v2, v20
	s_movk_i32 s10, 0x1f8
	s_waitcnt vmcnt(0) lgkmcnt(0)
	v_cvt_f32_f16_e32 v3, v26
	v_cmp_u_f16_e32 vcc, v26, v26
	v_min_f32_e32 v6, v3, v2
	v_max_f32_e32 v7, v3, v2
	v_cndmask_b32_e32 v6, v6, v3, vcc
	v_cndmask_b32_e32 v7, v7, v3, vcc
	v_cmp_u_f16_e32 vcc, v20, v20
	v_cndmask_b32_e32 v3, v6, v2, vcc
	v_cndmask_b32_e32 v2, v7, v2, vcc
	v_cmp_neq_f32_e32 vcc, v3, v2
	v_cmp_class_f32_e64 s[10:11], v3, s10
	s_or_b64 s[12:13], vcc, s[10:11]
	s_and_saveexec_b64 s[10:11], s[12:13]
	s_cbranch_execz .LBB353_253
; %bb.252:
	v_sub_f32_e32 v3, v3, v2
	s_mov_b32 s12, 0x3fb8aa3b
	v_mul_f32_e32 v6, 0x3fb8aa3b, v3
	v_fma_f32 v7, v3, s12, -v6
	v_rndne_f32_e32 v26, v6
	v_fmac_f32_e32 v7, 0x32a5705f, v3
	v_sub_f32_e32 v6, v6, v26
	v_add_f32_e32 v6, v6, v7
	v_exp_f32_e32 v6, v6
	v_cvt_i32_f32_e32 v7, v26
	s_mov_b32 s12, 0xc2ce8ed0
	v_cmp_ngt_f32_e32 vcc, s12, v3
	s_mov_b32 s12, 0x42b17218
	v_ldexp_f32 v6, v6, v7
	v_cndmask_b32_e32 v6, 0, v6, vcc
	v_mov_b32_e32 v7, 0x7f800000
	v_cmp_nlt_f32_e32 vcc, s12, v3
	v_cndmask_b32_e32 v49, v7, v6, vcc
	v_add_f32_e32 v3, 1.0, v49
	v_add_f32_e32 v6, -1.0, v3
	v_sub_f32_e32 v7, v6, v3
	v_add_f32_e32 v7, 1.0, v7
	v_sub_f32_e32 v6, v49, v6
	v_add_f32_e32 v26, v6, v7
	v_frexp_mant_f32_e32 v27, v3
	s_mov_b32 s12, 0x3f2aaaab
	v_cvt_f64_f32_e32 v[6:7], v3
	v_frexp_exp_i32_f64_e32 v6, v[6:7]
	v_cmp_gt_f32_e32 vcc, s12, v27
	v_subbrev_co_u32_e32 v34, vcc, 0, v6, vcc
	v_sub_u32_e32 v6, 0, v34
	v_ldexp_f32 v3, v3, v6
	v_ldexp_f32 v6, v26, v6
	v_add_f32_e32 v26, -1.0, v3
	v_add_f32_e32 v7, 1.0, v26
	v_sub_f32_e32 v7, v3, v7
	v_add_f32_e32 v27, v6, v7
	v_add_f32_e32 v7, 1.0, v3
	v_add_f32_e32 v30, -1.0, v7
	v_sub_f32_e32 v3, v3, v30
	v_add_f32_e32 v3, v6, v3
	v_add_f32_e32 v35, v7, v3
	v_rcp_f32_e32 v50, v35
	v_sub_f32_e32 v6, v7, v35
	v_add_f32_e32 v7, v26, v27
	v_add_f32_e32 v3, v3, v6
	v_mul_f32_e32 v52, v7, v50
	v_sub_f32_e32 v6, v26, v7
	v_mul_f32_e32 v26, v35, v52
	v_fma_f32 v30, v52, v35, -v26
	v_fmac_f32_e32 v30, v52, v3
	v_add_f32_e32 v51, v27, v6
	v_add_f32_e32 v6, v26, v30
	v_sub_f32_e32 v27, v7, v6
	v_pk_add_f32 v[32:33], v[6:7], v[26:27] neg_lo:[0,1] neg_hi:[0,1]
	v_mov_b32_e32 v31, v6
	v_pk_add_f32 v[6:7], v[32:33], v[30:31] neg_lo:[0,1] neg_hi:[0,1]
	v_add_f32_e32 v7, v51, v7
	v_add_f32_e32 v6, v6, v7
	;; [unrolled: 1-line block ×3, first 2 shown]
	v_mul_f32_e32 v51, v50, v7
	v_mul_f32_e32 v26, v35, v51
	v_fma_f32 v30, v51, v35, -v26
	v_fmac_f32_e32 v30, v51, v3
	v_sub_f32_e32 v3, v27, v7
	v_add_f32_e32 v3, v6, v3
	v_add_f32_e32 v6, v26, v30
	v_sub_f32_e32 v27, v7, v6
	v_pk_add_f32 v[32:33], v[6:7], v[26:27] neg_lo:[0,1] neg_hi:[0,1]
	v_mov_b32_e32 v31, v6
	v_pk_add_f32 v[6:7], v[32:33], v[30:31] neg_lo:[0,1] neg_hi:[0,1]
	v_add_f32_e32 v3, v3, v7
	v_add_f32_e32 v3, v6, v3
	;; [unrolled: 1-line block ×4, first 2 shown]
	v_sub_f32_e32 v7, v6, v52
	v_mul_f32_e32 v3, v50, v3
	v_sub_f32_e32 v7, v51, v7
	v_add_f32_e32 v3, v7, v3
	v_add_f32_e32 v27, v6, v3
	v_mul_f32_e32 v30, v27, v27
	v_mov_b32_e32 v26, 0x3ecc95a3
	v_fmac_f32_e32 v26, 0x3e9b6dac, v30
	v_mov_b32_e32 v7, 0x3f2aaada
	v_fmac_f32_e32 v7, v30, v26
	v_cvt_f32_i32_e32 v26, v34
	v_sub_f32_e32 v6, v27, v6
	v_sub_f32_e32 v3, v3, v6
	v_ldexp_f32 v31, v27, 1
	v_mul_f32_e32 v27, v27, v30
	v_mov_b32_e32 v6, 0x3f317218
	s_mov_b32 s12, 0x3f317218
	v_pk_mul_f32 v[6:7], v[26:27], v[6:7]
	v_fma_f32 v30, v26, s12, -v6
	v_fmac_f32_e32 v30, 0xb102e308, v26
	v_pk_add_f32 v[26:27], v[6:7], v[30:31]
	v_sub_f32_e32 v31, v27, v31
	v_ldexp_f32 v3, v3, 1
	v_sub_f32_e32 v31, v7, v31
	v_add_f32_e32 v33, v3, v31
	v_mov_b32_e32 v32, v6
	v_pk_add_f32 v[6:7], v[26:27], v[6:7] neg_lo:[0,1] neg_hi:[0,1]
	v_pk_add_f32 v[34:35], v[26:27], v[32:33]
	v_mov_b32_e32 v7, v35
	v_mov_b32_e32 v31, v26
	v_pk_add_f32 v[50:51], v[30:31], v[6:7] neg_lo:[0,1] neg_hi:[0,1]
	v_pk_add_f32 v[6:7], v[30:31], v[6:7]
	v_mov_b32_e32 v30, v7
	v_pk_add_f32 v[52:53], v[30:31], v[26:27] neg_lo:[0,1] neg_hi:[0,1]
	v_mov_b32_e32 v3, v52
	v_pk_add_f32 v[54:55], v[34:35], v[2:3] neg_lo:[0,1] neg_hi:[0,1]
	v_mov_b32_e32 v6, v35
	v_mov_b32_e32 v34, v27
	;; [unrolled: 1-line block ×4, first 2 shown]
	v_pk_add_f32 v[6:7], v[6:7], v[34:35] neg_lo:[0,1] neg_hi:[0,1]
	v_mov_b32_e32 v32, v33
	v_mov_b32_e32 v33, v26
	v_pk_add_f32 v[6:7], v[32:33], v[6:7] neg_lo:[0,1] neg_hi:[0,1]
	v_mov_b32_e32 v54, v50
	v_pk_add_f32 v[26:27], v[54:55], v[6:7]
	v_mov_b32_e32 v32, v27
	v_pk_add_f32 v[32:33], v[26:27], v[32:33]
	v_pk_add_f32 v[30:31], v[30:31], v[32:33]
	v_mov_b32_e32 v27, v30
	v_pk_add_f32 v[34:35], v[26:27], v[50:51] neg_lo:[0,1] neg_hi:[0,1]
	v_mov_b32_e32 v7, v32
	v_sub_f32_e32 v3, v26, v34
	v_pk_add_f32 v[6:7], v[6:7], v[34:35] neg_lo:[0,1] neg_hi:[0,1]
	v_sub_f32_e32 v3, v50, v3
	s_mov_b32 s13, 0x7f800000
	v_add_f32_e32 v3, v6, v3
	s_mov_b32 s12, 0x33800000
	v_add_f32_e32 v3, v3, v7
	v_cmp_eq_f32_e32 vcc, s13, v49
	v_cmp_lt_f32_e64 s[12:13], |v49|, s12
	v_add_f32_e32 v3, v30, v3
	s_or_b64 vcc, vcc, s[12:13]
	v_cndmask_b32_e32 v3, v3, v49, vcc
	v_add_f32_e32 v2, v2, v3
	v_cvt_f16_f32_e32 v26, v2
.LBB353_253:
	s_or_b64 exec, exec, s[10:11]
.LBB353_254:
	s_or_b64 exec, exec, s[6:7]
	v_cvt_f32_f16_e32 v2, v26
	v_cmp_u_f16_e64 s[54:55], v26, v26
	v_cmp_u_f16_sdwa vcc, v20, v20 src0_sel:WORD_1 src1_sel:WORD_1
	s_movk_i32 s12, 0x1f8
	v_min_f32_e32 v27, v2, v48
	v_max_f32_e32 v30, v2, v48
	v_cndmask_b32_e64 v3, v27, v2, s[54:55]
	v_cndmask_b32_e32 v6, v3, v48, vcc
	v_cndmask_b32_e64 v3, v30, v2, s[54:55]
	v_cndmask_b32_e32 v3, v3, v48, vcc
	v_cmp_neq_f32_e64 s[6:7], v6, v3
	v_cmp_class_f32_e64 s[10:11], v6, s12
	s_or_b64 s[6:7], s[6:7], s[10:11]
	v_mov_b32_e32 v32, v2
	v_mov_b32_e32 v31, v26
	s_and_saveexec_b64 s[10:11], s[6:7]
	s_cbranch_execz .LBB353_256
; %bb.255:
	v_sub_f32_e32 v6, v6, v3
	s_mov_b32 s6, 0x3fb8aa3b
	v_mul_f32_e32 v7, 0x3fb8aa3b, v6
	v_fma_f32 v20, v6, s6, -v7
	v_rndne_f32_e32 v31, v7
	v_fmac_f32_e32 v20, 0x32a5705f, v6
	v_sub_f32_e32 v7, v7, v31
	v_add_f32_e32 v7, v7, v20
	v_exp_f32_e32 v7, v7
	v_cvt_i32_f32_e32 v20, v31
	s_mov_b32 s6, 0xc2ce8ed0
	v_cmp_ngt_f32_e64 s[6:7], s6, v6
	s_mov_b32 s13, 0x7f800000
	v_ldexp_f32 v7, v7, v20
	v_cndmask_b32_e64 v7, 0, v7, s[6:7]
	s_mov_b32 s6, 0x42b17218
	v_mov_b32_e32 v20, 0x7f800000
	v_cmp_nlt_f32_e64 s[6:7], s6, v6
	v_cndmask_b32_e64 v49, v20, v7, s[6:7]
	v_add_f32_e32 v20, 1.0, v49
	v_add_f32_e32 v6, -1.0, v20
	v_sub_f32_e32 v7, v6, v20
	v_add_f32_e32 v7, 1.0, v7
	v_sub_f32_e32 v6, v49, v6
	v_add_f32_e32 v31, v6, v7
	v_frexp_mant_f32_e32 v32, v20
	s_mov_b32 s6, 0x3f2aaaab
	v_cvt_f64_f32_e32 v[6:7], v20
	v_frexp_exp_i32_f64_e32 v6, v[6:7]
	v_cmp_gt_f32_e64 s[6:7], s6, v32
	v_subbrev_co_u32_e64 v52, s[6:7], 0, v6, s[6:7]
	v_sub_u32_e32 v6, 0, v52
	v_ldexp_f32 v7, v20, v6
	v_add_f32_e32 v20, -1.0, v7
	v_add_f32_e32 v32, 1.0, v7
	v_ldexp_f32 v6, v31, v6
	v_add_f32_e32 v31, 1.0, v20
	v_add_f32_e32 v33, -1.0, v32
	v_sub_f32_e32 v31, v7, v31
	v_sub_f32_e32 v7, v7, v33
	v_add_f32_e32 v31, v6, v31
	v_add_f32_e32 v6, v6, v7
	;; [unrolled: 1-line block ×3, first 2 shown]
	v_rcp_f32_e32 v55, v53
	v_sub_f32_e32 v7, v32, v53
	v_add_f32_e32 v54, v6, v7
	v_add_f32_e32 v7, v20, v31
	v_sub_f32_e32 v6, v20, v7
	v_add_f32_e32 v20, v31, v6
	v_mul_f32_e32 v31, v7, v55
	v_mul_f32_e32 v32, v53, v31
	v_fma_f32 v34, v31, v53, -v32
	v_fmac_f32_e32 v34, v31, v54
	v_add_f32_e32 v6, v32, v34
	v_sub_f32_e32 v33, v7, v6
	v_pk_add_f32 v[50:51], v[6:7], v[32:33] neg_lo:[0,1] neg_hi:[0,1]
	v_mov_b32_e32 v35, v6
	v_pk_add_f32 v[6:7], v[50:51], v[34:35] neg_lo:[0,1] neg_hi:[0,1]
	v_add_f32_e32 v7, v20, v7
	v_add_f32_e32 v6, v6, v7
	;; [unrolled: 1-line block ×3, first 2 shown]
	v_mul_f32_e32 v20, v55, v7
	v_mul_f32_e32 v32, v53, v20
	v_fma_f32 v34, v20, v53, -v32
	v_fmac_f32_e32 v34, v20, v54
	v_sub_f32_e32 v33, v33, v7
	v_add_f32_e32 v53, v6, v33
	v_add_f32_e32 v6, v32, v34
	v_sub_f32_e32 v33, v7, v6
	v_pk_add_f32 v[50:51], v[6:7], v[32:33] neg_lo:[0,1] neg_hi:[0,1]
	v_mov_b32_e32 v35, v6
	v_pk_add_f32 v[6:7], v[50:51], v[34:35] neg_lo:[0,1] neg_hi:[0,1]
	v_add_f32_e32 v7, v53, v7
	v_add_f32_e32 v6, v6, v7
	;; [unrolled: 1-line block ×4, first 2 shown]
	v_sub_f32_e32 v7, v33, v31
	v_mul_f32_e32 v6, v55, v6
	v_sub_f32_e32 v7, v20, v7
	v_add_f32_e32 v6, v7, v6
	v_add_f32_e32 v20, v33, v6
	v_mul_f32_e32 v31, v20, v20
	v_mov_b32_e32 v32, 0x3ecc95a3
	v_fmac_f32_e32 v32, 0x3e9b6dac, v31
	v_mov_b32_e32 v7, 0x3f2aaada
	v_fmac_f32_e32 v7, v31, v32
	v_cvt_f32_i32_e32 v32, v52
	v_sub_f32_e32 v33, v20, v33
	v_sub_f32_e32 v6, v6, v33
	v_ldexp_f32 v50, v6, 1
	v_mul_f32_e32 v33, v20, v31
	v_mov_b32_e32 v6, 0x3f317218
	s_mov_b32 s6, 0x3f317218
	v_pk_mul_f32 v[6:7], v[32:33], v[6:7]
	v_fma_f32 v34, v32, s6, -v6
	v_ldexp_f32 v35, v20, 1
	v_fmac_f32_e32 v34, 0xb102e308, v32
	v_pk_add_f32 v[32:33], v[6:7], v[34:35]
	v_sub_f32_e32 v20, v33, v35
	v_sub_f32_e32 v20, v7, v20
	v_add_f32_e32 v51, v50, v20
	v_mov_b32_e32 v50, v6
	v_pk_add_f32 v[6:7], v[32:33], v[6:7] neg_lo:[0,1] neg_hi:[0,1]
	v_pk_add_f32 v[52:53], v[32:33], v[50:51]
	v_mov_b32_e32 v7, v53
	v_mov_b32_e32 v35, v32
	v_pk_add_f32 v[54:55], v[34:35], v[6:7] neg_lo:[0,1] neg_hi:[0,1]
	v_pk_add_f32 v[6:7], v[34:35], v[6:7]
	v_mov_b32_e32 v20, v7
	v_pk_add_f32 v[34:35], v[20:21], v[32:33] neg_lo:[0,1] neg_hi:[0,1]
	v_mov_b32_e32 v31, v34
	v_pk_add_f32 v[64:65], v[52:53], v[30:31] neg_lo:[0,1] neg_hi:[0,1]
	v_mov_b32_e32 v6, v53
	v_mov_b32_e32 v52, v33
	;; [unrolled: 1-line block ×4, first 2 shown]
	v_pk_add_f32 v[6:7], v[6:7], v[52:53] neg_lo:[0,1] neg_hi:[0,1]
	v_mov_b32_e32 v34, v51
	v_mov_b32_e32 v35, v32
	v_pk_add_f32 v[6:7], v[34:35], v[6:7] neg_lo:[0,1] neg_hi:[0,1]
	v_mov_b32_e32 v64, v54
	v_pk_add_f32 v[32:33], v[64:65], v[6:7]
	v_mov_b32_e32 v34, v33
	v_pk_add_f32 v[34:35], v[32:33], v[34:35]
	v_pk_add_f32 v[50:51], v[20:21], v[34:35]
	v_mov_b32_e32 v33, v50
	v_pk_add_f32 v[52:53], v[32:33], v[54:55] neg_lo:[0,1] neg_hi:[0,1]
	v_mov_b32_e32 v7, v34
	v_sub_f32_e32 v20, v32, v52
	v_pk_add_f32 v[6:7], v[6:7], v[52:53] neg_lo:[0,1] neg_hi:[0,1]
	v_sub_f32_e32 v20, v54, v20
	v_add_f32_e32 v6, v6, v20
	v_cmp_eq_f32_e64 s[6:7], s13, v49
	s_mov_b32 s13, 0x33800000
	v_add_f32_e32 v6, v6, v7
	v_cmp_lt_f32_e64 s[14:15], |v49|, s13
	v_add_f32_e32 v6, v50, v6
	s_or_b64 s[6:7], s[6:7], s[14:15]
	v_cndmask_b32_e64 v6, v6, v49, s[6:7]
	v_add_f32_e32 v3, v3, v6
	v_cvt_f16_f32_e32 v31, v3
	v_cvt_f32_f16_e32 v32, v31
.LBB353_256:
	s_or_b64 exec, exec, s[10:11]
	v_cvt_f32_f16_e32 v3, v21
	v_max_f32_e32 v6, v32, v32
	v_cmp_u_f16_e64 s[10:11], v31, v31
	v_cmp_u_f16_e64 s[6:7], v21, v21
	v_min_f32_e32 v7, v6, v3
	v_max_f32_e32 v6, v6, v3
	v_cndmask_b32_e64 v7, v7, v32, s[10:11]
	v_cndmask_b32_e64 v6, v6, v32, s[10:11]
	;; [unrolled: 1-line block ×4, first 2 shown]
	v_cmp_neq_f32_e64 s[10:11], v7, v6
	v_cmp_class_f32_e64 s[12:13], v7, s12
	s_or_b64 s[10:11], s[10:11], s[12:13]
	s_and_saveexec_b64 s[12:13], s[10:11]
	s_cbranch_execz .LBB353_258
; %bb.257:
	v_sub_f32_e32 v7, v7, v6
	s_mov_b32 s10, 0x3fb8aa3b
	v_mul_f32_e32 v20, 0x3fb8aa3b, v7
	v_fma_f32 v31, v7, s10, -v20
	v_rndne_f32_e32 v32, v20
	v_fmac_f32_e32 v31, 0x32a5705f, v7
	v_sub_f32_e32 v20, v20, v32
	v_add_f32_e32 v20, v20, v31
	v_exp_f32_e32 v20, v20
	v_cvt_i32_f32_e32 v31, v32
	s_mov_b32 s10, 0xc2ce8ed0
	v_cmp_ngt_f32_e64 s[10:11], s10, v7
	s_mov_b32 s14, 0x7f800000
	v_ldexp_f32 v20, v20, v31
	v_cndmask_b32_e64 v20, 0, v20, s[10:11]
	s_mov_b32 s10, 0x42b17218
	v_mov_b32_e32 v31, 0x7f800000
	v_cmp_nlt_f32_e64 s[10:11], s10, v7
	v_cndmask_b32_e64 v31, v31, v20, s[10:11]
	v_add_f32_e32 v7, 1.0, v31
	v_add_f32_e32 v20, -1.0, v7
	v_sub_f32_e32 v32, v20, v7
	v_add_f32_e32 v32, 1.0, v32
	v_sub_f32_e32 v20, v31, v20
	v_add_f32_e32 v20, v20, v32
	v_frexp_mant_f32_e32 v34, v7
	s_mov_b32 s10, 0x3f2aaaab
	v_cvt_f64_f32_e32 v[32:33], v7
	v_frexp_exp_i32_f64_e32 v32, v[32:33]
	v_cmp_gt_f32_e64 s[10:11], s10, v34
	v_subbrev_co_u32_e64 v49, s[10:11], 0, v32, s[10:11]
	v_sub_u32_e32 v32, 0, v49
	v_ldexp_f32 v7, v7, v32
	v_ldexp_f32 v20, v20, v32
	v_add_f32_e32 v32, -1.0, v7
	v_add_f32_e32 v33, 1.0, v32
	v_sub_f32_e32 v33, v7, v33
	v_add_f32_e32 v34, v20, v33
	v_add_f32_e32 v33, 1.0, v7
	v_add_f32_e32 v35, -1.0, v33
	v_sub_f32_e32 v7, v7, v35
	v_add_f32_e32 v7, v20, v7
	v_add_f32_e32 v20, v33, v7
	v_rcp_f32_e32 v54, v20
	v_sub_f32_e32 v33, v33, v20
	v_add_f32_e32 v7, v7, v33
	v_add_f32_e32 v33, v32, v34
	v_sub_f32_e32 v32, v32, v33
	v_mul_f32_e32 v64, v33, v54
	v_add_f32_e32 v55, v34, v32
	v_mul_f32_e32 v34, v20, v64
	v_fma_f32 v50, v64, v20, -v34
	v_fmac_f32_e32 v50, v64, v7
	v_add_f32_e32 v32, v34, v50
	v_sub_f32_e32 v35, v33, v32
	v_pk_add_f32 v[52:53], v[32:33], v[34:35] neg_lo:[0,1] neg_hi:[0,1]
	v_mov_b32_e32 v51, v32
	v_pk_add_f32 v[32:33], v[52:53], v[50:51] neg_lo:[0,1] neg_hi:[0,1]
	v_add_f32_e32 v33, v55, v33
	v_add_f32_e32 v32, v32, v33
	;; [unrolled: 1-line block ×3, first 2 shown]
	v_mul_f32_e32 v55, v54, v33
	v_mul_f32_e32 v34, v20, v55
	v_fma_f32 v50, v55, v20, -v34
	v_fmac_f32_e32 v50, v55, v7
	v_sub_f32_e32 v7, v35, v33
	v_add_f32_e32 v7, v32, v7
	v_add_f32_e32 v32, v34, v50
	v_sub_f32_e32 v35, v33, v32
	v_pk_add_f32 v[52:53], v[32:33], v[34:35] neg_lo:[0,1] neg_hi:[0,1]
	v_mov_b32_e32 v51, v32
	v_pk_add_f32 v[32:33], v[52:53], v[50:51] neg_lo:[0,1] neg_hi:[0,1]
	v_add_f32_e32 v7, v7, v33
	v_add_f32_e32 v7, v32, v7
	;; [unrolled: 1-line block ×4, first 2 shown]
	v_sub_f32_e32 v32, v20, v64
	v_mul_f32_e32 v7, v54, v7
	v_sub_f32_e32 v32, v55, v32
	v_add_f32_e32 v7, v32, v7
	v_add_f32_e32 v32, v20, v7
	v_mul_f32_e32 v35, v32, v32
	v_mov_b32_e32 v34, 0x3ecc95a3
	v_fmac_f32_e32 v34, 0x3e9b6dac, v35
	v_mov_b32_e32 v33, 0x3f2aaada
	v_fmac_f32_e32 v33, v35, v34
	v_cvt_f32_i32_e32 v34, v49
	v_sub_f32_e32 v20, v32, v20
	v_ldexp_f32 v51, v32, 1
	v_mul_f32_e32 v35, v32, v35
	v_mov_b32_e32 v32, 0x3f317218
	s_mov_b32 s10, 0x3f317218
	v_pk_mul_f32 v[32:33], v[34:35], v[32:33]
	v_fma_f32 v50, v34, s10, -v32
	v_fmac_f32_e32 v50, 0xb102e308, v34
	v_pk_add_f32 v[34:35], v[32:33], v[50:51]
	v_sub_f32_e32 v7, v7, v20
	v_sub_f32_e32 v20, v35, v51
	v_ldexp_f32 v7, v7, 1
	v_sub_f32_e32 v20, v33, v20
	v_add_f32_e32 v53, v7, v20
	v_mov_b32_e32 v52, v32
	v_pk_add_f32 v[32:33], v[34:35], v[32:33] neg_lo:[0,1] neg_hi:[0,1]
	v_pk_add_f32 v[54:55], v[34:35], v[52:53]
	v_mov_b32_e32 v33, v55
	v_mov_b32_e32 v51, v34
	v_pk_add_f32 v[64:65], v[50:51], v[32:33] neg_lo:[0,1] neg_hi:[0,1]
	v_pk_add_f32 v[32:33], v[50:51], v[32:33]
	v_mov_b32_e32 v20, v33
	v_pk_add_f32 v[50:51], v[20:21], v[34:35] neg_lo:[0,1] neg_hi:[0,1]
	v_mov_b32_e32 v7, v50
	v_pk_add_f32 v[66:67], v[54:55], v[6:7] neg_lo:[0,1] neg_hi:[0,1]
	v_mov_b32_e32 v32, v55
	v_mov_b32_e32 v54, v35
	;; [unrolled: 1-line block ×4, first 2 shown]
	v_pk_add_f32 v[32:33], v[32:33], v[54:55] neg_lo:[0,1] neg_hi:[0,1]
	v_mov_b32_e32 v50, v53
	v_mov_b32_e32 v51, v34
	v_pk_add_f32 v[32:33], v[50:51], v[32:33] neg_lo:[0,1] neg_hi:[0,1]
	v_mov_b32_e32 v66, v64
	v_pk_add_f32 v[34:35], v[66:67], v[32:33]
	v_mov_b32_e32 v50, v35
	v_pk_add_f32 v[50:51], v[34:35], v[50:51]
	v_pk_add_f32 v[52:53], v[20:21], v[50:51]
	v_mov_b32_e32 v35, v52
	v_pk_add_f32 v[54:55], v[34:35], v[64:65] neg_lo:[0,1] neg_hi:[0,1]
	v_mov_b32_e32 v33, v50
	v_sub_f32_e32 v7, v34, v54
	v_pk_add_f32 v[32:33], v[32:33], v[54:55] neg_lo:[0,1] neg_hi:[0,1]
	v_sub_f32_e32 v7, v64, v7
	v_add_f32_e32 v7, v32, v7
	v_cmp_eq_f32_e64 s[10:11], s14, v31
	s_mov_b32 s14, 0x33800000
	v_add_f32_e32 v7, v7, v33
	v_cmp_lt_f32_e64 s[14:15], |v31|, s14
	v_add_f32_e32 v7, v52, v7
	s_or_b64 s[10:11], s[10:11], s[14:15]
	v_cndmask_b32_e64 v7, v7, v31, s[10:11]
	v_add_f32_e32 v6, v6, v7
	v_cvt_f16_f32_e32 v31, v6
	v_cvt_f32_f16_e32 v32, v31
.LBB353_258:
	s_or_b64 exec, exec, s[12:13]
	v_cvt_f32_f16_sdwa v6, v21 dst_sel:DWORD dst_unused:UNUSED_PAD src0_sel:WORD_1
	v_max_f32_e32 v7, v32, v32
	v_cmp_u_f16_e64 s[12:13], v31, v31
	v_cmp_u_f16_sdwa s[10:11], v21, v21 src0_sel:WORD_1 src1_sel:WORD_1
	v_min_f32_e32 v20, v7, v6
	v_max_f32_e32 v7, v7, v6
	v_cndmask_b32_e64 v20, v20, v32, s[12:13]
	v_cndmask_b32_e64 v7, v7, v32, s[12:13]
	;; [unrolled: 1-line block ×4, first 2 shown]
	s_movk_i32 s16, 0x1f8
	v_cmp_neq_f32_e64 s[12:13], v20, v7
	v_cmp_class_f32_e64 s[14:15], v20, s16
	s_or_b64 s[12:13], s[12:13], s[14:15]
	s_and_saveexec_b64 s[14:15], s[12:13]
	s_cbranch_execz .LBB353_260
; %bb.259:
	v_sub_f32_e32 v20, v20, v7
	s_mov_b32 s12, 0x3fb8aa3b
	v_mul_f32_e32 v21, 0x3fb8aa3b, v20
	v_fma_f32 v31, v20, s12, -v21
	v_rndne_f32_e32 v32, v21
	v_fmac_f32_e32 v31, 0x32a5705f, v20
	v_sub_f32_e32 v21, v21, v32
	v_add_f32_e32 v21, v21, v31
	v_exp_f32_e32 v21, v21
	v_cvt_i32_f32_e32 v31, v32
	s_mov_b32 s12, 0xc2ce8ed0
	v_cmp_ngt_f32_e64 s[12:13], s12, v20
	s_mov_b32 s17, 0x7f800000
	v_ldexp_f32 v21, v21, v31
	v_cndmask_b32_e64 v21, 0, v21, s[12:13]
	s_mov_b32 s12, 0x42b17218
	v_mov_b32_e32 v31, 0x7f800000
	v_cmp_nlt_f32_e64 s[12:13], s12, v20
	v_cndmask_b32_e64 v49, v31, v21, s[12:13]
	v_add_f32_e32 v31, 1.0, v49
	v_add_f32_e32 v20, -1.0, v31
	v_sub_f32_e32 v21, v20, v31
	v_add_f32_e32 v21, 1.0, v21
	v_sub_f32_e32 v20, v49, v20
	v_add_f32_e32 v32, v20, v21
	v_frexp_mant_f32_e32 v33, v31
	s_mov_b32 s12, 0x3f2aaaab
	v_cvt_f64_f32_e32 v[20:21], v31
	v_frexp_exp_i32_f64_e32 v20, v[20:21]
	v_cmp_gt_f32_e64 s[12:13], s12, v33
	v_subbrev_co_u32_e64 v52, s[12:13], 0, v20, s[12:13]
	v_sub_u32_e32 v20, 0, v52
	v_ldexp_f32 v21, v31, v20
	v_add_f32_e32 v31, -1.0, v21
	v_add_f32_e32 v33, 1.0, v21
	v_ldexp_f32 v20, v32, v20
	v_add_f32_e32 v32, 1.0, v31
	v_add_f32_e32 v34, -1.0, v33
	v_sub_f32_e32 v32, v21, v32
	v_sub_f32_e32 v21, v21, v34
	v_add_f32_e32 v32, v20, v32
	v_add_f32_e32 v20, v20, v21
	;; [unrolled: 1-line block ×3, first 2 shown]
	v_rcp_f32_e32 v55, v53
	v_sub_f32_e32 v21, v33, v53
	v_add_f32_e32 v54, v20, v21
	v_add_f32_e32 v21, v31, v32
	v_sub_f32_e32 v20, v31, v21
	v_mul_f32_e32 v64, v21, v55
	v_add_f32_e32 v31, v32, v20
	v_mul_f32_e32 v32, v53, v64
	v_fma_f32 v34, v64, v53, -v32
	v_fmac_f32_e32 v34, v64, v54
	v_add_f32_e32 v20, v32, v34
	v_sub_f32_e32 v33, v21, v20
	v_pk_add_f32 v[50:51], v[20:21], v[32:33] neg_lo:[0,1] neg_hi:[0,1]
	v_mov_b32_e32 v35, v20
	v_pk_add_f32 v[20:21], v[50:51], v[34:35] neg_lo:[0,1] neg_hi:[0,1]
	v_add_f32_e32 v21, v31, v21
	v_add_f32_e32 v20, v20, v21
	v_add_f32_e32 v21, v33, v20
	v_mul_f32_e32 v31, v55, v21
	v_mul_f32_e32 v32, v53, v31
	v_fma_f32 v34, v31, v53, -v32
	v_fmac_f32_e32 v34, v31, v54
	v_sub_f32_e32 v33, v33, v21
	v_add_f32_e32 v53, v20, v33
	v_add_f32_e32 v20, v32, v34
	v_sub_f32_e32 v33, v21, v20
	v_pk_add_f32 v[50:51], v[20:21], v[32:33] neg_lo:[0,1] neg_hi:[0,1]
	v_mov_b32_e32 v35, v20
	v_pk_add_f32 v[20:21], v[50:51], v[34:35] neg_lo:[0,1] neg_hi:[0,1]
	v_add_f32_e32 v21, v53, v21
	v_add_f32_e32 v20, v20, v21
	;; [unrolled: 1-line block ×4, first 2 shown]
	v_sub_f32_e32 v21, v33, v64
	v_mul_f32_e32 v20, v55, v20
	v_sub_f32_e32 v21, v31, v21
	v_add_f32_e32 v20, v21, v20
	v_add_f32_e32 v31, v33, v20
	v_mul_f32_e32 v34, v31, v31
	v_mov_b32_e32 v32, 0x3ecc95a3
	v_fmac_f32_e32 v32, 0x3e9b6dac, v34
	v_mov_b32_e32 v21, 0x3f2aaada
	v_fmac_f32_e32 v21, v34, v32
	v_cvt_f32_i32_e32 v32, v52
	v_sub_f32_e32 v33, v31, v33
	v_sub_f32_e32 v20, v20, v33
	v_ldexp_f32 v50, v20, 1
	v_mul_f32_e32 v33, v31, v34
	v_mov_b32_e32 v20, 0x3f317218
	s_mov_b32 s12, 0x3f317218
	v_pk_mul_f32 v[20:21], v[32:33], v[20:21]
	v_fma_f32 v34, v32, s12, -v20
	v_ldexp_f32 v35, v31, 1
	v_fmac_f32_e32 v34, 0xb102e308, v32
	v_pk_add_f32 v[32:33], v[20:21], v[34:35]
	v_sub_f32_e32 v31, v33, v35
	v_sub_f32_e32 v31, v21, v31
	v_add_f32_e32 v51, v50, v31
	v_mov_b32_e32 v50, v20
	v_pk_add_f32 v[20:21], v[32:33], v[20:21] neg_lo:[0,1] neg_hi:[0,1]
	v_pk_add_f32 v[52:53], v[32:33], v[50:51]
	v_mov_b32_e32 v21, v53
	v_mov_b32_e32 v35, v32
	v_pk_add_f32 v[54:55], v[34:35], v[20:21] neg_lo:[0,1] neg_hi:[0,1]
	v_pk_add_f32 v[20:21], v[34:35], v[20:21]
	v_mov_b32_e32 v34, v21
	v_pk_add_f32 v[64:65], v[34:35], v[32:33] neg_lo:[0,1] neg_hi:[0,1]
	v_mov_b32_e32 v31, v64
	v_pk_add_f32 v[66:67], v[52:53], v[30:31] neg_lo:[0,1] neg_hi:[0,1]
	v_mov_b32_e32 v20, v53
	v_mov_b32_e32 v52, v33
	;; [unrolled: 1-line block ×4, first 2 shown]
	v_pk_add_f32 v[20:21], v[20:21], v[52:53] neg_lo:[0,1] neg_hi:[0,1]
	v_mov_b32_e32 v50, v51
	v_mov_b32_e32 v51, v32
	v_pk_add_f32 v[20:21], v[50:51], v[20:21] neg_lo:[0,1] neg_hi:[0,1]
	v_mov_b32_e32 v66, v54
	v_pk_add_f32 v[32:33], v[66:67], v[20:21]
	v_mov_b32_e32 v50, v33
	v_pk_add_f32 v[50:51], v[32:33], v[50:51]
	v_pk_add_f32 v[34:35], v[34:35], v[50:51]
	v_mov_b32_e32 v33, v34
	v_pk_add_f32 v[52:53], v[32:33], v[54:55] neg_lo:[0,1] neg_hi:[0,1]
	v_mov_b32_e32 v21, v50
	v_sub_f32_e32 v31, v32, v52
	v_pk_add_f32 v[20:21], v[20:21], v[52:53] neg_lo:[0,1] neg_hi:[0,1]
	v_sub_f32_e32 v31, v54, v31
	v_add_f32_e32 v20, v20, v31
	v_cmp_eq_f32_e64 s[12:13], s17, v49
	s_mov_b32 s17, 0x33800000
	v_add_f32_e32 v20, v20, v21
	v_cmp_lt_f32_e64 s[18:19], |v49|, s17
	v_add_f32_e32 v20, v34, v20
	s_or_b64 s[12:13], s[12:13], s[18:19]
	v_cndmask_b32_e64 v20, v20, v49, s[12:13]
	v_add_f32_e32 v7, v7, v20
	v_cvt_f16_f32_e32 v31, v7
	v_cvt_f32_f16_e32 v32, v31
.LBB353_260:
	s_or_b64 exec, exec, s[14:15]
	v_cvt_f32_f16_e32 v7, v22
	v_max_f32_e32 v20, v32, v32
	v_cmp_u_f16_e64 s[14:15], v31, v31
	v_cmp_u_f16_e64 s[12:13], v22, v22
	v_min_f32_e32 v21, v20, v7
	v_max_f32_e32 v20, v20, v7
	v_cndmask_b32_e64 v21, v21, v32, s[14:15]
	v_cndmask_b32_e64 v20, v20, v32, s[14:15]
	;; [unrolled: 1-line block ×4, first 2 shown]
	v_cmp_neq_f32_e64 s[14:15], v21, v20
	v_cmp_class_f32_e64 s[16:17], v21, s16
	s_or_b64 s[14:15], s[14:15], s[16:17]
	s_and_saveexec_b64 s[16:17], s[14:15]
	s_cbranch_execz .LBB353_262
; %bb.261:
	v_sub_f32_e32 v21, v21, v20
	s_mov_b32 s14, 0x3fb8aa3b
	v_mul_f32_e32 v31, 0x3fb8aa3b, v21
	v_fma_f32 v32, v21, s14, -v31
	v_rndne_f32_e32 v33, v31
	v_fmac_f32_e32 v32, 0x32a5705f, v21
	v_sub_f32_e32 v31, v31, v33
	v_add_f32_e32 v31, v31, v32
	v_exp_f32_e32 v31, v31
	v_cvt_i32_f32_e32 v32, v33
	s_mov_b32 s14, 0xc2ce8ed0
	v_cmp_ngt_f32_e64 s[14:15], s14, v21
	s_mov_b32 s18, 0x7f800000
	v_ldexp_f32 v31, v31, v32
	v_cndmask_b32_e64 v31, 0, v31, s[14:15]
	s_mov_b32 s14, 0x42b17218
	v_mov_b32_e32 v32, 0x7f800000
	v_cmp_nlt_f32_e64 s[14:15], s14, v21
	v_cndmask_b32_e64 v31, v32, v31, s[14:15]
	v_add_f32_e32 v21, 1.0, v31
	v_add_f32_e32 v32, -1.0, v21
	v_sub_f32_e32 v33, v32, v21
	v_add_f32_e32 v33, 1.0, v33
	v_sub_f32_e32 v32, v31, v32
	v_add_f32_e32 v34, v32, v33
	v_frexp_mant_f32_e32 v35, v21
	s_mov_b32 s14, 0x3f2aaaab
	v_cvt_f64_f32_e32 v[32:33], v21
	v_frexp_exp_i32_f64_e32 v32, v[32:33]
	v_cmp_gt_f32_e64 s[14:15], s14, v35
	v_subbrev_co_u32_e64 v49, s[14:15], 0, v32, s[14:15]
	v_sub_u32_e32 v32, 0, v49
	v_ldexp_f32 v21, v21, v32
	v_ldexp_f32 v32, v34, v32
	v_add_f32_e32 v34, -1.0, v21
	v_add_f32_e32 v33, 1.0, v34
	v_sub_f32_e32 v33, v21, v33
	v_add_f32_e32 v35, v32, v33
	v_add_f32_e32 v33, 1.0, v21
	v_add_f32_e32 v50, -1.0, v33
	v_sub_f32_e32 v21, v21, v50
	v_add_f32_e32 v21, v32, v21
	v_add_f32_e32 v54, v33, v21
	v_rcp_f32_e32 v55, v54
	v_sub_f32_e32 v32, v33, v54
	v_add_f32_e32 v33, v34, v35
	v_add_f32_e32 v21, v21, v32
	v_mul_f32_e32 v65, v33, v55
	v_sub_f32_e32 v32, v34, v33
	v_mul_f32_e32 v34, v54, v65
	v_fma_f32 v50, v65, v54, -v34
	v_fmac_f32_e32 v50, v65, v21
	v_add_f32_e32 v64, v35, v32
	v_add_f32_e32 v32, v34, v50
	v_sub_f32_e32 v35, v33, v32
	v_pk_add_f32 v[52:53], v[32:33], v[34:35] neg_lo:[0,1] neg_hi:[0,1]
	v_mov_b32_e32 v51, v32
	v_pk_add_f32 v[32:33], v[52:53], v[50:51] neg_lo:[0,1] neg_hi:[0,1]
	v_add_f32_e32 v33, v64, v33
	v_add_f32_e32 v32, v32, v33
	;; [unrolled: 1-line block ×3, first 2 shown]
	v_mul_f32_e32 v64, v55, v33
	v_mul_f32_e32 v34, v54, v64
	v_fma_f32 v50, v64, v54, -v34
	v_fmac_f32_e32 v50, v64, v21
	v_sub_f32_e32 v21, v35, v33
	v_add_f32_e32 v21, v32, v21
	v_add_f32_e32 v32, v34, v50
	v_sub_f32_e32 v35, v33, v32
	v_pk_add_f32 v[52:53], v[32:33], v[34:35] neg_lo:[0,1] neg_hi:[0,1]
	v_mov_b32_e32 v51, v32
	v_pk_add_f32 v[32:33], v[52:53], v[50:51] neg_lo:[0,1] neg_hi:[0,1]
	v_add_f32_e32 v21, v21, v33
	v_add_f32_e32 v21, v32, v21
	;; [unrolled: 1-line block ×4, first 2 shown]
	v_sub_f32_e32 v33, v32, v65
	v_mul_f32_e32 v21, v55, v21
	v_sub_f32_e32 v33, v64, v33
	v_add_f32_e32 v21, v33, v21
	v_add_f32_e32 v35, v32, v21
	v_mul_f32_e32 v50, v35, v35
	v_mov_b32_e32 v34, 0x3ecc95a3
	v_fmac_f32_e32 v34, 0x3e9b6dac, v50
	v_mov_b32_e32 v33, 0x3f2aaada
	v_fmac_f32_e32 v33, v50, v34
	v_cvt_f32_i32_e32 v34, v49
	v_sub_f32_e32 v32, v35, v32
	v_sub_f32_e32 v21, v21, v32
	v_ldexp_f32 v51, v35, 1
	v_mul_f32_e32 v35, v35, v50
	v_mov_b32_e32 v32, 0x3f317218
	s_mov_b32 s14, 0x3f317218
	v_pk_mul_f32 v[32:33], v[34:35], v[32:33]
	v_fma_f32 v50, v34, s14, -v32
	v_fmac_f32_e32 v50, 0xb102e308, v34
	v_pk_add_f32 v[34:35], v[32:33], v[50:51]
	v_sub_f32_e32 v49, v35, v51
	v_ldexp_f32 v21, v21, 1
	v_sub_f32_e32 v49, v33, v49
	v_add_f32_e32 v53, v21, v49
	v_mov_b32_e32 v52, v32
	v_pk_add_f32 v[32:33], v[34:35], v[32:33] neg_lo:[0,1] neg_hi:[0,1]
	v_pk_add_f32 v[54:55], v[34:35], v[52:53]
	v_mov_b32_e32 v33, v55
	v_mov_b32_e32 v51, v34
	v_pk_add_f32 v[64:65], v[50:51], v[32:33] neg_lo:[0,1] neg_hi:[0,1]
	v_pk_add_f32 v[32:33], v[50:51], v[32:33]
	v_mov_b32_e32 v50, v33
	v_pk_add_f32 v[66:67], v[50:51], v[34:35] neg_lo:[0,1] neg_hi:[0,1]
	v_mov_b32_e32 v21, v66
	v_pk_add_f32 v[68:69], v[54:55], v[20:21] neg_lo:[0,1] neg_hi:[0,1]
	v_mov_b32_e32 v32, v55
	v_mov_b32_e32 v54, v35
	;; [unrolled: 1-line block ×4, first 2 shown]
	v_pk_add_f32 v[32:33], v[32:33], v[54:55] neg_lo:[0,1] neg_hi:[0,1]
	v_mov_b32_e32 v52, v53
	v_mov_b32_e32 v53, v34
	v_pk_add_f32 v[32:33], v[52:53], v[32:33] neg_lo:[0,1] neg_hi:[0,1]
	v_mov_b32_e32 v68, v64
	v_pk_add_f32 v[34:35], v[68:69], v[32:33]
	v_mov_b32_e32 v52, v35
	v_pk_add_f32 v[52:53], v[34:35], v[52:53]
	v_pk_add_f32 v[50:51], v[50:51], v[52:53]
	v_mov_b32_e32 v35, v50
	v_pk_add_f32 v[54:55], v[34:35], v[64:65] neg_lo:[0,1] neg_hi:[0,1]
	v_mov_b32_e32 v33, v52
	v_sub_f32_e32 v21, v34, v54
	v_pk_add_f32 v[32:33], v[32:33], v[54:55] neg_lo:[0,1] neg_hi:[0,1]
	v_sub_f32_e32 v21, v64, v21
	v_add_f32_e32 v21, v32, v21
	v_cmp_eq_f32_e64 s[14:15], s18, v31
	s_mov_b32 s18, 0x33800000
	v_add_f32_e32 v21, v21, v33
	v_cmp_lt_f32_e64 s[18:19], |v31|, s18
	v_add_f32_e32 v21, v50, v21
	s_or_b64 s[14:15], s[14:15], s[18:19]
	v_cndmask_b32_e64 v21, v21, v31, s[14:15]
	v_add_f32_e32 v20, v20, v21
	v_cvt_f16_f32_e32 v31, v20
	v_cvt_f32_f16_e32 v32, v31
.LBB353_262:
	s_or_b64 exec, exec, s[16:17]
	v_cvt_f32_f16_sdwa v20, v22 dst_sel:DWORD dst_unused:UNUSED_PAD src0_sel:WORD_1
	v_max_f32_e32 v21, v32, v32
	v_cmp_u_f16_e64 s[16:17], v31, v31
	v_cmp_u_f16_sdwa s[14:15], v22, v22 src0_sel:WORD_1 src1_sel:WORD_1
	v_min_f32_e32 v33, v21, v20
	v_max_f32_e32 v21, v21, v20
	v_cndmask_b32_e64 v33, v33, v32, s[16:17]
	v_cndmask_b32_e64 v21, v21, v32, s[16:17]
	;; [unrolled: 1-line block ×4, first 2 shown]
	s_movk_i32 s20, 0x1f8
	v_cmp_neq_f32_e64 s[16:17], v22, v21
	v_cmp_class_f32_e64 s[18:19], v22, s20
	s_or_b64 s[16:17], s[16:17], s[18:19]
	s_and_saveexec_b64 s[18:19], s[16:17]
	s_cbranch_execz .LBB353_264
; %bb.263:
	v_sub_f32_e32 v22, v22, v21
	s_mov_b32 s16, 0x3fb8aa3b
	v_mul_f32_e32 v31, 0x3fb8aa3b, v22
	v_fma_f32 v32, v22, s16, -v31
	v_rndne_f32_e32 v33, v31
	v_fmac_f32_e32 v32, 0x32a5705f, v22
	v_sub_f32_e32 v31, v31, v33
	v_add_f32_e32 v31, v31, v32
	v_exp_f32_e32 v31, v31
	v_cvt_i32_f32_e32 v32, v33
	s_mov_b32 s16, 0xc2ce8ed0
	v_cmp_ngt_f32_e64 s[16:17], s16, v22
	s_mov_b32 s21, 0x7f800000
	v_ldexp_f32 v31, v31, v32
	v_cndmask_b32_e64 v31, 0, v31, s[16:17]
	s_mov_b32 s16, 0x42b17218
	v_mov_b32_e32 v32, 0x7f800000
	v_cmp_nlt_f32_e64 s[16:17], s16, v22
	v_cndmask_b32_e64 v49, v32, v31, s[16:17]
	v_add_f32_e32 v22, 1.0, v49
	v_add_f32_e32 v31, -1.0, v22
	v_sub_f32_e32 v32, v31, v22
	v_add_f32_e32 v32, 1.0, v32
	v_sub_f32_e32 v31, v49, v31
	v_add_f32_e32 v31, v31, v32
	v_frexp_mant_f32_e32 v34, v22
	s_mov_b32 s16, 0x3f2aaaab
	v_cvt_f64_f32_e32 v[32:33], v22
	v_frexp_exp_i32_f64_e32 v32, v[32:33]
	v_cmp_gt_f32_e64 s[16:17], s16, v34
	v_subbrev_co_u32_e64 v54, s[16:17], 0, v32, s[16:17]
	v_sub_u32_e32 v32, 0, v54
	v_ldexp_f32 v22, v22, v32
	v_ldexp_f32 v31, v31, v32
	v_add_f32_e32 v32, -1.0, v22
	v_add_f32_e32 v33, 1.0, v32
	v_sub_f32_e32 v33, v22, v33
	v_add_f32_e32 v34, v31, v33
	v_add_f32_e32 v33, 1.0, v22
	v_add_f32_e32 v35, -1.0, v33
	v_sub_f32_e32 v22, v22, v35
	v_add_f32_e32 v22, v31, v22
	v_add_f32_e32 v31, v33, v22
	v_rcp_f32_e32 v55, v31
	v_sub_f32_e32 v33, v33, v31
	v_add_f32_e32 v22, v22, v33
	v_add_f32_e32 v33, v32, v34
	v_sub_f32_e32 v32, v32, v33
	v_mul_f32_e32 v65, v33, v55
	v_add_f32_e32 v64, v34, v32
	v_mul_f32_e32 v34, v31, v65
	v_fma_f32 v50, v65, v31, -v34
	v_fmac_f32_e32 v50, v65, v22
	v_add_f32_e32 v32, v34, v50
	v_sub_f32_e32 v35, v33, v32
	v_pk_add_f32 v[52:53], v[32:33], v[34:35] neg_lo:[0,1] neg_hi:[0,1]
	v_mov_b32_e32 v51, v32
	v_pk_add_f32 v[32:33], v[52:53], v[50:51] neg_lo:[0,1] neg_hi:[0,1]
	v_add_f32_e32 v33, v64, v33
	v_add_f32_e32 v32, v32, v33
	;; [unrolled: 1-line block ×3, first 2 shown]
	v_mul_f32_e32 v64, v55, v33
	v_mul_f32_e32 v34, v31, v64
	v_fma_f32 v50, v64, v31, -v34
	v_fmac_f32_e32 v50, v64, v22
	v_sub_f32_e32 v22, v35, v33
	v_add_f32_e32 v22, v32, v22
	v_add_f32_e32 v32, v34, v50
	v_sub_f32_e32 v35, v33, v32
	v_pk_add_f32 v[52:53], v[32:33], v[34:35] neg_lo:[0,1] neg_hi:[0,1]
	v_mov_b32_e32 v51, v32
	v_pk_add_f32 v[32:33], v[52:53], v[50:51] neg_lo:[0,1] neg_hi:[0,1]
	v_add_f32_e32 v22, v22, v33
	v_add_f32_e32 v22, v32, v22
	;; [unrolled: 1-line block ×4, first 2 shown]
	v_sub_f32_e32 v32, v31, v65
	v_mul_f32_e32 v22, v55, v22
	v_sub_f32_e32 v32, v64, v32
	v_add_f32_e32 v22, v32, v22
	v_add_f32_e32 v32, v31, v22
	v_mul_f32_e32 v35, v32, v32
	v_mov_b32_e32 v34, 0x3ecc95a3
	v_fmac_f32_e32 v34, 0x3e9b6dac, v35
	v_mov_b32_e32 v33, 0x3f2aaada
	v_fmac_f32_e32 v33, v35, v34
	v_cvt_f32_i32_e32 v34, v54
	v_sub_f32_e32 v31, v32, v31
	v_ldexp_f32 v51, v32, 1
	v_mul_f32_e32 v35, v32, v35
	v_mov_b32_e32 v32, 0x3f317218
	s_mov_b32 s16, 0x3f317218
	v_pk_mul_f32 v[32:33], v[34:35], v[32:33]
	v_fma_f32 v50, v34, s16, -v32
	v_fmac_f32_e32 v50, 0xb102e308, v34
	v_pk_add_f32 v[34:35], v[32:33], v[50:51]
	v_sub_f32_e32 v22, v22, v31
	v_sub_f32_e32 v31, v35, v51
	v_ldexp_f32 v22, v22, 1
	v_sub_f32_e32 v31, v33, v31
	v_add_f32_e32 v53, v22, v31
	v_mov_b32_e32 v52, v32
	v_pk_add_f32 v[32:33], v[34:35], v[32:33] neg_lo:[0,1] neg_hi:[0,1]
	v_pk_add_f32 v[54:55], v[34:35], v[52:53]
	v_mov_b32_e32 v33, v55
	v_mov_b32_e32 v51, v34
	v_pk_add_f32 v[64:65], v[50:51], v[32:33] neg_lo:[0,1] neg_hi:[0,1]
	v_pk_add_f32 v[32:33], v[50:51], v[32:33]
	v_mov_b32_e32 v22, v33
	v_pk_add_f32 v[50:51], v[22:23], v[34:35] neg_lo:[0,1] neg_hi:[0,1]
	v_mov_b32_e32 v31, v50
	v_pk_add_f32 v[66:67], v[54:55], v[30:31] neg_lo:[0,1] neg_hi:[0,1]
	v_mov_b32_e32 v32, v55
	v_mov_b32_e32 v54, v35
	;; [unrolled: 1-line block ×4, first 2 shown]
	v_pk_add_f32 v[32:33], v[32:33], v[54:55] neg_lo:[0,1] neg_hi:[0,1]
	v_mov_b32_e32 v50, v53
	v_mov_b32_e32 v51, v34
	v_pk_add_f32 v[32:33], v[50:51], v[32:33] neg_lo:[0,1] neg_hi:[0,1]
	v_mov_b32_e32 v66, v64
	v_pk_add_f32 v[34:35], v[66:67], v[32:33]
	v_mov_b32_e32 v50, v35
	v_pk_add_f32 v[50:51], v[34:35], v[50:51]
	v_pk_add_f32 v[52:53], v[22:23], v[50:51]
	v_mov_b32_e32 v35, v52
	v_pk_add_f32 v[54:55], v[34:35], v[64:65] neg_lo:[0,1] neg_hi:[0,1]
	v_mov_b32_e32 v33, v50
	v_sub_f32_e32 v22, v34, v54
	v_pk_add_f32 v[32:33], v[32:33], v[54:55] neg_lo:[0,1] neg_hi:[0,1]
	v_sub_f32_e32 v22, v64, v22
	v_add_f32_e32 v22, v32, v22
	v_cmp_eq_f32_e64 s[16:17], s21, v49
	s_mov_b32 s21, 0x33800000
	v_add_f32_e32 v22, v22, v33
	v_cmp_lt_f32_e64 s[22:23], |v49|, s21
	v_add_f32_e32 v22, v52, v22
	s_or_b64 s[16:17], s[16:17], s[22:23]
	v_cndmask_b32_e64 v22, v22, v49, s[16:17]
	v_add_f32_e32 v21, v21, v22
	v_cvt_f16_f32_e32 v31, v21
	v_cvt_f32_f16_e32 v32, v31
.LBB353_264:
	s_or_b64 exec, exec, s[18:19]
	v_cvt_f32_f16_e32 v21, v23
	v_max_f32_e32 v22, v32, v32
	v_cmp_u_f16_e64 s[18:19], v31, v31
	v_cmp_u_f16_e64 s[16:17], v23, v23
	v_min_f32_e32 v33, v22, v21
	v_max_f32_e32 v22, v22, v21
	v_cndmask_b32_e64 v33, v33, v32, s[18:19]
	v_cndmask_b32_e64 v22, v22, v32, s[18:19]
	;; [unrolled: 1-line block ×4, first 2 shown]
	v_cmp_neq_f32_e64 s[18:19], v33, v22
	v_cmp_class_f32_e64 s[20:21], v33, s20
	s_or_b64 s[18:19], s[18:19], s[20:21]
	s_and_saveexec_b64 s[20:21], s[18:19]
	s_cbranch_execz .LBB353_266
; %bb.265:
	v_sub_f32_e32 v31, v33, v22
	s_mov_b32 s18, 0x3fb8aa3b
	v_mul_f32_e32 v32, 0x3fb8aa3b, v31
	v_fma_f32 v33, v31, s18, -v32
	v_rndne_f32_e32 v34, v32
	v_fmac_f32_e32 v33, 0x32a5705f, v31
	v_sub_f32_e32 v32, v32, v34
	v_add_f32_e32 v32, v32, v33
	v_exp_f32_e32 v32, v32
	v_cvt_i32_f32_e32 v33, v34
	s_mov_b32 s18, 0xc2ce8ed0
	v_cmp_ngt_f32_e64 s[18:19], s18, v31
	s_mov_b32 s22, 0x7f800000
	v_ldexp_f32 v32, v32, v33
	v_cndmask_b32_e64 v32, 0, v32, s[18:19]
	s_mov_b32 s18, 0x42b17218
	v_mov_b32_e32 v33, 0x7f800000
	v_cmp_nlt_f32_e64 s[18:19], s18, v31
	v_cndmask_b32_e64 v49, v33, v32, s[18:19]
	v_add_f32_e32 v31, 1.0, v49
	v_add_f32_e32 v32, -1.0, v31
	v_sub_f32_e32 v33, v32, v31
	v_add_f32_e32 v33, 1.0, v33
	v_sub_f32_e32 v32, v49, v32
	v_add_f32_e32 v34, v32, v33
	v_frexp_mant_f32_e32 v35, v31
	s_mov_b32 s18, 0x3f2aaaab
	v_cvt_f64_f32_e32 v[32:33], v31
	v_frexp_exp_i32_f64_e32 v32, v[32:33]
	v_cmp_gt_f32_e64 s[18:19], s18, v35
	v_subbrev_co_u32_e64 v54, s[18:19], 0, v32, s[18:19]
	v_sub_u32_e32 v32, 0, v54
	v_ldexp_f32 v31, v31, v32
	v_ldexp_f32 v32, v34, v32
	v_add_f32_e32 v34, -1.0, v31
	v_add_f32_e32 v33, 1.0, v34
	v_sub_f32_e32 v33, v31, v33
	v_add_f32_e32 v35, v32, v33
	v_add_f32_e32 v33, 1.0, v31
	v_add_f32_e32 v50, -1.0, v33
	v_sub_f32_e32 v31, v31, v50
	v_add_f32_e32 v31, v32, v31
	v_add_f32_e32 v55, v33, v31
	v_rcp_f32_e32 v64, v55
	v_sub_f32_e32 v32, v33, v55
	v_add_f32_e32 v33, v34, v35
	v_add_f32_e32 v31, v31, v32
	v_mul_f32_e32 v66, v33, v64
	v_sub_f32_e32 v32, v34, v33
	v_mul_f32_e32 v34, v55, v66
	v_fma_f32 v50, v66, v55, -v34
	v_fmac_f32_e32 v50, v66, v31
	v_add_f32_e32 v65, v35, v32
	v_add_f32_e32 v32, v34, v50
	v_sub_f32_e32 v35, v33, v32
	v_pk_add_f32 v[52:53], v[32:33], v[34:35] neg_lo:[0,1] neg_hi:[0,1]
	v_mov_b32_e32 v51, v32
	v_pk_add_f32 v[32:33], v[52:53], v[50:51] neg_lo:[0,1] neg_hi:[0,1]
	v_add_f32_e32 v33, v65, v33
	v_add_f32_e32 v32, v32, v33
	;; [unrolled: 1-line block ×3, first 2 shown]
	v_mul_f32_e32 v65, v64, v33
	v_mul_f32_e32 v34, v55, v65
	v_fma_f32 v50, v65, v55, -v34
	v_fmac_f32_e32 v50, v65, v31
	v_sub_f32_e32 v31, v35, v33
	v_add_f32_e32 v31, v32, v31
	v_add_f32_e32 v32, v34, v50
	v_sub_f32_e32 v35, v33, v32
	v_pk_add_f32 v[52:53], v[32:33], v[34:35] neg_lo:[0,1] neg_hi:[0,1]
	v_mov_b32_e32 v51, v32
	v_pk_add_f32 v[32:33], v[52:53], v[50:51] neg_lo:[0,1] neg_hi:[0,1]
	v_add_f32_e32 v31, v31, v33
	v_add_f32_e32 v31, v32, v31
	;; [unrolled: 1-line block ×4, first 2 shown]
	v_sub_f32_e32 v33, v32, v66
	v_mul_f32_e32 v31, v64, v31
	v_sub_f32_e32 v33, v65, v33
	v_add_f32_e32 v31, v33, v31
	v_add_f32_e32 v35, v32, v31
	v_mul_f32_e32 v50, v35, v35
	v_mov_b32_e32 v34, 0x3ecc95a3
	v_fmac_f32_e32 v34, 0x3e9b6dac, v50
	v_mov_b32_e32 v33, 0x3f2aaada
	v_fmac_f32_e32 v33, v50, v34
	v_cvt_f32_i32_e32 v34, v54
	v_sub_f32_e32 v32, v35, v32
	v_sub_f32_e32 v31, v31, v32
	v_ldexp_f32 v51, v35, 1
	v_mul_f32_e32 v35, v35, v50
	v_mov_b32_e32 v32, 0x3f317218
	s_mov_b32 s18, 0x3f317218
	v_pk_mul_f32 v[32:33], v[34:35], v[32:33]
	v_fma_f32 v50, v34, s18, -v32
	v_fmac_f32_e32 v50, 0xb102e308, v34
	v_pk_add_f32 v[34:35], v[32:33], v[50:51]
	v_sub_f32_e32 v51, v35, v51
	v_ldexp_f32 v31, v31, 1
	v_sub_f32_e32 v51, v33, v51
	v_add_f32_e32 v53, v31, v51
	v_mov_b32_e32 v52, v32
	v_pk_add_f32 v[32:33], v[34:35], v[32:33] neg_lo:[0,1] neg_hi:[0,1]
	v_pk_add_f32 v[54:55], v[34:35], v[52:53]
	v_mov_b32_e32 v33, v55
	v_mov_b32_e32 v51, v34
	v_pk_add_f32 v[64:65], v[50:51], v[32:33] neg_lo:[0,1] neg_hi:[0,1]
	v_pk_add_f32 v[32:33], v[50:51], v[32:33]
	v_mov_b32_e32 v50, v33
	v_pk_add_f32 v[66:67], v[50:51], v[34:35] neg_lo:[0,1] neg_hi:[0,1]
	v_mov_b32_e32 v31, v66
	v_pk_add_f32 v[68:69], v[54:55], v[30:31] neg_lo:[0,1] neg_hi:[0,1]
	v_mov_b32_e32 v32, v55
	v_mov_b32_e32 v54, v35
	;; [unrolled: 1-line block ×4, first 2 shown]
	v_pk_add_f32 v[32:33], v[32:33], v[54:55] neg_lo:[0,1] neg_hi:[0,1]
	v_mov_b32_e32 v52, v53
	v_mov_b32_e32 v53, v34
	v_pk_add_f32 v[32:33], v[52:53], v[32:33] neg_lo:[0,1] neg_hi:[0,1]
	v_mov_b32_e32 v68, v64
	v_pk_add_f32 v[34:35], v[68:69], v[32:33]
	v_mov_b32_e32 v52, v35
	v_pk_add_f32 v[52:53], v[34:35], v[52:53]
	v_pk_add_f32 v[50:51], v[50:51], v[52:53]
	v_mov_b32_e32 v35, v50
	v_pk_add_f32 v[54:55], v[34:35], v[64:65] neg_lo:[0,1] neg_hi:[0,1]
	v_mov_b32_e32 v33, v52
	v_sub_f32_e32 v31, v34, v54
	v_pk_add_f32 v[32:33], v[32:33], v[54:55] neg_lo:[0,1] neg_hi:[0,1]
	v_sub_f32_e32 v31, v64, v31
	v_add_f32_e32 v31, v32, v31
	v_cmp_eq_f32_e64 s[18:19], s22, v49
	s_mov_b32 s22, 0x33800000
	v_add_f32_e32 v31, v31, v33
	v_cmp_lt_f32_e64 s[22:23], |v49|, s22
	v_add_f32_e32 v31, v50, v31
	s_or_b64 s[18:19], s[18:19], s[22:23]
	v_cndmask_b32_e64 v31, v31, v49, s[18:19]
	v_add_f32_e32 v22, v22, v31
	v_cvt_f16_f32_e32 v31, v22
	v_cvt_f32_f16_e32 v32, v31
.LBB353_266:
	s_or_b64 exec, exec, s[20:21]
	v_cvt_f32_f16_sdwa v22, v23 dst_sel:DWORD dst_unused:UNUSED_PAD src0_sel:WORD_1
	v_max_f32_e32 v34, v32, v32
	v_cmp_u_f16_e64 s[20:21], v31, v31
	v_cmp_u_f16_sdwa s[18:19], v23, v23 src0_sel:WORD_1 src1_sel:WORD_1
	v_min_f32_e32 v33, v34, v22
	v_max_f32_e32 v23, v34, v22
	v_cndmask_b32_e64 v33, v33, v32, s[20:21]
	v_cndmask_b32_e64 v23, v23, v32, s[20:21]
	;; [unrolled: 1-line block ×4, first 2 shown]
	s_movk_i32 s24, 0x1f8
	v_cmp_neq_f32_e64 s[20:21], v33, v23
	v_cmp_class_f32_e64 s[22:23], v33, s24
	s_or_b64 s[20:21], s[20:21], s[22:23]
	s_and_saveexec_b64 s[22:23], s[20:21]
	s_cbranch_execz .LBB353_268
; %bb.267:
	v_sub_f32_e32 v31, v33, v23
	s_mov_b32 s20, 0x3fb8aa3b
	v_mul_f32_e32 v32, 0x3fb8aa3b, v31
	v_fma_f32 v33, v31, s20, -v32
	v_rndne_f32_e32 v34, v32
	v_fmac_f32_e32 v33, 0x32a5705f, v31
	v_sub_f32_e32 v32, v32, v34
	v_add_f32_e32 v32, v32, v33
	v_exp_f32_e32 v32, v32
	v_cvt_i32_f32_e32 v33, v34
	s_mov_b32 s20, 0xc2ce8ed0
	v_cmp_ngt_f32_e64 s[20:21], s20, v31
	s_mov_b32 s25, 0x7f800000
	v_ldexp_f32 v32, v32, v33
	v_cndmask_b32_e64 v32, 0, v32, s[20:21]
	s_mov_b32 s20, 0x42b17218
	v_mov_b32_e32 v33, 0x7f800000
	v_cmp_nlt_f32_e64 s[20:21], s20, v31
	v_cndmask_b32_e64 v49, v33, v32, s[20:21]
	v_add_f32_e32 v31, 1.0, v49
	v_add_f32_e32 v32, -1.0, v31
	v_sub_f32_e32 v33, v32, v31
	v_add_f32_e32 v33, 1.0, v33
	v_sub_f32_e32 v32, v49, v32
	v_add_f32_e32 v34, v32, v33
	v_frexp_mant_f32_e32 v35, v31
	s_mov_b32 s20, 0x3f2aaaab
	v_cvt_f64_f32_e32 v[32:33], v31
	v_frexp_exp_i32_f64_e32 v32, v[32:33]
	v_cmp_gt_f32_e64 s[20:21], s20, v35
	v_subbrev_co_u32_e64 v54, s[20:21], 0, v32, s[20:21]
	v_sub_u32_e32 v32, 0, v54
	v_ldexp_f32 v31, v31, v32
	v_ldexp_f32 v32, v34, v32
	v_add_f32_e32 v34, -1.0, v31
	v_add_f32_e32 v33, 1.0, v34
	v_sub_f32_e32 v33, v31, v33
	v_add_f32_e32 v35, v32, v33
	v_add_f32_e32 v33, 1.0, v31
	v_add_f32_e32 v50, -1.0, v33
	v_sub_f32_e32 v31, v31, v50
	v_add_f32_e32 v31, v32, v31
	v_add_f32_e32 v55, v33, v31
	v_rcp_f32_e32 v64, v55
	v_sub_f32_e32 v32, v33, v55
	v_add_f32_e32 v33, v34, v35
	v_add_f32_e32 v31, v31, v32
	v_mul_f32_e32 v66, v33, v64
	v_sub_f32_e32 v32, v34, v33
	v_mul_f32_e32 v34, v55, v66
	v_fma_f32 v50, v66, v55, -v34
	v_fmac_f32_e32 v50, v66, v31
	v_add_f32_e32 v65, v35, v32
	v_add_f32_e32 v32, v34, v50
	v_sub_f32_e32 v35, v33, v32
	v_pk_add_f32 v[52:53], v[32:33], v[34:35] neg_lo:[0,1] neg_hi:[0,1]
	v_mov_b32_e32 v51, v32
	v_pk_add_f32 v[32:33], v[52:53], v[50:51] neg_lo:[0,1] neg_hi:[0,1]
	v_add_f32_e32 v33, v65, v33
	v_add_f32_e32 v32, v32, v33
	;; [unrolled: 1-line block ×3, first 2 shown]
	v_mul_f32_e32 v65, v64, v33
	v_mul_f32_e32 v34, v55, v65
	v_fma_f32 v50, v65, v55, -v34
	v_fmac_f32_e32 v50, v65, v31
	v_sub_f32_e32 v31, v35, v33
	v_add_f32_e32 v31, v32, v31
	v_add_f32_e32 v32, v34, v50
	v_sub_f32_e32 v35, v33, v32
	v_pk_add_f32 v[52:53], v[32:33], v[34:35] neg_lo:[0,1] neg_hi:[0,1]
	v_mov_b32_e32 v51, v32
	v_pk_add_f32 v[32:33], v[52:53], v[50:51] neg_lo:[0,1] neg_hi:[0,1]
	v_add_f32_e32 v31, v31, v33
	v_add_f32_e32 v31, v32, v31
	;; [unrolled: 1-line block ×4, first 2 shown]
	v_sub_f32_e32 v33, v32, v66
	v_mul_f32_e32 v31, v64, v31
	v_sub_f32_e32 v33, v65, v33
	v_add_f32_e32 v31, v33, v31
	v_add_f32_e32 v35, v32, v31
	v_mul_f32_e32 v50, v35, v35
	v_mov_b32_e32 v34, 0x3ecc95a3
	v_fmac_f32_e32 v34, 0x3e9b6dac, v50
	v_mov_b32_e32 v33, 0x3f2aaada
	v_fmac_f32_e32 v33, v50, v34
	v_cvt_f32_i32_e32 v34, v54
	v_sub_f32_e32 v32, v35, v32
	v_sub_f32_e32 v31, v31, v32
	v_ldexp_f32 v51, v35, 1
	v_mul_f32_e32 v35, v35, v50
	v_mov_b32_e32 v32, 0x3f317218
	s_mov_b32 s20, 0x3f317218
	v_pk_mul_f32 v[32:33], v[34:35], v[32:33]
	v_fma_f32 v50, v34, s20, -v32
	v_fmac_f32_e32 v50, 0xb102e308, v34
	v_pk_add_f32 v[34:35], v[32:33], v[50:51]
	v_sub_f32_e32 v51, v35, v51
	v_ldexp_f32 v31, v31, 1
	v_sub_f32_e32 v51, v33, v51
	v_add_f32_e32 v53, v31, v51
	v_mov_b32_e32 v52, v32
	v_pk_add_f32 v[32:33], v[34:35], v[32:33] neg_lo:[0,1] neg_hi:[0,1]
	v_pk_add_f32 v[54:55], v[34:35], v[52:53]
	v_mov_b32_e32 v33, v55
	v_mov_b32_e32 v51, v34
	v_pk_add_f32 v[64:65], v[50:51], v[32:33] neg_lo:[0,1] neg_hi:[0,1]
	v_pk_add_f32 v[32:33], v[50:51], v[32:33]
	v_mov_b32_e32 v50, v33
	v_pk_add_f32 v[66:67], v[50:51], v[34:35] neg_lo:[0,1] neg_hi:[0,1]
	v_mov_b32_e32 v31, v66
	v_pk_add_f32 v[68:69], v[54:55], v[30:31] neg_lo:[0,1] neg_hi:[0,1]
	v_mov_b32_e32 v32, v55
	v_mov_b32_e32 v54, v35
	;; [unrolled: 1-line block ×4, first 2 shown]
	v_pk_add_f32 v[32:33], v[32:33], v[54:55] neg_lo:[0,1] neg_hi:[0,1]
	v_mov_b32_e32 v52, v53
	v_mov_b32_e32 v53, v34
	v_pk_add_f32 v[32:33], v[52:53], v[32:33] neg_lo:[0,1] neg_hi:[0,1]
	v_mov_b32_e32 v68, v64
	v_pk_add_f32 v[34:35], v[68:69], v[32:33]
	v_mov_b32_e32 v52, v35
	v_pk_add_f32 v[52:53], v[34:35], v[52:53]
	v_pk_add_f32 v[50:51], v[50:51], v[52:53]
	v_mov_b32_e32 v35, v50
	v_pk_add_f32 v[54:55], v[34:35], v[64:65] neg_lo:[0,1] neg_hi:[0,1]
	v_mov_b32_e32 v33, v52
	v_sub_f32_e32 v31, v34, v54
	v_pk_add_f32 v[32:33], v[32:33], v[54:55] neg_lo:[0,1] neg_hi:[0,1]
	v_sub_f32_e32 v31, v64, v31
	v_add_f32_e32 v31, v32, v31
	v_cmp_eq_f32_e64 s[20:21], s25, v49
	s_mov_b32 s25, 0x33800000
	v_add_f32_e32 v31, v31, v33
	v_cmp_lt_f32_e64 s[26:27], |v49|, s25
	v_add_f32_e32 v31, v50, v31
	s_or_b64 s[20:21], s[20:21], s[26:27]
	v_cndmask_b32_e64 v31, v31, v49, s[20:21]
	v_add_f32_e32 v23, v23, v31
	v_cvt_f16_f32_e32 v31, v23
	v_cvt_f32_f16_e32 v32, v31
.LBB353_268:
	s_or_b64 exec, exec, s[22:23]
	v_cvt_f32_f16_e32 v23, v16
	v_max_f32_e32 v33, v32, v32
	v_cmp_u_f16_e64 s[22:23], v31, v31
	v_cmp_u_f16_e64 s[20:21], v16, v16
	v_min_f32_e32 v34, v33, v23
	v_max_f32_e32 v33, v33, v23
	v_cndmask_b32_e64 v34, v34, v32, s[22:23]
	v_cndmask_b32_e64 v33, v33, v32, s[22:23]
	;; [unrolled: 1-line block ×4, first 2 shown]
	v_cmp_neq_f32_e64 s[22:23], v34, v33
	v_cmp_class_f32_e64 s[24:25], v34, s24
	s_or_b64 s[22:23], s[22:23], s[24:25]
	s_and_saveexec_b64 s[24:25], s[22:23]
	s_cbranch_execz .LBB353_270
; %bb.269:
	v_sub_f32_e32 v31, v34, v33
	s_mov_b32 s22, 0x3fb8aa3b
	v_mul_f32_e32 v32, 0x3fb8aa3b, v31
	v_fma_f32 v34, v31, s22, -v32
	v_rndne_f32_e32 v35, v32
	v_fmac_f32_e32 v34, 0x32a5705f, v31
	v_sub_f32_e32 v32, v32, v35
	v_add_f32_e32 v32, v32, v34
	v_exp_f32_e32 v32, v32
	v_cvt_i32_f32_e32 v34, v35
	s_mov_b32 s22, 0xc2ce8ed0
	v_cmp_ngt_f32_e64 s[22:23], s22, v31
	s_mov_b32 s26, 0x7f800000
	v_ldexp_f32 v32, v32, v34
	v_cndmask_b32_e64 v32, 0, v32, s[22:23]
	s_mov_b32 s22, 0x42b17218
	v_mov_b32_e32 v34, 0x7f800000
	v_cmp_nlt_f32_e64 s[22:23], s22, v31
	v_cndmask_b32_e64 v49, v34, v32, s[22:23]
	v_add_f32_e32 v31, 1.0, v49
	v_add_f32_e32 v32, -1.0, v31
	v_sub_f32_e32 v34, v32, v31
	v_add_f32_e32 v34, 1.0, v34
	v_sub_f32_e32 v32, v49, v32
	v_add_f32_e32 v32, v32, v34
	v_frexp_mant_f32_e32 v50, v31
	s_mov_b32 s22, 0x3f2aaaab
	v_cvt_f64_f32_e32 v[34:35], v31
	v_frexp_exp_i32_f64_e32 v34, v[34:35]
	v_cmp_gt_f32_e64 s[22:23], s22, v50
	v_subbrev_co_u32_e64 v64, s[22:23], 0, v34, s[22:23]
	v_sub_u32_e32 v34, 0, v64
	v_ldexp_f32 v31, v31, v34
	v_ldexp_f32 v32, v32, v34
	v_add_f32_e32 v34, -1.0, v31
	v_add_f32_e32 v35, 1.0, v34
	v_sub_f32_e32 v35, v31, v35
	v_add_f32_e32 v50, v32, v35
	v_add_f32_e32 v35, 1.0, v31
	v_add_f32_e32 v51, -1.0, v35
	v_sub_f32_e32 v31, v31, v51
	v_add_f32_e32 v31, v32, v31
	v_add_f32_e32 v32, v35, v31
	v_rcp_f32_e32 v65, v32
	v_sub_f32_e32 v35, v35, v32
	v_add_f32_e32 v31, v31, v35
	v_add_f32_e32 v35, v34, v50
	v_sub_f32_e32 v34, v34, v35
	v_mul_f32_e32 v67, v35, v65
	v_add_f32_e32 v66, v50, v34
	v_mul_f32_e32 v50, v32, v67
	v_fma_f32 v52, v67, v32, -v50
	v_fmac_f32_e32 v52, v67, v31
	v_add_f32_e32 v34, v50, v52
	v_sub_f32_e32 v51, v35, v34
	v_pk_add_f32 v[54:55], v[34:35], v[50:51] neg_lo:[0,1] neg_hi:[0,1]
	v_mov_b32_e32 v53, v34
	v_pk_add_f32 v[34:35], v[54:55], v[52:53] neg_lo:[0,1] neg_hi:[0,1]
	v_add_f32_e32 v35, v66, v35
	v_add_f32_e32 v34, v34, v35
	;; [unrolled: 1-line block ×3, first 2 shown]
	v_mul_f32_e32 v66, v65, v35
	v_mul_f32_e32 v50, v32, v66
	v_fma_f32 v52, v66, v32, -v50
	v_fmac_f32_e32 v52, v66, v31
	v_sub_f32_e32 v31, v51, v35
	v_add_f32_e32 v31, v34, v31
	v_add_f32_e32 v34, v50, v52
	v_sub_f32_e32 v51, v35, v34
	v_pk_add_f32 v[54:55], v[34:35], v[50:51] neg_lo:[0,1] neg_hi:[0,1]
	v_mov_b32_e32 v53, v34
	v_pk_add_f32 v[34:35], v[54:55], v[52:53] neg_lo:[0,1] neg_hi:[0,1]
	v_add_f32_e32 v31, v31, v35
	v_add_f32_e32 v31, v34, v31
	;; [unrolled: 1-line block ×4, first 2 shown]
	v_sub_f32_e32 v34, v32, v67
	v_mul_f32_e32 v31, v65, v31
	v_sub_f32_e32 v34, v66, v34
	v_add_f32_e32 v31, v34, v31
	v_add_f32_e32 v34, v32, v31
	v_mul_f32_e32 v51, v34, v34
	v_mov_b32_e32 v50, 0x3ecc95a3
	v_fmac_f32_e32 v50, 0x3e9b6dac, v51
	v_mov_b32_e32 v35, 0x3f2aaada
	v_fmac_f32_e32 v35, v51, v50
	v_cvt_f32_i32_e32 v50, v64
	v_sub_f32_e32 v32, v34, v32
	v_ldexp_f32 v53, v34, 1
	v_mul_f32_e32 v51, v34, v51
	v_mov_b32_e32 v34, 0x3f317218
	s_mov_b32 s22, 0x3f317218
	v_pk_mul_f32 v[34:35], v[50:51], v[34:35]
	v_fma_f32 v52, v50, s22, -v34
	v_fmac_f32_e32 v52, 0xb102e308, v50
	v_pk_add_f32 v[50:51], v[34:35], v[52:53]
	v_sub_f32_e32 v31, v31, v32
	v_sub_f32_e32 v32, v51, v53
	v_ldexp_f32 v31, v31, 1
	v_sub_f32_e32 v32, v35, v32
	v_add_f32_e32 v55, v31, v32
	v_mov_b32_e32 v54, v34
	v_pk_add_f32 v[34:35], v[50:51], v[34:35] neg_lo:[0,1] neg_hi:[0,1]
	v_pk_add_f32 v[64:65], v[50:51], v[54:55]
	v_mov_b32_e32 v35, v65
	v_mov_b32_e32 v53, v50
	v_pk_add_f32 v[66:67], v[52:53], v[34:35] neg_lo:[0,1] neg_hi:[0,1]
	v_pk_add_f32 v[34:35], v[52:53], v[34:35]
	v_mov_b32_e32 v32, v35
	v_pk_add_f32 v[52:53], v[32:33], v[50:51] neg_lo:[0,1] neg_hi:[0,1]
	v_mov_b32_e32 v31, v52
	v_pk_add_f32 v[68:69], v[64:65], v[30:31] neg_lo:[0,1] neg_hi:[0,1]
	v_mov_b32_e32 v34, v65
	v_mov_b32_e32 v64, v51
	;; [unrolled: 1-line block ×4, first 2 shown]
	v_pk_add_f32 v[34:35], v[34:35], v[64:65] neg_lo:[0,1] neg_hi:[0,1]
	v_mov_b32_e32 v52, v55
	v_mov_b32_e32 v53, v50
	v_pk_add_f32 v[34:35], v[52:53], v[34:35] neg_lo:[0,1] neg_hi:[0,1]
	v_mov_b32_e32 v68, v66
	v_pk_add_f32 v[50:51], v[68:69], v[34:35]
	v_mov_b32_e32 v52, v51
	v_pk_add_f32 v[52:53], v[50:51], v[52:53]
	v_pk_add_f32 v[54:55], v[32:33], v[52:53]
	v_mov_b32_e32 v51, v54
	v_pk_add_f32 v[64:65], v[50:51], v[66:67] neg_lo:[0,1] neg_hi:[0,1]
	v_mov_b32_e32 v35, v52
	v_sub_f32_e32 v31, v50, v64
	v_pk_add_f32 v[34:35], v[34:35], v[64:65] neg_lo:[0,1] neg_hi:[0,1]
	v_sub_f32_e32 v31, v66, v31
	v_add_f32_e32 v31, v34, v31
	v_cmp_eq_f32_e64 s[22:23], s26, v49
	s_mov_b32 s26, 0x33800000
	v_add_f32_e32 v31, v31, v35
	v_cmp_lt_f32_e64 s[26:27], |v49|, s26
	v_add_f32_e32 v31, v54, v31
	s_or_b64 s[22:23], s[22:23], s[26:27]
	v_cndmask_b32_e64 v31, v31, v49, s[22:23]
	v_add_f32_e32 v31, v33, v31
	v_cvt_f16_f32_e32 v31, v31
	v_cvt_f32_f16_e32 v32, v31
.LBB353_270:
	s_or_b64 exec, exec, s[24:25]
	v_cvt_f32_f16_sdwa v50, v16 dst_sel:DWORD dst_unused:UNUSED_PAD src0_sel:WORD_1
	v_max_f32_e32 v34, v32, v32
	v_cmp_u_f16_e64 s[24:25], v31, v31
	v_cmp_u_f16_sdwa s[22:23], v16, v16 src0_sel:WORD_1 src1_sel:WORD_1
	v_min_f32_e32 v33, v34, v50
	v_max_f32_e32 v16, v34, v50
	v_cndmask_b32_e64 v33, v33, v32, s[24:25]
	v_cndmask_b32_e64 v16, v16, v32, s[24:25]
	;; [unrolled: 1-line block ×4, first 2 shown]
	s_movk_i32 s28, 0x1f8
	v_cmp_neq_f32_e64 s[24:25], v33, v16
	v_cmp_class_f32_e64 s[26:27], v33, s28
	s_or_b64 s[24:25], s[24:25], s[26:27]
	s_and_saveexec_b64 s[26:27], s[24:25]
	s_cbranch_execz .LBB353_272
; %bb.271:
	v_sub_f32_e32 v31, v33, v16
	s_mov_b32 s24, 0x3fb8aa3b
	v_mul_f32_e32 v32, 0x3fb8aa3b, v31
	v_fma_f32 v33, v31, s24, -v32
	v_rndne_f32_e32 v34, v32
	v_fmac_f32_e32 v33, 0x32a5705f, v31
	v_sub_f32_e32 v32, v32, v34
	v_add_f32_e32 v32, v32, v33
	v_exp_f32_e32 v32, v32
	v_cvt_i32_f32_e32 v33, v34
	s_mov_b32 s24, 0xc2ce8ed0
	v_cmp_ngt_f32_e64 s[24:25], s24, v31
	s_mov_b32 s29, 0x7f800000
	v_ldexp_f32 v32, v32, v33
	v_cndmask_b32_e64 v32, 0, v32, s[24:25]
	s_mov_b32 s24, 0x42b17218
	v_mov_b32_e32 v33, 0x7f800000
	v_cmp_nlt_f32_e64 s[24:25], s24, v31
	v_cndmask_b32_e64 v49, v33, v32, s[24:25]
	v_add_f32_e32 v31, 1.0, v49
	v_add_f32_e32 v32, -1.0, v31
	v_sub_f32_e32 v33, v32, v31
	v_add_f32_e32 v33, 1.0, v33
	v_sub_f32_e32 v32, v49, v32
	v_add_f32_e32 v34, v32, v33
	v_frexp_mant_f32_e32 v35, v31
	s_mov_b32 s24, 0x3f2aaaab
	v_cvt_f64_f32_e32 v[32:33], v31
	v_frexp_exp_i32_f64_e32 v32, v[32:33]
	v_cmp_gt_f32_e64 s[24:25], s24, v35
	v_subbrev_co_u32_e64 v51, s[24:25], 0, v32, s[24:25]
	v_sub_u32_e32 v32, 0, v51
	v_ldexp_f32 v31, v31, v32
	v_ldexp_f32 v32, v34, v32
	v_add_f32_e32 v34, -1.0, v31
	v_add_f32_e32 v33, 1.0, v34
	v_sub_f32_e32 v33, v31, v33
	v_add_f32_e32 v35, v32, v33
	v_add_f32_e32 v33, 1.0, v31
	v_add_f32_e32 v52, -1.0, v33
	v_sub_f32_e32 v31, v31, v52
	v_add_f32_e32 v31, v32, v31
	v_add_f32_e32 v64, v33, v31
	v_rcp_f32_e32 v65, v64
	v_sub_f32_e32 v32, v33, v64
	v_add_f32_e32 v33, v34, v35
	v_add_f32_e32 v31, v31, v32
	v_mul_f32_e32 v67, v33, v65
	v_sub_f32_e32 v32, v34, v33
	v_mul_f32_e32 v34, v64, v67
	v_fma_f32 v52, v67, v64, -v34
	v_fmac_f32_e32 v52, v67, v31
	v_add_f32_e32 v66, v35, v32
	v_add_f32_e32 v32, v34, v52
	v_sub_f32_e32 v35, v33, v32
	v_pk_add_f32 v[54:55], v[32:33], v[34:35] neg_lo:[0,1] neg_hi:[0,1]
	v_mov_b32_e32 v53, v32
	v_pk_add_f32 v[32:33], v[54:55], v[52:53] neg_lo:[0,1] neg_hi:[0,1]
	v_add_f32_e32 v33, v66, v33
	v_add_f32_e32 v32, v32, v33
	;; [unrolled: 1-line block ×3, first 2 shown]
	v_mul_f32_e32 v66, v65, v33
	v_mul_f32_e32 v34, v64, v66
	v_fma_f32 v52, v66, v64, -v34
	v_fmac_f32_e32 v52, v66, v31
	v_sub_f32_e32 v31, v35, v33
	v_add_f32_e32 v31, v32, v31
	v_add_f32_e32 v32, v34, v52
	v_sub_f32_e32 v35, v33, v32
	v_pk_add_f32 v[54:55], v[32:33], v[34:35] neg_lo:[0,1] neg_hi:[0,1]
	v_mov_b32_e32 v53, v32
	v_pk_add_f32 v[32:33], v[54:55], v[52:53] neg_lo:[0,1] neg_hi:[0,1]
	v_add_f32_e32 v31, v31, v33
	v_add_f32_e32 v31, v32, v31
	;; [unrolled: 1-line block ×4, first 2 shown]
	v_sub_f32_e32 v33, v32, v67
	v_mul_f32_e32 v31, v65, v31
	v_sub_f32_e32 v33, v66, v33
	v_add_f32_e32 v31, v33, v31
	v_add_f32_e32 v35, v32, v31
	v_mul_f32_e32 v52, v35, v35
	v_mov_b32_e32 v34, 0x3ecc95a3
	v_fmac_f32_e32 v34, 0x3e9b6dac, v52
	v_mov_b32_e32 v33, 0x3f2aaada
	v_fmac_f32_e32 v33, v52, v34
	v_cvt_f32_i32_e32 v34, v51
	v_sub_f32_e32 v32, v35, v32
	v_sub_f32_e32 v31, v31, v32
	v_ldexp_f32 v53, v35, 1
	v_mul_f32_e32 v35, v35, v52
	v_mov_b32_e32 v32, 0x3f317218
	s_mov_b32 s24, 0x3f317218
	v_pk_mul_f32 v[32:33], v[34:35], v[32:33]
	v_fma_f32 v52, v34, s24, -v32
	v_fmac_f32_e32 v52, 0xb102e308, v34
	v_pk_add_f32 v[34:35], v[32:33], v[52:53]
	v_sub_f32_e32 v51, v35, v53
	v_ldexp_f32 v31, v31, 1
	v_sub_f32_e32 v51, v33, v51
	v_add_f32_e32 v55, v31, v51
	v_mov_b32_e32 v54, v32
	v_pk_add_f32 v[32:33], v[34:35], v[32:33] neg_lo:[0,1] neg_hi:[0,1]
	v_pk_add_f32 v[64:65], v[34:35], v[54:55]
	v_mov_b32_e32 v33, v65
	v_mov_b32_e32 v53, v34
	v_pk_add_f32 v[66:67], v[52:53], v[32:33] neg_lo:[0,1] neg_hi:[0,1]
	v_pk_add_f32 v[32:33], v[52:53], v[32:33]
	v_mov_b32_e32 v52, v33
	v_pk_add_f32 v[68:69], v[52:53], v[34:35] neg_lo:[0,1] neg_hi:[0,1]
	v_mov_b32_e32 v31, v68
	v_pk_add_f32 v[70:71], v[64:65], v[30:31] neg_lo:[0,1] neg_hi:[0,1]
	v_mov_b32_e32 v32, v65
	v_mov_b32_e32 v64, v35
	;; [unrolled: 1-line block ×4, first 2 shown]
	v_pk_add_f32 v[32:33], v[32:33], v[64:65] neg_lo:[0,1] neg_hi:[0,1]
	v_mov_b32_e32 v54, v55
	v_mov_b32_e32 v55, v34
	v_pk_add_f32 v[32:33], v[54:55], v[32:33] neg_lo:[0,1] neg_hi:[0,1]
	v_mov_b32_e32 v70, v66
	v_pk_add_f32 v[34:35], v[70:71], v[32:33]
	v_mov_b32_e32 v54, v35
	v_pk_add_f32 v[54:55], v[34:35], v[54:55]
	v_pk_add_f32 v[52:53], v[52:53], v[54:55]
	v_mov_b32_e32 v35, v52
	v_pk_add_f32 v[64:65], v[34:35], v[66:67] neg_lo:[0,1] neg_hi:[0,1]
	v_mov_b32_e32 v33, v54
	v_sub_f32_e32 v31, v34, v64
	v_pk_add_f32 v[32:33], v[32:33], v[64:65] neg_lo:[0,1] neg_hi:[0,1]
	v_sub_f32_e32 v31, v66, v31
	v_add_f32_e32 v31, v32, v31
	v_cmp_eq_f32_e64 s[24:25], s29, v49
	s_mov_b32 s29, 0x33800000
	v_add_f32_e32 v31, v31, v33
	v_cmp_lt_f32_e64 s[30:31], |v49|, s29
	v_add_f32_e32 v31, v52, v31
	s_or_b64 s[24:25], s[24:25], s[30:31]
	v_cndmask_b32_e64 v31, v31, v49, s[24:25]
	v_add_f32_e32 v16, v16, v31
	v_cvt_f16_f32_e32 v31, v16
	v_cvt_f32_f16_e32 v32, v31
.LBB353_272:
	s_or_b64 exec, exec, s[26:27]
	v_cvt_f32_f16_e32 v16, v17
	v_max_f32_e32 v33, v32, v32
	v_cmp_u_f16_e64 s[26:27], v31, v31
	v_cmp_u_f16_e64 s[24:25], v17, v17
	v_min_f32_e32 v34, v33, v16
	v_max_f32_e32 v33, v33, v16
	v_cndmask_b32_e64 v34, v34, v32, s[26:27]
	v_cndmask_b32_e64 v33, v33, v32, s[26:27]
	v_cndmask_b32_e64 v34, v34, v16, s[24:25]
	v_cndmask_b32_e64 v33, v33, v16, s[24:25]
	v_cmp_neq_f32_e64 s[26:27], v34, v33
	v_cmp_class_f32_e64 s[28:29], v34, s28
	s_or_b64 s[26:27], s[26:27], s[28:29]
	s_and_saveexec_b64 s[28:29], s[26:27]
	s_cbranch_execz .LBB353_274
; %bb.273:
	v_sub_f32_e32 v31, v34, v33
	s_mov_b32 s26, 0x3fb8aa3b
	v_mul_f32_e32 v32, 0x3fb8aa3b, v31
	v_fma_f32 v34, v31, s26, -v32
	v_rndne_f32_e32 v35, v32
	v_fmac_f32_e32 v34, 0x32a5705f, v31
	v_sub_f32_e32 v32, v32, v35
	v_add_f32_e32 v32, v32, v34
	v_exp_f32_e32 v32, v32
	v_cvt_i32_f32_e32 v34, v35
	s_mov_b32 s26, 0xc2ce8ed0
	v_cmp_ngt_f32_e64 s[26:27], s26, v31
	s_mov_b32 s30, 0x7f800000
	v_ldexp_f32 v32, v32, v34
	v_cndmask_b32_e64 v32, 0, v32, s[26:27]
	s_mov_b32 s26, 0x42b17218
	v_mov_b32_e32 v34, 0x7f800000
	v_cmp_nlt_f32_e64 s[26:27], s26, v31
	v_cndmask_b32_e64 v49, v34, v32, s[26:27]
	v_add_f32_e32 v31, 1.0, v49
	v_add_f32_e32 v32, -1.0, v31
	v_sub_f32_e32 v34, v32, v31
	v_add_f32_e32 v34, 1.0, v34
	v_sub_f32_e32 v32, v49, v32
	v_add_f32_e32 v32, v32, v34
	v_frexp_mant_f32_e32 v51, v31
	s_mov_b32 s26, 0x3f2aaaab
	v_cvt_f64_f32_e32 v[34:35], v31
	v_frexp_exp_i32_f64_e32 v34, v[34:35]
	v_cmp_gt_f32_e64 s[26:27], s26, v51
	v_subbrev_co_u32_e64 v51, s[26:27], 0, v34, s[26:27]
	v_sub_u32_e32 v34, 0, v51
	v_ldexp_f32 v31, v31, v34
	v_ldexp_f32 v32, v32, v34
	v_add_f32_e32 v34, -1.0, v31
	v_add_f32_e32 v35, 1.0, v34
	v_sub_f32_e32 v35, v31, v35
	v_add_f32_e32 v52, v32, v35
	v_add_f32_e32 v35, 1.0, v31
	v_add_f32_e32 v53, -1.0, v35
	v_sub_f32_e32 v31, v31, v53
	v_add_f32_e32 v31, v32, v31
	v_add_f32_e32 v32, v35, v31
	v_rcp_f32_e32 v66, v32
	v_sub_f32_e32 v35, v35, v32
	v_add_f32_e32 v31, v31, v35
	v_add_f32_e32 v35, v34, v52
	v_sub_f32_e32 v34, v34, v35
	v_mul_f32_e32 v68, v35, v66
	v_add_f32_e32 v67, v52, v34
	v_mul_f32_e32 v52, v32, v68
	v_fma_f32 v54, v68, v32, -v52
	v_fmac_f32_e32 v54, v68, v31
	v_add_f32_e32 v34, v52, v54
	v_sub_f32_e32 v53, v35, v34
	v_pk_add_f32 v[64:65], v[34:35], v[52:53] neg_lo:[0,1] neg_hi:[0,1]
	v_mov_b32_e32 v55, v34
	v_pk_add_f32 v[34:35], v[64:65], v[54:55] neg_lo:[0,1] neg_hi:[0,1]
	v_add_f32_e32 v35, v67, v35
	v_add_f32_e32 v34, v34, v35
	;; [unrolled: 1-line block ×3, first 2 shown]
	v_mul_f32_e32 v67, v66, v35
	v_mul_f32_e32 v52, v32, v67
	v_fma_f32 v54, v67, v32, -v52
	v_fmac_f32_e32 v54, v67, v31
	v_sub_f32_e32 v31, v53, v35
	v_add_f32_e32 v31, v34, v31
	v_add_f32_e32 v34, v52, v54
	v_sub_f32_e32 v53, v35, v34
	v_pk_add_f32 v[64:65], v[34:35], v[52:53] neg_lo:[0,1] neg_hi:[0,1]
	v_mov_b32_e32 v55, v34
	v_pk_add_f32 v[34:35], v[64:65], v[54:55] neg_lo:[0,1] neg_hi:[0,1]
	v_add_f32_e32 v31, v31, v35
	v_add_f32_e32 v31, v34, v31
	;; [unrolled: 1-line block ×4, first 2 shown]
	v_sub_f32_e32 v34, v32, v68
	v_mul_f32_e32 v31, v66, v31
	v_sub_f32_e32 v34, v67, v34
	v_add_f32_e32 v31, v34, v31
	v_add_f32_e32 v34, v32, v31
	v_mul_f32_e32 v53, v34, v34
	v_mov_b32_e32 v52, 0x3ecc95a3
	v_fmac_f32_e32 v52, 0x3e9b6dac, v53
	v_mov_b32_e32 v35, 0x3f2aaada
	v_fmac_f32_e32 v35, v53, v52
	v_cvt_f32_i32_e32 v52, v51
	v_sub_f32_e32 v32, v34, v32
	v_ldexp_f32 v55, v34, 1
	v_mul_f32_e32 v53, v34, v53
	v_mov_b32_e32 v34, 0x3f317218
	s_mov_b32 s26, 0x3f317218
	v_pk_mul_f32 v[34:35], v[52:53], v[34:35]
	v_fma_f32 v54, v52, s26, -v34
	v_fmac_f32_e32 v54, 0xb102e308, v52
	v_pk_add_f32 v[52:53], v[34:35], v[54:55]
	v_sub_f32_e32 v31, v31, v32
	v_sub_f32_e32 v32, v53, v55
	v_ldexp_f32 v31, v31, 1
	v_sub_f32_e32 v32, v35, v32
	v_add_f32_e32 v65, v31, v32
	v_mov_b32_e32 v64, v34
	v_pk_add_f32 v[34:35], v[52:53], v[34:35] neg_lo:[0,1] neg_hi:[0,1]
	v_pk_add_f32 v[66:67], v[52:53], v[64:65]
	v_mov_b32_e32 v35, v67
	v_mov_b32_e32 v55, v52
	v_pk_add_f32 v[68:69], v[54:55], v[34:35] neg_lo:[0,1] neg_hi:[0,1]
	v_pk_add_f32 v[34:35], v[54:55], v[34:35]
	v_mov_b32_e32 v32, v35
	v_pk_add_f32 v[54:55], v[32:33], v[52:53] neg_lo:[0,1] neg_hi:[0,1]
	v_mov_b32_e32 v31, v54
	v_pk_add_f32 v[70:71], v[66:67], v[30:31] neg_lo:[0,1] neg_hi:[0,1]
	v_mov_b32_e32 v34, v67
	v_mov_b32_e32 v66, v53
	;; [unrolled: 1-line block ×4, first 2 shown]
	v_pk_add_f32 v[34:35], v[34:35], v[66:67] neg_lo:[0,1] neg_hi:[0,1]
	v_mov_b32_e32 v54, v65
	v_mov_b32_e32 v55, v52
	v_pk_add_f32 v[34:35], v[54:55], v[34:35] neg_lo:[0,1] neg_hi:[0,1]
	v_mov_b32_e32 v70, v68
	v_pk_add_f32 v[52:53], v[70:71], v[34:35]
	v_mov_b32_e32 v54, v53
	v_pk_add_f32 v[54:55], v[52:53], v[54:55]
	v_pk_add_f32 v[64:65], v[32:33], v[54:55]
	v_mov_b32_e32 v53, v64
	v_pk_add_f32 v[66:67], v[52:53], v[68:69] neg_lo:[0,1] neg_hi:[0,1]
	v_mov_b32_e32 v35, v54
	v_sub_f32_e32 v31, v52, v66
	v_pk_add_f32 v[34:35], v[34:35], v[66:67] neg_lo:[0,1] neg_hi:[0,1]
	v_sub_f32_e32 v31, v68, v31
	v_add_f32_e32 v31, v34, v31
	v_cmp_eq_f32_e64 s[26:27], s30, v49
	s_mov_b32 s30, 0x33800000
	v_add_f32_e32 v31, v31, v35
	v_cmp_lt_f32_e64 s[30:31], |v49|, s30
	v_add_f32_e32 v31, v64, v31
	s_or_b64 s[26:27], s[26:27], s[30:31]
	v_cndmask_b32_e64 v31, v31, v49, s[26:27]
	v_add_f32_e32 v31, v33, v31
	v_cvt_f16_f32_e32 v31, v31
	v_cvt_f32_f16_e32 v32, v31
.LBB353_274:
	s_or_b64 exec, exec, s[28:29]
	v_cvt_f32_f16_sdwa v51, v17 dst_sel:DWORD dst_unused:UNUSED_PAD src0_sel:WORD_1
	v_max_f32_e32 v34, v32, v32
	v_cmp_u_f16_e64 s[28:29], v31, v31
	v_cmp_u_f16_sdwa s[26:27], v17, v17 src0_sel:WORD_1 src1_sel:WORD_1
	v_min_f32_e32 v33, v34, v51
	v_max_f32_e32 v17, v34, v51
	v_cndmask_b32_e64 v33, v33, v32, s[28:29]
	v_cndmask_b32_e64 v17, v17, v32, s[28:29]
	;; [unrolled: 1-line block ×4, first 2 shown]
	s_movk_i32 s34, 0x1f8
	v_cmp_neq_f32_e64 s[28:29], v33, v17
	v_cmp_class_f32_e64 s[30:31], v33, s34
	s_or_b64 s[28:29], s[28:29], s[30:31]
	s_and_saveexec_b64 s[30:31], s[28:29]
	s_cbranch_execz .LBB353_276
; %bb.275:
	v_sub_f32_e32 v31, v33, v17
	s_mov_b32 s28, 0x3fb8aa3b
	v_mul_f32_e32 v32, 0x3fb8aa3b, v31
	v_fma_f32 v33, v31, s28, -v32
	v_rndne_f32_e32 v34, v32
	v_fmac_f32_e32 v33, 0x32a5705f, v31
	v_sub_f32_e32 v32, v32, v34
	v_add_f32_e32 v32, v32, v33
	v_exp_f32_e32 v32, v32
	v_cvt_i32_f32_e32 v33, v34
	s_mov_b32 s28, 0xc2ce8ed0
	v_cmp_ngt_f32_e64 s[28:29], s28, v31
	s_mov_b32 s35, 0x7f800000
	v_ldexp_f32 v32, v32, v33
	v_cndmask_b32_e64 v32, 0, v32, s[28:29]
	s_mov_b32 s28, 0x42b17218
	v_mov_b32_e32 v33, 0x7f800000
	v_cmp_nlt_f32_e64 s[28:29], s28, v31
	v_cndmask_b32_e64 v49, v33, v32, s[28:29]
	v_add_f32_e32 v31, 1.0, v49
	v_add_f32_e32 v32, -1.0, v31
	v_sub_f32_e32 v33, v32, v31
	v_add_f32_e32 v33, 1.0, v33
	v_sub_f32_e32 v32, v49, v32
	v_add_f32_e32 v34, v32, v33
	v_frexp_mant_f32_e32 v35, v31
	s_mov_b32 s28, 0x3f2aaaab
	v_cvt_f64_f32_e32 v[32:33], v31
	v_frexp_exp_i32_f64_e32 v32, v[32:33]
	v_cmp_gt_f32_e64 s[28:29], s28, v35
	v_subbrev_co_u32_e64 v64, s[28:29], 0, v32, s[28:29]
	v_sub_u32_e32 v32, 0, v64
	v_ldexp_f32 v31, v31, v32
	v_ldexp_f32 v32, v34, v32
	v_add_f32_e32 v34, -1.0, v31
	v_add_f32_e32 v33, 1.0, v34
	v_sub_f32_e32 v33, v31, v33
	v_add_f32_e32 v35, v32, v33
	v_add_f32_e32 v33, 1.0, v31
	v_add_f32_e32 v52, -1.0, v33
	v_sub_f32_e32 v31, v31, v52
	v_add_f32_e32 v31, v32, v31
	v_add_f32_e32 v65, v33, v31
	v_rcp_f32_e32 v66, v65
	v_sub_f32_e32 v32, v33, v65
	v_add_f32_e32 v33, v34, v35
	v_add_f32_e32 v31, v31, v32
	v_mul_f32_e32 v68, v33, v66
	v_sub_f32_e32 v32, v34, v33
	v_mul_f32_e32 v34, v65, v68
	v_fma_f32 v52, v68, v65, -v34
	v_fmac_f32_e32 v52, v68, v31
	v_add_f32_e32 v67, v35, v32
	v_add_f32_e32 v32, v34, v52
	v_sub_f32_e32 v35, v33, v32
	v_pk_add_f32 v[54:55], v[32:33], v[34:35] neg_lo:[0,1] neg_hi:[0,1]
	v_mov_b32_e32 v53, v32
	v_pk_add_f32 v[32:33], v[54:55], v[52:53] neg_lo:[0,1] neg_hi:[0,1]
	v_add_f32_e32 v33, v67, v33
	v_add_f32_e32 v32, v32, v33
	;; [unrolled: 1-line block ×3, first 2 shown]
	v_mul_f32_e32 v67, v66, v33
	v_mul_f32_e32 v34, v65, v67
	v_fma_f32 v52, v67, v65, -v34
	v_fmac_f32_e32 v52, v67, v31
	v_sub_f32_e32 v31, v35, v33
	v_add_f32_e32 v31, v32, v31
	v_add_f32_e32 v32, v34, v52
	v_sub_f32_e32 v35, v33, v32
	v_pk_add_f32 v[54:55], v[32:33], v[34:35] neg_lo:[0,1] neg_hi:[0,1]
	v_mov_b32_e32 v53, v32
	v_pk_add_f32 v[32:33], v[54:55], v[52:53] neg_lo:[0,1] neg_hi:[0,1]
	v_add_f32_e32 v31, v31, v33
	v_add_f32_e32 v31, v32, v31
	;; [unrolled: 1-line block ×4, first 2 shown]
	v_sub_f32_e32 v33, v32, v68
	v_mul_f32_e32 v31, v66, v31
	v_sub_f32_e32 v33, v67, v33
	v_add_f32_e32 v31, v33, v31
	v_add_f32_e32 v35, v32, v31
	v_mul_f32_e32 v52, v35, v35
	v_mov_b32_e32 v34, 0x3ecc95a3
	v_fmac_f32_e32 v34, 0x3e9b6dac, v52
	v_mov_b32_e32 v33, 0x3f2aaada
	v_fmac_f32_e32 v33, v52, v34
	v_cvt_f32_i32_e32 v34, v64
	v_sub_f32_e32 v32, v35, v32
	v_sub_f32_e32 v31, v31, v32
	v_ldexp_f32 v53, v35, 1
	v_mul_f32_e32 v35, v35, v52
	v_mov_b32_e32 v32, 0x3f317218
	s_mov_b32 s28, 0x3f317218
	v_pk_mul_f32 v[32:33], v[34:35], v[32:33]
	v_fma_f32 v52, v34, s28, -v32
	v_fmac_f32_e32 v52, 0xb102e308, v34
	v_pk_add_f32 v[34:35], v[32:33], v[52:53]
	v_sub_f32_e32 v53, v35, v53
	v_ldexp_f32 v31, v31, 1
	v_sub_f32_e32 v53, v33, v53
	v_add_f32_e32 v55, v31, v53
	v_mov_b32_e32 v54, v32
	v_pk_add_f32 v[32:33], v[34:35], v[32:33] neg_lo:[0,1] neg_hi:[0,1]
	v_pk_add_f32 v[64:65], v[34:35], v[54:55]
	v_mov_b32_e32 v33, v65
	v_mov_b32_e32 v53, v34
	v_pk_add_f32 v[66:67], v[52:53], v[32:33] neg_lo:[0,1] neg_hi:[0,1]
	v_pk_add_f32 v[32:33], v[52:53], v[32:33]
	v_mov_b32_e32 v52, v33
	v_pk_add_f32 v[68:69], v[52:53], v[34:35] neg_lo:[0,1] neg_hi:[0,1]
	v_mov_b32_e32 v31, v68
	v_pk_add_f32 v[70:71], v[64:65], v[30:31] neg_lo:[0,1] neg_hi:[0,1]
	v_mov_b32_e32 v32, v65
	v_mov_b32_e32 v64, v35
	v_mov_b32_e32 v65, v68
	v_mov_b32_e32 v67, v33
	v_pk_add_f32 v[32:33], v[32:33], v[64:65] neg_lo:[0,1] neg_hi:[0,1]
	v_mov_b32_e32 v54, v55
	v_mov_b32_e32 v55, v34
	v_pk_add_f32 v[32:33], v[54:55], v[32:33] neg_lo:[0,1] neg_hi:[0,1]
	v_mov_b32_e32 v70, v66
	v_pk_add_f32 v[34:35], v[70:71], v[32:33]
	v_mov_b32_e32 v54, v35
	v_pk_add_f32 v[54:55], v[34:35], v[54:55]
	v_pk_add_f32 v[52:53], v[52:53], v[54:55]
	v_mov_b32_e32 v35, v52
	v_pk_add_f32 v[64:65], v[34:35], v[66:67] neg_lo:[0,1] neg_hi:[0,1]
	v_mov_b32_e32 v33, v54
	v_sub_f32_e32 v31, v34, v64
	v_pk_add_f32 v[32:33], v[32:33], v[64:65] neg_lo:[0,1] neg_hi:[0,1]
	v_sub_f32_e32 v31, v66, v31
	v_add_f32_e32 v31, v32, v31
	v_cmp_eq_f32_e64 s[28:29], s35, v49
	s_mov_b32 s35, 0x33800000
	v_add_f32_e32 v31, v31, v33
	v_cmp_lt_f32_e64 s[36:37], |v49|, s35
	v_add_f32_e32 v31, v52, v31
	s_or_b64 s[28:29], s[28:29], s[36:37]
	v_cndmask_b32_e64 v31, v31, v49, s[28:29]
	v_add_f32_e32 v17, v17, v31
	v_cvt_f16_f32_e32 v31, v17
	v_cvt_f32_f16_e32 v32, v31
.LBB353_276:
	s_or_b64 exec, exec, s[30:31]
	v_cvt_f32_f16_e32 v17, v18
	v_max_f32_e32 v33, v32, v32
	v_cmp_u_f16_e64 s[30:31], v31, v31
	v_cmp_u_f16_e64 s[28:29], v18, v18
	v_min_f32_e32 v34, v33, v17
	v_max_f32_e32 v33, v33, v17
	v_cndmask_b32_e64 v34, v34, v32, s[30:31]
	v_cndmask_b32_e64 v33, v33, v32, s[30:31]
	;; [unrolled: 1-line block ×4, first 2 shown]
	v_cmp_neq_f32_e64 s[30:31], v34, v33
	v_cmp_class_f32_e64 s[34:35], v34, s34
	s_or_b64 s[30:31], s[30:31], s[34:35]
	s_and_saveexec_b64 s[34:35], s[30:31]
	s_cbranch_execz .LBB353_278
; %bb.277:
	v_sub_f32_e32 v31, v34, v33
	s_mov_b32 s30, 0x3fb8aa3b
	v_mul_f32_e32 v32, 0x3fb8aa3b, v31
	v_fma_f32 v34, v31, s30, -v32
	v_rndne_f32_e32 v35, v32
	v_fmac_f32_e32 v34, 0x32a5705f, v31
	v_sub_f32_e32 v32, v32, v35
	v_add_f32_e32 v32, v32, v34
	v_exp_f32_e32 v32, v32
	v_cvt_i32_f32_e32 v34, v35
	s_mov_b32 s30, 0xc2ce8ed0
	v_cmp_ngt_f32_e64 s[30:31], s30, v31
	s_mov_b32 s36, 0x7f800000
	v_ldexp_f32 v32, v32, v34
	v_cndmask_b32_e64 v32, 0, v32, s[30:31]
	s_mov_b32 s30, 0x42b17218
	v_mov_b32_e32 v34, 0x7f800000
	v_cmp_nlt_f32_e64 s[30:31], s30, v31
	v_cndmask_b32_e64 v49, v34, v32, s[30:31]
	v_add_f32_e32 v31, 1.0, v49
	v_add_f32_e32 v32, -1.0, v31
	v_sub_f32_e32 v34, v32, v31
	v_add_f32_e32 v34, 1.0, v34
	v_sub_f32_e32 v32, v49, v32
	v_add_f32_e32 v32, v32, v34
	v_frexp_mant_f32_e32 v52, v31
	s_mov_b32 s30, 0x3f2aaaab
	v_cvt_f64_f32_e32 v[34:35], v31
	v_frexp_exp_i32_f64_e32 v34, v[34:35]
	v_cmp_gt_f32_e64 s[30:31], s30, v52
	v_subbrev_co_u32_e64 v66, s[30:31], 0, v34, s[30:31]
	v_sub_u32_e32 v34, 0, v66
	v_ldexp_f32 v31, v31, v34
	v_ldexp_f32 v32, v32, v34
	v_add_f32_e32 v34, -1.0, v31
	v_add_f32_e32 v35, 1.0, v34
	v_sub_f32_e32 v35, v31, v35
	v_add_f32_e32 v52, v32, v35
	v_add_f32_e32 v35, 1.0, v31
	v_add_f32_e32 v53, -1.0, v35
	v_sub_f32_e32 v31, v31, v53
	v_add_f32_e32 v31, v32, v31
	v_add_f32_e32 v32, v35, v31
	v_rcp_f32_e32 v67, v32
	v_sub_f32_e32 v35, v35, v32
	v_add_f32_e32 v31, v31, v35
	v_add_f32_e32 v35, v34, v52
	v_sub_f32_e32 v34, v34, v35
	v_mul_f32_e32 v69, v35, v67
	v_add_f32_e32 v68, v52, v34
	v_mul_f32_e32 v52, v32, v69
	v_fma_f32 v54, v69, v32, -v52
	v_fmac_f32_e32 v54, v69, v31
	v_add_f32_e32 v34, v52, v54
	v_sub_f32_e32 v53, v35, v34
	v_pk_add_f32 v[64:65], v[34:35], v[52:53] neg_lo:[0,1] neg_hi:[0,1]
	v_mov_b32_e32 v55, v34
	v_pk_add_f32 v[34:35], v[64:65], v[54:55] neg_lo:[0,1] neg_hi:[0,1]
	v_add_f32_e32 v35, v68, v35
	v_add_f32_e32 v34, v34, v35
	v_add_f32_e32 v35, v53, v34
	v_mul_f32_e32 v68, v67, v35
	v_mul_f32_e32 v52, v32, v68
	v_fma_f32 v54, v68, v32, -v52
	v_fmac_f32_e32 v54, v68, v31
	v_sub_f32_e32 v31, v53, v35
	v_add_f32_e32 v31, v34, v31
	v_add_f32_e32 v34, v52, v54
	v_sub_f32_e32 v53, v35, v34
	v_pk_add_f32 v[64:65], v[34:35], v[52:53] neg_lo:[0,1] neg_hi:[0,1]
	v_mov_b32_e32 v55, v34
	v_pk_add_f32 v[34:35], v[64:65], v[54:55] neg_lo:[0,1] neg_hi:[0,1]
	v_add_f32_e32 v31, v31, v35
	v_add_f32_e32 v31, v34, v31
	;; [unrolled: 1-line block ×4, first 2 shown]
	v_sub_f32_e32 v34, v32, v69
	v_mul_f32_e32 v31, v67, v31
	v_sub_f32_e32 v34, v68, v34
	v_add_f32_e32 v31, v34, v31
	v_add_f32_e32 v34, v32, v31
	v_mul_f32_e32 v53, v34, v34
	v_mov_b32_e32 v52, 0x3ecc95a3
	v_fmac_f32_e32 v52, 0x3e9b6dac, v53
	v_mov_b32_e32 v35, 0x3f2aaada
	v_fmac_f32_e32 v35, v53, v52
	v_cvt_f32_i32_e32 v52, v66
	v_sub_f32_e32 v32, v34, v32
	v_ldexp_f32 v55, v34, 1
	v_mul_f32_e32 v53, v34, v53
	v_mov_b32_e32 v34, 0x3f317218
	s_mov_b32 s30, 0x3f317218
	v_pk_mul_f32 v[34:35], v[52:53], v[34:35]
	v_fma_f32 v54, v52, s30, -v34
	v_fmac_f32_e32 v54, 0xb102e308, v52
	v_pk_add_f32 v[52:53], v[34:35], v[54:55]
	v_sub_f32_e32 v31, v31, v32
	v_sub_f32_e32 v32, v53, v55
	v_ldexp_f32 v31, v31, 1
	v_sub_f32_e32 v32, v35, v32
	v_add_f32_e32 v65, v31, v32
	v_mov_b32_e32 v64, v34
	v_pk_add_f32 v[34:35], v[52:53], v[34:35] neg_lo:[0,1] neg_hi:[0,1]
	v_pk_add_f32 v[66:67], v[52:53], v[64:65]
	v_mov_b32_e32 v35, v67
	v_mov_b32_e32 v55, v52
	v_pk_add_f32 v[68:69], v[54:55], v[34:35] neg_lo:[0,1] neg_hi:[0,1]
	v_pk_add_f32 v[34:35], v[54:55], v[34:35]
	v_mov_b32_e32 v32, v35
	v_pk_add_f32 v[54:55], v[32:33], v[52:53] neg_lo:[0,1] neg_hi:[0,1]
	v_mov_b32_e32 v31, v54
	v_pk_add_f32 v[70:71], v[66:67], v[30:31] neg_lo:[0,1] neg_hi:[0,1]
	v_mov_b32_e32 v34, v67
	v_mov_b32_e32 v66, v53
	;; [unrolled: 1-line block ×4, first 2 shown]
	v_pk_add_f32 v[34:35], v[34:35], v[66:67] neg_lo:[0,1] neg_hi:[0,1]
	v_mov_b32_e32 v54, v65
	v_mov_b32_e32 v55, v52
	v_pk_add_f32 v[34:35], v[54:55], v[34:35] neg_lo:[0,1] neg_hi:[0,1]
	v_mov_b32_e32 v70, v68
	v_pk_add_f32 v[52:53], v[70:71], v[34:35]
	v_mov_b32_e32 v54, v53
	v_pk_add_f32 v[54:55], v[52:53], v[54:55]
	v_pk_add_f32 v[64:65], v[32:33], v[54:55]
	v_mov_b32_e32 v53, v64
	v_pk_add_f32 v[66:67], v[52:53], v[68:69] neg_lo:[0,1] neg_hi:[0,1]
	v_mov_b32_e32 v35, v54
	v_sub_f32_e32 v31, v52, v66
	v_pk_add_f32 v[34:35], v[34:35], v[66:67] neg_lo:[0,1] neg_hi:[0,1]
	v_sub_f32_e32 v31, v68, v31
	v_add_f32_e32 v31, v34, v31
	v_cmp_eq_f32_e64 s[30:31], s36, v49
	s_mov_b32 s36, 0x33800000
	v_add_f32_e32 v31, v31, v35
	v_cmp_lt_f32_e64 s[36:37], |v49|, s36
	v_add_f32_e32 v31, v64, v31
	s_or_b64 s[30:31], s[30:31], s[36:37]
	v_cndmask_b32_e64 v31, v31, v49, s[30:31]
	v_add_f32_e32 v31, v33, v31
	v_cvt_f16_f32_e32 v31, v31
	v_cvt_f32_f16_e32 v32, v31
.LBB353_278:
	s_or_b64 exec, exec, s[34:35]
	v_cvt_f32_f16_sdwa v52, v18 dst_sel:DWORD dst_unused:UNUSED_PAD src0_sel:WORD_1
	v_max_f32_e32 v34, v32, v32
	v_cmp_u_f16_e64 s[34:35], v31, v31
	v_cmp_u_f16_sdwa s[30:31], v18, v18 src0_sel:WORD_1 src1_sel:WORD_1
	v_min_f32_e32 v33, v34, v52
	v_max_f32_e32 v18, v34, v52
	v_cndmask_b32_e64 v33, v33, v32, s[34:35]
	v_cndmask_b32_e64 v18, v18, v32, s[34:35]
	;; [unrolled: 1-line block ×4, first 2 shown]
	s_movk_i32 s38, 0x1f8
	v_cmp_neq_f32_e64 s[34:35], v33, v18
	v_cmp_class_f32_e64 s[36:37], v33, s38
	s_or_b64 s[34:35], s[34:35], s[36:37]
	s_and_saveexec_b64 s[36:37], s[34:35]
	s_cbranch_execz .LBB353_280
; %bb.279:
	v_sub_f32_e32 v31, v33, v18
	s_mov_b32 s34, 0x3fb8aa3b
	v_mul_f32_e32 v32, 0x3fb8aa3b, v31
	v_fma_f32 v33, v31, s34, -v32
	v_rndne_f32_e32 v34, v32
	v_fmac_f32_e32 v33, 0x32a5705f, v31
	v_sub_f32_e32 v32, v32, v34
	v_add_f32_e32 v32, v32, v33
	v_exp_f32_e32 v32, v32
	v_cvt_i32_f32_e32 v33, v34
	s_mov_b32 s34, 0xc2ce8ed0
	v_cmp_ngt_f32_e64 s[34:35], s34, v31
	s_mov_b32 s39, 0x7f800000
	v_ldexp_f32 v32, v32, v33
	v_cndmask_b32_e64 v32, 0, v32, s[34:35]
	s_mov_b32 s34, 0x42b17218
	v_mov_b32_e32 v33, 0x7f800000
	v_cmp_nlt_f32_e64 s[34:35], s34, v31
	v_cndmask_b32_e64 v49, v33, v32, s[34:35]
	v_add_f32_e32 v31, 1.0, v49
	v_add_f32_e32 v32, -1.0, v31
	v_sub_f32_e32 v33, v32, v31
	v_add_f32_e32 v33, 1.0, v33
	v_sub_f32_e32 v32, v49, v32
	v_add_f32_e32 v34, v32, v33
	v_frexp_mant_f32_e32 v35, v31
	s_mov_b32 s34, 0x3f2aaaab
	v_cvt_f64_f32_e32 v[32:33], v31
	v_frexp_exp_i32_f64_e32 v32, v[32:33]
	v_cmp_gt_f32_e64 s[34:35], s34, v35
	v_subbrev_co_u32_e64 v53, s[34:35], 0, v32, s[34:35]
	v_sub_u32_e32 v32, 0, v53
	v_ldexp_f32 v31, v31, v32
	v_ldexp_f32 v32, v34, v32
	v_add_f32_e32 v34, -1.0, v31
	v_add_f32_e32 v33, 1.0, v34
	v_sub_f32_e32 v33, v31, v33
	v_add_f32_e32 v35, v32, v33
	v_add_f32_e32 v33, 1.0, v31
	v_add_f32_e32 v54, -1.0, v33
	v_sub_f32_e32 v31, v31, v54
	v_add_f32_e32 v31, v32, v31
	v_add_f32_e32 v66, v33, v31
	v_rcp_f32_e32 v67, v66
	v_sub_f32_e32 v32, v33, v66
	v_add_f32_e32 v33, v34, v35
	v_add_f32_e32 v31, v31, v32
	v_mul_f32_e32 v69, v33, v67
	v_sub_f32_e32 v32, v34, v33
	v_mul_f32_e32 v34, v66, v69
	v_fma_f32 v54, v69, v66, -v34
	v_fmac_f32_e32 v54, v69, v31
	v_add_f32_e32 v68, v35, v32
	v_add_f32_e32 v32, v34, v54
	v_sub_f32_e32 v35, v33, v32
	v_pk_add_f32 v[64:65], v[32:33], v[34:35] neg_lo:[0,1] neg_hi:[0,1]
	v_mov_b32_e32 v55, v32
	v_pk_add_f32 v[32:33], v[64:65], v[54:55] neg_lo:[0,1] neg_hi:[0,1]
	v_add_f32_e32 v33, v68, v33
	v_add_f32_e32 v32, v32, v33
	;; [unrolled: 1-line block ×3, first 2 shown]
	v_mul_f32_e32 v68, v67, v33
	v_mul_f32_e32 v34, v66, v68
	v_fma_f32 v54, v68, v66, -v34
	v_fmac_f32_e32 v54, v68, v31
	v_sub_f32_e32 v31, v35, v33
	v_add_f32_e32 v31, v32, v31
	v_add_f32_e32 v32, v34, v54
	v_sub_f32_e32 v35, v33, v32
	v_pk_add_f32 v[64:65], v[32:33], v[34:35] neg_lo:[0,1] neg_hi:[0,1]
	v_mov_b32_e32 v55, v32
	v_pk_add_f32 v[32:33], v[64:65], v[54:55] neg_lo:[0,1] neg_hi:[0,1]
	v_add_f32_e32 v31, v31, v33
	v_add_f32_e32 v31, v32, v31
	;; [unrolled: 1-line block ×4, first 2 shown]
	v_sub_f32_e32 v33, v32, v69
	v_mul_f32_e32 v31, v67, v31
	v_sub_f32_e32 v33, v68, v33
	v_add_f32_e32 v31, v33, v31
	v_add_f32_e32 v35, v32, v31
	v_mul_f32_e32 v54, v35, v35
	v_mov_b32_e32 v34, 0x3ecc95a3
	v_fmac_f32_e32 v34, 0x3e9b6dac, v54
	v_mov_b32_e32 v33, 0x3f2aaada
	v_fmac_f32_e32 v33, v54, v34
	v_cvt_f32_i32_e32 v34, v53
	v_sub_f32_e32 v32, v35, v32
	v_sub_f32_e32 v31, v31, v32
	v_ldexp_f32 v55, v35, 1
	v_mul_f32_e32 v35, v35, v54
	v_mov_b32_e32 v32, 0x3f317218
	s_mov_b32 s34, 0x3f317218
	v_pk_mul_f32 v[32:33], v[34:35], v[32:33]
	v_fma_f32 v54, v34, s34, -v32
	v_fmac_f32_e32 v54, 0xb102e308, v34
	v_pk_add_f32 v[34:35], v[32:33], v[54:55]
	v_sub_f32_e32 v53, v35, v55
	v_ldexp_f32 v31, v31, 1
	v_sub_f32_e32 v53, v33, v53
	v_add_f32_e32 v65, v31, v53
	v_mov_b32_e32 v64, v32
	v_pk_add_f32 v[32:33], v[34:35], v[32:33] neg_lo:[0,1] neg_hi:[0,1]
	v_pk_add_f32 v[66:67], v[34:35], v[64:65]
	v_mov_b32_e32 v33, v67
	v_mov_b32_e32 v55, v34
	v_pk_add_f32 v[68:69], v[54:55], v[32:33] neg_lo:[0,1] neg_hi:[0,1]
	v_pk_add_f32 v[32:33], v[54:55], v[32:33]
	v_mov_b32_e32 v54, v33
	v_pk_add_f32 v[70:71], v[54:55], v[34:35] neg_lo:[0,1] neg_hi:[0,1]
	v_mov_b32_e32 v31, v70
	v_pk_add_f32 v[80:81], v[66:67], v[30:31] neg_lo:[0,1] neg_hi:[0,1]
	v_mov_b32_e32 v32, v67
	v_mov_b32_e32 v66, v35
	;; [unrolled: 1-line block ×4, first 2 shown]
	v_pk_add_f32 v[32:33], v[32:33], v[66:67] neg_lo:[0,1] neg_hi:[0,1]
	v_mov_b32_e32 v64, v65
	v_mov_b32_e32 v65, v34
	v_pk_add_f32 v[32:33], v[64:65], v[32:33] neg_lo:[0,1] neg_hi:[0,1]
	v_mov_b32_e32 v80, v68
	v_pk_add_f32 v[34:35], v[80:81], v[32:33]
	v_mov_b32_e32 v64, v35
	v_pk_add_f32 v[64:65], v[34:35], v[64:65]
	v_pk_add_f32 v[54:55], v[54:55], v[64:65]
	v_mov_b32_e32 v35, v54
	v_pk_add_f32 v[66:67], v[34:35], v[68:69] neg_lo:[0,1] neg_hi:[0,1]
	v_mov_b32_e32 v33, v64
	v_sub_f32_e32 v31, v34, v66
	v_pk_add_f32 v[32:33], v[32:33], v[66:67] neg_lo:[0,1] neg_hi:[0,1]
	v_sub_f32_e32 v31, v68, v31
	v_add_f32_e32 v31, v32, v31
	v_cmp_eq_f32_e64 s[34:35], s39, v49
	s_mov_b32 s39, 0x33800000
	v_add_f32_e32 v31, v31, v33
	v_cmp_lt_f32_e64 s[40:41], |v49|, s39
	v_add_f32_e32 v31, v54, v31
	s_or_b64 s[34:35], s[34:35], s[40:41]
	v_cndmask_b32_e64 v31, v31, v49, s[34:35]
	v_add_f32_e32 v18, v18, v31
	v_cvt_f16_f32_e32 v31, v18
	v_cvt_f32_f16_e32 v32, v31
.LBB353_280:
	s_or_b64 exec, exec, s[36:37]
	v_cvt_f32_f16_e32 v18, v19
	v_max_f32_e32 v33, v32, v32
	v_cmp_u_f16_e64 s[36:37], v31, v31
	v_cmp_u_f16_e64 s[34:35], v19, v19
	v_min_f32_e32 v34, v33, v18
	v_max_f32_e32 v33, v33, v18
	v_cndmask_b32_e64 v34, v34, v32, s[36:37]
	v_cndmask_b32_e64 v33, v33, v32, s[36:37]
	;; [unrolled: 1-line block ×4, first 2 shown]
	v_cmp_neq_f32_e64 s[36:37], v34, v33
	v_cmp_class_f32_e64 s[38:39], v34, s38
	s_or_b64 s[36:37], s[36:37], s[38:39]
	s_and_saveexec_b64 s[38:39], s[36:37]
	s_cbranch_execz .LBB353_282
; %bb.281:
	v_sub_f32_e32 v31, v34, v33
	s_mov_b32 s36, 0x3fb8aa3b
	v_mul_f32_e32 v32, 0x3fb8aa3b, v31
	v_fma_f32 v34, v31, s36, -v32
	v_rndne_f32_e32 v35, v32
	v_fmac_f32_e32 v34, 0x32a5705f, v31
	v_sub_f32_e32 v32, v32, v35
	v_add_f32_e32 v32, v32, v34
	v_exp_f32_e32 v32, v32
	v_cvt_i32_f32_e32 v34, v35
	s_mov_b32 s36, 0xc2ce8ed0
	v_cmp_ngt_f32_e64 s[36:37], s36, v31
	s_mov_b32 s40, 0x7f800000
	v_ldexp_f32 v32, v32, v34
	v_cndmask_b32_e64 v32, 0, v32, s[36:37]
	s_mov_b32 s36, 0x42b17218
	v_mov_b32_e32 v34, 0x7f800000
	v_cmp_nlt_f32_e64 s[36:37], s36, v31
	v_cndmask_b32_e64 v49, v34, v32, s[36:37]
	v_add_f32_e32 v31, 1.0, v49
	v_add_f32_e32 v32, -1.0, v31
	v_sub_f32_e32 v34, v32, v31
	v_add_f32_e32 v34, 1.0, v34
	v_sub_f32_e32 v32, v49, v32
	v_add_f32_e32 v32, v32, v34
	v_frexp_mant_f32_e32 v53, v31
	s_mov_b32 s36, 0x3f2aaaab
	v_cvt_f64_f32_e32 v[34:35], v31
	v_frexp_exp_i32_f64_e32 v34, v[34:35]
	v_cmp_gt_f32_e64 s[36:37], s36, v53
	v_subbrev_co_u32_e64 v53, s[36:37], 0, v34, s[36:37]
	v_sub_u32_e32 v34, 0, v53
	v_ldexp_f32 v31, v31, v34
	v_ldexp_f32 v32, v32, v34
	v_add_f32_e32 v34, -1.0, v31
	v_add_f32_e32 v35, 1.0, v34
	v_sub_f32_e32 v35, v31, v35
	v_add_f32_e32 v54, v32, v35
	v_add_f32_e32 v35, 1.0, v31
	v_add_f32_e32 v55, -1.0, v35
	v_sub_f32_e32 v31, v31, v55
	v_add_f32_e32 v31, v32, v31
	v_add_f32_e32 v32, v35, v31
	v_rcp_f32_e32 v68, v32
	v_sub_f32_e32 v35, v35, v32
	v_add_f32_e32 v31, v31, v35
	v_add_f32_e32 v35, v34, v54
	v_sub_f32_e32 v34, v34, v35
	v_mul_f32_e32 v70, v35, v68
	v_add_f32_e32 v69, v54, v34
	v_mul_f32_e32 v54, v32, v70
	v_fma_f32 v64, v70, v32, -v54
	v_fmac_f32_e32 v64, v70, v31
	v_add_f32_e32 v34, v54, v64
	v_sub_f32_e32 v55, v35, v34
	v_pk_add_f32 v[66:67], v[34:35], v[54:55] neg_lo:[0,1] neg_hi:[0,1]
	v_mov_b32_e32 v65, v34
	v_pk_add_f32 v[34:35], v[66:67], v[64:65] neg_lo:[0,1] neg_hi:[0,1]
	v_add_f32_e32 v35, v69, v35
	v_add_f32_e32 v34, v34, v35
	;; [unrolled: 1-line block ×3, first 2 shown]
	v_mul_f32_e32 v69, v68, v35
	v_mul_f32_e32 v54, v32, v69
	v_fma_f32 v64, v69, v32, -v54
	v_fmac_f32_e32 v64, v69, v31
	v_sub_f32_e32 v31, v55, v35
	v_add_f32_e32 v31, v34, v31
	v_add_f32_e32 v34, v54, v64
	v_sub_f32_e32 v55, v35, v34
	v_pk_add_f32 v[66:67], v[34:35], v[54:55] neg_lo:[0,1] neg_hi:[0,1]
	v_mov_b32_e32 v65, v34
	v_pk_add_f32 v[34:35], v[66:67], v[64:65] neg_lo:[0,1] neg_hi:[0,1]
	v_add_f32_e32 v31, v31, v35
	v_add_f32_e32 v31, v34, v31
	v_add_f32_e32 v32, v70, v69
	v_add_f32_e32 v31, v55, v31
	v_sub_f32_e32 v34, v32, v70
	v_mul_f32_e32 v31, v68, v31
	v_sub_f32_e32 v34, v69, v34
	v_add_f32_e32 v31, v34, v31
	v_add_f32_e32 v34, v32, v31
	v_mul_f32_e32 v55, v34, v34
	v_mov_b32_e32 v54, 0x3ecc95a3
	v_fmac_f32_e32 v54, 0x3e9b6dac, v55
	v_mov_b32_e32 v35, 0x3f2aaada
	v_fmac_f32_e32 v35, v55, v54
	v_cvt_f32_i32_e32 v54, v53
	v_sub_f32_e32 v32, v34, v32
	v_ldexp_f32 v65, v34, 1
	v_mul_f32_e32 v55, v34, v55
	v_mov_b32_e32 v34, 0x3f317218
	s_mov_b32 s36, 0x3f317218
	v_pk_mul_f32 v[34:35], v[54:55], v[34:35]
	v_fma_f32 v64, v54, s36, -v34
	v_fmac_f32_e32 v64, 0xb102e308, v54
	v_pk_add_f32 v[54:55], v[34:35], v[64:65]
	v_sub_f32_e32 v31, v31, v32
	v_sub_f32_e32 v32, v55, v65
	v_ldexp_f32 v31, v31, 1
	v_sub_f32_e32 v32, v35, v32
	v_add_f32_e32 v67, v31, v32
	v_mov_b32_e32 v66, v34
	v_pk_add_f32 v[34:35], v[54:55], v[34:35] neg_lo:[0,1] neg_hi:[0,1]
	v_pk_add_f32 v[68:69], v[54:55], v[66:67]
	v_mov_b32_e32 v35, v69
	v_mov_b32_e32 v65, v54
	v_pk_add_f32 v[70:71], v[64:65], v[34:35] neg_lo:[0,1] neg_hi:[0,1]
	v_pk_add_f32 v[34:35], v[64:65], v[34:35]
	v_mov_b32_e32 v32, v35
	v_pk_add_f32 v[64:65], v[32:33], v[54:55] neg_lo:[0,1] neg_hi:[0,1]
	v_mov_b32_e32 v31, v64
	v_pk_add_f32 v[80:81], v[68:69], v[30:31] neg_lo:[0,1] neg_hi:[0,1]
	v_mov_b32_e32 v34, v69
	v_mov_b32_e32 v68, v55
	;; [unrolled: 1-line block ×4, first 2 shown]
	v_pk_add_f32 v[34:35], v[34:35], v[68:69] neg_lo:[0,1] neg_hi:[0,1]
	v_mov_b32_e32 v64, v67
	v_mov_b32_e32 v65, v54
	v_pk_add_f32 v[34:35], v[64:65], v[34:35] neg_lo:[0,1] neg_hi:[0,1]
	v_mov_b32_e32 v80, v70
	v_pk_add_f32 v[54:55], v[80:81], v[34:35]
	v_mov_b32_e32 v64, v55
	v_pk_add_f32 v[64:65], v[54:55], v[64:65]
	v_pk_add_f32 v[66:67], v[32:33], v[64:65]
	v_mov_b32_e32 v55, v66
	v_pk_add_f32 v[68:69], v[54:55], v[70:71] neg_lo:[0,1] neg_hi:[0,1]
	v_mov_b32_e32 v35, v64
	v_sub_f32_e32 v31, v54, v68
	v_pk_add_f32 v[34:35], v[34:35], v[68:69] neg_lo:[0,1] neg_hi:[0,1]
	v_sub_f32_e32 v31, v70, v31
	v_add_f32_e32 v31, v34, v31
	v_cmp_eq_f32_e64 s[36:37], s40, v49
	s_mov_b32 s40, 0x33800000
	v_add_f32_e32 v31, v31, v35
	v_cmp_lt_f32_e64 s[40:41], |v49|, s40
	v_add_f32_e32 v31, v66, v31
	s_or_b64 s[36:37], s[36:37], s[40:41]
	v_cndmask_b32_e64 v31, v31, v49, s[36:37]
	v_add_f32_e32 v31, v33, v31
	v_cvt_f16_f32_e32 v31, v31
	v_cvt_f32_f16_e32 v32, v31
.LBB353_282:
	s_or_b64 exec, exec, s[38:39]
	v_cvt_f32_f16_sdwa v53, v19 dst_sel:DWORD dst_unused:UNUSED_PAD src0_sel:WORD_1
	v_max_f32_e32 v34, v32, v32
	v_cmp_u_f16_e64 s[38:39], v31, v31
	v_cmp_u_f16_sdwa s[36:37], v19, v19 src0_sel:WORD_1 src1_sel:WORD_1
	v_min_f32_e32 v33, v34, v53
	v_max_f32_e32 v19, v34, v53
	v_cndmask_b32_e64 v33, v33, v32, s[38:39]
	v_cndmask_b32_e64 v19, v19, v32, s[38:39]
	;; [unrolled: 1-line block ×4, first 2 shown]
	s_movk_i32 s42, 0x1f8
	v_cmp_neq_f32_e64 s[38:39], v33, v19
	v_cmp_class_f32_e64 s[40:41], v33, s42
	s_or_b64 s[38:39], s[38:39], s[40:41]
	s_and_saveexec_b64 s[40:41], s[38:39]
	s_cbranch_execz .LBB353_284
; %bb.283:
	v_sub_f32_e32 v31, v33, v19
	s_mov_b32 s38, 0x3fb8aa3b
	v_mul_f32_e32 v32, 0x3fb8aa3b, v31
	v_fma_f32 v33, v31, s38, -v32
	v_rndne_f32_e32 v34, v32
	v_fmac_f32_e32 v33, 0x32a5705f, v31
	v_sub_f32_e32 v32, v32, v34
	v_add_f32_e32 v32, v32, v33
	v_exp_f32_e32 v32, v32
	v_cvt_i32_f32_e32 v33, v34
	s_mov_b32 s38, 0xc2ce8ed0
	v_cmp_ngt_f32_e64 s[38:39], s38, v31
	s_mov_b32 s43, 0x7f800000
	v_ldexp_f32 v32, v32, v33
	v_cndmask_b32_e64 v32, 0, v32, s[38:39]
	s_mov_b32 s38, 0x42b17218
	v_mov_b32_e32 v33, 0x7f800000
	v_cmp_nlt_f32_e64 s[38:39], s38, v31
	v_cndmask_b32_e64 v49, v33, v32, s[38:39]
	v_add_f32_e32 v31, 1.0, v49
	v_add_f32_e32 v32, -1.0, v31
	v_sub_f32_e32 v33, v32, v31
	v_add_f32_e32 v33, 1.0, v33
	v_sub_f32_e32 v32, v49, v32
	v_add_f32_e32 v34, v32, v33
	v_frexp_mant_f32_e32 v35, v31
	s_mov_b32 s38, 0x3f2aaaab
	v_cvt_f64_f32_e32 v[32:33], v31
	v_frexp_exp_i32_f64_e32 v32, v[32:33]
	v_cmp_gt_f32_e64 s[38:39], s38, v35
	v_subbrev_co_u32_e64 v66, s[38:39], 0, v32, s[38:39]
	v_sub_u32_e32 v32, 0, v66
	v_ldexp_f32 v31, v31, v32
	v_ldexp_f32 v32, v34, v32
	v_add_f32_e32 v34, -1.0, v31
	v_add_f32_e32 v33, 1.0, v34
	v_sub_f32_e32 v33, v31, v33
	v_add_f32_e32 v35, v32, v33
	v_add_f32_e32 v33, 1.0, v31
	v_add_f32_e32 v54, -1.0, v33
	v_sub_f32_e32 v31, v31, v54
	v_add_f32_e32 v31, v32, v31
	v_add_f32_e32 v67, v33, v31
	v_rcp_f32_e32 v68, v67
	v_sub_f32_e32 v32, v33, v67
	v_add_f32_e32 v33, v34, v35
	v_add_f32_e32 v31, v31, v32
	v_mul_f32_e32 v70, v33, v68
	v_sub_f32_e32 v32, v34, v33
	v_mul_f32_e32 v34, v67, v70
	v_fma_f32 v54, v70, v67, -v34
	v_fmac_f32_e32 v54, v70, v31
	v_add_f32_e32 v69, v35, v32
	v_add_f32_e32 v32, v34, v54
	v_sub_f32_e32 v35, v33, v32
	v_pk_add_f32 v[64:65], v[32:33], v[34:35] neg_lo:[0,1] neg_hi:[0,1]
	v_mov_b32_e32 v55, v32
	v_pk_add_f32 v[32:33], v[64:65], v[54:55] neg_lo:[0,1] neg_hi:[0,1]
	v_add_f32_e32 v33, v69, v33
	v_add_f32_e32 v32, v32, v33
	;; [unrolled: 1-line block ×3, first 2 shown]
	v_mul_f32_e32 v69, v68, v33
	v_mul_f32_e32 v34, v67, v69
	v_fma_f32 v54, v69, v67, -v34
	v_fmac_f32_e32 v54, v69, v31
	v_sub_f32_e32 v31, v35, v33
	v_add_f32_e32 v31, v32, v31
	v_add_f32_e32 v32, v34, v54
	v_sub_f32_e32 v35, v33, v32
	v_pk_add_f32 v[64:65], v[32:33], v[34:35] neg_lo:[0,1] neg_hi:[0,1]
	v_mov_b32_e32 v55, v32
	v_pk_add_f32 v[32:33], v[64:65], v[54:55] neg_lo:[0,1] neg_hi:[0,1]
	v_add_f32_e32 v31, v31, v33
	v_add_f32_e32 v31, v32, v31
	;; [unrolled: 1-line block ×4, first 2 shown]
	v_sub_f32_e32 v33, v32, v70
	v_mul_f32_e32 v31, v68, v31
	v_sub_f32_e32 v33, v69, v33
	v_add_f32_e32 v31, v33, v31
	v_add_f32_e32 v35, v32, v31
	v_mul_f32_e32 v54, v35, v35
	v_mov_b32_e32 v34, 0x3ecc95a3
	v_fmac_f32_e32 v34, 0x3e9b6dac, v54
	v_mov_b32_e32 v33, 0x3f2aaada
	v_fmac_f32_e32 v33, v54, v34
	v_cvt_f32_i32_e32 v34, v66
	v_sub_f32_e32 v32, v35, v32
	v_sub_f32_e32 v31, v31, v32
	v_ldexp_f32 v55, v35, 1
	v_mul_f32_e32 v35, v35, v54
	v_mov_b32_e32 v32, 0x3f317218
	s_mov_b32 s38, 0x3f317218
	v_pk_mul_f32 v[32:33], v[34:35], v[32:33]
	v_fma_f32 v54, v34, s38, -v32
	v_fmac_f32_e32 v54, 0xb102e308, v34
	v_pk_add_f32 v[34:35], v[32:33], v[54:55]
	v_sub_f32_e32 v55, v35, v55
	v_ldexp_f32 v31, v31, 1
	v_sub_f32_e32 v55, v33, v55
	v_add_f32_e32 v65, v31, v55
	v_mov_b32_e32 v64, v32
	v_pk_add_f32 v[32:33], v[34:35], v[32:33] neg_lo:[0,1] neg_hi:[0,1]
	v_pk_add_f32 v[66:67], v[34:35], v[64:65]
	v_mov_b32_e32 v33, v67
	v_mov_b32_e32 v55, v34
	v_pk_add_f32 v[68:69], v[54:55], v[32:33] neg_lo:[0,1] neg_hi:[0,1]
	v_pk_add_f32 v[32:33], v[54:55], v[32:33]
	v_mov_b32_e32 v54, v33
	v_pk_add_f32 v[70:71], v[54:55], v[34:35] neg_lo:[0,1] neg_hi:[0,1]
	v_mov_b32_e32 v31, v70
	v_pk_add_f32 v[80:81], v[66:67], v[30:31] neg_lo:[0,1] neg_hi:[0,1]
	v_mov_b32_e32 v32, v67
	v_mov_b32_e32 v66, v35
	;; [unrolled: 1-line block ×4, first 2 shown]
	v_pk_add_f32 v[32:33], v[32:33], v[66:67] neg_lo:[0,1] neg_hi:[0,1]
	v_mov_b32_e32 v64, v65
	v_mov_b32_e32 v65, v34
	v_pk_add_f32 v[32:33], v[64:65], v[32:33] neg_lo:[0,1] neg_hi:[0,1]
	v_mov_b32_e32 v80, v68
	v_pk_add_f32 v[34:35], v[80:81], v[32:33]
	v_mov_b32_e32 v64, v35
	v_pk_add_f32 v[64:65], v[34:35], v[64:65]
	v_pk_add_f32 v[54:55], v[54:55], v[64:65]
	v_mov_b32_e32 v35, v54
	v_pk_add_f32 v[66:67], v[34:35], v[68:69] neg_lo:[0,1] neg_hi:[0,1]
	v_mov_b32_e32 v33, v64
	v_sub_f32_e32 v31, v34, v66
	v_pk_add_f32 v[32:33], v[32:33], v[66:67] neg_lo:[0,1] neg_hi:[0,1]
	v_sub_f32_e32 v31, v68, v31
	v_add_f32_e32 v31, v32, v31
	v_cmp_eq_f32_e64 s[38:39], s43, v49
	s_mov_b32 s43, 0x33800000
	v_add_f32_e32 v31, v31, v33
	v_cmp_lt_f32_e64 s[44:45], |v49|, s43
	v_add_f32_e32 v31, v54, v31
	s_or_b64 s[38:39], s[38:39], s[44:45]
	v_cndmask_b32_e64 v31, v31, v49, s[38:39]
	v_add_f32_e32 v19, v19, v31
	v_cvt_f16_f32_e32 v31, v19
	v_cvt_f32_f16_e32 v32, v31
.LBB353_284:
	s_or_b64 exec, exec, s[40:41]
	v_cvt_f32_f16_e32 v19, v12
	v_max_f32_e32 v33, v32, v32
	v_cmp_u_f16_e64 s[40:41], v31, v31
	v_cmp_u_f16_e64 s[38:39], v12, v12
	v_min_f32_e32 v34, v33, v19
	v_max_f32_e32 v33, v33, v19
	v_cndmask_b32_e64 v34, v34, v32, s[40:41]
	v_cndmask_b32_e64 v33, v33, v32, s[40:41]
	;; [unrolled: 1-line block ×4, first 2 shown]
	v_cmp_neq_f32_e64 s[40:41], v34, v33
	v_cmp_class_f32_e64 s[42:43], v34, s42
	s_or_b64 s[40:41], s[40:41], s[42:43]
	s_and_saveexec_b64 s[42:43], s[40:41]
	s_cbranch_execz .LBB353_286
; %bb.285:
	v_sub_f32_e32 v31, v34, v33
	s_mov_b32 s40, 0x3fb8aa3b
	v_mul_f32_e32 v32, 0x3fb8aa3b, v31
	v_fma_f32 v34, v31, s40, -v32
	v_rndne_f32_e32 v35, v32
	v_fmac_f32_e32 v34, 0x32a5705f, v31
	v_sub_f32_e32 v32, v32, v35
	v_add_f32_e32 v32, v32, v34
	v_exp_f32_e32 v32, v32
	v_cvt_i32_f32_e32 v34, v35
	s_mov_b32 s40, 0xc2ce8ed0
	v_cmp_ngt_f32_e64 s[40:41], s40, v31
	s_mov_b32 s44, 0x7f800000
	v_ldexp_f32 v32, v32, v34
	v_cndmask_b32_e64 v32, 0, v32, s[40:41]
	s_mov_b32 s40, 0x42b17218
	v_mov_b32_e32 v34, 0x7f800000
	v_cmp_nlt_f32_e64 s[40:41], s40, v31
	v_cndmask_b32_e64 v49, v34, v32, s[40:41]
	v_add_f32_e32 v31, 1.0, v49
	v_add_f32_e32 v32, -1.0, v31
	v_sub_f32_e32 v34, v32, v31
	v_add_f32_e32 v34, 1.0, v34
	v_sub_f32_e32 v32, v49, v32
	v_add_f32_e32 v32, v32, v34
	v_frexp_mant_f32_e32 v54, v31
	s_mov_b32 s40, 0x3f2aaaab
	v_cvt_f64_f32_e32 v[34:35], v31
	v_frexp_exp_i32_f64_e32 v34, v[34:35]
	v_cmp_gt_f32_e64 s[40:41], s40, v54
	v_subbrev_co_u32_e64 v68, s[40:41], 0, v34, s[40:41]
	v_sub_u32_e32 v34, 0, v68
	v_ldexp_f32 v31, v31, v34
	v_ldexp_f32 v32, v32, v34
	v_add_f32_e32 v34, -1.0, v31
	v_add_f32_e32 v35, 1.0, v34
	v_sub_f32_e32 v35, v31, v35
	v_add_f32_e32 v54, v32, v35
	v_add_f32_e32 v35, 1.0, v31
	v_add_f32_e32 v55, -1.0, v35
	v_sub_f32_e32 v31, v31, v55
	v_add_f32_e32 v31, v32, v31
	v_add_f32_e32 v32, v35, v31
	v_rcp_f32_e32 v69, v32
	v_sub_f32_e32 v35, v35, v32
	v_add_f32_e32 v31, v31, v35
	v_add_f32_e32 v35, v34, v54
	v_sub_f32_e32 v34, v34, v35
	v_mul_f32_e32 v71, v35, v69
	v_add_f32_e32 v70, v54, v34
	v_mul_f32_e32 v54, v32, v71
	v_fma_f32 v64, v71, v32, -v54
	v_fmac_f32_e32 v64, v71, v31
	v_add_f32_e32 v34, v54, v64
	v_sub_f32_e32 v55, v35, v34
	v_pk_add_f32 v[66:67], v[34:35], v[54:55] neg_lo:[0,1] neg_hi:[0,1]
	v_mov_b32_e32 v65, v34
	v_pk_add_f32 v[34:35], v[66:67], v[64:65] neg_lo:[0,1] neg_hi:[0,1]
	v_add_f32_e32 v35, v70, v35
	v_add_f32_e32 v34, v34, v35
	;; [unrolled: 1-line block ×3, first 2 shown]
	v_mul_f32_e32 v70, v69, v35
	v_mul_f32_e32 v54, v32, v70
	v_fma_f32 v64, v70, v32, -v54
	v_fmac_f32_e32 v64, v70, v31
	v_sub_f32_e32 v31, v55, v35
	v_add_f32_e32 v31, v34, v31
	v_add_f32_e32 v34, v54, v64
	v_sub_f32_e32 v55, v35, v34
	v_pk_add_f32 v[66:67], v[34:35], v[54:55] neg_lo:[0,1] neg_hi:[0,1]
	v_mov_b32_e32 v65, v34
	v_pk_add_f32 v[34:35], v[66:67], v[64:65] neg_lo:[0,1] neg_hi:[0,1]
	v_add_f32_e32 v31, v31, v35
	v_add_f32_e32 v31, v34, v31
	;; [unrolled: 1-line block ×4, first 2 shown]
	v_sub_f32_e32 v34, v32, v71
	v_mul_f32_e32 v31, v69, v31
	v_sub_f32_e32 v34, v70, v34
	v_add_f32_e32 v31, v34, v31
	v_add_f32_e32 v34, v32, v31
	v_mul_f32_e32 v55, v34, v34
	v_mov_b32_e32 v54, 0x3ecc95a3
	v_fmac_f32_e32 v54, 0x3e9b6dac, v55
	v_mov_b32_e32 v35, 0x3f2aaada
	v_fmac_f32_e32 v35, v55, v54
	v_cvt_f32_i32_e32 v54, v68
	v_sub_f32_e32 v32, v34, v32
	v_ldexp_f32 v65, v34, 1
	v_mul_f32_e32 v55, v34, v55
	v_mov_b32_e32 v34, 0x3f317218
	s_mov_b32 s40, 0x3f317218
	v_pk_mul_f32 v[34:35], v[54:55], v[34:35]
	v_fma_f32 v64, v54, s40, -v34
	v_fmac_f32_e32 v64, 0xb102e308, v54
	v_pk_add_f32 v[54:55], v[34:35], v[64:65]
	v_sub_f32_e32 v31, v31, v32
	v_sub_f32_e32 v32, v55, v65
	v_ldexp_f32 v31, v31, 1
	v_sub_f32_e32 v32, v35, v32
	v_add_f32_e32 v67, v31, v32
	v_mov_b32_e32 v66, v34
	v_pk_add_f32 v[34:35], v[54:55], v[34:35] neg_lo:[0,1] neg_hi:[0,1]
	v_pk_add_f32 v[68:69], v[54:55], v[66:67]
	v_mov_b32_e32 v35, v69
	v_mov_b32_e32 v65, v54
	v_pk_add_f32 v[70:71], v[64:65], v[34:35] neg_lo:[0,1] neg_hi:[0,1]
	v_pk_add_f32 v[34:35], v[64:65], v[34:35]
	v_mov_b32_e32 v32, v35
	v_pk_add_f32 v[64:65], v[32:33], v[54:55] neg_lo:[0,1] neg_hi:[0,1]
	v_mov_b32_e32 v31, v64
	v_pk_add_f32 v[80:81], v[68:69], v[30:31] neg_lo:[0,1] neg_hi:[0,1]
	v_mov_b32_e32 v34, v69
	v_mov_b32_e32 v68, v55
	;; [unrolled: 1-line block ×4, first 2 shown]
	v_pk_add_f32 v[34:35], v[34:35], v[68:69] neg_lo:[0,1] neg_hi:[0,1]
	v_mov_b32_e32 v64, v67
	v_mov_b32_e32 v65, v54
	v_pk_add_f32 v[34:35], v[64:65], v[34:35] neg_lo:[0,1] neg_hi:[0,1]
	v_mov_b32_e32 v80, v70
	v_pk_add_f32 v[54:55], v[80:81], v[34:35]
	v_mov_b32_e32 v64, v55
	v_pk_add_f32 v[64:65], v[54:55], v[64:65]
	v_pk_add_f32 v[66:67], v[32:33], v[64:65]
	v_mov_b32_e32 v55, v66
	v_pk_add_f32 v[68:69], v[54:55], v[70:71] neg_lo:[0,1] neg_hi:[0,1]
	v_mov_b32_e32 v35, v64
	v_sub_f32_e32 v31, v54, v68
	v_pk_add_f32 v[34:35], v[34:35], v[68:69] neg_lo:[0,1] neg_hi:[0,1]
	v_sub_f32_e32 v31, v70, v31
	v_add_f32_e32 v31, v34, v31
	v_cmp_eq_f32_e64 s[40:41], s44, v49
	s_mov_b32 s44, 0x33800000
	v_add_f32_e32 v31, v31, v35
	v_cmp_lt_f32_e64 s[44:45], |v49|, s44
	v_add_f32_e32 v31, v66, v31
	s_or_b64 s[40:41], s[40:41], s[44:45]
	v_cndmask_b32_e64 v31, v31, v49, s[40:41]
	v_add_f32_e32 v31, v33, v31
	v_cvt_f16_f32_e32 v31, v31
	v_cvt_f32_f16_e32 v32, v31
.LBB353_286:
	s_or_b64 exec, exec, s[42:43]
	v_cvt_f32_f16_sdwa v54, v12 dst_sel:DWORD dst_unused:UNUSED_PAD src0_sel:WORD_1
	v_max_f32_e32 v34, v32, v32
	v_cmp_u_f16_e64 s[42:43], v31, v31
	v_cmp_u_f16_sdwa s[40:41], v12, v12 src0_sel:WORD_1 src1_sel:WORD_1
	v_min_f32_e32 v33, v34, v54
	v_max_f32_e32 v12, v34, v54
	v_cndmask_b32_e64 v33, v33, v32, s[42:43]
	v_cndmask_b32_e64 v12, v12, v32, s[42:43]
	;; [unrolled: 1-line block ×4, first 2 shown]
	s_movk_i32 s46, 0x1f8
	v_cmp_neq_f32_e64 s[42:43], v33, v12
	v_cmp_class_f32_e64 s[44:45], v33, s46
	s_or_b64 s[42:43], s[42:43], s[44:45]
	s_and_saveexec_b64 s[44:45], s[42:43]
	s_cbranch_execz .LBB353_288
; %bb.287:
	v_sub_f32_e32 v31, v33, v12
	s_mov_b32 s42, 0x3fb8aa3b
	v_mul_f32_e32 v32, 0x3fb8aa3b, v31
	v_fma_f32 v33, v31, s42, -v32
	v_rndne_f32_e32 v34, v32
	v_fmac_f32_e32 v33, 0x32a5705f, v31
	v_sub_f32_e32 v32, v32, v34
	v_add_f32_e32 v32, v32, v33
	v_exp_f32_e32 v32, v32
	v_cvt_i32_f32_e32 v33, v34
	s_mov_b32 s42, 0xc2ce8ed0
	v_cmp_ngt_f32_e64 s[42:43], s42, v31
	s_mov_b32 s47, 0x7f800000
	v_ldexp_f32 v32, v32, v33
	v_cndmask_b32_e64 v32, 0, v32, s[42:43]
	s_mov_b32 s42, 0x42b17218
	v_mov_b32_e32 v33, 0x7f800000
	v_cmp_nlt_f32_e64 s[42:43], s42, v31
	v_cndmask_b32_e64 v49, v33, v32, s[42:43]
	v_add_f32_e32 v31, 1.0, v49
	v_add_f32_e32 v32, -1.0, v31
	v_sub_f32_e32 v33, v32, v31
	v_add_f32_e32 v33, 1.0, v33
	v_sub_f32_e32 v32, v49, v32
	v_add_f32_e32 v34, v32, v33
	v_frexp_mant_f32_e32 v35, v31
	s_mov_b32 s42, 0x3f2aaaab
	v_cvt_f64_f32_e32 v[32:33], v31
	v_frexp_exp_i32_f64_e32 v32, v[32:33]
	v_cmp_gt_f32_e64 s[42:43], s42, v35
	v_subbrev_co_u32_e64 v55, s[42:43], 0, v32, s[42:43]
	v_sub_u32_e32 v32, 0, v55
	v_ldexp_f32 v31, v31, v32
	v_ldexp_f32 v32, v34, v32
	v_add_f32_e32 v34, -1.0, v31
	v_add_f32_e32 v33, 1.0, v34
	v_sub_f32_e32 v33, v31, v33
	v_add_f32_e32 v35, v32, v33
	v_add_f32_e32 v33, 1.0, v31
	v_add_f32_e32 v64, -1.0, v33
	v_sub_f32_e32 v31, v31, v64
	v_add_f32_e32 v31, v32, v31
	v_add_f32_e32 v68, v33, v31
	v_rcp_f32_e32 v69, v68
	v_sub_f32_e32 v32, v33, v68
	v_add_f32_e32 v33, v34, v35
	v_add_f32_e32 v31, v31, v32
	v_mul_f32_e32 v71, v33, v69
	v_sub_f32_e32 v32, v34, v33
	v_mul_f32_e32 v34, v68, v71
	v_fma_f32 v64, v71, v68, -v34
	v_fmac_f32_e32 v64, v71, v31
	v_add_f32_e32 v70, v35, v32
	v_add_f32_e32 v32, v34, v64
	v_sub_f32_e32 v35, v33, v32
	v_pk_add_f32 v[66:67], v[32:33], v[34:35] neg_lo:[0,1] neg_hi:[0,1]
	v_mov_b32_e32 v65, v32
	v_pk_add_f32 v[32:33], v[66:67], v[64:65] neg_lo:[0,1] neg_hi:[0,1]
	v_add_f32_e32 v33, v70, v33
	v_add_f32_e32 v32, v32, v33
	;; [unrolled: 1-line block ×3, first 2 shown]
	v_mul_f32_e32 v70, v69, v33
	v_mul_f32_e32 v34, v68, v70
	v_fma_f32 v64, v70, v68, -v34
	v_fmac_f32_e32 v64, v70, v31
	v_sub_f32_e32 v31, v35, v33
	v_add_f32_e32 v31, v32, v31
	v_add_f32_e32 v32, v34, v64
	v_sub_f32_e32 v35, v33, v32
	v_pk_add_f32 v[66:67], v[32:33], v[34:35] neg_lo:[0,1] neg_hi:[0,1]
	v_mov_b32_e32 v65, v32
	v_pk_add_f32 v[32:33], v[66:67], v[64:65] neg_lo:[0,1] neg_hi:[0,1]
	v_add_f32_e32 v31, v31, v33
	v_add_f32_e32 v31, v32, v31
	;; [unrolled: 1-line block ×4, first 2 shown]
	v_sub_f32_e32 v33, v32, v71
	v_mul_f32_e32 v31, v69, v31
	v_sub_f32_e32 v33, v70, v33
	v_add_f32_e32 v31, v33, v31
	v_add_f32_e32 v35, v32, v31
	v_mul_f32_e32 v64, v35, v35
	v_mov_b32_e32 v34, 0x3ecc95a3
	v_fmac_f32_e32 v34, 0x3e9b6dac, v64
	v_mov_b32_e32 v33, 0x3f2aaada
	v_fmac_f32_e32 v33, v64, v34
	v_cvt_f32_i32_e32 v34, v55
	v_sub_f32_e32 v32, v35, v32
	v_sub_f32_e32 v31, v31, v32
	v_ldexp_f32 v65, v35, 1
	v_mul_f32_e32 v35, v35, v64
	v_mov_b32_e32 v32, 0x3f317218
	s_mov_b32 s42, 0x3f317218
	v_pk_mul_f32 v[32:33], v[34:35], v[32:33]
	v_fma_f32 v64, v34, s42, -v32
	v_fmac_f32_e32 v64, 0xb102e308, v34
	v_pk_add_f32 v[34:35], v[32:33], v[64:65]
	v_sub_f32_e32 v55, v35, v65
	v_ldexp_f32 v31, v31, 1
	v_sub_f32_e32 v55, v33, v55
	v_add_f32_e32 v67, v31, v55
	v_mov_b32_e32 v66, v32
	v_pk_add_f32 v[32:33], v[34:35], v[32:33] neg_lo:[0,1] neg_hi:[0,1]
	v_pk_add_f32 v[68:69], v[34:35], v[66:67]
	v_mov_b32_e32 v33, v69
	v_mov_b32_e32 v65, v34
	v_pk_add_f32 v[70:71], v[64:65], v[32:33] neg_lo:[0,1] neg_hi:[0,1]
	v_pk_add_f32 v[32:33], v[64:65], v[32:33]
	v_mov_b32_e32 v64, v33
	v_pk_add_f32 v[80:81], v[64:65], v[34:35] neg_lo:[0,1] neg_hi:[0,1]
	v_mov_b32_e32 v31, v80
	v_pk_add_f32 v[82:83], v[68:69], v[30:31] neg_lo:[0,1] neg_hi:[0,1]
	v_mov_b32_e32 v32, v69
	v_mov_b32_e32 v68, v35
	;; [unrolled: 1-line block ×4, first 2 shown]
	v_pk_add_f32 v[32:33], v[32:33], v[68:69] neg_lo:[0,1] neg_hi:[0,1]
	v_mov_b32_e32 v66, v67
	v_mov_b32_e32 v67, v34
	v_pk_add_f32 v[32:33], v[66:67], v[32:33] neg_lo:[0,1] neg_hi:[0,1]
	v_mov_b32_e32 v82, v70
	v_pk_add_f32 v[34:35], v[82:83], v[32:33]
	v_mov_b32_e32 v66, v35
	v_pk_add_f32 v[66:67], v[34:35], v[66:67]
	v_pk_add_f32 v[64:65], v[64:65], v[66:67]
	v_mov_b32_e32 v35, v64
	v_pk_add_f32 v[68:69], v[34:35], v[70:71] neg_lo:[0,1] neg_hi:[0,1]
	v_mov_b32_e32 v33, v66
	v_sub_f32_e32 v31, v34, v68
	v_pk_add_f32 v[32:33], v[32:33], v[68:69] neg_lo:[0,1] neg_hi:[0,1]
	v_sub_f32_e32 v31, v70, v31
	v_add_f32_e32 v31, v32, v31
	v_cmp_eq_f32_e64 s[42:43], s47, v49
	s_mov_b32 s47, 0x33800000
	v_add_f32_e32 v31, v31, v33
	v_cmp_lt_f32_e64 s[48:49], |v49|, s47
	v_add_f32_e32 v31, v64, v31
	s_or_b64 s[42:43], s[42:43], s[48:49]
	v_cndmask_b32_e64 v31, v31, v49, s[42:43]
	v_add_f32_e32 v12, v12, v31
	v_cvt_f16_f32_e32 v31, v12
	v_cvt_f32_f16_e32 v32, v31
.LBB353_288:
	s_or_b64 exec, exec, s[44:45]
	v_cvt_f32_f16_e32 v12, v13
	v_max_f32_e32 v33, v32, v32
	v_cmp_u_f16_e64 s[44:45], v31, v31
	v_cmp_u_f16_e64 s[42:43], v13, v13
	v_min_f32_e32 v34, v33, v12
	v_max_f32_e32 v33, v33, v12
	v_cndmask_b32_e64 v34, v34, v32, s[44:45]
	v_cndmask_b32_e64 v33, v33, v32, s[44:45]
	;; [unrolled: 1-line block ×4, first 2 shown]
	v_cmp_neq_f32_e64 s[44:45], v34, v33
	v_cmp_class_f32_e64 s[46:47], v34, s46
	s_or_b64 s[44:45], s[44:45], s[46:47]
	s_and_saveexec_b64 s[46:47], s[44:45]
	s_cbranch_execz .LBB353_290
; %bb.289:
	v_sub_f32_e32 v31, v34, v33
	s_mov_b32 s44, 0x3fb8aa3b
	v_mul_f32_e32 v32, 0x3fb8aa3b, v31
	v_fma_f32 v34, v31, s44, -v32
	v_rndne_f32_e32 v35, v32
	v_fmac_f32_e32 v34, 0x32a5705f, v31
	v_sub_f32_e32 v32, v32, v35
	v_add_f32_e32 v32, v32, v34
	v_exp_f32_e32 v32, v32
	v_cvt_i32_f32_e32 v34, v35
	s_mov_b32 s44, 0xc2ce8ed0
	v_cmp_ngt_f32_e64 s[44:45], s44, v31
	s_mov_b32 s48, 0x7f800000
	v_ldexp_f32 v32, v32, v34
	v_cndmask_b32_e64 v32, 0, v32, s[44:45]
	s_mov_b32 s44, 0x42b17218
	v_mov_b32_e32 v34, 0x7f800000
	v_cmp_nlt_f32_e64 s[44:45], s44, v31
	v_cndmask_b32_e64 v49, v34, v32, s[44:45]
	v_add_f32_e32 v31, 1.0, v49
	v_add_f32_e32 v32, -1.0, v31
	v_sub_f32_e32 v34, v32, v31
	v_add_f32_e32 v34, 1.0, v34
	v_sub_f32_e32 v32, v49, v32
	v_add_f32_e32 v32, v32, v34
	v_frexp_mant_f32_e32 v55, v31
	s_mov_b32 s44, 0x3f2aaaab
	v_cvt_f64_f32_e32 v[34:35], v31
	v_frexp_exp_i32_f64_e32 v34, v[34:35]
	v_cmp_gt_f32_e64 s[44:45], s44, v55
	v_subbrev_co_u32_e64 v55, s[44:45], 0, v34, s[44:45]
	v_sub_u32_e32 v34, 0, v55
	v_ldexp_f32 v31, v31, v34
	v_ldexp_f32 v32, v32, v34
	v_add_f32_e32 v34, -1.0, v31
	v_add_f32_e32 v35, 1.0, v34
	v_sub_f32_e32 v35, v31, v35
	v_add_f32_e32 v64, v32, v35
	v_add_f32_e32 v35, 1.0, v31
	v_add_f32_e32 v65, -1.0, v35
	v_sub_f32_e32 v31, v31, v65
	v_add_f32_e32 v31, v32, v31
	v_add_f32_e32 v32, v35, v31
	v_rcp_f32_e32 v70, v32
	v_sub_f32_e32 v35, v35, v32
	v_add_f32_e32 v31, v31, v35
	v_add_f32_e32 v35, v34, v64
	v_sub_f32_e32 v34, v34, v35
	v_mul_f32_e32 v80, v35, v70
	v_add_f32_e32 v71, v64, v34
	v_mul_f32_e32 v64, v32, v80
	v_fma_f32 v66, v80, v32, -v64
	v_fmac_f32_e32 v66, v80, v31
	v_add_f32_e32 v34, v64, v66
	v_sub_f32_e32 v65, v35, v34
	v_pk_add_f32 v[68:69], v[34:35], v[64:65] neg_lo:[0,1] neg_hi:[0,1]
	v_mov_b32_e32 v67, v34
	v_pk_add_f32 v[34:35], v[68:69], v[66:67] neg_lo:[0,1] neg_hi:[0,1]
	v_add_f32_e32 v35, v71, v35
	v_add_f32_e32 v34, v34, v35
	;; [unrolled: 1-line block ×3, first 2 shown]
	v_mul_f32_e32 v71, v70, v35
	v_mul_f32_e32 v64, v32, v71
	v_fma_f32 v66, v71, v32, -v64
	v_fmac_f32_e32 v66, v71, v31
	v_sub_f32_e32 v31, v65, v35
	v_add_f32_e32 v31, v34, v31
	v_add_f32_e32 v34, v64, v66
	v_sub_f32_e32 v65, v35, v34
	v_pk_add_f32 v[68:69], v[34:35], v[64:65] neg_lo:[0,1] neg_hi:[0,1]
	v_mov_b32_e32 v67, v34
	v_pk_add_f32 v[34:35], v[68:69], v[66:67] neg_lo:[0,1] neg_hi:[0,1]
	v_add_f32_e32 v31, v31, v35
	v_add_f32_e32 v31, v34, v31
	;; [unrolled: 1-line block ×4, first 2 shown]
	v_sub_f32_e32 v34, v32, v80
	v_mul_f32_e32 v31, v70, v31
	v_sub_f32_e32 v34, v71, v34
	v_add_f32_e32 v31, v34, v31
	v_add_f32_e32 v34, v32, v31
	v_mul_f32_e32 v65, v34, v34
	v_mov_b32_e32 v64, 0x3ecc95a3
	v_fmac_f32_e32 v64, 0x3e9b6dac, v65
	v_mov_b32_e32 v35, 0x3f2aaada
	v_fmac_f32_e32 v35, v65, v64
	v_cvt_f32_i32_e32 v64, v55
	v_sub_f32_e32 v32, v34, v32
	v_ldexp_f32 v67, v34, 1
	v_mul_f32_e32 v65, v34, v65
	v_mov_b32_e32 v34, 0x3f317218
	s_mov_b32 s44, 0x3f317218
	v_pk_mul_f32 v[34:35], v[64:65], v[34:35]
	v_fma_f32 v66, v64, s44, -v34
	v_fmac_f32_e32 v66, 0xb102e308, v64
	v_pk_add_f32 v[64:65], v[34:35], v[66:67]
	v_sub_f32_e32 v31, v31, v32
	v_sub_f32_e32 v32, v65, v67
	v_ldexp_f32 v31, v31, 1
	v_sub_f32_e32 v32, v35, v32
	v_add_f32_e32 v69, v31, v32
	v_mov_b32_e32 v68, v34
	v_pk_add_f32 v[34:35], v[64:65], v[34:35] neg_lo:[0,1] neg_hi:[0,1]
	v_pk_add_f32 v[70:71], v[64:65], v[68:69]
	v_mov_b32_e32 v35, v71
	v_mov_b32_e32 v67, v64
	v_pk_add_f32 v[80:81], v[66:67], v[34:35] neg_lo:[0,1] neg_hi:[0,1]
	v_pk_add_f32 v[34:35], v[66:67], v[34:35]
	v_mov_b32_e32 v32, v35
	v_pk_add_f32 v[66:67], v[32:33], v[64:65] neg_lo:[0,1] neg_hi:[0,1]
	v_mov_b32_e32 v31, v66
	v_pk_add_f32 v[82:83], v[70:71], v[30:31] neg_lo:[0,1] neg_hi:[0,1]
	v_mov_b32_e32 v34, v71
	v_mov_b32_e32 v70, v65
	;; [unrolled: 1-line block ×4, first 2 shown]
	v_pk_add_f32 v[34:35], v[34:35], v[70:71] neg_lo:[0,1] neg_hi:[0,1]
	v_mov_b32_e32 v66, v69
	v_mov_b32_e32 v67, v64
	v_pk_add_f32 v[34:35], v[66:67], v[34:35] neg_lo:[0,1] neg_hi:[0,1]
	v_mov_b32_e32 v82, v80
	v_pk_add_f32 v[64:65], v[82:83], v[34:35]
	v_mov_b32_e32 v66, v65
	v_pk_add_f32 v[66:67], v[64:65], v[66:67]
	v_pk_add_f32 v[68:69], v[32:33], v[66:67]
	v_mov_b32_e32 v65, v68
	v_pk_add_f32 v[70:71], v[64:65], v[80:81] neg_lo:[0,1] neg_hi:[0,1]
	v_mov_b32_e32 v35, v66
	v_sub_f32_e32 v31, v64, v70
	v_pk_add_f32 v[34:35], v[34:35], v[70:71] neg_lo:[0,1] neg_hi:[0,1]
	v_sub_f32_e32 v31, v80, v31
	v_add_f32_e32 v31, v34, v31
	v_cmp_eq_f32_e64 s[44:45], s48, v49
	s_mov_b32 s48, 0x33800000
	v_add_f32_e32 v31, v31, v35
	v_cmp_lt_f32_e64 s[48:49], |v49|, s48
	v_add_f32_e32 v31, v68, v31
	s_or_b64 s[44:45], s[44:45], s[48:49]
	v_cndmask_b32_e64 v31, v31, v49, s[44:45]
	v_add_f32_e32 v31, v33, v31
	v_cvt_f16_f32_e32 v31, v31
	v_cvt_f32_f16_e32 v32, v31
.LBB353_290:
	s_or_b64 exec, exec, s[46:47]
	v_cvt_f32_f16_sdwa v55, v13 dst_sel:DWORD dst_unused:UNUSED_PAD src0_sel:WORD_1
	v_max_f32_e32 v34, v32, v32
	v_cmp_u_f16_e64 s[46:47], v31, v31
	v_cmp_u_f16_sdwa s[44:45], v13, v13 src0_sel:WORD_1 src1_sel:WORD_1
	v_min_f32_e32 v33, v34, v55
	v_max_f32_e32 v13, v34, v55
	v_cndmask_b32_e64 v33, v33, v32, s[46:47]
	v_cndmask_b32_e64 v13, v13, v32, s[46:47]
	;; [unrolled: 1-line block ×4, first 2 shown]
	s_movk_i32 s50, 0x1f8
	v_cmp_neq_f32_e64 s[46:47], v33, v13
	v_cmp_class_f32_e64 s[48:49], v33, s50
	s_or_b64 s[46:47], s[46:47], s[48:49]
	s_and_saveexec_b64 s[48:49], s[46:47]
	s_cbranch_execz .LBB353_292
; %bb.291:
	v_sub_f32_e32 v31, v33, v13
	s_mov_b32 s46, 0x3fb8aa3b
	v_mul_f32_e32 v32, 0x3fb8aa3b, v31
	v_fma_f32 v33, v31, s46, -v32
	v_rndne_f32_e32 v34, v32
	v_fmac_f32_e32 v33, 0x32a5705f, v31
	v_sub_f32_e32 v32, v32, v34
	v_add_f32_e32 v32, v32, v33
	v_exp_f32_e32 v32, v32
	v_cvt_i32_f32_e32 v33, v34
	s_mov_b32 s46, 0xc2ce8ed0
	v_cmp_ngt_f32_e64 s[46:47], s46, v31
	s_mov_b32 s51, 0x7f800000
	v_ldexp_f32 v32, v32, v33
	v_cndmask_b32_e64 v32, 0, v32, s[46:47]
	s_mov_b32 s46, 0x42b17218
	v_mov_b32_e32 v33, 0x7f800000
	v_cmp_nlt_f32_e64 s[46:47], s46, v31
	v_cndmask_b32_e64 v49, v33, v32, s[46:47]
	v_add_f32_e32 v31, 1.0, v49
	v_add_f32_e32 v32, -1.0, v31
	v_sub_f32_e32 v33, v32, v31
	v_add_f32_e32 v33, 1.0, v33
	v_sub_f32_e32 v32, v49, v32
	v_add_f32_e32 v34, v32, v33
	v_frexp_mant_f32_e32 v35, v31
	s_mov_b32 s46, 0x3f2aaaab
	v_cvt_f64_f32_e32 v[32:33], v31
	v_frexp_exp_i32_f64_e32 v32, v[32:33]
	v_cmp_gt_f32_e64 s[46:47], s46, v35
	v_subbrev_co_u32_e64 v68, s[46:47], 0, v32, s[46:47]
	v_sub_u32_e32 v32, 0, v68
	v_ldexp_f32 v31, v31, v32
	v_ldexp_f32 v32, v34, v32
	v_add_f32_e32 v34, -1.0, v31
	v_add_f32_e32 v33, 1.0, v34
	v_sub_f32_e32 v33, v31, v33
	v_add_f32_e32 v35, v32, v33
	v_add_f32_e32 v33, 1.0, v31
	v_add_f32_e32 v64, -1.0, v33
	v_sub_f32_e32 v31, v31, v64
	v_add_f32_e32 v31, v32, v31
	v_add_f32_e32 v69, v33, v31
	v_rcp_f32_e32 v70, v69
	v_sub_f32_e32 v32, v33, v69
	v_add_f32_e32 v33, v34, v35
	v_add_f32_e32 v31, v31, v32
	v_mul_f32_e32 v80, v33, v70
	v_sub_f32_e32 v32, v34, v33
	v_mul_f32_e32 v34, v69, v80
	v_fma_f32 v64, v80, v69, -v34
	v_fmac_f32_e32 v64, v80, v31
	v_add_f32_e32 v71, v35, v32
	v_add_f32_e32 v32, v34, v64
	v_sub_f32_e32 v35, v33, v32
	v_pk_add_f32 v[66:67], v[32:33], v[34:35] neg_lo:[0,1] neg_hi:[0,1]
	v_mov_b32_e32 v65, v32
	v_pk_add_f32 v[32:33], v[66:67], v[64:65] neg_lo:[0,1] neg_hi:[0,1]
	v_add_f32_e32 v33, v71, v33
	v_add_f32_e32 v32, v32, v33
	;; [unrolled: 1-line block ×3, first 2 shown]
	v_mul_f32_e32 v71, v70, v33
	v_mul_f32_e32 v34, v69, v71
	v_fma_f32 v64, v71, v69, -v34
	v_fmac_f32_e32 v64, v71, v31
	v_sub_f32_e32 v31, v35, v33
	v_add_f32_e32 v31, v32, v31
	v_add_f32_e32 v32, v34, v64
	v_sub_f32_e32 v35, v33, v32
	v_pk_add_f32 v[66:67], v[32:33], v[34:35] neg_lo:[0,1] neg_hi:[0,1]
	v_mov_b32_e32 v65, v32
	v_pk_add_f32 v[32:33], v[66:67], v[64:65] neg_lo:[0,1] neg_hi:[0,1]
	v_add_f32_e32 v31, v31, v33
	v_add_f32_e32 v31, v32, v31
	;; [unrolled: 1-line block ×4, first 2 shown]
	v_sub_f32_e32 v33, v32, v80
	v_mul_f32_e32 v31, v70, v31
	v_sub_f32_e32 v33, v71, v33
	v_add_f32_e32 v31, v33, v31
	v_add_f32_e32 v35, v32, v31
	v_mul_f32_e32 v64, v35, v35
	v_mov_b32_e32 v34, 0x3ecc95a3
	v_fmac_f32_e32 v34, 0x3e9b6dac, v64
	v_mov_b32_e32 v33, 0x3f2aaada
	v_fmac_f32_e32 v33, v64, v34
	v_cvt_f32_i32_e32 v34, v68
	v_sub_f32_e32 v32, v35, v32
	v_sub_f32_e32 v31, v31, v32
	v_ldexp_f32 v65, v35, 1
	v_mul_f32_e32 v35, v35, v64
	v_mov_b32_e32 v32, 0x3f317218
	s_mov_b32 s46, 0x3f317218
	v_pk_mul_f32 v[32:33], v[34:35], v[32:33]
	v_fma_f32 v64, v34, s46, -v32
	v_fmac_f32_e32 v64, 0xb102e308, v34
	v_pk_add_f32 v[34:35], v[32:33], v[64:65]
	v_sub_f32_e32 v65, v35, v65
	v_ldexp_f32 v31, v31, 1
	v_sub_f32_e32 v65, v33, v65
	v_add_f32_e32 v67, v31, v65
	v_mov_b32_e32 v66, v32
	v_pk_add_f32 v[32:33], v[34:35], v[32:33] neg_lo:[0,1] neg_hi:[0,1]
	v_pk_add_f32 v[68:69], v[34:35], v[66:67]
	v_mov_b32_e32 v33, v69
	v_mov_b32_e32 v65, v34
	v_pk_add_f32 v[70:71], v[64:65], v[32:33] neg_lo:[0,1] neg_hi:[0,1]
	v_pk_add_f32 v[32:33], v[64:65], v[32:33]
	v_mov_b32_e32 v64, v33
	v_pk_add_f32 v[80:81], v[64:65], v[34:35] neg_lo:[0,1] neg_hi:[0,1]
	v_mov_b32_e32 v31, v80
	v_pk_add_f32 v[82:83], v[68:69], v[30:31] neg_lo:[0,1] neg_hi:[0,1]
	v_mov_b32_e32 v32, v69
	v_mov_b32_e32 v68, v35
	;; [unrolled: 1-line block ×4, first 2 shown]
	v_pk_add_f32 v[32:33], v[32:33], v[68:69] neg_lo:[0,1] neg_hi:[0,1]
	v_mov_b32_e32 v66, v67
	v_mov_b32_e32 v67, v34
	v_pk_add_f32 v[32:33], v[66:67], v[32:33] neg_lo:[0,1] neg_hi:[0,1]
	v_mov_b32_e32 v82, v70
	v_pk_add_f32 v[34:35], v[82:83], v[32:33]
	v_mov_b32_e32 v66, v35
	v_pk_add_f32 v[66:67], v[34:35], v[66:67]
	v_pk_add_f32 v[64:65], v[64:65], v[66:67]
	v_mov_b32_e32 v35, v64
	v_pk_add_f32 v[68:69], v[34:35], v[70:71] neg_lo:[0,1] neg_hi:[0,1]
	v_mov_b32_e32 v33, v66
	v_sub_f32_e32 v31, v34, v68
	v_pk_add_f32 v[32:33], v[32:33], v[68:69] neg_lo:[0,1] neg_hi:[0,1]
	v_sub_f32_e32 v31, v70, v31
	v_add_f32_e32 v31, v32, v31
	v_cmp_eq_f32_e64 s[46:47], s51, v49
	s_mov_b32 s51, 0x33800000
	v_add_f32_e32 v31, v31, v33
	v_cmp_lt_f32_e64 s[52:53], |v49|, s51
	v_add_f32_e32 v31, v64, v31
	s_or_b64 s[46:47], s[46:47], s[52:53]
	v_cndmask_b32_e64 v31, v31, v49, s[46:47]
	v_add_f32_e32 v13, v13, v31
	v_cvt_f16_f32_e32 v31, v13
	v_cvt_f32_f16_e32 v32, v31
.LBB353_292:
	s_or_b64 exec, exec, s[48:49]
	v_cvt_f32_f16_e32 v13, v14
	v_max_f32_e32 v33, v32, v32
	v_cmp_u_f16_e64 s[48:49], v31, v31
	v_cmp_u_f16_e64 s[46:47], v14, v14
	v_min_f32_e32 v34, v33, v13
	v_max_f32_e32 v33, v33, v13
	v_cndmask_b32_e64 v34, v34, v32, s[48:49]
	v_cndmask_b32_e64 v33, v33, v32, s[48:49]
	;; [unrolled: 1-line block ×4, first 2 shown]
	v_cmp_neq_f32_e64 s[48:49], v34, v33
	v_cmp_class_f32_e64 s[50:51], v34, s50
	s_or_b64 s[48:49], s[48:49], s[50:51]
	s_and_saveexec_b64 s[50:51], s[48:49]
	s_cbranch_execz .LBB353_294
; %bb.293:
	v_sub_f32_e32 v31, v34, v33
	s_mov_b32 s48, 0x3fb8aa3b
	v_mul_f32_e32 v32, 0x3fb8aa3b, v31
	v_fma_f32 v34, v31, s48, -v32
	v_rndne_f32_e32 v35, v32
	v_fmac_f32_e32 v34, 0x32a5705f, v31
	v_sub_f32_e32 v32, v32, v35
	v_add_f32_e32 v32, v32, v34
	v_exp_f32_e32 v32, v32
	v_cvt_i32_f32_e32 v34, v35
	s_mov_b32 s48, 0xc2ce8ed0
	v_cmp_ngt_f32_e64 s[48:49], s48, v31
	s_mov_b32 s52, 0x7f800000
	v_ldexp_f32 v32, v32, v34
	v_cndmask_b32_e64 v32, 0, v32, s[48:49]
	s_mov_b32 s48, 0x42b17218
	v_mov_b32_e32 v34, 0x7f800000
	v_cmp_nlt_f32_e64 s[48:49], s48, v31
	v_cndmask_b32_e64 v49, v34, v32, s[48:49]
	v_add_f32_e32 v31, 1.0, v49
	v_add_f32_e32 v32, -1.0, v31
	v_sub_f32_e32 v34, v32, v31
	v_add_f32_e32 v34, 1.0, v34
	v_sub_f32_e32 v32, v49, v32
	v_add_f32_e32 v32, v32, v34
	v_frexp_mant_f32_e32 v64, v31
	s_mov_b32 s48, 0x3f2aaaab
	v_cvt_f64_f32_e32 v[34:35], v31
	v_frexp_exp_i32_f64_e32 v34, v[34:35]
	v_cmp_gt_f32_e64 s[48:49], s48, v64
	v_subbrev_co_u32_e64 v70, s[48:49], 0, v34, s[48:49]
	v_sub_u32_e32 v34, 0, v70
	v_ldexp_f32 v31, v31, v34
	v_ldexp_f32 v32, v32, v34
	v_add_f32_e32 v34, -1.0, v31
	v_add_f32_e32 v35, 1.0, v34
	v_sub_f32_e32 v35, v31, v35
	v_add_f32_e32 v64, v32, v35
	v_add_f32_e32 v35, 1.0, v31
	v_add_f32_e32 v65, -1.0, v35
	v_sub_f32_e32 v31, v31, v65
	v_add_f32_e32 v31, v32, v31
	v_add_f32_e32 v32, v35, v31
	v_rcp_f32_e32 v71, v32
	v_sub_f32_e32 v35, v35, v32
	v_add_f32_e32 v31, v31, v35
	v_add_f32_e32 v35, v34, v64
	v_sub_f32_e32 v34, v34, v35
	v_mul_f32_e32 v81, v35, v71
	v_add_f32_e32 v80, v64, v34
	v_mul_f32_e32 v64, v32, v81
	v_fma_f32 v66, v81, v32, -v64
	v_fmac_f32_e32 v66, v81, v31
	v_add_f32_e32 v34, v64, v66
	v_sub_f32_e32 v65, v35, v34
	v_pk_add_f32 v[68:69], v[34:35], v[64:65] neg_lo:[0,1] neg_hi:[0,1]
	v_mov_b32_e32 v67, v34
	v_pk_add_f32 v[34:35], v[68:69], v[66:67] neg_lo:[0,1] neg_hi:[0,1]
	v_add_f32_e32 v35, v80, v35
	v_add_f32_e32 v34, v34, v35
	;; [unrolled: 1-line block ×3, first 2 shown]
	v_mul_f32_e32 v80, v71, v35
	v_mul_f32_e32 v64, v32, v80
	v_fma_f32 v66, v80, v32, -v64
	v_fmac_f32_e32 v66, v80, v31
	v_sub_f32_e32 v31, v65, v35
	v_add_f32_e32 v31, v34, v31
	v_add_f32_e32 v34, v64, v66
	v_sub_f32_e32 v65, v35, v34
	v_pk_add_f32 v[68:69], v[34:35], v[64:65] neg_lo:[0,1] neg_hi:[0,1]
	v_mov_b32_e32 v67, v34
	v_pk_add_f32 v[34:35], v[68:69], v[66:67] neg_lo:[0,1] neg_hi:[0,1]
	v_add_f32_e32 v31, v31, v35
	v_add_f32_e32 v31, v34, v31
	;; [unrolled: 1-line block ×4, first 2 shown]
	v_sub_f32_e32 v34, v32, v81
	v_mul_f32_e32 v31, v71, v31
	v_sub_f32_e32 v34, v80, v34
	v_add_f32_e32 v31, v34, v31
	v_add_f32_e32 v34, v32, v31
	v_mul_f32_e32 v65, v34, v34
	v_mov_b32_e32 v64, 0x3ecc95a3
	v_fmac_f32_e32 v64, 0x3e9b6dac, v65
	v_mov_b32_e32 v35, 0x3f2aaada
	v_fmac_f32_e32 v35, v65, v64
	v_cvt_f32_i32_e32 v64, v70
	v_sub_f32_e32 v32, v34, v32
	v_ldexp_f32 v67, v34, 1
	v_mul_f32_e32 v65, v34, v65
	v_mov_b32_e32 v34, 0x3f317218
	s_mov_b32 s48, 0x3f317218
	v_pk_mul_f32 v[34:35], v[64:65], v[34:35]
	v_fma_f32 v66, v64, s48, -v34
	v_fmac_f32_e32 v66, 0xb102e308, v64
	v_pk_add_f32 v[64:65], v[34:35], v[66:67]
	v_sub_f32_e32 v31, v31, v32
	v_sub_f32_e32 v32, v65, v67
	v_ldexp_f32 v31, v31, 1
	v_sub_f32_e32 v32, v35, v32
	v_add_f32_e32 v69, v31, v32
	v_mov_b32_e32 v68, v34
	v_pk_add_f32 v[34:35], v[64:65], v[34:35] neg_lo:[0,1] neg_hi:[0,1]
	v_pk_add_f32 v[70:71], v[64:65], v[68:69]
	v_mov_b32_e32 v35, v71
	v_mov_b32_e32 v67, v64
	v_pk_add_f32 v[80:81], v[66:67], v[34:35] neg_lo:[0,1] neg_hi:[0,1]
	v_pk_add_f32 v[34:35], v[66:67], v[34:35]
	v_mov_b32_e32 v32, v35
	v_pk_add_f32 v[66:67], v[32:33], v[64:65] neg_lo:[0,1] neg_hi:[0,1]
	v_mov_b32_e32 v31, v66
	v_pk_add_f32 v[82:83], v[70:71], v[30:31] neg_lo:[0,1] neg_hi:[0,1]
	v_mov_b32_e32 v34, v71
	v_mov_b32_e32 v70, v65
	;; [unrolled: 1-line block ×4, first 2 shown]
	v_pk_add_f32 v[34:35], v[34:35], v[70:71] neg_lo:[0,1] neg_hi:[0,1]
	v_mov_b32_e32 v66, v69
	v_mov_b32_e32 v67, v64
	v_pk_add_f32 v[34:35], v[66:67], v[34:35] neg_lo:[0,1] neg_hi:[0,1]
	v_mov_b32_e32 v82, v80
	v_pk_add_f32 v[64:65], v[82:83], v[34:35]
	v_mov_b32_e32 v66, v65
	v_pk_add_f32 v[66:67], v[64:65], v[66:67]
	v_pk_add_f32 v[68:69], v[32:33], v[66:67]
	v_mov_b32_e32 v65, v68
	v_pk_add_f32 v[70:71], v[64:65], v[80:81] neg_lo:[0,1] neg_hi:[0,1]
	v_mov_b32_e32 v35, v66
	v_sub_f32_e32 v31, v64, v70
	v_pk_add_f32 v[34:35], v[34:35], v[70:71] neg_lo:[0,1] neg_hi:[0,1]
	v_sub_f32_e32 v31, v80, v31
	v_add_f32_e32 v31, v34, v31
	v_cmp_eq_f32_e64 s[48:49], s52, v49
	s_mov_b32 s52, 0x33800000
	v_add_f32_e32 v31, v31, v35
	v_cmp_lt_f32_e64 s[52:53], |v49|, s52
	v_add_f32_e32 v31, v68, v31
	s_or_b64 s[48:49], s[48:49], s[52:53]
	v_cndmask_b32_e64 v31, v31, v49, s[48:49]
	v_add_f32_e32 v31, v33, v31
	v_cvt_f16_f32_e32 v31, v31
	v_cvt_f32_f16_e32 v32, v31
.LBB353_294:
	s_or_b64 exec, exec, s[50:51]
	v_cvt_f32_f16_sdwa v64, v14 dst_sel:DWORD dst_unused:UNUSED_PAD src0_sel:WORD_1
	v_max_f32_e32 v34, v32, v32
	v_cmp_u_f16_e64 s[50:51], v31, v31
	v_cmp_u_f16_sdwa s[48:49], v14, v14 src0_sel:WORD_1 src1_sel:WORD_1
	v_min_f32_e32 v33, v34, v64
	v_max_f32_e32 v14, v34, v64
	v_cndmask_b32_e64 v33, v33, v32, s[50:51]
	v_cndmask_b32_e64 v14, v14, v32, s[50:51]
	;; [unrolled: 1-line block ×4, first 2 shown]
	s_movk_i32 s56, 0x1f8
	v_cmp_neq_f32_e64 s[50:51], v33, v14
	v_cmp_class_f32_e64 s[52:53], v33, s56
	s_or_b64 s[50:51], s[50:51], s[52:53]
	s_and_saveexec_b64 s[52:53], s[50:51]
	s_cbranch_execz .LBB353_296
; %bb.295:
	v_sub_f32_e32 v31, v33, v14
	s_mov_b32 s50, 0x3fb8aa3b
	v_mul_f32_e32 v32, 0x3fb8aa3b, v31
	v_fma_f32 v33, v31, s50, -v32
	v_rndne_f32_e32 v34, v32
	v_fmac_f32_e32 v33, 0x32a5705f, v31
	v_sub_f32_e32 v32, v32, v34
	v_add_f32_e32 v32, v32, v33
	v_exp_f32_e32 v32, v32
	v_cvt_i32_f32_e32 v33, v34
	s_mov_b32 s50, 0xc2ce8ed0
	v_cmp_ngt_f32_e64 s[50:51], s50, v31
	s_mov_b32 s57, 0x7f800000
	v_ldexp_f32 v32, v32, v33
	v_cndmask_b32_e64 v32, 0, v32, s[50:51]
	s_mov_b32 s50, 0x42b17218
	v_mov_b32_e32 v33, 0x7f800000
	v_cmp_nlt_f32_e64 s[50:51], s50, v31
	v_cndmask_b32_e64 v49, v33, v32, s[50:51]
	v_add_f32_e32 v31, 1.0, v49
	v_add_f32_e32 v32, -1.0, v31
	v_sub_f32_e32 v33, v32, v31
	v_add_f32_e32 v33, 1.0, v33
	v_sub_f32_e32 v32, v49, v32
	v_add_f32_e32 v34, v32, v33
	v_frexp_mant_f32_e32 v35, v31
	s_mov_b32 s50, 0x3f2aaaab
	v_cvt_f64_f32_e32 v[32:33], v31
	v_frexp_exp_i32_f64_e32 v32, v[32:33]
	v_cmp_gt_f32_e64 s[50:51], s50, v35
	v_subbrev_co_u32_e64 v65, s[50:51], 0, v32, s[50:51]
	v_sub_u32_e32 v32, 0, v65
	v_ldexp_f32 v31, v31, v32
	v_ldexp_f32 v32, v34, v32
	v_add_f32_e32 v34, -1.0, v31
	v_add_f32_e32 v33, 1.0, v34
	v_sub_f32_e32 v33, v31, v33
	v_add_f32_e32 v35, v32, v33
	v_add_f32_e32 v33, 1.0, v31
	v_add_f32_e32 v66, -1.0, v33
	v_sub_f32_e32 v31, v31, v66
	v_add_f32_e32 v31, v32, v31
	v_add_f32_e32 v70, v33, v31
	v_rcp_f32_e32 v71, v70
	v_sub_f32_e32 v32, v33, v70
	v_add_f32_e32 v33, v34, v35
	v_add_f32_e32 v31, v31, v32
	v_mul_f32_e32 v81, v33, v71
	v_sub_f32_e32 v32, v34, v33
	v_mul_f32_e32 v34, v70, v81
	v_fma_f32 v66, v81, v70, -v34
	v_fmac_f32_e32 v66, v81, v31
	v_add_f32_e32 v80, v35, v32
	v_add_f32_e32 v32, v34, v66
	v_sub_f32_e32 v35, v33, v32
	v_pk_add_f32 v[68:69], v[32:33], v[34:35] neg_lo:[0,1] neg_hi:[0,1]
	v_mov_b32_e32 v67, v32
	v_pk_add_f32 v[32:33], v[68:69], v[66:67] neg_lo:[0,1] neg_hi:[0,1]
	v_add_f32_e32 v33, v80, v33
	v_add_f32_e32 v32, v32, v33
	;; [unrolled: 1-line block ×3, first 2 shown]
	v_mul_f32_e32 v80, v71, v33
	v_mul_f32_e32 v34, v70, v80
	v_fma_f32 v66, v80, v70, -v34
	v_fmac_f32_e32 v66, v80, v31
	v_sub_f32_e32 v31, v35, v33
	v_add_f32_e32 v31, v32, v31
	v_add_f32_e32 v32, v34, v66
	v_sub_f32_e32 v35, v33, v32
	v_pk_add_f32 v[68:69], v[32:33], v[34:35] neg_lo:[0,1] neg_hi:[0,1]
	v_mov_b32_e32 v67, v32
	v_pk_add_f32 v[32:33], v[68:69], v[66:67] neg_lo:[0,1] neg_hi:[0,1]
	v_add_f32_e32 v31, v31, v33
	v_add_f32_e32 v31, v32, v31
	;; [unrolled: 1-line block ×4, first 2 shown]
	v_sub_f32_e32 v33, v32, v81
	v_mul_f32_e32 v31, v71, v31
	v_sub_f32_e32 v33, v80, v33
	v_add_f32_e32 v31, v33, v31
	v_add_f32_e32 v35, v32, v31
	v_mul_f32_e32 v66, v35, v35
	v_mov_b32_e32 v34, 0x3ecc95a3
	v_fmac_f32_e32 v34, 0x3e9b6dac, v66
	v_mov_b32_e32 v33, 0x3f2aaada
	v_fmac_f32_e32 v33, v66, v34
	v_cvt_f32_i32_e32 v34, v65
	v_sub_f32_e32 v32, v35, v32
	v_sub_f32_e32 v31, v31, v32
	v_ldexp_f32 v67, v35, 1
	v_mul_f32_e32 v35, v35, v66
	v_mov_b32_e32 v32, 0x3f317218
	s_mov_b32 s50, 0x3f317218
	v_pk_mul_f32 v[32:33], v[34:35], v[32:33]
	v_fma_f32 v66, v34, s50, -v32
	v_fmac_f32_e32 v66, 0xb102e308, v34
	v_pk_add_f32 v[34:35], v[32:33], v[66:67]
	v_sub_f32_e32 v65, v35, v67
	v_ldexp_f32 v31, v31, 1
	v_sub_f32_e32 v65, v33, v65
	v_add_f32_e32 v69, v31, v65
	v_mov_b32_e32 v68, v32
	v_pk_add_f32 v[32:33], v[34:35], v[32:33] neg_lo:[0,1] neg_hi:[0,1]
	v_pk_add_f32 v[70:71], v[34:35], v[68:69]
	v_mov_b32_e32 v33, v71
	v_mov_b32_e32 v67, v34
	v_pk_add_f32 v[80:81], v[66:67], v[32:33] neg_lo:[0,1] neg_hi:[0,1]
	v_pk_add_f32 v[32:33], v[66:67], v[32:33]
	v_mov_b32_e32 v66, v33
	v_pk_add_f32 v[82:83], v[66:67], v[34:35] neg_lo:[0,1] neg_hi:[0,1]
	v_mov_b32_e32 v31, v82
	v_pk_add_f32 v[84:85], v[70:71], v[30:31] neg_lo:[0,1] neg_hi:[0,1]
	v_mov_b32_e32 v32, v71
	v_mov_b32_e32 v70, v35
	;; [unrolled: 1-line block ×4, first 2 shown]
	v_pk_add_f32 v[32:33], v[32:33], v[70:71] neg_lo:[0,1] neg_hi:[0,1]
	v_mov_b32_e32 v68, v69
	v_mov_b32_e32 v69, v34
	v_pk_add_f32 v[32:33], v[68:69], v[32:33] neg_lo:[0,1] neg_hi:[0,1]
	v_mov_b32_e32 v84, v80
	v_pk_add_f32 v[34:35], v[84:85], v[32:33]
	v_mov_b32_e32 v68, v35
	v_pk_add_f32 v[68:69], v[34:35], v[68:69]
	v_pk_add_f32 v[66:67], v[66:67], v[68:69]
	v_mov_b32_e32 v35, v66
	v_pk_add_f32 v[70:71], v[34:35], v[80:81] neg_lo:[0,1] neg_hi:[0,1]
	v_mov_b32_e32 v33, v68
	v_sub_f32_e32 v31, v34, v70
	v_pk_add_f32 v[32:33], v[32:33], v[70:71] neg_lo:[0,1] neg_hi:[0,1]
	v_sub_f32_e32 v31, v80, v31
	v_add_f32_e32 v31, v32, v31
	v_cmp_eq_f32_e64 s[50:51], s57, v49
	s_mov_b32 s57, 0x33800000
	v_add_f32_e32 v31, v31, v33
	v_cmp_lt_f32_e64 s[58:59], |v49|, s57
	v_add_f32_e32 v31, v66, v31
	s_or_b64 s[50:51], s[50:51], s[58:59]
	v_cndmask_b32_e64 v31, v31, v49, s[50:51]
	v_add_f32_e32 v14, v14, v31
	v_cvt_f16_f32_e32 v31, v14
	v_cvt_f32_f16_e32 v32, v31
.LBB353_296:
	s_or_b64 exec, exec, s[52:53]
	v_cvt_f32_f16_e32 v14, v15
	v_max_f32_e32 v33, v32, v32
	v_cmp_u_f16_e64 s[52:53], v31, v31
	v_cmp_u_f16_e64 s[50:51], v15, v15
	v_min_f32_e32 v34, v33, v14
	v_max_f32_e32 v33, v33, v14
	v_cndmask_b32_e64 v34, v34, v32, s[52:53]
	v_cndmask_b32_e64 v33, v33, v32, s[52:53]
	;; [unrolled: 1-line block ×4, first 2 shown]
	v_cmp_neq_f32_e64 s[52:53], v34, v33
	v_cmp_class_f32_e64 s[56:57], v34, s56
	s_or_b64 s[52:53], s[52:53], s[56:57]
	s_and_saveexec_b64 s[56:57], s[52:53]
	s_cbranch_execz .LBB353_298
; %bb.297:
	v_sub_f32_e32 v31, v34, v33
	s_mov_b32 s52, 0x3fb8aa3b
	v_mul_f32_e32 v32, 0x3fb8aa3b, v31
	v_fma_f32 v34, v31, s52, -v32
	v_rndne_f32_e32 v35, v32
	v_fmac_f32_e32 v34, 0x32a5705f, v31
	v_sub_f32_e32 v32, v32, v35
	v_add_f32_e32 v32, v32, v34
	v_exp_f32_e32 v32, v32
	v_cvt_i32_f32_e32 v34, v35
	s_mov_b32 s52, 0xc2ce8ed0
	v_cmp_ngt_f32_e64 s[52:53], s52, v31
	s_mov_b32 s58, 0x7f800000
	v_ldexp_f32 v32, v32, v34
	v_cndmask_b32_e64 v32, 0, v32, s[52:53]
	s_mov_b32 s52, 0x42b17218
	v_mov_b32_e32 v34, 0x7f800000
	v_cmp_nlt_f32_e64 s[52:53], s52, v31
	v_cndmask_b32_e64 v49, v34, v32, s[52:53]
	v_add_f32_e32 v31, 1.0, v49
	v_add_f32_e32 v32, -1.0, v31
	v_sub_f32_e32 v34, v32, v31
	v_add_f32_e32 v34, 1.0, v34
	v_sub_f32_e32 v32, v49, v32
	v_add_f32_e32 v32, v32, v34
	v_frexp_mant_f32_e32 v65, v31
	s_mov_b32 s52, 0x3f2aaaab
	v_cvt_f64_f32_e32 v[34:35], v31
	v_frexp_exp_i32_f64_e32 v34, v[34:35]
	v_cmp_gt_f32_e64 s[52:53], s52, v65
	v_subbrev_co_u32_e64 v65, s[52:53], 0, v34, s[52:53]
	v_sub_u32_e32 v34, 0, v65
	v_ldexp_f32 v31, v31, v34
	v_ldexp_f32 v32, v32, v34
	v_add_f32_e32 v34, -1.0, v31
	v_add_f32_e32 v35, 1.0, v34
	v_sub_f32_e32 v35, v31, v35
	v_add_f32_e32 v66, v32, v35
	v_add_f32_e32 v35, 1.0, v31
	v_add_f32_e32 v67, -1.0, v35
	v_sub_f32_e32 v31, v31, v67
	v_add_f32_e32 v31, v32, v31
	v_add_f32_e32 v32, v35, v31
	v_rcp_f32_e32 v80, v32
	v_sub_f32_e32 v35, v35, v32
	v_add_f32_e32 v31, v31, v35
	v_add_f32_e32 v35, v34, v66
	v_sub_f32_e32 v34, v34, v35
	v_mul_f32_e32 v82, v35, v80
	v_add_f32_e32 v81, v66, v34
	v_mul_f32_e32 v66, v32, v82
	v_fma_f32 v68, v82, v32, -v66
	v_fmac_f32_e32 v68, v82, v31
	v_add_f32_e32 v34, v66, v68
	v_sub_f32_e32 v67, v35, v34
	v_pk_add_f32 v[70:71], v[34:35], v[66:67] neg_lo:[0,1] neg_hi:[0,1]
	v_mov_b32_e32 v69, v34
	v_pk_add_f32 v[34:35], v[70:71], v[68:69] neg_lo:[0,1] neg_hi:[0,1]
	v_add_f32_e32 v35, v81, v35
	v_add_f32_e32 v34, v34, v35
	;; [unrolled: 1-line block ×3, first 2 shown]
	v_mul_f32_e32 v81, v80, v35
	v_mul_f32_e32 v66, v32, v81
	v_fma_f32 v68, v81, v32, -v66
	v_fmac_f32_e32 v68, v81, v31
	v_sub_f32_e32 v31, v67, v35
	v_add_f32_e32 v31, v34, v31
	v_add_f32_e32 v34, v66, v68
	v_sub_f32_e32 v67, v35, v34
	v_pk_add_f32 v[70:71], v[34:35], v[66:67] neg_lo:[0,1] neg_hi:[0,1]
	v_mov_b32_e32 v69, v34
	v_pk_add_f32 v[34:35], v[70:71], v[68:69] neg_lo:[0,1] neg_hi:[0,1]
	v_add_f32_e32 v31, v31, v35
	v_add_f32_e32 v31, v34, v31
	;; [unrolled: 1-line block ×4, first 2 shown]
	v_sub_f32_e32 v34, v32, v82
	v_mul_f32_e32 v31, v80, v31
	v_sub_f32_e32 v34, v81, v34
	v_add_f32_e32 v31, v34, v31
	v_add_f32_e32 v34, v32, v31
	v_mul_f32_e32 v67, v34, v34
	v_mov_b32_e32 v66, 0x3ecc95a3
	v_fmac_f32_e32 v66, 0x3e9b6dac, v67
	v_mov_b32_e32 v35, 0x3f2aaada
	v_fmac_f32_e32 v35, v67, v66
	v_cvt_f32_i32_e32 v66, v65
	v_sub_f32_e32 v32, v34, v32
	v_ldexp_f32 v69, v34, 1
	v_mul_f32_e32 v67, v34, v67
	v_mov_b32_e32 v34, 0x3f317218
	s_mov_b32 s52, 0x3f317218
	v_pk_mul_f32 v[34:35], v[66:67], v[34:35]
	v_fma_f32 v68, v66, s52, -v34
	v_fmac_f32_e32 v68, 0xb102e308, v66
	v_pk_add_f32 v[66:67], v[34:35], v[68:69]
	v_sub_f32_e32 v31, v31, v32
	v_sub_f32_e32 v32, v67, v69
	v_ldexp_f32 v31, v31, 1
	v_sub_f32_e32 v32, v35, v32
	v_add_f32_e32 v71, v31, v32
	v_mov_b32_e32 v70, v34
	v_pk_add_f32 v[34:35], v[66:67], v[34:35] neg_lo:[0,1] neg_hi:[0,1]
	v_pk_add_f32 v[80:81], v[66:67], v[70:71]
	v_mov_b32_e32 v35, v81
	v_mov_b32_e32 v69, v66
	v_pk_add_f32 v[82:83], v[68:69], v[34:35] neg_lo:[0,1] neg_hi:[0,1]
	v_pk_add_f32 v[34:35], v[68:69], v[34:35]
	v_mov_b32_e32 v32, v35
	v_pk_add_f32 v[68:69], v[32:33], v[66:67] neg_lo:[0,1] neg_hi:[0,1]
	v_mov_b32_e32 v31, v68
	v_pk_add_f32 v[84:85], v[80:81], v[30:31] neg_lo:[0,1] neg_hi:[0,1]
	v_mov_b32_e32 v34, v81
	v_mov_b32_e32 v80, v67
	;; [unrolled: 1-line block ×4, first 2 shown]
	v_pk_add_f32 v[34:35], v[34:35], v[80:81] neg_lo:[0,1] neg_hi:[0,1]
	v_mov_b32_e32 v68, v71
	v_mov_b32_e32 v69, v66
	v_pk_add_f32 v[34:35], v[68:69], v[34:35] neg_lo:[0,1] neg_hi:[0,1]
	v_mov_b32_e32 v84, v82
	v_pk_add_f32 v[66:67], v[84:85], v[34:35]
	v_mov_b32_e32 v68, v67
	v_pk_add_f32 v[68:69], v[66:67], v[68:69]
	v_pk_add_f32 v[70:71], v[32:33], v[68:69]
	v_mov_b32_e32 v67, v70
	v_pk_add_f32 v[80:81], v[66:67], v[82:83] neg_lo:[0,1] neg_hi:[0,1]
	v_mov_b32_e32 v35, v68
	v_sub_f32_e32 v31, v66, v80
	v_pk_add_f32 v[34:35], v[34:35], v[80:81] neg_lo:[0,1] neg_hi:[0,1]
	v_sub_f32_e32 v31, v82, v31
	v_add_f32_e32 v31, v34, v31
	v_cmp_eq_f32_e64 s[52:53], s58, v49
	s_mov_b32 s58, 0x33800000
	v_add_f32_e32 v31, v31, v35
	v_cmp_lt_f32_e64 s[58:59], |v49|, s58
	v_add_f32_e32 v31, v70, v31
	s_or_b64 s[52:53], s[52:53], s[58:59]
	v_cndmask_b32_e64 v31, v31, v49, s[52:53]
	v_add_f32_e32 v31, v33, v31
	v_cvt_f16_f32_e32 v31, v31
	v_cvt_f32_f16_e32 v32, v31
.LBB353_298:
	s_or_b64 exec, exec, s[56:57]
	v_cvt_f32_f16_sdwa v65, v15 dst_sel:DWORD dst_unused:UNUSED_PAD src0_sel:WORD_1
	v_max_f32_e32 v34, v32, v32
	v_cmp_u_f16_e64 s[56:57], v31, v31
	v_cmp_u_f16_sdwa s[52:53], v15, v15 src0_sel:WORD_1 src1_sel:WORD_1
	v_min_f32_e32 v33, v34, v65
	v_max_f32_e32 v15, v34, v65
	v_cndmask_b32_e64 v33, v33, v32, s[56:57]
	v_cndmask_b32_e64 v15, v15, v32, s[56:57]
	;; [unrolled: 1-line block ×4, first 2 shown]
	s_movk_i32 s58, 0x1f8
	v_cmp_neq_f32_e64 s[56:57], v33, v15
	v_cmp_class_f32_e64 s[58:59], v33, s58
	s_or_b64 s[56:57], s[56:57], s[58:59]
	s_and_saveexec_b64 s[58:59], s[56:57]
	s_cbranch_execz .LBB353_300
; %bb.299:
	v_sub_f32_e32 v31, v33, v15
	s_mov_b32 s56, 0x3fb8aa3b
	v_mul_f32_e32 v32, 0x3fb8aa3b, v31
	v_fma_f32 v33, v31, s56, -v32
	v_rndne_f32_e32 v34, v32
	v_fmac_f32_e32 v33, 0x32a5705f, v31
	v_sub_f32_e32 v32, v32, v34
	v_add_f32_e32 v32, v32, v33
	v_exp_f32_e32 v32, v32
	v_cvt_i32_f32_e32 v33, v34
	s_mov_b32 s56, 0xc2ce8ed0
	v_cmp_ngt_f32_e64 s[56:57], s56, v31
	s_mov_b32 s60, 0x7f800000
	v_ldexp_f32 v32, v32, v33
	v_cndmask_b32_e64 v32, 0, v32, s[56:57]
	s_mov_b32 s56, 0x42b17218
	v_mov_b32_e32 v33, 0x7f800000
	v_cmp_nlt_f32_e64 s[56:57], s56, v31
	v_cndmask_b32_e64 v49, v33, v32, s[56:57]
	v_add_f32_e32 v31, 1.0, v49
	v_add_f32_e32 v32, -1.0, v31
	v_sub_f32_e32 v33, v32, v31
	v_add_f32_e32 v33, 1.0, v33
	v_sub_f32_e32 v32, v49, v32
	v_add_f32_e32 v34, v32, v33
	v_frexp_mant_f32_e32 v35, v31
	s_mov_b32 s56, 0x3f2aaaab
	v_cvt_f64_f32_e32 v[32:33], v31
	v_frexp_exp_i32_f64_e32 v32, v[32:33]
	v_cmp_gt_f32_e64 s[56:57], s56, v35
	v_subbrev_co_u32_e64 v70, s[56:57], 0, v32, s[56:57]
	v_sub_u32_e32 v32, 0, v70
	v_ldexp_f32 v31, v31, v32
	v_ldexp_f32 v32, v34, v32
	v_add_f32_e32 v34, -1.0, v31
	v_add_f32_e32 v33, 1.0, v34
	v_sub_f32_e32 v33, v31, v33
	v_add_f32_e32 v35, v32, v33
	v_add_f32_e32 v33, 1.0, v31
	v_add_f32_e32 v66, -1.0, v33
	v_sub_f32_e32 v31, v31, v66
	v_add_f32_e32 v31, v32, v31
	v_add_f32_e32 v71, v33, v31
	v_rcp_f32_e32 v80, v71
	v_sub_f32_e32 v32, v33, v71
	v_add_f32_e32 v33, v34, v35
	v_add_f32_e32 v31, v31, v32
	v_mul_f32_e32 v82, v33, v80
	v_sub_f32_e32 v32, v34, v33
	v_mul_f32_e32 v34, v71, v82
	v_fma_f32 v66, v82, v71, -v34
	v_fmac_f32_e32 v66, v82, v31
	v_add_f32_e32 v81, v35, v32
	v_add_f32_e32 v32, v34, v66
	v_sub_f32_e32 v35, v33, v32
	v_pk_add_f32 v[68:69], v[32:33], v[34:35] neg_lo:[0,1] neg_hi:[0,1]
	v_mov_b32_e32 v67, v32
	v_pk_add_f32 v[32:33], v[68:69], v[66:67] neg_lo:[0,1] neg_hi:[0,1]
	v_add_f32_e32 v33, v81, v33
	v_add_f32_e32 v32, v32, v33
	;; [unrolled: 1-line block ×3, first 2 shown]
	v_mul_f32_e32 v81, v80, v33
	v_mul_f32_e32 v34, v71, v81
	v_fma_f32 v66, v81, v71, -v34
	v_fmac_f32_e32 v66, v81, v31
	v_sub_f32_e32 v31, v35, v33
	v_add_f32_e32 v31, v32, v31
	v_add_f32_e32 v32, v34, v66
	v_sub_f32_e32 v35, v33, v32
	v_pk_add_f32 v[68:69], v[32:33], v[34:35] neg_lo:[0,1] neg_hi:[0,1]
	v_mov_b32_e32 v67, v32
	v_pk_add_f32 v[32:33], v[68:69], v[66:67] neg_lo:[0,1] neg_hi:[0,1]
	v_add_f32_e32 v31, v31, v33
	v_add_f32_e32 v31, v32, v31
	;; [unrolled: 1-line block ×4, first 2 shown]
	v_sub_f32_e32 v33, v32, v82
	v_mul_f32_e32 v31, v80, v31
	v_sub_f32_e32 v33, v81, v33
	v_add_f32_e32 v31, v33, v31
	v_add_f32_e32 v35, v32, v31
	v_mul_f32_e32 v66, v35, v35
	v_mov_b32_e32 v34, 0x3ecc95a3
	v_fmac_f32_e32 v34, 0x3e9b6dac, v66
	v_mov_b32_e32 v33, 0x3f2aaada
	v_fmac_f32_e32 v33, v66, v34
	v_cvt_f32_i32_e32 v34, v70
	v_sub_f32_e32 v32, v35, v32
	v_sub_f32_e32 v31, v31, v32
	v_ldexp_f32 v67, v35, 1
	v_mul_f32_e32 v35, v35, v66
	v_mov_b32_e32 v32, 0x3f317218
	s_mov_b32 s56, 0x3f317218
	v_pk_mul_f32 v[32:33], v[34:35], v[32:33]
	v_fma_f32 v66, v34, s56, -v32
	v_fmac_f32_e32 v66, 0xb102e308, v34
	v_pk_add_f32 v[34:35], v[32:33], v[66:67]
	v_sub_f32_e32 v67, v35, v67
	v_ldexp_f32 v31, v31, 1
	v_sub_f32_e32 v67, v33, v67
	v_add_f32_e32 v69, v31, v67
	v_mov_b32_e32 v68, v32
	v_pk_add_f32 v[32:33], v[34:35], v[32:33] neg_lo:[0,1] neg_hi:[0,1]
	v_pk_add_f32 v[70:71], v[34:35], v[68:69]
	v_mov_b32_e32 v33, v71
	v_mov_b32_e32 v67, v34
	v_pk_add_f32 v[80:81], v[66:67], v[32:33] neg_lo:[0,1] neg_hi:[0,1]
	v_pk_add_f32 v[32:33], v[66:67], v[32:33]
	v_mov_b32_e32 v66, v33
	v_pk_add_f32 v[82:83], v[66:67], v[34:35] neg_lo:[0,1] neg_hi:[0,1]
	v_mov_b32_e32 v31, v82
	v_pk_add_f32 v[84:85], v[70:71], v[30:31] neg_lo:[0,1] neg_hi:[0,1]
	v_mov_b32_e32 v32, v71
	v_mov_b32_e32 v70, v35
	;; [unrolled: 1-line block ×4, first 2 shown]
	v_pk_add_f32 v[32:33], v[32:33], v[70:71] neg_lo:[0,1] neg_hi:[0,1]
	v_mov_b32_e32 v68, v69
	v_mov_b32_e32 v69, v34
	v_pk_add_f32 v[32:33], v[68:69], v[32:33] neg_lo:[0,1] neg_hi:[0,1]
	v_mov_b32_e32 v84, v80
	v_pk_add_f32 v[34:35], v[84:85], v[32:33]
	v_mov_b32_e32 v68, v35
	v_pk_add_f32 v[68:69], v[34:35], v[68:69]
	v_pk_add_f32 v[66:67], v[66:67], v[68:69]
	v_mov_b32_e32 v35, v66
	v_pk_add_f32 v[70:71], v[34:35], v[80:81] neg_lo:[0,1] neg_hi:[0,1]
	v_mov_b32_e32 v33, v68
	v_sub_f32_e32 v31, v34, v70
	v_pk_add_f32 v[32:33], v[32:33], v[70:71] neg_lo:[0,1] neg_hi:[0,1]
	v_sub_f32_e32 v31, v80, v31
	v_add_f32_e32 v31, v32, v31
	v_cmp_eq_f32_e64 s[56:57], s60, v49
	s_mov_b32 s60, 0x33800000
	v_add_f32_e32 v31, v31, v33
	v_cmp_lt_f32_e64 s[60:61], |v49|, s60
	v_add_f32_e32 v31, v66, v31
	s_or_b64 s[56:57], s[56:57], s[60:61]
	v_cndmask_b32_e64 v31, v31, v49, s[56:57]
	v_add_f32_e32 v15, v15, v31
	v_cvt_f16_f32_e32 v31, v15
.LBB353_300:
	s_or_b64 exec, exec, s[58:59]
	v_mbcnt_lo_u32_b32 v15, -1, 0
	v_mbcnt_hi_u32_b32 v15, -1, v15
	v_and_b32_e32 v32, 15, v15
	v_and_b32_e32 v33, 0xffff, v31
	v_cmp_ne_u32_e64 s[56:57], 0, v32
	s_nop 0
	v_mov_b32_dpp v34, v33 row_shr:1 row_mask:0xf bank_mask:0xf
	s_and_saveexec_b64 s[60:61], s[56:57]
	s_cbranch_execz .LBB353_304
; %bb.301:
	v_cvt_f32_f16_e32 v35, v34
	v_cvt_f32_f16_e32 v49, v31
	v_cmp_u_f16_e64 s[56:57], v34, v34
	v_cmp_u_f16_e64 s[58:59], v31, v31
	v_min_f32_e32 v33, v35, v49
	v_max_f32_e32 v31, v35, v49
	v_cndmask_b32_e64 v33, v33, v35, s[56:57]
	v_cndmask_b32_e64 v31, v31, v35, s[56:57]
	;; [unrolled: 1-line block ×4, first 2 shown]
	s_movk_i32 s58, 0x1f8
	v_cmp_neq_f32_e64 s[56:57], v33, v31
	v_cmp_class_f32_e64 s[58:59], v33, s58
	s_or_b64 s[56:57], s[56:57], s[58:59]
	s_and_saveexec_b64 s[58:59], s[56:57]
	s_cbranch_execz .LBB353_303
; %bb.302:
	v_sub_f32_e32 v33, v33, v31
	s_mov_b32 s56, 0x3fb8aa3b
	v_mul_f32_e32 v34, 0x3fb8aa3b, v33
	v_fma_f32 v35, v33, s56, -v34
	v_rndne_f32_e32 v49, v34
	v_fmac_f32_e32 v35, 0x32a5705f, v33
	v_sub_f32_e32 v34, v34, v49
	v_add_f32_e32 v34, v34, v35
	v_exp_f32_e32 v34, v34
	v_cvt_i32_f32_e32 v35, v49
	s_mov_b32 s56, 0xc2ce8ed0
	v_cmp_ngt_f32_e64 s[56:57], s56, v33
	s_mov_b32 s64, 0x7f800000
	v_ldexp_f32 v34, v34, v35
	v_cndmask_b32_e64 v34, 0, v34, s[56:57]
	s_mov_b32 s56, 0x42b17218
	v_mov_b32_e32 v35, 0x7f800000
	v_cmp_nlt_f32_e64 s[56:57], s56, v33
	v_cndmask_b32_e64 v49, v35, v34, s[56:57]
	v_add_f32_e32 v33, 1.0, v49
	v_add_f32_e32 v34, -1.0, v33
	v_sub_f32_e32 v35, v34, v33
	v_add_f32_e32 v35, 1.0, v35
	v_sub_f32_e32 v34, v49, v34
	v_add_f32_e32 v66, v34, v35
	v_frexp_mant_f32_e32 v67, v33
	s_mov_b32 s56, 0x3f2aaaab
	v_cvt_f64_f32_e32 v[34:35], v33
	v_frexp_exp_i32_f64_e32 v34, v[34:35]
	v_cmp_gt_f32_e64 s[56:57], s56, v67
	v_subbrev_co_u32_e64 v80, s[56:57], 0, v34, s[56:57]
	v_sub_u32_e32 v34, 0, v80
	v_ldexp_f32 v33, v33, v34
	v_ldexp_f32 v34, v66, v34
	v_add_f32_e32 v66, -1.0, v33
	v_add_f32_e32 v35, 1.0, v66
	v_sub_f32_e32 v35, v33, v35
	v_add_f32_e32 v67, v34, v35
	v_add_f32_e32 v35, 1.0, v33
	v_add_f32_e32 v68, -1.0, v35
	v_sub_f32_e32 v33, v33, v68
	v_add_f32_e32 v33, v34, v33
	v_add_f32_e32 v81, v35, v33
	v_rcp_f32_e32 v82, v81
	v_sub_f32_e32 v34, v35, v81
	v_add_f32_e32 v35, v66, v67
	v_add_f32_e32 v33, v33, v34
	v_mul_f32_e32 v84, v35, v82
	v_sub_f32_e32 v34, v66, v35
	v_mul_f32_e32 v66, v81, v84
	v_fma_f32 v68, v84, v81, -v66
	v_fmac_f32_e32 v68, v84, v33
	v_add_f32_e32 v83, v67, v34
	v_add_f32_e32 v34, v66, v68
	v_sub_f32_e32 v67, v35, v34
	v_pk_add_f32 v[70:71], v[34:35], v[66:67] neg_lo:[0,1] neg_hi:[0,1]
	v_mov_b32_e32 v69, v34
	v_pk_add_f32 v[34:35], v[70:71], v[68:69] neg_lo:[0,1] neg_hi:[0,1]
	v_add_f32_e32 v35, v83, v35
	v_add_f32_e32 v34, v34, v35
	v_add_f32_e32 v35, v67, v34
	v_mul_f32_e32 v83, v82, v35
	v_mul_f32_e32 v66, v81, v83
	v_fma_f32 v68, v83, v81, -v66
	v_fmac_f32_e32 v68, v83, v33
	v_sub_f32_e32 v33, v67, v35
	v_add_f32_e32 v33, v34, v33
	v_add_f32_e32 v34, v66, v68
	v_sub_f32_e32 v67, v35, v34
	v_pk_add_f32 v[70:71], v[34:35], v[66:67] neg_lo:[0,1] neg_hi:[0,1]
	v_mov_b32_e32 v69, v34
	v_pk_add_f32 v[34:35], v[70:71], v[68:69] neg_lo:[0,1] neg_hi:[0,1]
	v_add_f32_e32 v33, v33, v35
	v_add_f32_e32 v33, v34, v33
	;; [unrolled: 1-line block ×4, first 2 shown]
	v_sub_f32_e32 v35, v34, v84
	v_mul_f32_e32 v33, v82, v33
	v_sub_f32_e32 v35, v83, v35
	v_add_f32_e32 v33, v35, v33
	v_add_f32_e32 v67, v34, v33
	v_mul_f32_e32 v68, v67, v67
	v_mov_b32_e32 v66, 0x3ecc95a3
	v_fmac_f32_e32 v66, 0x3e9b6dac, v68
	v_mov_b32_e32 v35, 0x3f2aaada
	v_fmac_f32_e32 v35, v68, v66
	v_cvt_f32_i32_e32 v66, v80
	v_sub_f32_e32 v34, v67, v34
	v_sub_f32_e32 v33, v33, v34
	v_ldexp_f32 v69, v67, 1
	v_mul_f32_e32 v67, v67, v68
	v_mov_b32_e32 v34, 0x3f317218
	s_mov_b32 s56, 0x3f317218
	v_pk_mul_f32 v[34:35], v[66:67], v[34:35]
	v_fma_f32 v68, v66, s56, -v34
	v_fmac_f32_e32 v68, 0xb102e308, v66
	v_pk_add_f32 v[66:67], v[34:35], v[68:69]
	v_sub_f32_e32 v69, v67, v69
	v_ldexp_f32 v33, v33, 1
	v_sub_f32_e32 v69, v35, v69
	v_add_f32_e32 v71, v33, v69
	v_mov_b32_e32 v70, v34
	v_pk_add_f32 v[34:35], v[66:67], v[34:35] neg_lo:[0,1] neg_hi:[0,1]
	v_pk_add_f32 v[80:81], v[66:67], v[70:71]
	v_mov_b32_e32 v35, v81
	v_mov_b32_e32 v69, v66
	v_pk_add_f32 v[82:83], v[68:69], v[34:35] neg_lo:[0,1] neg_hi:[0,1]
	v_pk_add_f32 v[34:35], v[68:69], v[34:35]
	v_mov_b32_e32 v68, v35
	v_pk_add_f32 v[84:85], v[68:69], v[66:67] neg_lo:[0,1] neg_hi:[0,1]
	v_mov_b32_e32 v33, v84
	v_pk_add_f32 v[86:87], v[80:81], v[32:33] neg_lo:[0,1] neg_hi:[0,1]
	v_mov_b32_e32 v34, v81
	v_mov_b32_e32 v80, v67
	;; [unrolled: 1-line block ×4, first 2 shown]
	v_pk_add_f32 v[34:35], v[34:35], v[80:81] neg_lo:[0,1] neg_hi:[0,1]
	v_mov_b32_e32 v70, v71
	v_mov_b32_e32 v71, v66
	v_pk_add_f32 v[34:35], v[70:71], v[34:35] neg_lo:[0,1] neg_hi:[0,1]
	v_mov_b32_e32 v86, v82
	v_pk_add_f32 v[66:67], v[86:87], v[34:35]
	v_mov_b32_e32 v70, v67
	v_pk_add_f32 v[70:71], v[66:67], v[70:71]
	v_pk_add_f32 v[68:69], v[68:69], v[70:71]
	v_mov_b32_e32 v67, v68
	v_pk_add_f32 v[80:81], v[66:67], v[82:83] neg_lo:[0,1] neg_hi:[0,1]
	v_mov_b32_e32 v35, v70
	v_sub_f32_e32 v33, v66, v80
	v_pk_add_f32 v[34:35], v[34:35], v[80:81] neg_lo:[0,1] neg_hi:[0,1]
	v_sub_f32_e32 v33, v82, v33
	v_add_f32_e32 v33, v34, v33
	v_cmp_eq_f32_e64 s[56:57], s64, v49
	s_mov_b32 s64, 0x33800000
	v_add_f32_e32 v33, v33, v35
	v_cmp_lt_f32_e64 s[64:65], |v49|, s64
	v_add_f32_e32 v33, v68, v33
	s_or_b64 s[56:57], s[56:57], s[64:65]
	v_cndmask_b32_e64 v33, v33, v49, s[56:57]
	v_add_f32_e32 v31, v31, v33
	v_cvt_f16_f32_e32 v34, v31
.LBB353_303:
	s_or_b64 exec, exec, s[58:59]
	v_and_b32_e32 v33, 0xffff, v34
	v_mov_b32_e32 v31, v34
.LBB353_304:
	s_or_b64 exec, exec, s[60:61]
	v_mov_b32_dpp v34, v33 row_shr:2 row_mask:0xf bank_mask:0xf
	v_cmp_lt_u32_e64 s[56:57], 1, v32
	s_and_saveexec_b64 s[60:61], s[56:57]
	s_cbranch_execz .LBB353_308
; %bb.305:
	v_cvt_f32_f16_e32 v35, v34
	v_cvt_f32_f16_e32 v49, v31
	v_cmp_u_f16_e64 s[56:57], v34, v34
	v_cmp_u_f16_e64 s[58:59], v31, v31
	v_min_f32_e32 v33, v35, v49
	v_max_f32_e32 v31, v35, v49
	v_cndmask_b32_e64 v33, v33, v35, s[56:57]
	v_cndmask_b32_e64 v31, v31, v35, s[56:57]
	;; [unrolled: 1-line block ×4, first 2 shown]
	s_movk_i32 s58, 0x1f8
	v_cmp_neq_f32_e64 s[56:57], v33, v31
	v_cmp_class_f32_e64 s[58:59], v33, s58
	s_or_b64 s[56:57], s[56:57], s[58:59]
	s_and_saveexec_b64 s[58:59], s[56:57]
	s_cbranch_execz .LBB353_307
; %bb.306:
	v_sub_f32_e32 v33, v33, v31
	s_mov_b32 s56, 0x3fb8aa3b
	v_mul_f32_e32 v34, 0x3fb8aa3b, v33
	v_fma_f32 v35, v33, s56, -v34
	v_rndne_f32_e32 v49, v34
	v_fmac_f32_e32 v35, 0x32a5705f, v33
	v_sub_f32_e32 v34, v34, v49
	v_add_f32_e32 v34, v34, v35
	v_exp_f32_e32 v34, v34
	v_cvt_i32_f32_e32 v35, v49
	s_mov_b32 s56, 0xc2ce8ed0
	v_cmp_ngt_f32_e64 s[56:57], s56, v33
	s_mov_b32 s64, 0x7f800000
	v_ldexp_f32 v34, v34, v35
	v_cndmask_b32_e64 v34, 0, v34, s[56:57]
	s_mov_b32 s56, 0x42b17218
	v_mov_b32_e32 v35, 0x7f800000
	v_cmp_nlt_f32_e64 s[56:57], s56, v33
	v_cndmask_b32_e64 v49, v35, v34, s[56:57]
	v_add_f32_e32 v33, 1.0, v49
	v_add_f32_e32 v34, -1.0, v33
	v_sub_f32_e32 v35, v34, v33
	v_add_f32_e32 v35, 1.0, v35
	v_sub_f32_e32 v34, v49, v34
	v_add_f32_e32 v66, v34, v35
	v_frexp_mant_f32_e32 v67, v33
	s_mov_b32 s56, 0x3f2aaaab
	v_cvt_f64_f32_e32 v[34:35], v33
	v_frexp_exp_i32_f64_e32 v34, v[34:35]
	v_cmp_gt_f32_e64 s[56:57], s56, v67
	v_subbrev_co_u32_e64 v80, s[56:57], 0, v34, s[56:57]
	v_sub_u32_e32 v34, 0, v80
	v_ldexp_f32 v33, v33, v34
	v_ldexp_f32 v34, v66, v34
	v_add_f32_e32 v66, -1.0, v33
	v_add_f32_e32 v35, 1.0, v66
	v_sub_f32_e32 v35, v33, v35
	v_add_f32_e32 v67, v34, v35
	v_add_f32_e32 v35, 1.0, v33
	v_add_f32_e32 v68, -1.0, v35
	v_sub_f32_e32 v33, v33, v68
	v_add_f32_e32 v33, v34, v33
	v_add_f32_e32 v81, v35, v33
	v_rcp_f32_e32 v82, v81
	v_sub_f32_e32 v34, v35, v81
	v_add_f32_e32 v35, v66, v67
	v_add_f32_e32 v33, v33, v34
	v_mul_f32_e32 v84, v35, v82
	v_sub_f32_e32 v34, v66, v35
	v_mul_f32_e32 v66, v81, v84
	v_fma_f32 v68, v84, v81, -v66
	v_fmac_f32_e32 v68, v84, v33
	v_add_f32_e32 v83, v67, v34
	v_add_f32_e32 v34, v66, v68
	v_sub_f32_e32 v67, v35, v34
	v_pk_add_f32 v[70:71], v[34:35], v[66:67] neg_lo:[0,1] neg_hi:[0,1]
	v_mov_b32_e32 v69, v34
	v_pk_add_f32 v[34:35], v[70:71], v[68:69] neg_lo:[0,1] neg_hi:[0,1]
	v_add_f32_e32 v35, v83, v35
	v_add_f32_e32 v34, v34, v35
	;; [unrolled: 1-line block ×3, first 2 shown]
	v_mul_f32_e32 v83, v82, v35
	v_mul_f32_e32 v66, v81, v83
	v_fma_f32 v68, v83, v81, -v66
	v_fmac_f32_e32 v68, v83, v33
	v_sub_f32_e32 v33, v67, v35
	v_add_f32_e32 v33, v34, v33
	v_add_f32_e32 v34, v66, v68
	v_sub_f32_e32 v67, v35, v34
	v_pk_add_f32 v[70:71], v[34:35], v[66:67] neg_lo:[0,1] neg_hi:[0,1]
	v_mov_b32_e32 v69, v34
	v_pk_add_f32 v[34:35], v[70:71], v[68:69] neg_lo:[0,1] neg_hi:[0,1]
	v_add_f32_e32 v33, v33, v35
	v_add_f32_e32 v33, v34, v33
	;; [unrolled: 1-line block ×4, first 2 shown]
	v_sub_f32_e32 v35, v34, v84
	v_mul_f32_e32 v33, v82, v33
	v_sub_f32_e32 v35, v83, v35
	v_add_f32_e32 v33, v35, v33
	v_add_f32_e32 v67, v34, v33
	v_mul_f32_e32 v68, v67, v67
	v_mov_b32_e32 v66, 0x3ecc95a3
	v_fmac_f32_e32 v66, 0x3e9b6dac, v68
	v_mov_b32_e32 v35, 0x3f2aaada
	v_fmac_f32_e32 v35, v68, v66
	v_cvt_f32_i32_e32 v66, v80
	v_sub_f32_e32 v34, v67, v34
	v_sub_f32_e32 v33, v33, v34
	v_ldexp_f32 v69, v67, 1
	v_mul_f32_e32 v67, v67, v68
	v_mov_b32_e32 v34, 0x3f317218
	s_mov_b32 s56, 0x3f317218
	v_pk_mul_f32 v[34:35], v[66:67], v[34:35]
	v_fma_f32 v68, v66, s56, -v34
	v_fmac_f32_e32 v68, 0xb102e308, v66
	v_pk_add_f32 v[66:67], v[34:35], v[68:69]
	v_sub_f32_e32 v69, v67, v69
	v_ldexp_f32 v33, v33, 1
	v_sub_f32_e32 v69, v35, v69
	v_add_f32_e32 v71, v33, v69
	v_mov_b32_e32 v70, v34
	v_pk_add_f32 v[34:35], v[66:67], v[34:35] neg_lo:[0,1] neg_hi:[0,1]
	v_pk_add_f32 v[80:81], v[66:67], v[70:71]
	v_mov_b32_e32 v35, v81
	v_mov_b32_e32 v69, v66
	v_pk_add_f32 v[82:83], v[68:69], v[34:35] neg_lo:[0,1] neg_hi:[0,1]
	v_pk_add_f32 v[34:35], v[68:69], v[34:35]
	v_mov_b32_e32 v68, v35
	v_pk_add_f32 v[84:85], v[68:69], v[66:67] neg_lo:[0,1] neg_hi:[0,1]
	v_mov_b32_e32 v33, v84
	v_pk_add_f32 v[86:87], v[80:81], v[32:33] neg_lo:[0,1] neg_hi:[0,1]
	v_mov_b32_e32 v34, v81
	v_mov_b32_e32 v80, v67
	;; [unrolled: 1-line block ×4, first 2 shown]
	v_pk_add_f32 v[34:35], v[34:35], v[80:81] neg_lo:[0,1] neg_hi:[0,1]
	v_mov_b32_e32 v70, v71
	v_mov_b32_e32 v71, v66
	v_pk_add_f32 v[34:35], v[70:71], v[34:35] neg_lo:[0,1] neg_hi:[0,1]
	v_mov_b32_e32 v86, v82
	v_pk_add_f32 v[66:67], v[86:87], v[34:35]
	v_mov_b32_e32 v70, v67
	v_pk_add_f32 v[70:71], v[66:67], v[70:71]
	v_pk_add_f32 v[68:69], v[68:69], v[70:71]
	v_mov_b32_e32 v67, v68
	v_pk_add_f32 v[80:81], v[66:67], v[82:83] neg_lo:[0,1] neg_hi:[0,1]
	v_mov_b32_e32 v35, v70
	v_sub_f32_e32 v33, v66, v80
	v_pk_add_f32 v[34:35], v[34:35], v[80:81] neg_lo:[0,1] neg_hi:[0,1]
	v_sub_f32_e32 v33, v82, v33
	v_add_f32_e32 v33, v34, v33
	v_cmp_eq_f32_e64 s[56:57], s64, v49
	s_mov_b32 s64, 0x33800000
	v_add_f32_e32 v33, v33, v35
	v_cmp_lt_f32_e64 s[64:65], |v49|, s64
	v_add_f32_e32 v33, v68, v33
	s_or_b64 s[56:57], s[56:57], s[64:65]
	v_cndmask_b32_e64 v33, v33, v49, s[56:57]
	v_add_f32_e32 v31, v31, v33
	v_cvt_f16_f32_e32 v34, v31
.LBB353_307:
	s_or_b64 exec, exec, s[58:59]
	v_and_b32_e32 v33, 0xffff, v34
	v_mov_b32_e32 v31, v34
.LBB353_308:
	s_or_b64 exec, exec, s[60:61]
	v_mov_b32_dpp v34, v33 row_shr:4 row_mask:0xf bank_mask:0xf
	v_cmp_lt_u32_e64 s[56:57], 3, v32
	s_and_saveexec_b64 s[60:61], s[56:57]
	s_cbranch_execz .LBB353_312
; %bb.309:
	v_cvt_f32_f16_e32 v35, v34
	v_cvt_f32_f16_e32 v49, v31
	v_cmp_u_f16_e64 s[56:57], v34, v34
	v_cmp_u_f16_e64 s[58:59], v31, v31
	v_min_f32_e32 v33, v35, v49
	v_max_f32_e32 v31, v35, v49
	v_cndmask_b32_e64 v33, v33, v35, s[56:57]
	v_cndmask_b32_e64 v31, v31, v35, s[56:57]
	;; [unrolled: 1-line block ×4, first 2 shown]
	s_movk_i32 s58, 0x1f8
	v_cmp_neq_f32_e64 s[56:57], v33, v31
	v_cmp_class_f32_e64 s[58:59], v33, s58
	s_or_b64 s[56:57], s[56:57], s[58:59]
	s_and_saveexec_b64 s[58:59], s[56:57]
	s_cbranch_execz .LBB353_311
; %bb.310:
	v_sub_f32_e32 v33, v33, v31
	s_mov_b32 s56, 0x3fb8aa3b
	v_mul_f32_e32 v34, 0x3fb8aa3b, v33
	v_fma_f32 v35, v33, s56, -v34
	v_rndne_f32_e32 v49, v34
	v_fmac_f32_e32 v35, 0x32a5705f, v33
	v_sub_f32_e32 v34, v34, v49
	v_add_f32_e32 v34, v34, v35
	v_exp_f32_e32 v34, v34
	v_cvt_i32_f32_e32 v35, v49
	s_mov_b32 s56, 0xc2ce8ed0
	v_cmp_ngt_f32_e64 s[56:57], s56, v33
	s_mov_b32 s64, 0x7f800000
	v_ldexp_f32 v34, v34, v35
	v_cndmask_b32_e64 v34, 0, v34, s[56:57]
	s_mov_b32 s56, 0x42b17218
	v_mov_b32_e32 v35, 0x7f800000
	v_cmp_nlt_f32_e64 s[56:57], s56, v33
	v_cndmask_b32_e64 v49, v35, v34, s[56:57]
	v_add_f32_e32 v33, 1.0, v49
	v_add_f32_e32 v34, -1.0, v33
	v_sub_f32_e32 v35, v34, v33
	v_add_f32_e32 v35, 1.0, v35
	v_sub_f32_e32 v34, v49, v34
	v_add_f32_e32 v66, v34, v35
	v_frexp_mant_f32_e32 v67, v33
	s_mov_b32 s56, 0x3f2aaaab
	v_cvt_f64_f32_e32 v[34:35], v33
	v_frexp_exp_i32_f64_e32 v34, v[34:35]
	v_cmp_gt_f32_e64 s[56:57], s56, v67
	v_subbrev_co_u32_e64 v80, s[56:57], 0, v34, s[56:57]
	v_sub_u32_e32 v34, 0, v80
	v_ldexp_f32 v33, v33, v34
	v_ldexp_f32 v34, v66, v34
	v_add_f32_e32 v66, -1.0, v33
	v_add_f32_e32 v35, 1.0, v66
	v_sub_f32_e32 v35, v33, v35
	v_add_f32_e32 v67, v34, v35
	v_add_f32_e32 v35, 1.0, v33
	v_add_f32_e32 v68, -1.0, v35
	v_sub_f32_e32 v33, v33, v68
	v_add_f32_e32 v33, v34, v33
	v_add_f32_e32 v81, v35, v33
	v_rcp_f32_e32 v82, v81
	v_sub_f32_e32 v34, v35, v81
	v_add_f32_e32 v35, v66, v67
	v_add_f32_e32 v33, v33, v34
	v_mul_f32_e32 v84, v35, v82
	v_sub_f32_e32 v34, v66, v35
	v_mul_f32_e32 v66, v81, v84
	v_fma_f32 v68, v84, v81, -v66
	v_fmac_f32_e32 v68, v84, v33
	v_add_f32_e32 v83, v67, v34
	v_add_f32_e32 v34, v66, v68
	v_sub_f32_e32 v67, v35, v34
	v_pk_add_f32 v[70:71], v[34:35], v[66:67] neg_lo:[0,1] neg_hi:[0,1]
	v_mov_b32_e32 v69, v34
	v_pk_add_f32 v[34:35], v[70:71], v[68:69] neg_lo:[0,1] neg_hi:[0,1]
	v_add_f32_e32 v35, v83, v35
	v_add_f32_e32 v34, v34, v35
	v_add_f32_e32 v35, v67, v34
	v_mul_f32_e32 v83, v82, v35
	v_mul_f32_e32 v66, v81, v83
	v_fma_f32 v68, v83, v81, -v66
	v_fmac_f32_e32 v68, v83, v33
	v_sub_f32_e32 v33, v67, v35
	v_add_f32_e32 v33, v34, v33
	v_add_f32_e32 v34, v66, v68
	v_sub_f32_e32 v67, v35, v34
	v_pk_add_f32 v[70:71], v[34:35], v[66:67] neg_lo:[0,1] neg_hi:[0,1]
	v_mov_b32_e32 v69, v34
	v_pk_add_f32 v[34:35], v[70:71], v[68:69] neg_lo:[0,1] neg_hi:[0,1]
	v_add_f32_e32 v33, v33, v35
	v_add_f32_e32 v33, v34, v33
	;; [unrolled: 1-line block ×4, first 2 shown]
	v_sub_f32_e32 v35, v34, v84
	v_mul_f32_e32 v33, v82, v33
	v_sub_f32_e32 v35, v83, v35
	v_add_f32_e32 v33, v35, v33
	v_add_f32_e32 v67, v34, v33
	v_mul_f32_e32 v68, v67, v67
	v_mov_b32_e32 v66, 0x3ecc95a3
	v_fmac_f32_e32 v66, 0x3e9b6dac, v68
	v_mov_b32_e32 v35, 0x3f2aaada
	v_fmac_f32_e32 v35, v68, v66
	v_cvt_f32_i32_e32 v66, v80
	v_sub_f32_e32 v34, v67, v34
	v_sub_f32_e32 v33, v33, v34
	v_ldexp_f32 v69, v67, 1
	v_mul_f32_e32 v67, v67, v68
	v_mov_b32_e32 v34, 0x3f317218
	s_mov_b32 s56, 0x3f317218
	v_pk_mul_f32 v[34:35], v[66:67], v[34:35]
	v_fma_f32 v68, v66, s56, -v34
	v_fmac_f32_e32 v68, 0xb102e308, v66
	v_pk_add_f32 v[66:67], v[34:35], v[68:69]
	v_sub_f32_e32 v69, v67, v69
	v_ldexp_f32 v33, v33, 1
	v_sub_f32_e32 v69, v35, v69
	v_add_f32_e32 v71, v33, v69
	v_mov_b32_e32 v70, v34
	v_pk_add_f32 v[34:35], v[66:67], v[34:35] neg_lo:[0,1] neg_hi:[0,1]
	v_pk_add_f32 v[80:81], v[66:67], v[70:71]
	v_mov_b32_e32 v35, v81
	v_mov_b32_e32 v69, v66
	v_pk_add_f32 v[82:83], v[68:69], v[34:35] neg_lo:[0,1] neg_hi:[0,1]
	v_pk_add_f32 v[34:35], v[68:69], v[34:35]
	v_mov_b32_e32 v68, v35
	v_pk_add_f32 v[84:85], v[68:69], v[66:67] neg_lo:[0,1] neg_hi:[0,1]
	v_mov_b32_e32 v33, v84
	v_pk_add_f32 v[86:87], v[80:81], v[32:33] neg_lo:[0,1] neg_hi:[0,1]
	v_mov_b32_e32 v34, v81
	v_mov_b32_e32 v80, v67
	;; [unrolled: 1-line block ×4, first 2 shown]
	v_pk_add_f32 v[34:35], v[34:35], v[80:81] neg_lo:[0,1] neg_hi:[0,1]
	v_mov_b32_e32 v70, v71
	v_mov_b32_e32 v71, v66
	v_pk_add_f32 v[34:35], v[70:71], v[34:35] neg_lo:[0,1] neg_hi:[0,1]
	v_mov_b32_e32 v86, v82
	v_pk_add_f32 v[66:67], v[86:87], v[34:35]
	v_mov_b32_e32 v70, v67
	v_pk_add_f32 v[70:71], v[66:67], v[70:71]
	v_pk_add_f32 v[68:69], v[68:69], v[70:71]
	v_mov_b32_e32 v67, v68
	v_pk_add_f32 v[80:81], v[66:67], v[82:83] neg_lo:[0,1] neg_hi:[0,1]
	v_mov_b32_e32 v35, v70
	v_sub_f32_e32 v33, v66, v80
	v_pk_add_f32 v[34:35], v[34:35], v[80:81] neg_lo:[0,1] neg_hi:[0,1]
	v_sub_f32_e32 v33, v82, v33
	v_add_f32_e32 v33, v34, v33
	v_cmp_eq_f32_e64 s[56:57], s64, v49
	s_mov_b32 s64, 0x33800000
	v_add_f32_e32 v33, v33, v35
	v_cmp_lt_f32_e64 s[64:65], |v49|, s64
	v_add_f32_e32 v33, v68, v33
	s_or_b64 s[56:57], s[56:57], s[64:65]
	v_cndmask_b32_e64 v33, v33, v49, s[56:57]
	v_add_f32_e32 v31, v31, v33
	v_cvt_f16_f32_e32 v34, v31
.LBB353_311:
	s_or_b64 exec, exec, s[58:59]
	v_and_b32_e32 v33, 0xffff, v34
	v_mov_b32_e32 v31, v34
.LBB353_312:
	s_or_b64 exec, exec, s[60:61]
	v_mov_b32_dpp v34, v33 row_shr:8 row_mask:0xf bank_mask:0xf
	v_cmp_lt_u32_e64 s[56:57], 7, v32
	s_and_saveexec_b64 s[60:61], s[56:57]
	s_cbranch_execz .LBB353_316
; %bb.313:
	v_cvt_f32_f16_e32 v33, v34
	v_cvt_f32_f16_e32 v35, v31
	v_cmp_u_f16_e64 s[56:57], v34, v34
	v_cmp_u_f16_e64 s[58:59], v31, v31
	v_min_f32_e32 v32, v33, v35
	v_max_f32_e32 v31, v33, v35
	v_cndmask_b32_e64 v32, v32, v33, s[56:57]
	v_cndmask_b32_e64 v31, v31, v33, s[56:57]
	;; [unrolled: 1-line block ×4, first 2 shown]
	s_movk_i32 s58, 0x1f8
	v_cmp_neq_f32_e64 s[56:57], v32, v31
	v_cmp_class_f32_e64 s[58:59], v32, s58
	s_or_b64 s[56:57], s[56:57], s[58:59]
	s_and_saveexec_b64 s[58:59], s[56:57]
	s_cbranch_execz .LBB353_315
; %bb.314:
	v_sub_f32_e32 v32, v32, v31
	s_mov_b32 s56, 0x3fb8aa3b
	v_mul_f32_e32 v33, 0x3fb8aa3b, v32
	v_fma_f32 v34, v32, s56, -v33
	v_rndne_f32_e32 v35, v33
	v_fmac_f32_e32 v34, 0x32a5705f, v32
	v_sub_f32_e32 v33, v33, v35
	v_add_f32_e32 v33, v33, v34
	v_exp_f32_e32 v33, v33
	v_cvt_i32_f32_e32 v34, v35
	s_mov_b32 s56, 0xc2ce8ed0
	v_cmp_ngt_f32_e64 s[56:57], s56, v32
	s_mov_b32 s64, 0x7f800000
	v_ldexp_f32 v33, v33, v34
	v_cndmask_b32_e64 v33, 0, v33, s[56:57]
	s_mov_b32 s56, 0x42b17218
	v_mov_b32_e32 v34, 0x7f800000
	v_cmp_nlt_f32_e64 s[56:57], s56, v32
	v_cndmask_b32_e64 v86, v34, v33, s[56:57]
	v_add_f32_e32 v34, 1.0, v86
	v_add_f32_e32 v32, -1.0, v34
	v_sub_f32_e32 v33, v32, v34
	v_add_f32_e32 v33, 1.0, v33
	v_sub_f32_e32 v32, v86, v32
	v_add_f32_e32 v35, v32, v33
	v_frexp_mant_f32_e32 v49, v34
	s_mov_b32 s56, 0x3f2aaaab
	v_cvt_f64_f32_e32 v[32:33], v34
	v_frexp_exp_i32_f64_e32 v32, v[32:33]
	v_cmp_gt_f32_e64 s[56:57], s56, v49
	v_subbrev_co_u32_e64 v49, s[56:57], 0, v32, s[56:57]
	v_sub_u32_e32 v32, 0, v49
	v_ldexp_f32 v33, v34, v32
	v_add_f32_e32 v34, -1.0, v33
	v_add_f32_e32 v66, 1.0, v33
	v_ldexp_f32 v32, v35, v32
	v_add_f32_e32 v35, 1.0, v34
	v_add_f32_e32 v67, -1.0, v66
	v_sub_f32_e32 v35, v33, v35
	v_sub_f32_e32 v33, v33, v67
	v_add_f32_e32 v35, v32, v35
	v_add_f32_e32 v32, v32, v33
	;; [unrolled: 1-line block ×3, first 2 shown]
	v_rcp_f32_e32 v80, v70
	v_sub_f32_e32 v33, v66, v70
	v_add_f32_e32 v71, v32, v33
	v_add_f32_e32 v33, v34, v35
	v_mul_f32_e32 v82, v33, v80
	v_sub_f32_e32 v32, v34, v33
	v_mul_f32_e32 v34, v70, v82
	v_fma_f32 v66, v82, v70, -v34
	v_fmac_f32_e32 v66, v82, v71
	v_add_f32_e32 v81, v35, v32
	v_add_f32_e32 v32, v34, v66
	v_sub_f32_e32 v35, v33, v32
	v_pk_add_f32 v[68:69], v[32:33], v[34:35] neg_lo:[0,1] neg_hi:[0,1]
	v_mov_b32_e32 v67, v32
	v_pk_add_f32 v[32:33], v[68:69], v[66:67] neg_lo:[0,1] neg_hi:[0,1]
	v_add_f32_e32 v33, v81, v33
	v_add_f32_e32 v32, v32, v33
	;; [unrolled: 1-line block ×3, first 2 shown]
	v_mul_f32_e32 v81, v80, v33
	v_mul_f32_e32 v34, v70, v81
	v_fma_f32 v66, v81, v70, -v34
	v_fmac_f32_e32 v66, v81, v71
	v_sub_f32_e32 v35, v35, v33
	v_add_f32_e32 v70, v32, v35
	v_add_f32_e32 v32, v34, v66
	v_sub_f32_e32 v35, v33, v32
	v_pk_add_f32 v[68:69], v[32:33], v[34:35] neg_lo:[0,1] neg_hi:[0,1]
	v_mov_b32_e32 v67, v32
	v_pk_add_f32 v[32:33], v[68:69], v[66:67] neg_lo:[0,1] neg_hi:[0,1]
	v_add_f32_e32 v33, v70, v33
	v_add_f32_e32 v32, v32, v33
	;; [unrolled: 1-line block ×4, first 2 shown]
	v_sub_f32_e32 v33, v35, v82
	v_mul_f32_e32 v32, v80, v32
	v_sub_f32_e32 v33, v81, v33
	v_add_f32_e32 v32, v33, v32
	v_add_f32_e32 v66, v35, v32
	v_mul_f32_e32 v68, v66, v66
	v_mov_b32_e32 v34, 0x3ecc95a3
	v_fmac_f32_e32 v34, 0x3e9b6dac, v68
	v_mov_b32_e32 v33, 0x3f2aaada
	v_fmac_f32_e32 v33, v68, v34
	v_cvt_f32_i32_e32 v34, v49
	v_sub_f32_e32 v35, v66, v35
	v_sub_f32_e32 v32, v32, v35
	v_ldexp_f32 v49, v32, 1
	v_mul_f32_e32 v35, v66, v68
	v_mov_b32_e32 v32, 0x3f317218
	s_mov_b32 s56, 0x3f317218
	v_pk_mul_f32 v[32:33], v[34:35], v[32:33]
	v_ldexp_f32 v67, v66, 1
	v_fma_f32 v66, v34, s56, -v32
	v_fmac_f32_e32 v66, 0xb102e308, v34
	v_pk_add_f32 v[34:35], v[32:33], v[66:67]
	v_sub_f32_e32 v67, v35, v67
	v_sub_f32_e32 v67, v33, v67
	v_add_f32_e32 v69, v49, v67
	v_mov_b32_e32 v68, v32
	v_pk_add_f32 v[32:33], v[34:35], v[32:33] neg_lo:[0,1] neg_hi:[0,1]
	v_pk_add_f32 v[70:71], v[34:35], v[68:69]
	v_mov_b32_e32 v33, v71
	v_mov_b32_e32 v67, v34
	v_pk_add_f32 v[80:81], v[66:67], v[32:33] neg_lo:[0,1] neg_hi:[0,1]
	v_pk_add_f32 v[32:33], v[66:67], v[32:33]
	v_mov_b32_e32 v66, v33
	v_pk_add_f32 v[82:83], v[66:67], v[34:35] neg_lo:[0,1] neg_hi:[0,1]
	v_mov_b32_e32 v49, v82
	v_pk_add_f32 v[84:85], v[70:71], v[48:49] neg_lo:[0,1] neg_hi:[0,1]
	v_mov_b32_e32 v32, v71
	v_mov_b32_e32 v70, v35
	;; [unrolled: 1-line block ×4, first 2 shown]
	v_pk_add_f32 v[32:33], v[32:33], v[70:71] neg_lo:[0,1] neg_hi:[0,1]
	v_mov_b32_e32 v68, v69
	v_mov_b32_e32 v69, v34
	v_pk_add_f32 v[32:33], v[68:69], v[32:33] neg_lo:[0,1] neg_hi:[0,1]
	v_mov_b32_e32 v84, v80
	v_pk_add_f32 v[34:35], v[84:85], v[32:33]
	v_mov_b32_e32 v68, v35
	v_pk_add_f32 v[68:69], v[34:35], v[68:69]
	v_pk_add_f32 v[66:67], v[66:67], v[68:69]
	v_mov_b32_e32 v35, v66
	v_pk_add_f32 v[70:71], v[34:35], v[80:81] neg_lo:[0,1] neg_hi:[0,1]
	v_mov_b32_e32 v33, v68
	v_sub_f32_e32 v34, v34, v70
	v_pk_add_f32 v[32:33], v[32:33], v[70:71] neg_lo:[0,1] neg_hi:[0,1]
	v_sub_f32_e32 v34, v80, v34
	v_add_f32_e32 v32, v32, v34
	v_cmp_eq_f32_e64 s[56:57], s64, v86
	s_mov_b32 s64, 0x33800000
	v_add_f32_e32 v32, v32, v33
	v_cmp_lt_f32_e64 s[64:65], |v86|, s64
	v_add_f32_e32 v32, v66, v32
	s_or_b64 s[56:57], s[56:57], s[64:65]
	v_cndmask_b32_e64 v32, v32, v86, s[56:57]
	v_add_f32_e32 v31, v31, v32
	v_cvt_f16_f32_e32 v34, v31
.LBB353_315:
	s_or_b64 exec, exec, s[58:59]
	v_and_b32_e32 v33, 0xffff, v34
	v_mov_b32_e32 v31, v34
.LBB353_316:
	s_or_b64 exec, exec, s[60:61]
	v_and_b32_e32 v34, 16, v15
	v_mov_b32_dpp v32, v33 row_bcast:15 row_mask:0xf bank_mask:0xf
	v_cmp_ne_u32_e64 s[56:57], 0, v34
	s_and_saveexec_b64 s[60:61], s[56:57]
	s_cbranch_execz .LBB353_320
; %bb.317:
	v_cvt_f32_f16_e32 v34, v32
	v_cvt_f32_f16_e32 v35, v31
	v_cmp_u_f16_e64 s[56:57], v32, v32
	v_cmp_u_f16_e64 s[58:59], v31, v31
	v_min_f32_e32 v33, v34, v35
	v_max_f32_e32 v31, v34, v35
	v_cndmask_b32_e64 v33, v33, v34, s[56:57]
	v_cndmask_b32_e64 v31, v31, v34, s[56:57]
	;; [unrolled: 1-line block ×4, first 2 shown]
	s_movk_i32 s58, 0x1f8
	v_cmp_neq_f32_e64 s[56:57], v33, v31
	v_cmp_class_f32_e64 s[58:59], v33, s58
	s_or_b64 s[56:57], s[56:57], s[58:59]
	s_and_saveexec_b64 s[58:59], s[56:57]
	s_cbranch_execz .LBB353_319
; %bb.318:
	v_sub_f32_e32 v32, v33, v31
	s_mov_b32 s56, 0x3fb8aa3b
	v_mul_f32_e32 v33, 0x3fb8aa3b, v32
	v_fma_f32 v34, v32, s56, -v33
	v_rndne_f32_e32 v35, v33
	v_fmac_f32_e32 v34, 0x32a5705f, v32
	v_sub_f32_e32 v33, v33, v35
	v_add_f32_e32 v33, v33, v34
	v_exp_f32_e32 v33, v33
	v_cvt_i32_f32_e32 v34, v35
	s_mov_b32 s56, 0xc2ce8ed0
	v_cmp_ngt_f32_e64 s[56:57], s56, v32
	s_mov_b32 s64, 0x7f800000
	v_ldexp_f32 v33, v33, v34
	v_cndmask_b32_e64 v33, 0, v33, s[56:57]
	s_mov_b32 s56, 0x42b17218
	v_mov_b32_e32 v34, 0x7f800000
	v_cmp_nlt_f32_e64 s[56:57], s56, v32
	v_cndmask_b32_e64 v86, v34, v33, s[56:57]
	v_add_f32_e32 v34, 1.0, v86
	v_add_f32_e32 v32, -1.0, v34
	v_sub_f32_e32 v33, v32, v34
	v_add_f32_e32 v33, 1.0, v33
	v_sub_f32_e32 v32, v86, v32
	v_add_f32_e32 v35, v32, v33
	v_frexp_mant_f32_e32 v49, v34
	s_mov_b32 s56, 0x3f2aaaab
	v_cvt_f64_f32_e32 v[32:33], v34
	v_frexp_exp_i32_f64_e32 v32, v[32:33]
	v_cmp_gt_f32_e64 s[56:57], s56, v49
	v_subbrev_co_u32_e64 v49, s[56:57], 0, v32, s[56:57]
	v_sub_u32_e32 v32, 0, v49
	v_ldexp_f32 v33, v34, v32
	v_add_f32_e32 v34, -1.0, v33
	v_add_f32_e32 v66, 1.0, v33
	v_ldexp_f32 v32, v35, v32
	v_add_f32_e32 v35, 1.0, v34
	v_add_f32_e32 v67, -1.0, v66
	v_sub_f32_e32 v35, v33, v35
	v_sub_f32_e32 v33, v33, v67
	v_add_f32_e32 v35, v32, v35
	v_add_f32_e32 v32, v32, v33
	;; [unrolled: 1-line block ×3, first 2 shown]
	v_rcp_f32_e32 v80, v70
	v_sub_f32_e32 v33, v66, v70
	v_add_f32_e32 v71, v32, v33
	v_add_f32_e32 v33, v34, v35
	v_mul_f32_e32 v82, v33, v80
	v_sub_f32_e32 v32, v34, v33
	v_mul_f32_e32 v34, v70, v82
	v_fma_f32 v66, v82, v70, -v34
	v_fmac_f32_e32 v66, v82, v71
	v_add_f32_e32 v81, v35, v32
	v_add_f32_e32 v32, v34, v66
	v_sub_f32_e32 v35, v33, v32
	v_pk_add_f32 v[68:69], v[32:33], v[34:35] neg_lo:[0,1] neg_hi:[0,1]
	v_mov_b32_e32 v67, v32
	v_pk_add_f32 v[32:33], v[68:69], v[66:67] neg_lo:[0,1] neg_hi:[0,1]
	v_add_f32_e32 v33, v81, v33
	v_add_f32_e32 v32, v32, v33
	;; [unrolled: 1-line block ×3, first 2 shown]
	v_mul_f32_e32 v81, v80, v33
	v_mul_f32_e32 v34, v70, v81
	v_fma_f32 v66, v81, v70, -v34
	v_fmac_f32_e32 v66, v81, v71
	v_sub_f32_e32 v35, v35, v33
	v_add_f32_e32 v70, v32, v35
	v_add_f32_e32 v32, v34, v66
	v_sub_f32_e32 v35, v33, v32
	v_pk_add_f32 v[68:69], v[32:33], v[34:35] neg_lo:[0,1] neg_hi:[0,1]
	v_mov_b32_e32 v67, v32
	v_pk_add_f32 v[32:33], v[68:69], v[66:67] neg_lo:[0,1] neg_hi:[0,1]
	v_add_f32_e32 v33, v70, v33
	v_add_f32_e32 v32, v32, v33
	;; [unrolled: 1-line block ×4, first 2 shown]
	v_sub_f32_e32 v33, v35, v82
	v_mul_f32_e32 v32, v80, v32
	v_sub_f32_e32 v33, v81, v33
	v_add_f32_e32 v32, v33, v32
	v_add_f32_e32 v66, v35, v32
	v_mul_f32_e32 v68, v66, v66
	v_mov_b32_e32 v34, 0x3ecc95a3
	v_fmac_f32_e32 v34, 0x3e9b6dac, v68
	v_mov_b32_e32 v33, 0x3f2aaada
	v_fmac_f32_e32 v33, v68, v34
	v_cvt_f32_i32_e32 v34, v49
	v_sub_f32_e32 v35, v66, v35
	v_sub_f32_e32 v32, v32, v35
	v_ldexp_f32 v49, v32, 1
	v_mul_f32_e32 v35, v66, v68
	v_mov_b32_e32 v32, 0x3f317218
	s_mov_b32 s56, 0x3f317218
	v_pk_mul_f32 v[32:33], v[34:35], v[32:33]
	v_ldexp_f32 v67, v66, 1
	v_fma_f32 v66, v34, s56, -v32
	v_fmac_f32_e32 v66, 0xb102e308, v34
	v_pk_add_f32 v[34:35], v[32:33], v[66:67]
	v_sub_f32_e32 v67, v35, v67
	v_sub_f32_e32 v67, v33, v67
	v_add_f32_e32 v69, v49, v67
	v_mov_b32_e32 v68, v32
	v_pk_add_f32 v[32:33], v[34:35], v[32:33] neg_lo:[0,1] neg_hi:[0,1]
	v_pk_add_f32 v[70:71], v[34:35], v[68:69]
	v_mov_b32_e32 v33, v71
	v_mov_b32_e32 v67, v34
	v_pk_add_f32 v[80:81], v[66:67], v[32:33] neg_lo:[0,1] neg_hi:[0,1]
	v_pk_add_f32 v[32:33], v[66:67], v[32:33]
	v_mov_b32_e32 v66, v33
	v_pk_add_f32 v[82:83], v[66:67], v[34:35] neg_lo:[0,1] neg_hi:[0,1]
	v_mov_b32_e32 v49, v82
	v_pk_add_f32 v[84:85], v[70:71], v[48:49] neg_lo:[0,1] neg_hi:[0,1]
	v_mov_b32_e32 v32, v71
	v_mov_b32_e32 v70, v35
	v_mov_b32_e32 v71, v82
	v_mov_b32_e32 v81, v33
	v_pk_add_f32 v[32:33], v[32:33], v[70:71] neg_lo:[0,1] neg_hi:[0,1]
	v_mov_b32_e32 v68, v69
	v_mov_b32_e32 v69, v34
	v_pk_add_f32 v[32:33], v[68:69], v[32:33] neg_lo:[0,1] neg_hi:[0,1]
	v_mov_b32_e32 v84, v80
	v_pk_add_f32 v[34:35], v[84:85], v[32:33]
	v_mov_b32_e32 v68, v35
	v_pk_add_f32 v[68:69], v[34:35], v[68:69]
	v_pk_add_f32 v[66:67], v[66:67], v[68:69]
	v_mov_b32_e32 v35, v66
	v_pk_add_f32 v[70:71], v[34:35], v[80:81] neg_lo:[0,1] neg_hi:[0,1]
	v_mov_b32_e32 v33, v68
	v_sub_f32_e32 v34, v34, v70
	v_pk_add_f32 v[32:33], v[32:33], v[70:71] neg_lo:[0,1] neg_hi:[0,1]
	v_sub_f32_e32 v34, v80, v34
	v_add_f32_e32 v32, v32, v34
	v_cmp_eq_f32_e64 s[56:57], s64, v86
	s_mov_b32 s64, 0x33800000
	v_add_f32_e32 v32, v32, v33
	v_cmp_lt_f32_e64 s[64:65], |v86|, s64
	v_add_f32_e32 v32, v66, v32
	s_or_b64 s[56:57], s[56:57], s[64:65]
	v_cndmask_b32_e64 v32, v32, v86, s[56:57]
	v_add_f32_e32 v31, v31, v32
	v_cvt_f16_f32_e32 v32, v31
.LBB353_319:
	s_or_b64 exec, exec, s[58:59]
	v_and_b32_e32 v33, 0xffff, v32
	v_mov_b32_e32 v31, v32
.LBB353_320:
	s_or_b64 exec, exec, s[60:61]
	v_mov_b32_dpp v32, v33 row_bcast:31 row_mask:0xf bank_mask:0xf
	v_cmp_lt_u32_e64 s[56:57], 31, v15
	s_and_saveexec_b64 s[60:61], s[56:57]
	s_cbranch_execz .LBB353_324
; %bb.321:
	v_cvt_f32_f16_e32 v34, v32
	v_cvt_f32_f16_e32 v35, v31
	v_cmp_u_f16_e64 s[56:57], v32, v32
	v_cmp_u_f16_e64 s[58:59], v31, v31
	v_min_f32_e32 v33, v34, v35
	v_max_f32_e32 v31, v34, v35
	v_cndmask_b32_e64 v33, v33, v34, s[56:57]
	v_cndmask_b32_e64 v31, v31, v34, s[56:57]
	;; [unrolled: 1-line block ×4, first 2 shown]
	s_movk_i32 s58, 0x1f8
	v_cmp_neq_f32_e64 s[56:57], v33, v31
	v_cmp_class_f32_e64 s[58:59], v33, s58
	s_or_b64 s[56:57], s[56:57], s[58:59]
	s_and_saveexec_b64 s[58:59], s[56:57]
	s_cbranch_execz .LBB353_323
; %bb.322:
	v_sub_f32_e32 v32, v33, v31
	s_mov_b32 s56, 0x3fb8aa3b
	v_mul_f32_e32 v33, 0x3fb8aa3b, v32
	v_fma_f32 v34, v32, s56, -v33
	v_rndne_f32_e32 v35, v33
	v_fmac_f32_e32 v34, 0x32a5705f, v32
	v_sub_f32_e32 v33, v33, v35
	v_add_f32_e32 v33, v33, v34
	v_exp_f32_e32 v33, v33
	v_cvt_i32_f32_e32 v34, v35
	s_mov_b32 s56, 0xc2ce8ed0
	v_cmp_ngt_f32_e64 s[56:57], s56, v32
	s_mov_b32 s64, 0x7f800000
	v_ldexp_f32 v33, v33, v34
	v_cndmask_b32_e64 v33, 0, v33, s[56:57]
	s_mov_b32 s56, 0x42b17218
	v_mov_b32_e32 v34, 0x7f800000
	v_cmp_nlt_f32_e64 s[56:57], s56, v32
	v_cndmask_b32_e64 v86, v34, v33, s[56:57]
	v_add_f32_e32 v34, 1.0, v86
	v_add_f32_e32 v32, -1.0, v34
	v_sub_f32_e32 v33, v32, v34
	v_add_f32_e32 v33, 1.0, v33
	v_sub_f32_e32 v32, v86, v32
	v_add_f32_e32 v35, v32, v33
	v_frexp_mant_f32_e32 v49, v34
	s_mov_b32 s56, 0x3f2aaaab
	v_cvt_f64_f32_e32 v[32:33], v34
	v_frexp_exp_i32_f64_e32 v32, v[32:33]
	v_cmp_gt_f32_e64 s[56:57], s56, v49
	v_subbrev_co_u32_e64 v49, s[56:57], 0, v32, s[56:57]
	v_sub_u32_e32 v32, 0, v49
	v_ldexp_f32 v33, v34, v32
	v_add_f32_e32 v34, -1.0, v33
	v_add_f32_e32 v66, 1.0, v33
	v_ldexp_f32 v32, v35, v32
	v_add_f32_e32 v35, 1.0, v34
	v_add_f32_e32 v67, -1.0, v66
	v_sub_f32_e32 v35, v33, v35
	v_sub_f32_e32 v33, v33, v67
	v_add_f32_e32 v35, v32, v35
	v_add_f32_e32 v32, v32, v33
	;; [unrolled: 1-line block ×3, first 2 shown]
	v_rcp_f32_e32 v80, v70
	v_sub_f32_e32 v33, v66, v70
	v_add_f32_e32 v71, v32, v33
	v_add_f32_e32 v33, v34, v35
	v_mul_f32_e32 v82, v33, v80
	v_sub_f32_e32 v32, v34, v33
	v_mul_f32_e32 v34, v70, v82
	v_fma_f32 v66, v82, v70, -v34
	v_fmac_f32_e32 v66, v82, v71
	v_add_f32_e32 v81, v35, v32
	v_add_f32_e32 v32, v34, v66
	v_sub_f32_e32 v35, v33, v32
	v_pk_add_f32 v[68:69], v[32:33], v[34:35] neg_lo:[0,1] neg_hi:[0,1]
	v_mov_b32_e32 v67, v32
	v_pk_add_f32 v[32:33], v[68:69], v[66:67] neg_lo:[0,1] neg_hi:[0,1]
	v_add_f32_e32 v33, v81, v33
	v_add_f32_e32 v32, v32, v33
	;; [unrolled: 1-line block ×3, first 2 shown]
	v_mul_f32_e32 v81, v80, v33
	v_mul_f32_e32 v34, v70, v81
	v_fma_f32 v66, v81, v70, -v34
	v_fmac_f32_e32 v66, v81, v71
	v_sub_f32_e32 v35, v35, v33
	v_add_f32_e32 v70, v32, v35
	v_add_f32_e32 v32, v34, v66
	v_sub_f32_e32 v35, v33, v32
	v_pk_add_f32 v[68:69], v[32:33], v[34:35] neg_lo:[0,1] neg_hi:[0,1]
	v_mov_b32_e32 v67, v32
	v_pk_add_f32 v[32:33], v[68:69], v[66:67] neg_lo:[0,1] neg_hi:[0,1]
	v_add_f32_e32 v33, v70, v33
	v_add_f32_e32 v32, v32, v33
	;; [unrolled: 1-line block ×4, first 2 shown]
	v_sub_f32_e32 v33, v35, v82
	v_mul_f32_e32 v32, v80, v32
	v_sub_f32_e32 v33, v81, v33
	v_add_f32_e32 v32, v33, v32
	v_add_f32_e32 v66, v35, v32
	v_mul_f32_e32 v68, v66, v66
	v_mov_b32_e32 v34, 0x3ecc95a3
	v_fmac_f32_e32 v34, 0x3e9b6dac, v68
	v_mov_b32_e32 v33, 0x3f2aaada
	v_fmac_f32_e32 v33, v68, v34
	v_cvt_f32_i32_e32 v34, v49
	v_sub_f32_e32 v35, v66, v35
	v_sub_f32_e32 v32, v32, v35
	v_ldexp_f32 v49, v32, 1
	v_mul_f32_e32 v35, v66, v68
	v_mov_b32_e32 v32, 0x3f317218
	s_mov_b32 s56, 0x3f317218
	v_pk_mul_f32 v[32:33], v[34:35], v[32:33]
	v_ldexp_f32 v67, v66, 1
	v_fma_f32 v66, v34, s56, -v32
	v_fmac_f32_e32 v66, 0xb102e308, v34
	v_pk_add_f32 v[34:35], v[32:33], v[66:67]
	v_sub_f32_e32 v67, v35, v67
	v_sub_f32_e32 v67, v33, v67
	v_add_f32_e32 v69, v49, v67
	v_mov_b32_e32 v68, v32
	v_pk_add_f32 v[32:33], v[34:35], v[32:33] neg_lo:[0,1] neg_hi:[0,1]
	v_pk_add_f32 v[70:71], v[34:35], v[68:69]
	v_mov_b32_e32 v33, v71
	v_mov_b32_e32 v67, v34
	v_pk_add_f32 v[80:81], v[66:67], v[32:33] neg_lo:[0,1] neg_hi:[0,1]
	v_pk_add_f32 v[32:33], v[66:67], v[32:33]
	v_mov_b32_e32 v66, v33
	v_pk_add_f32 v[82:83], v[66:67], v[34:35] neg_lo:[0,1] neg_hi:[0,1]
	v_mov_b32_e32 v49, v82
	v_pk_add_f32 v[84:85], v[70:71], v[48:49] neg_lo:[0,1] neg_hi:[0,1]
	v_mov_b32_e32 v32, v71
	v_mov_b32_e32 v70, v35
	;; [unrolled: 1-line block ×4, first 2 shown]
	v_pk_add_f32 v[32:33], v[32:33], v[70:71] neg_lo:[0,1] neg_hi:[0,1]
	v_mov_b32_e32 v68, v69
	v_mov_b32_e32 v69, v34
	v_pk_add_f32 v[32:33], v[68:69], v[32:33] neg_lo:[0,1] neg_hi:[0,1]
	v_mov_b32_e32 v84, v80
	v_pk_add_f32 v[34:35], v[84:85], v[32:33]
	v_mov_b32_e32 v68, v35
	v_pk_add_f32 v[68:69], v[34:35], v[68:69]
	v_pk_add_f32 v[66:67], v[66:67], v[68:69]
	v_mov_b32_e32 v35, v66
	v_pk_add_f32 v[70:71], v[34:35], v[80:81] neg_lo:[0,1] neg_hi:[0,1]
	v_mov_b32_e32 v33, v68
	v_sub_f32_e32 v34, v34, v70
	v_pk_add_f32 v[32:33], v[32:33], v[70:71] neg_lo:[0,1] neg_hi:[0,1]
	v_sub_f32_e32 v34, v80, v34
	v_add_f32_e32 v32, v32, v34
	v_cmp_eq_f32_e64 s[56:57], s64, v86
	s_mov_b32 s64, 0x33800000
	v_add_f32_e32 v32, v32, v33
	v_cmp_lt_f32_e64 s[64:65], |v86|, s64
	v_add_f32_e32 v32, v66, v32
	s_or_b64 s[56:57], s[56:57], s[64:65]
	v_cndmask_b32_e64 v32, v32, v86, s[56:57]
	v_add_f32_e32 v31, v31, v32
	v_cvt_f16_f32_e32 v32, v31
.LBB353_323:
	s_or_b64 exec, exec, s[58:59]
	v_mov_b32_e32 v31, v32
.LBB353_324:
	s_or_b64 exec, exec, s[60:61]
	v_cmp_eq_u32_e64 s[56:57], 63, v0
	s_and_saveexec_b64 s[58:59], s[56:57]
	s_cbranch_execz .LBB353_326
; %bb.325:
	v_mov_b32_e32 v32, 0
	ds_write_b16 v32, v31
.LBB353_326:
	s_or_b64 exec, exec, s[58:59]
	v_add_u32_e32 v32, -1, v15
	v_and_b32_e32 v33, 64, v15
	v_cmp_lt_i32_e64 s[58:59], v32, v33
	v_cndmask_b32_e64 v15, v32, v15, s[58:59]
	v_and_b32_e32 v31, 0xffff, v31
	v_lshlrev_b32_e32 v15, 2, v15
	ds_bpermute_b32 v31, v15, v31
	v_mov_b32_e32 v15, v26
	s_waitcnt lgkmcnt(0)
	; wave barrier
	s_waitcnt lgkmcnt(0)
	s_and_saveexec_b64 s[58:59], s[8:9]
	s_cbranch_execz .LBB353_330
; %bb.327:
	v_cvt_f32_f16_e32 v32, v31
	v_max_f32_e32 v15, v2, v2
	v_cmp_u_f16_e64 s[8:9], v31, v31
	v_min_f32_e32 v26, v32, v15
	v_max_f32_e32 v27, v32, v15
	v_cndmask_b32_e64 v15, v26, v32, s[8:9]
	v_cndmask_b32_e64 v26, v27, v32, s[8:9]
	;; [unrolled: 1-line block ×4, first 2 shown]
	s_movk_i32 s54, 0x1f8
	v_cmp_neq_f32_e64 s[8:9], v15, v2
	v_cmp_class_f32_e64 s[54:55], v15, s54
	s_or_b64 s[8:9], s[8:9], s[54:55]
	s_and_saveexec_b64 s[54:55], s[8:9]
	s_cbranch_execz .LBB353_329
; %bb.328:
	v_sub_f32_e32 v15, v15, v2
	s_mov_b32 s8, 0x3fb8aa3b
	v_mul_f32_e32 v26, 0x3fb8aa3b, v15
	v_fma_f32 v27, v15, s8, -v26
	v_rndne_f32_e32 v30, v26
	v_fmac_f32_e32 v27, 0x32a5705f, v15
	v_sub_f32_e32 v26, v26, v30
	v_add_f32_e32 v26, v26, v27
	v_exp_f32_e32 v26, v26
	v_cvt_i32_f32_e32 v27, v30
	s_mov_b32 s8, 0xc2ce8ed0
	v_cmp_ngt_f32_e64 s[8:9], s8, v15
	s_mov_b32 s60, 0x7f800000
	v_ldexp_f32 v26, v26, v27
	v_cndmask_b32_e64 v26, 0, v26, s[8:9]
	s_mov_b32 s8, 0x42b17218
	v_mov_b32_e32 v27, 0x7f800000
	v_cmp_nlt_f32_e64 s[8:9], s8, v15
	v_cndmask_b32_e64 v49, v27, v26, s[8:9]
	v_add_f32_e32 v15, 1.0, v49
	v_add_f32_e32 v26, -1.0, v15
	v_sub_f32_e32 v27, v26, v15
	v_add_f32_e32 v27, 1.0, v27
	v_sub_f32_e32 v26, v49, v26
	v_add_f32_e32 v30, v26, v27
	v_frexp_mant_f32_e32 v31, v15
	s_mov_b32 s8, 0x3f2aaaab
	v_cvt_f64_f32_e32 v[26:27], v15
	v_frexp_exp_i32_f64_e32 v26, v[26:27]
	v_cmp_gt_f32_e64 s[8:9], s8, v31
	v_subbrev_co_u32_e64 v66, s[8:9], 0, v26, s[8:9]
	v_sub_u32_e32 v26, 0, v66
	v_ldexp_f32 v15, v15, v26
	v_ldexp_f32 v26, v30, v26
	v_add_f32_e32 v30, -1.0, v15
	v_add_f32_e32 v27, 1.0, v30
	v_sub_f32_e32 v27, v15, v27
	v_add_f32_e32 v31, v26, v27
	v_add_f32_e32 v27, 1.0, v15
	v_add_f32_e32 v32, -1.0, v27
	v_sub_f32_e32 v15, v15, v32
	v_add_f32_e32 v15, v26, v15
	v_add_f32_e32 v67, v27, v15
	v_rcp_f32_e32 v68, v67
	v_sub_f32_e32 v26, v27, v67
	v_add_f32_e32 v27, v30, v31
	v_add_f32_e32 v15, v15, v26
	v_mul_f32_e32 v70, v27, v68
	v_sub_f32_e32 v26, v30, v27
	v_mul_f32_e32 v30, v67, v70
	v_fma_f32 v32, v70, v67, -v30
	v_fmac_f32_e32 v32, v70, v15
	v_add_f32_e32 v69, v31, v26
	v_add_f32_e32 v26, v30, v32
	v_sub_f32_e32 v31, v27, v26
	v_pk_add_f32 v[34:35], v[26:27], v[30:31] neg_lo:[0,1] neg_hi:[0,1]
	v_mov_b32_e32 v33, v26
	v_pk_add_f32 v[26:27], v[34:35], v[32:33] neg_lo:[0,1] neg_hi:[0,1]
	v_add_f32_e32 v27, v69, v27
	v_add_f32_e32 v26, v26, v27
	;; [unrolled: 1-line block ×3, first 2 shown]
	v_mul_f32_e32 v69, v68, v27
	v_mul_f32_e32 v30, v67, v69
	v_fma_f32 v32, v69, v67, -v30
	v_fmac_f32_e32 v32, v69, v15
	v_sub_f32_e32 v15, v31, v27
	v_add_f32_e32 v15, v26, v15
	v_add_f32_e32 v26, v30, v32
	v_sub_f32_e32 v31, v27, v26
	v_pk_add_f32 v[34:35], v[26:27], v[30:31] neg_lo:[0,1] neg_hi:[0,1]
	v_mov_b32_e32 v33, v26
	v_pk_add_f32 v[26:27], v[34:35], v[32:33] neg_lo:[0,1] neg_hi:[0,1]
	v_add_f32_e32 v15, v15, v27
	v_add_f32_e32 v15, v26, v15
	;; [unrolled: 1-line block ×4, first 2 shown]
	v_sub_f32_e32 v27, v26, v70
	v_mul_f32_e32 v15, v68, v15
	v_sub_f32_e32 v27, v69, v27
	v_add_f32_e32 v15, v27, v15
	v_add_f32_e32 v31, v26, v15
	v_mul_f32_e32 v32, v31, v31
	v_mov_b32_e32 v30, 0x3ecc95a3
	v_fmac_f32_e32 v30, 0x3e9b6dac, v32
	v_mov_b32_e32 v27, 0x3f2aaada
	v_fmac_f32_e32 v27, v32, v30
	v_cvt_f32_i32_e32 v30, v66
	v_sub_f32_e32 v26, v31, v26
	v_sub_f32_e32 v15, v15, v26
	v_ldexp_f32 v33, v31, 1
	v_mul_f32_e32 v31, v31, v32
	v_mov_b32_e32 v26, 0x3f317218
	s_mov_b32 s8, 0x3f317218
	v_pk_mul_f32 v[26:27], v[30:31], v[26:27]
	v_fma_f32 v32, v30, s8, -v26
	v_fmac_f32_e32 v32, 0xb102e308, v30
	v_pk_add_f32 v[30:31], v[26:27], v[32:33]
	v_sub_f32_e32 v33, v31, v33
	v_ldexp_f32 v15, v15, 1
	v_sub_f32_e32 v33, v27, v33
	v_add_f32_e32 v35, v15, v33
	v_mov_b32_e32 v34, v26
	v_pk_add_f32 v[26:27], v[30:31], v[26:27] neg_lo:[0,1] neg_hi:[0,1]
	v_pk_add_f32 v[66:67], v[30:31], v[34:35]
	v_mov_b32_e32 v27, v67
	v_mov_b32_e32 v33, v30
	v_pk_add_f32 v[68:69], v[32:33], v[26:27] neg_lo:[0,1] neg_hi:[0,1]
	v_pk_add_f32 v[26:27], v[32:33], v[26:27]
	v_mov_b32_e32 v32, v27
	v_pk_add_f32 v[70:71], v[32:33], v[30:31] neg_lo:[0,1] neg_hi:[0,1]
	v_mov_b32_e32 v15, v70
	v_pk_add_f32 v[80:81], v[66:67], v[14:15] neg_lo:[0,1] neg_hi:[0,1]
	v_mov_b32_e32 v26, v67
	v_mov_b32_e32 v66, v31
	;; [unrolled: 1-line block ×4, first 2 shown]
	v_pk_add_f32 v[26:27], v[26:27], v[66:67] neg_lo:[0,1] neg_hi:[0,1]
	v_mov_b32_e32 v34, v35
	v_mov_b32_e32 v35, v30
	v_pk_add_f32 v[26:27], v[34:35], v[26:27] neg_lo:[0,1] neg_hi:[0,1]
	v_mov_b32_e32 v80, v68
	v_pk_add_f32 v[30:31], v[80:81], v[26:27]
	v_mov_b32_e32 v34, v31
	v_pk_add_f32 v[34:35], v[30:31], v[34:35]
	v_pk_add_f32 v[32:33], v[32:33], v[34:35]
	v_mov_b32_e32 v31, v32
	v_pk_add_f32 v[66:67], v[30:31], v[68:69] neg_lo:[0,1] neg_hi:[0,1]
	v_mov_b32_e32 v27, v34
	v_sub_f32_e32 v15, v30, v66
	v_pk_add_f32 v[26:27], v[26:27], v[66:67] neg_lo:[0,1] neg_hi:[0,1]
	v_sub_f32_e32 v15, v68, v15
	v_add_f32_e32 v15, v26, v15
	v_cmp_eq_f32_e64 s[8:9], s60, v49
	s_mov_b32 s60, 0x33800000
	v_add_f32_e32 v15, v15, v27
	v_cmp_lt_f32_e64 s[60:61], |v49|, s60
	v_add_f32_e32 v15, v32, v15
	s_or_b64 s[8:9], s[8:9], s[60:61]
	v_cndmask_b32_e64 v15, v15, v49, s[8:9]
	v_add_f32_e32 v2, v2, v15
	v_cvt_f16_f32_e32 v31, v2
	v_cvt_f32_f16_e32 v32, v31
.LBB353_329:
	s_or_b64 exec, exec, s[54:55]
	v_max_f32_e32 v2, v48, v48
	v_max_f32_e32 v15, v32, v32
	v_min_f32_e32 v27, v15, v2
	v_max_f32_e32 v30, v15, v2
	v_mov_b32_e32 v26, v31
	v_mov_b32_e32 v15, v31
	;; [unrolled: 1-line block ×3, first 2 shown]
	;;#ASMSTART
	;;#ASMEND
.LBB353_330:
	s_or_b64 exec, exec, s[58:59]
	v_cmp_u_f16_e64 s[8:9], v15, v15
	v_cndmask_b32_e64 v27, v27, v2, s[8:9]
	v_cndmask_b32_e32 v31, v27, v48, vcc
	v_cndmask_b32_e64 v27, v30, v2, s[8:9]
	v_cndmask_b32_e32 v30, v27, v48, vcc
	s_movk_i32 s54, 0x1f8
	v_cmp_neq_f32_e32 vcc, v31, v30
	v_cmp_class_f32_e64 s[8:9], v31, s54
	s_or_b64 vcc, vcc, s[8:9]
	v_mov_b32_e32 v27, v26
	s_and_saveexec_b64 s[8:9], vcc
	s_cbranch_execz .LBB353_332
; %bb.331:
	v_sub_f32_e32 v2, v31, v30
	s_mov_b32 s55, 0x3fb8aa3b
	v_mul_f32_e32 v15, 0x3fb8aa3b, v2
	v_fma_f32 v27, v2, s55, -v15
	v_rndne_f32_e32 v31, v15
	v_fmac_f32_e32 v27, 0x32a5705f, v2
	v_sub_f32_e32 v15, v15, v31
	v_add_f32_e32 v15, v15, v27
	v_exp_f32_e32 v15, v15
	v_cvt_i32_f32_e32 v27, v31
	s_mov_b32 s55, 0xc2ce8ed0
	v_cmp_ngt_f32_e32 vcc, s55, v2
	s_mov_b32 s55, 0x42b17218
	v_ldexp_f32 v15, v15, v27
	v_cndmask_b32_e32 v15, 0, v15, vcc
	v_mov_b32_e32 v27, 0x7f800000
	v_cmp_nlt_f32_e32 vcc, s55, v2
	v_cndmask_b32_e32 v27, v27, v15, vcc
	v_add_f32_e32 v2, 1.0, v27
	v_add_f32_e32 v15, -1.0, v2
	v_sub_f32_e32 v31, v15, v2
	v_add_f32_e32 v31, 1.0, v31
	v_sub_f32_e32 v15, v27, v15
	v_add_f32_e32 v15, v15, v31
	v_frexp_mant_f32_e32 v31, v2
	s_mov_b32 s55, 0x3f2aaaab
	v_cvt_f64_f32_e32 v[32:33], v2
	v_frexp_exp_i32_f64_e32 v32, v[32:33]
	v_cmp_gt_f32_e32 vcc, s55, v31
	v_subbrev_co_u32_e32 v31, vcc, 0, v32, vcc
	v_sub_u32_e32 v32, 0, v31
	v_ldexp_f32 v2, v2, v32
	v_ldexp_f32 v15, v15, v32
	v_add_f32_e32 v32, -1.0, v2
	v_add_f32_e32 v33, 1.0, v32
	v_sub_f32_e32 v33, v2, v33
	v_add_f32_e32 v34, v15, v33
	v_add_f32_e32 v33, 1.0, v2
	v_add_f32_e32 v35, -1.0, v33
	v_sub_f32_e32 v2, v2, v35
	v_add_f32_e32 v2, v15, v2
	v_add_f32_e32 v15, v33, v2
	v_rcp_f32_e32 v68, v15
	v_sub_f32_e32 v33, v33, v15
	v_add_f32_e32 v2, v2, v33
	v_add_f32_e32 v33, v32, v34
	v_sub_f32_e32 v32, v32, v33
	v_mul_f32_e32 v70, v33, v68
	v_add_f32_e32 v69, v34, v32
	v_mul_f32_e32 v34, v15, v70
	v_fma_f32 v48, v70, v15, -v34
	v_fmac_f32_e32 v48, v70, v2
	v_add_f32_e32 v32, v34, v48
	v_sub_f32_e32 v35, v33, v32
	v_pk_add_f32 v[66:67], v[32:33], v[34:35] neg_lo:[0,1] neg_hi:[0,1]
	v_mov_b32_e32 v49, v32
	v_pk_add_f32 v[32:33], v[66:67], v[48:49] neg_lo:[0,1] neg_hi:[0,1]
	v_add_f32_e32 v33, v69, v33
	v_add_f32_e32 v32, v32, v33
	;; [unrolled: 1-line block ×3, first 2 shown]
	v_mul_f32_e32 v69, v68, v33
	v_mul_f32_e32 v34, v15, v69
	v_fma_f32 v48, v69, v15, -v34
	v_fmac_f32_e32 v48, v69, v2
	v_sub_f32_e32 v2, v35, v33
	v_add_f32_e32 v2, v32, v2
	v_add_f32_e32 v32, v34, v48
	v_sub_f32_e32 v35, v33, v32
	v_pk_add_f32 v[66:67], v[32:33], v[34:35] neg_lo:[0,1] neg_hi:[0,1]
	v_mov_b32_e32 v49, v32
	v_pk_add_f32 v[32:33], v[66:67], v[48:49] neg_lo:[0,1] neg_hi:[0,1]
	v_add_f32_e32 v2, v2, v33
	v_add_f32_e32 v2, v32, v2
	;; [unrolled: 1-line block ×4, first 2 shown]
	v_sub_f32_e32 v32, v15, v70
	v_mul_f32_e32 v2, v68, v2
	v_sub_f32_e32 v32, v69, v32
	v_add_f32_e32 v2, v32, v2
	v_add_f32_e32 v32, v15, v2
	v_mul_f32_e32 v35, v32, v32
	v_mov_b32_e32 v34, 0x3ecc95a3
	v_fmac_f32_e32 v34, 0x3e9b6dac, v35
	v_mov_b32_e32 v33, 0x3f2aaada
	v_fmac_f32_e32 v33, v35, v34
	v_cvt_f32_i32_e32 v34, v31
	v_sub_f32_e32 v15, v32, v15
	v_ldexp_f32 v49, v32, 1
	v_mul_f32_e32 v35, v32, v35
	v_mov_b32_e32 v32, 0x3f317218
	s_mov_b32 s55, 0x3f317218
	v_pk_mul_f32 v[32:33], v[34:35], v[32:33]
	v_fma_f32 v48, v34, s55, -v32
	v_fmac_f32_e32 v48, 0xb102e308, v34
	v_pk_add_f32 v[34:35], v[32:33], v[48:49]
	v_sub_f32_e32 v2, v2, v15
	v_sub_f32_e32 v15, v35, v49
	v_ldexp_f32 v2, v2, 1
	v_sub_f32_e32 v15, v33, v15
	v_add_f32_e32 v67, v2, v15
	v_mov_b32_e32 v66, v32
	v_pk_add_f32 v[32:33], v[34:35], v[32:33] neg_lo:[0,1] neg_hi:[0,1]
	v_pk_add_f32 v[68:69], v[34:35], v[66:67]
	v_mov_b32_e32 v33, v69
	v_mov_b32_e32 v49, v34
	v_pk_add_f32 v[70:71], v[48:49], v[32:33] neg_lo:[0,1] neg_hi:[0,1]
	v_pk_add_f32 v[32:33], v[48:49], v[32:33]
	v_mov_b32_e32 v2, v33
	v_pk_add_f32 v[48:49], v[2:3], v[34:35] neg_lo:[0,1] neg_hi:[0,1]
	v_mov_b32_e32 v15, v48
	v_pk_add_f32 v[80:81], v[68:69], v[14:15] neg_lo:[0,1] neg_hi:[0,1]
	v_mov_b32_e32 v32, v69
	v_mov_b32_e32 v68, v35
	v_mov_b32_e32 v69, v48
	v_mov_b32_e32 v71, v33
	v_pk_add_f32 v[32:33], v[32:33], v[68:69] neg_lo:[0,1] neg_hi:[0,1]
	v_mov_b32_e32 v48, v67
	v_mov_b32_e32 v49, v34
	v_pk_add_f32 v[32:33], v[48:49], v[32:33] neg_lo:[0,1] neg_hi:[0,1]
	v_mov_b32_e32 v80, v70
	v_pk_add_f32 v[34:35], v[80:81], v[32:33]
	v_mov_b32_e32 v48, v35
	v_pk_add_f32 v[48:49], v[34:35], v[48:49]
	v_pk_add_f32 v[66:67], v[2:3], v[48:49]
	v_mov_b32_e32 v35, v66
	v_pk_add_f32 v[68:69], v[34:35], v[70:71] neg_lo:[0,1] neg_hi:[0,1]
	v_mov_b32_e32 v33, v48
	v_sub_f32_e32 v2, v34, v68
	v_pk_add_f32 v[32:33], v[32:33], v[68:69] neg_lo:[0,1] neg_hi:[0,1]
	v_sub_f32_e32 v2, v70, v2
	s_mov_b32 s58, 0x7f800000
	v_add_f32_e32 v2, v32, v2
	s_mov_b32 s55, 0x33800000
	v_add_f32_e32 v2, v2, v33
	v_cmp_eq_f32_e32 vcc, s58, v27
	v_cmp_lt_f32_e64 s[58:59], |v27|, s55
	v_add_f32_e32 v2, v66, v2
	s_or_b64 vcc, vcc, s[58:59]
	v_cndmask_b32_e32 v2, v2, v27, vcc
	v_add_f32_e32 v2, v30, v2
	v_cvt_f16_f32_e32 v15, v2
	v_cvt_f32_f16_e32 v2, v15
	v_mov_b32_e32 v27, v15
.LBB353_332:
	s_or_b64 exec, exec, s[8:9]
	v_max_f32_e32 v30, v3, v3
	v_max_f32_e32 v32, v2, v2
	v_min_f32_e32 v31, v32, v30
	v_cmp_u_f16_e32 vcc, v15, v15
	v_max_f32_e32 v30, v32, v30
	v_cndmask_b32_e32 v31, v31, v2, vcc
	v_cndmask_b32_e32 v30, v30, v2, vcc
	v_cndmask_b32_e64 v31, v31, v3, s[6:7]
	v_cndmask_b32_e64 v3, v30, v3, s[6:7]
	v_cmp_neq_f32_e32 vcc, v31, v3
	v_cmp_class_f32_e64 s[6:7], v31, s54
	s_or_b64 s[8:9], vcc, s[6:7]
	v_mov_b32_e32 v30, v27
	s_and_saveexec_b64 s[6:7], s[8:9]
	s_cbranch_execz .LBB353_334
; %bb.333:
	v_sub_f32_e32 v2, v31, v3
	s_mov_b32 s8, 0x3fb8aa3b
	v_mul_f32_e32 v15, 0x3fb8aa3b, v2
	v_fma_f32 v30, v2, s8, -v15
	v_rndne_f32_e32 v31, v15
	v_fmac_f32_e32 v30, 0x32a5705f, v2
	v_sub_f32_e32 v15, v15, v31
	v_add_f32_e32 v15, v15, v30
	v_exp_f32_e32 v15, v15
	v_cvt_i32_f32_e32 v30, v31
	s_mov_b32 s8, 0xc2ce8ed0
	v_cmp_ngt_f32_e32 vcc, s8, v2
	s_mov_b32 s8, 0x42b17218
	v_ldexp_f32 v15, v15, v30
	v_cndmask_b32_e32 v15, 0, v15, vcc
	v_mov_b32_e32 v30, 0x7f800000
	v_cmp_nlt_f32_e32 vcc, s8, v2
	v_cndmask_b32_e32 v80, v30, v15, vcc
	v_add_f32_e32 v2, 1.0, v80
	v_add_f32_e32 v15, -1.0, v2
	v_sub_f32_e32 v30, v15, v2
	v_add_f32_e32 v30, 1.0, v30
	v_sub_f32_e32 v15, v80, v15
	v_add_f32_e32 v15, v15, v30
	v_frexp_mant_f32_e32 v32, v2
	s_mov_b32 s8, 0x3f2aaaab
	v_cvt_f64_f32_e32 v[30:31], v2
	v_frexp_exp_i32_f64_e32 v30, v[30:31]
	v_cmp_gt_f32_e32 vcc, s8, v32
	v_subbrev_co_u32_e32 v66, vcc, 0, v30, vcc
	v_sub_u32_e32 v30, 0, v66
	v_ldexp_f32 v2, v2, v30
	v_ldexp_f32 v15, v15, v30
	v_add_f32_e32 v30, -1.0, v2
	v_add_f32_e32 v31, 1.0, v30
	v_sub_f32_e32 v31, v2, v31
	v_add_f32_e32 v32, v15, v31
	v_add_f32_e32 v31, 1.0, v2
	v_add_f32_e32 v33, -1.0, v31
	v_sub_f32_e32 v2, v2, v33
	v_add_f32_e32 v2, v15, v2
	v_add_f32_e32 v15, v31, v2
	v_rcp_f32_e32 v67, v15
	v_sub_f32_e32 v31, v31, v15
	v_add_f32_e32 v2, v2, v31
	v_add_f32_e32 v31, v30, v32
	v_sub_f32_e32 v30, v30, v31
	v_mul_f32_e32 v69, v31, v67
	v_add_f32_e32 v68, v32, v30
	v_mul_f32_e32 v32, v15, v69
	v_fma_f32 v34, v69, v15, -v32
	v_fmac_f32_e32 v34, v69, v2
	v_add_f32_e32 v30, v32, v34
	v_sub_f32_e32 v33, v31, v30
	v_pk_add_f32 v[48:49], v[30:31], v[32:33] neg_lo:[0,1] neg_hi:[0,1]
	v_mov_b32_e32 v35, v30
	v_pk_add_f32 v[30:31], v[48:49], v[34:35] neg_lo:[0,1] neg_hi:[0,1]
	v_add_f32_e32 v31, v68, v31
	v_add_f32_e32 v30, v30, v31
	;; [unrolled: 1-line block ×3, first 2 shown]
	v_mul_f32_e32 v68, v67, v31
	v_mul_f32_e32 v32, v15, v68
	v_fma_f32 v34, v68, v15, -v32
	v_fmac_f32_e32 v34, v68, v2
	v_sub_f32_e32 v2, v33, v31
	v_add_f32_e32 v2, v30, v2
	v_add_f32_e32 v30, v32, v34
	v_sub_f32_e32 v33, v31, v30
	v_pk_add_f32 v[48:49], v[30:31], v[32:33] neg_lo:[0,1] neg_hi:[0,1]
	v_mov_b32_e32 v35, v30
	v_pk_add_f32 v[30:31], v[48:49], v[34:35] neg_lo:[0,1] neg_hi:[0,1]
	v_add_f32_e32 v2, v2, v31
	v_add_f32_e32 v2, v30, v2
	;; [unrolled: 1-line block ×4, first 2 shown]
	v_sub_f32_e32 v30, v15, v69
	v_mul_f32_e32 v2, v67, v2
	v_sub_f32_e32 v30, v68, v30
	v_add_f32_e32 v2, v30, v2
	v_add_f32_e32 v30, v15, v2
	v_mul_f32_e32 v33, v30, v30
	v_mov_b32_e32 v32, 0x3ecc95a3
	v_fmac_f32_e32 v32, 0x3e9b6dac, v33
	v_mov_b32_e32 v31, 0x3f2aaada
	v_fmac_f32_e32 v31, v33, v32
	v_cvt_f32_i32_e32 v32, v66
	v_sub_f32_e32 v15, v30, v15
	v_ldexp_f32 v35, v30, 1
	v_mul_f32_e32 v33, v30, v33
	v_mov_b32_e32 v30, 0x3f317218
	s_mov_b32 s8, 0x3f317218
	v_pk_mul_f32 v[30:31], v[32:33], v[30:31]
	v_fma_f32 v34, v32, s8, -v30
	v_fmac_f32_e32 v34, 0xb102e308, v32
	v_pk_add_f32 v[32:33], v[30:31], v[34:35]
	v_sub_f32_e32 v2, v2, v15
	v_sub_f32_e32 v15, v33, v35
	v_ldexp_f32 v2, v2, 1
	v_sub_f32_e32 v15, v31, v15
	v_add_f32_e32 v49, v2, v15
	v_mov_b32_e32 v48, v30
	v_pk_add_f32 v[30:31], v[32:33], v[30:31] neg_lo:[0,1] neg_hi:[0,1]
	v_pk_add_f32 v[66:67], v[32:33], v[48:49]
	v_mov_b32_e32 v31, v67
	v_mov_b32_e32 v35, v32
	v_pk_add_f32 v[68:69], v[34:35], v[30:31] neg_lo:[0,1] neg_hi:[0,1]
	v_pk_add_f32 v[30:31], v[34:35], v[30:31]
	v_mov_b32_e32 v2, v31
	v_pk_add_f32 v[34:35], v[2:3], v[32:33] neg_lo:[0,1] neg_hi:[0,1]
	v_mov_b32_e32 v15, v34
	v_pk_add_f32 v[70:71], v[66:67], v[14:15] neg_lo:[0,1] neg_hi:[0,1]
	v_mov_b32_e32 v30, v67
	v_mov_b32_e32 v66, v33
	;; [unrolled: 1-line block ×4, first 2 shown]
	v_pk_add_f32 v[30:31], v[30:31], v[66:67] neg_lo:[0,1] neg_hi:[0,1]
	v_mov_b32_e32 v34, v49
	v_mov_b32_e32 v35, v32
	v_pk_add_f32 v[30:31], v[34:35], v[30:31] neg_lo:[0,1] neg_hi:[0,1]
	v_mov_b32_e32 v70, v68
	v_pk_add_f32 v[32:33], v[70:71], v[30:31]
	v_mov_b32_e32 v34, v33
	v_pk_add_f32 v[34:35], v[32:33], v[34:35]
	v_pk_add_f32 v[48:49], v[2:3], v[34:35]
	v_mov_b32_e32 v33, v48
	v_pk_add_f32 v[66:67], v[32:33], v[68:69] neg_lo:[0,1] neg_hi:[0,1]
	v_mov_b32_e32 v31, v34
	v_sub_f32_e32 v2, v32, v66
	v_pk_add_f32 v[30:31], v[30:31], v[66:67] neg_lo:[0,1] neg_hi:[0,1]
	v_sub_f32_e32 v2, v68, v2
	s_mov_b32 s9, 0x7f800000
	v_add_f32_e32 v2, v30, v2
	s_mov_b32 s8, 0x33800000
	v_add_f32_e32 v2, v2, v31
	v_cmp_eq_f32_e32 vcc, s9, v80
	v_cmp_lt_f32_e64 s[8:9], |v80|, s8
	v_add_f32_e32 v2, v48, v2
	s_or_b64 vcc, vcc, s[8:9]
	v_cndmask_b32_e32 v2, v2, v80, vcc
	v_add_f32_e32 v2, v3, v2
	v_cvt_f16_f32_e32 v15, v2
	v_cvt_f32_f16_e32 v2, v15
	v_mov_b32_e32 v30, v15
.LBB353_334:
	s_or_b64 exec, exec, s[6:7]
	v_max_f32_e32 v3, v6, v6
	v_max_f32_e32 v31, v2, v2
	v_min_f32_e32 v32, v31, v3
	v_cmp_u_f16_e32 vcc, v15, v15
	v_max_f32_e32 v3, v31, v3
	v_cndmask_b32_e32 v32, v32, v2, vcc
	v_cndmask_b32_e32 v3, v3, v2, vcc
	v_cndmask_b32_e64 v32, v32, v6, s[10:11]
	v_cndmask_b32_e64 v3, v3, v6, s[10:11]
	s_movk_i32 s8, 0x1f8
	v_cmp_neq_f32_e32 vcc, v32, v3
	v_cmp_class_f32_e64 s[6:7], v32, s8
	s_or_b64 s[10:11], vcc, s[6:7]
	v_mov_b32_e32 v31, v30
	s_and_saveexec_b64 s[6:7], s[10:11]
	s_cbranch_execz .LBB353_336
; %bb.335:
	v_sub_f32_e32 v2, v32, v3
	s_mov_b32 s9, 0x3fb8aa3b
	v_mul_f32_e32 v6, 0x3fb8aa3b, v2
	v_fma_f32 v15, v2, s9, -v6
	v_rndne_f32_e32 v31, v6
	v_fmac_f32_e32 v15, 0x32a5705f, v2
	v_sub_f32_e32 v6, v6, v31
	v_add_f32_e32 v6, v6, v15
	v_exp_f32_e32 v6, v6
	v_cvt_i32_f32_e32 v15, v31
	s_mov_b32 s9, 0xc2ce8ed0
	v_cmp_ngt_f32_e32 vcc, s9, v2
	s_mov_b32 s9, 0x42b17218
	v_ldexp_f32 v6, v6, v15
	v_cndmask_b32_e32 v6, 0, v6, vcc
	v_mov_b32_e32 v15, 0x7f800000
	v_cmp_nlt_f32_e32 vcc, s9, v2
	v_cndmask_b32_e32 v31, v15, v6, vcc
	v_add_f32_e32 v2, 1.0, v31
	v_add_f32_e32 v6, -1.0, v2
	v_sub_f32_e32 v15, v6, v2
	v_add_f32_e32 v15, 1.0, v15
	v_sub_f32_e32 v6, v31, v6
	v_add_f32_e32 v6, v6, v15
	v_frexp_mant_f32_e32 v15, v2
	s_mov_b32 s9, 0x3f2aaaab
	v_cvt_f64_f32_e32 v[32:33], v2
	v_frexp_exp_i32_f64_e32 v32, v[32:33]
	v_cmp_gt_f32_e32 vcc, s9, v15
	v_subbrev_co_u32_e32 v15, vcc, 0, v32, vcc
	v_sub_u32_e32 v32, 0, v15
	v_ldexp_f32 v2, v2, v32
	v_ldexp_f32 v6, v6, v32
	v_add_f32_e32 v32, -1.0, v2
	v_add_f32_e32 v33, 1.0, v32
	v_sub_f32_e32 v33, v2, v33
	v_add_f32_e32 v34, v6, v33
	v_add_f32_e32 v33, 1.0, v2
	v_add_f32_e32 v35, -1.0, v33
	v_sub_f32_e32 v2, v2, v35
	v_add_f32_e32 v2, v6, v2
	v_add_f32_e32 v6, v33, v2
	v_rcp_f32_e32 v68, v6
	v_sub_f32_e32 v33, v33, v6
	v_add_f32_e32 v2, v2, v33
	v_add_f32_e32 v33, v32, v34
	v_sub_f32_e32 v32, v32, v33
	v_mul_f32_e32 v70, v33, v68
	v_add_f32_e32 v69, v34, v32
	v_mul_f32_e32 v34, v6, v70
	v_fma_f32 v48, v70, v6, -v34
	v_fmac_f32_e32 v48, v70, v2
	v_add_f32_e32 v32, v34, v48
	v_sub_f32_e32 v35, v33, v32
	v_pk_add_f32 v[66:67], v[32:33], v[34:35] neg_lo:[0,1] neg_hi:[0,1]
	v_mov_b32_e32 v49, v32
	v_pk_add_f32 v[32:33], v[66:67], v[48:49] neg_lo:[0,1] neg_hi:[0,1]
	v_add_f32_e32 v33, v69, v33
	v_add_f32_e32 v32, v32, v33
	;; [unrolled: 1-line block ×3, first 2 shown]
	v_mul_f32_e32 v69, v68, v33
	v_mul_f32_e32 v34, v6, v69
	v_fma_f32 v48, v69, v6, -v34
	v_fmac_f32_e32 v48, v69, v2
	v_sub_f32_e32 v2, v35, v33
	v_add_f32_e32 v2, v32, v2
	v_add_f32_e32 v32, v34, v48
	v_sub_f32_e32 v35, v33, v32
	v_pk_add_f32 v[66:67], v[32:33], v[34:35] neg_lo:[0,1] neg_hi:[0,1]
	v_mov_b32_e32 v49, v32
	v_pk_add_f32 v[32:33], v[66:67], v[48:49] neg_lo:[0,1] neg_hi:[0,1]
	v_add_f32_e32 v2, v2, v33
	v_add_f32_e32 v2, v32, v2
	v_add_f32_e32 v6, v70, v69
	v_add_f32_e32 v2, v35, v2
	v_sub_f32_e32 v32, v6, v70
	v_mul_f32_e32 v2, v68, v2
	v_sub_f32_e32 v32, v69, v32
	v_add_f32_e32 v2, v32, v2
	v_add_f32_e32 v32, v6, v2
	v_mul_f32_e32 v35, v32, v32
	v_mov_b32_e32 v34, 0x3ecc95a3
	v_fmac_f32_e32 v34, 0x3e9b6dac, v35
	v_mov_b32_e32 v33, 0x3f2aaada
	v_fmac_f32_e32 v33, v35, v34
	v_cvt_f32_i32_e32 v34, v15
	v_sub_f32_e32 v6, v32, v6
	v_ldexp_f32 v49, v32, 1
	v_mul_f32_e32 v35, v32, v35
	v_mov_b32_e32 v32, 0x3f317218
	s_mov_b32 s9, 0x3f317218
	v_pk_mul_f32 v[32:33], v[34:35], v[32:33]
	v_fma_f32 v48, v34, s9, -v32
	v_fmac_f32_e32 v48, 0xb102e308, v34
	v_pk_add_f32 v[34:35], v[32:33], v[48:49]
	v_sub_f32_e32 v2, v2, v6
	v_sub_f32_e32 v6, v35, v49
	v_ldexp_f32 v2, v2, 1
	v_sub_f32_e32 v6, v33, v6
	v_add_f32_e32 v67, v2, v6
	v_mov_b32_e32 v66, v32
	v_pk_add_f32 v[32:33], v[34:35], v[32:33] neg_lo:[0,1] neg_hi:[0,1]
	v_pk_add_f32 v[68:69], v[34:35], v[66:67]
	v_mov_b32_e32 v33, v69
	v_mov_b32_e32 v49, v34
	v_pk_add_f32 v[70:71], v[48:49], v[32:33] neg_lo:[0,1] neg_hi:[0,1]
	v_pk_add_f32 v[32:33], v[48:49], v[32:33]
	v_mov_b32_e32 v2, v33
	v_pk_add_f32 v[48:49], v[2:3], v[34:35] neg_lo:[0,1] neg_hi:[0,1]
	v_mov_b32_e32 v15, v48
	v_pk_add_f32 v[80:81], v[68:69], v[14:15] neg_lo:[0,1] neg_hi:[0,1]
	v_mov_b32_e32 v32, v69
	v_mov_b32_e32 v68, v35
	;; [unrolled: 1-line block ×4, first 2 shown]
	v_pk_add_f32 v[32:33], v[32:33], v[68:69] neg_lo:[0,1] neg_hi:[0,1]
	v_mov_b32_e32 v48, v67
	v_mov_b32_e32 v49, v34
	v_pk_add_f32 v[32:33], v[48:49], v[32:33] neg_lo:[0,1] neg_hi:[0,1]
	v_mov_b32_e32 v80, v70
	v_pk_add_f32 v[34:35], v[80:81], v[32:33]
	v_mov_b32_e32 v6, v35
	v_pk_add_f32 v[48:49], v[34:35], v[6:7]
	v_pk_add_f32 v[66:67], v[2:3], v[48:49]
	v_mov_b32_e32 v35, v66
	v_pk_add_f32 v[68:69], v[34:35], v[70:71] neg_lo:[0,1] neg_hi:[0,1]
	v_mov_b32_e32 v33, v48
	v_sub_f32_e32 v2, v34, v68
	v_pk_add_f32 v[32:33], v[32:33], v[68:69] neg_lo:[0,1] neg_hi:[0,1]
	v_sub_f32_e32 v2, v70, v2
	s_mov_b32 s10, 0x7f800000
	v_add_f32_e32 v2, v32, v2
	s_mov_b32 s9, 0x33800000
	v_add_f32_e32 v2, v2, v33
	v_cmp_eq_f32_e32 vcc, s10, v31
	v_cmp_lt_f32_e64 s[10:11], |v31|, s9
	v_add_f32_e32 v2, v66, v2
	s_or_b64 vcc, vcc, s[10:11]
	v_cndmask_b32_e32 v2, v2, v31, vcc
	v_add_f32_e32 v2, v3, v2
	v_cvt_f16_f32_e32 v15, v2
	v_cvt_f32_f16_e32 v2, v15
	v_mov_b32_e32 v31, v15
.LBB353_336:
	s_or_b64 exec, exec, s[6:7]
	v_max_f32_e32 v3, v7, v7
	v_max_f32_e32 v32, v2, v2
	v_min_f32_e32 v6, v32, v3
	v_cmp_u_f16_e32 vcc, v15, v15
	v_max_f32_e32 v3, v32, v3
	v_cndmask_b32_e32 v6, v6, v2, vcc
	v_cndmask_b32_e32 v3, v3, v2, vcc
	v_cndmask_b32_e64 v6, v6, v7, s[12:13]
	v_cndmask_b32_e64 v3, v3, v7, s[12:13]
	v_cmp_neq_f32_e32 vcc, v6, v3
	v_cmp_class_f32_e64 s[6:7], v6, s8
	s_or_b64 s[8:9], vcc, s[6:7]
	v_mov_b32_e32 v32, v31
	s_and_saveexec_b64 s[6:7], s[8:9]
	s_cbranch_execz .LBB353_338
; %bb.337:
	v_sub_f32_e32 v2, v6, v3
	s_mov_b32 s8, 0x3fb8aa3b
	v_mul_f32_e32 v6, 0x3fb8aa3b, v2
	v_fma_f32 v7, v2, s8, -v6
	v_rndne_f32_e32 v15, v6
	v_fmac_f32_e32 v7, 0x32a5705f, v2
	v_sub_f32_e32 v6, v6, v15
	v_add_f32_e32 v6, v6, v7
	v_exp_f32_e32 v6, v6
	v_cvt_i32_f32_e32 v7, v15
	s_mov_b32 s8, 0xc2ce8ed0
	v_cmp_ngt_f32_e32 vcc, s8, v2
	s_mov_b32 s8, 0x42b17218
	v_ldexp_f32 v6, v6, v7
	v_cndmask_b32_e32 v6, 0, v6, vcc
	v_mov_b32_e32 v7, 0x7f800000
	v_cmp_nlt_f32_e32 vcc, s8, v2
	v_cndmask_b32_e32 v80, v7, v6, vcc
	v_add_f32_e32 v2, 1.0, v80
	v_add_f32_e32 v6, -1.0, v2
	v_sub_f32_e32 v7, v6, v2
	v_add_f32_e32 v7, 1.0, v7
	v_sub_f32_e32 v6, v80, v6
	v_add_f32_e32 v15, v6, v7
	v_frexp_mant_f32_e32 v32, v2
	s_mov_b32 s8, 0x3f2aaaab
	v_cvt_f64_f32_e32 v[6:7], v2
	v_frexp_exp_i32_f64_e32 v6, v[6:7]
	v_cmp_gt_f32_e32 vcc, s8, v32
	v_subbrev_co_u32_e32 v66, vcc, 0, v6, vcc
	v_sub_u32_e32 v6, 0, v66
	v_ldexp_f32 v2, v2, v6
	v_ldexp_f32 v6, v15, v6
	v_add_f32_e32 v15, -1.0, v2
	v_add_f32_e32 v7, 1.0, v15
	v_sub_f32_e32 v7, v2, v7
	v_add_f32_e32 v32, v6, v7
	v_add_f32_e32 v7, 1.0, v2
	v_add_f32_e32 v33, -1.0, v7
	v_sub_f32_e32 v2, v2, v33
	v_add_f32_e32 v2, v6, v2
	v_add_f32_e32 v67, v7, v2
	v_rcp_f32_e32 v68, v67
	v_sub_f32_e32 v6, v7, v67
	v_add_f32_e32 v7, v15, v32
	v_add_f32_e32 v2, v2, v6
	v_sub_f32_e32 v6, v15, v7
	v_mul_f32_e32 v69, v7, v68
	v_add_f32_e32 v15, v32, v6
	v_mul_f32_e32 v32, v67, v69
	v_fma_f32 v34, v69, v67, -v32
	v_fmac_f32_e32 v34, v69, v2
	v_add_f32_e32 v6, v32, v34
	v_sub_f32_e32 v33, v7, v6
	v_pk_add_f32 v[48:49], v[6:7], v[32:33] neg_lo:[0,1] neg_hi:[0,1]
	v_mov_b32_e32 v35, v6
	v_pk_add_f32 v[6:7], v[48:49], v[34:35] neg_lo:[0,1] neg_hi:[0,1]
	v_add_f32_e32 v7, v15, v7
	v_add_f32_e32 v6, v6, v7
	v_add_f32_e32 v7, v33, v6
	v_mul_f32_e32 v15, v68, v7
	v_mul_f32_e32 v32, v67, v15
	v_fma_f32 v34, v15, v67, -v32
	v_fmac_f32_e32 v34, v15, v2
	v_sub_f32_e32 v2, v33, v7
	v_add_f32_e32 v2, v6, v2
	v_add_f32_e32 v6, v32, v34
	v_sub_f32_e32 v33, v7, v6
	v_pk_add_f32 v[48:49], v[6:7], v[32:33] neg_lo:[0,1] neg_hi:[0,1]
	v_mov_b32_e32 v35, v6
	v_pk_add_f32 v[6:7], v[48:49], v[34:35] neg_lo:[0,1] neg_hi:[0,1]
	v_add_f32_e32 v2, v2, v7
	v_add_f32_e32 v2, v6, v2
	v_add_f32_e32 v6, v69, v15
	v_add_f32_e32 v2, v33, v2
	v_sub_f32_e32 v7, v6, v69
	v_mul_f32_e32 v2, v68, v2
	v_sub_f32_e32 v7, v15, v7
	v_add_f32_e32 v2, v7, v2
	v_add_f32_e32 v15, v6, v2
	v_mul_f32_e32 v33, v15, v15
	v_mov_b32_e32 v32, 0x3ecc95a3
	v_fmac_f32_e32 v32, 0x3e9b6dac, v33
	v_mov_b32_e32 v7, 0x3f2aaada
	v_fmac_f32_e32 v7, v33, v32
	v_cvt_f32_i32_e32 v32, v66
	v_sub_f32_e32 v6, v15, v6
	v_sub_f32_e32 v2, v2, v6
	v_mul_f32_e32 v33, v15, v33
	v_mov_b32_e32 v6, 0x3f317218
	s_mov_b32 s8, 0x3f317218
	v_pk_mul_f32 v[6:7], v[32:33], v[6:7]
	v_fma_f32 v34, v32, s8, -v6
	v_ldexp_f32 v35, v15, 1
	v_fmac_f32_e32 v34, 0xb102e308, v32
	v_pk_add_f32 v[32:33], v[6:7], v[34:35]
	v_sub_f32_e32 v15, v33, v35
	v_ldexp_f32 v2, v2, 1
	v_sub_f32_e32 v15, v7, v15
	v_add_f32_e32 v49, v2, v15
	v_mov_b32_e32 v48, v6
	v_pk_add_f32 v[6:7], v[32:33], v[6:7] neg_lo:[0,1] neg_hi:[0,1]
	v_pk_add_f32 v[66:67], v[32:33], v[48:49]
	v_mov_b32_e32 v7, v67
	v_mov_b32_e32 v35, v32
	v_pk_add_f32 v[68:69], v[34:35], v[6:7] neg_lo:[0,1] neg_hi:[0,1]
	v_pk_add_f32 v[6:7], v[34:35], v[6:7]
	v_mov_b32_e32 v2, v7
	v_pk_add_f32 v[34:35], v[2:3], v[32:33] neg_lo:[0,1] neg_hi:[0,1]
	v_mov_b32_e32 v15, v34
	v_pk_add_f32 v[70:71], v[66:67], v[14:15] neg_lo:[0,1] neg_hi:[0,1]
	v_mov_b32_e32 v6, v67
	v_mov_b32_e32 v66, v33
	;; [unrolled: 1-line block ×4, first 2 shown]
	v_pk_add_f32 v[6:7], v[6:7], v[66:67] neg_lo:[0,1] neg_hi:[0,1]
	v_mov_b32_e32 v34, v49
	v_mov_b32_e32 v35, v32
	v_pk_add_f32 v[6:7], v[34:35], v[6:7] neg_lo:[0,1] neg_hi:[0,1]
	v_mov_b32_e32 v70, v68
	v_pk_add_f32 v[32:33], v[70:71], v[6:7]
	v_mov_b32_e32 v34, v33
	v_pk_add_f32 v[34:35], v[32:33], v[34:35]
	v_pk_add_f32 v[48:49], v[2:3], v[34:35]
	v_mov_b32_e32 v33, v48
	v_pk_add_f32 v[66:67], v[32:33], v[68:69] neg_lo:[0,1] neg_hi:[0,1]
	v_mov_b32_e32 v7, v34
	v_sub_f32_e32 v2, v32, v66
	v_pk_add_f32 v[6:7], v[6:7], v[66:67] neg_lo:[0,1] neg_hi:[0,1]
	v_sub_f32_e32 v2, v68, v2
	s_mov_b32 s9, 0x7f800000
	v_add_f32_e32 v2, v6, v2
	s_mov_b32 s8, 0x33800000
	v_add_f32_e32 v2, v2, v7
	v_cmp_eq_f32_e32 vcc, s9, v80
	v_cmp_lt_f32_e64 s[8:9], |v80|, s8
	v_add_f32_e32 v2, v48, v2
	s_or_b64 vcc, vcc, s[8:9]
	v_cndmask_b32_e32 v2, v2, v80, vcc
	v_add_f32_e32 v2, v3, v2
	v_cvt_f16_f32_e32 v15, v2
	v_cvt_f32_f16_e32 v2, v15
	v_mov_b32_e32 v32, v15
.LBB353_338:
	s_or_b64 exec, exec, s[6:7]
	v_max_f32_e32 v3, v20, v20
	v_max_f32_e32 v7, v2, v2
	v_min_f32_e32 v6, v7, v3
	v_cmp_u_f16_e32 vcc, v15, v15
	v_max_f32_e32 v3, v7, v3
	v_cndmask_b32_e32 v6, v6, v2, vcc
	v_cndmask_b32_e32 v3, v3, v2, vcc
	v_cndmask_b32_e64 v6, v6, v20, s[14:15]
	v_cndmask_b32_e64 v3, v3, v20, s[14:15]
	s_movk_i32 s8, 0x1f8
	v_cmp_neq_f32_e32 vcc, v6, v3
	v_cmp_class_f32_e64 s[6:7], v6, s8
	s_or_b64 s[10:11], vcc, s[6:7]
	v_mov_b32_e32 v33, v32
	s_and_saveexec_b64 s[6:7], s[10:11]
	s_cbranch_execz .LBB353_340
; %bb.339:
	v_sub_f32_e32 v2, v6, v3
	s_mov_b32 s9, 0x3fb8aa3b
	v_mul_f32_e32 v6, 0x3fb8aa3b, v2
	v_fma_f32 v7, v2, s9, -v6
	v_rndne_f32_e32 v15, v6
	v_fmac_f32_e32 v7, 0x32a5705f, v2
	v_sub_f32_e32 v6, v6, v15
	v_add_f32_e32 v6, v6, v7
	v_exp_f32_e32 v6, v6
	v_cvt_i32_f32_e32 v7, v15
	s_mov_b32 s9, 0xc2ce8ed0
	v_cmp_ngt_f32_e32 vcc, s9, v2
	s_mov_b32 s9, 0x42b17218
	v_ldexp_f32 v6, v6, v7
	v_cndmask_b32_e32 v6, 0, v6, vcc
	v_mov_b32_e32 v7, 0x7f800000
	v_cmp_nlt_f32_e32 vcc, s9, v2
	v_cndmask_b32_e32 v33, v7, v6, vcc
	v_add_f32_e32 v2, 1.0, v33
	v_add_f32_e32 v6, -1.0, v2
	v_sub_f32_e32 v7, v6, v2
	v_add_f32_e32 v7, 1.0, v7
	v_sub_f32_e32 v6, v33, v6
	v_add_f32_e32 v15, v6, v7
	v_frexp_mant_f32_e32 v20, v2
	s_mov_b32 s9, 0x3f2aaaab
	v_cvt_f64_f32_e32 v[6:7], v2
	v_frexp_exp_i32_f64_e32 v6, v[6:7]
	v_cmp_gt_f32_e32 vcc, s9, v20
	v_subbrev_co_u32_e32 v20, vcc, 0, v6, vcc
	v_sub_u32_e32 v6, 0, v20
	v_ldexp_f32 v2, v2, v6
	v_ldexp_f32 v6, v15, v6
	v_add_f32_e32 v15, -1.0, v2
	v_add_f32_e32 v7, 1.0, v15
	v_sub_f32_e32 v7, v2, v7
	v_add_f32_e32 v34, v6, v7
	v_add_f32_e32 v7, 1.0, v2
	v_add_f32_e32 v35, -1.0, v7
	v_sub_f32_e32 v2, v2, v35
	v_add_f32_e32 v2, v6, v2
	v_add_f32_e32 v68, v7, v2
	v_rcp_f32_e32 v69, v68
	v_sub_f32_e32 v6, v7, v68
	v_add_f32_e32 v7, v15, v34
	v_add_f32_e32 v2, v2, v6
	v_sub_f32_e32 v6, v15, v7
	v_mul_f32_e32 v70, v7, v69
	v_add_f32_e32 v15, v34, v6
	v_mul_f32_e32 v34, v68, v70
	v_fma_f32 v48, v70, v68, -v34
	v_fmac_f32_e32 v48, v70, v2
	v_add_f32_e32 v6, v34, v48
	v_sub_f32_e32 v35, v7, v6
	v_pk_add_f32 v[66:67], v[6:7], v[34:35] neg_lo:[0,1] neg_hi:[0,1]
	v_mov_b32_e32 v49, v6
	v_pk_add_f32 v[6:7], v[66:67], v[48:49] neg_lo:[0,1] neg_hi:[0,1]
	v_add_f32_e32 v7, v15, v7
	v_add_f32_e32 v6, v6, v7
	;; [unrolled: 1-line block ×3, first 2 shown]
	v_mul_f32_e32 v15, v69, v7
	v_mul_f32_e32 v34, v68, v15
	v_fma_f32 v48, v15, v68, -v34
	v_fmac_f32_e32 v48, v15, v2
	v_sub_f32_e32 v2, v35, v7
	v_add_f32_e32 v2, v6, v2
	v_add_f32_e32 v6, v34, v48
	v_sub_f32_e32 v35, v7, v6
	v_pk_add_f32 v[66:67], v[6:7], v[34:35] neg_lo:[0,1] neg_hi:[0,1]
	v_mov_b32_e32 v49, v6
	v_pk_add_f32 v[6:7], v[66:67], v[48:49] neg_lo:[0,1] neg_hi:[0,1]
	v_add_f32_e32 v2, v2, v7
	v_add_f32_e32 v2, v6, v2
	;; [unrolled: 1-line block ×4, first 2 shown]
	v_sub_f32_e32 v7, v6, v70
	v_mul_f32_e32 v2, v69, v2
	v_sub_f32_e32 v7, v15, v7
	v_add_f32_e32 v2, v7, v2
	v_add_f32_e32 v15, v6, v2
	v_mul_f32_e32 v35, v15, v15
	v_mov_b32_e32 v34, 0x3ecc95a3
	v_fmac_f32_e32 v34, 0x3e9b6dac, v35
	v_mov_b32_e32 v7, 0x3f2aaada
	v_fmac_f32_e32 v7, v35, v34
	v_cvt_f32_i32_e32 v34, v20
	v_sub_f32_e32 v6, v15, v6
	v_sub_f32_e32 v2, v2, v6
	v_mul_f32_e32 v35, v15, v35
	v_mov_b32_e32 v6, 0x3f317218
	s_mov_b32 s9, 0x3f317218
	v_pk_mul_f32 v[6:7], v[34:35], v[6:7]
	v_fma_f32 v48, v34, s9, -v6
	v_ldexp_f32 v49, v15, 1
	v_fmac_f32_e32 v48, 0xb102e308, v34
	v_pk_add_f32 v[34:35], v[6:7], v[48:49]
	v_sub_f32_e32 v15, v35, v49
	v_ldexp_f32 v2, v2, 1
	v_sub_f32_e32 v15, v7, v15
	v_add_f32_e32 v67, v2, v15
	v_mov_b32_e32 v66, v6
	v_pk_add_f32 v[6:7], v[34:35], v[6:7] neg_lo:[0,1] neg_hi:[0,1]
	v_pk_add_f32 v[68:69], v[34:35], v[66:67]
	v_mov_b32_e32 v7, v69
	v_mov_b32_e32 v49, v34
	v_pk_add_f32 v[70:71], v[48:49], v[6:7] neg_lo:[0,1] neg_hi:[0,1]
	v_pk_add_f32 v[6:7], v[48:49], v[6:7]
	v_mov_b32_e32 v2, v7
	v_pk_add_f32 v[48:49], v[2:3], v[34:35] neg_lo:[0,1] neg_hi:[0,1]
	v_mov_b32_e32 v15, v48
	v_pk_add_f32 v[80:81], v[68:69], v[14:15] neg_lo:[0,1] neg_hi:[0,1]
	v_mov_b32_e32 v6, v69
	v_mov_b32_e32 v68, v35
	;; [unrolled: 1-line block ×4, first 2 shown]
	v_pk_add_f32 v[6:7], v[6:7], v[68:69] neg_lo:[0,1] neg_hi:[0,1]
	v_mov_b32_e32 v48, v67
	v_mov_b32_e32 v49, v34
	v_pk_add_f32 v[6:7], v[48:49], v[6:7] neg_lo:[0,1] neg_hi:[0,1]
	v_mov_b32_e32 v80, v70
	v_pk_add_f32 v[34:35], v[80:81], v[6:7]
	v_mov_b32_e32 v20, v35
	v_pk_add_f32 v[48:49], v[34:35], v[20:21]
	v_pk_add_f32 v[66:67], v[2:3], v[48:49]
	v_mov_b32_e32 v35, v66
	v_pk_add_f32 v[68:69], v[34:35], v[70:71] neg_lo:[0,1] neg_hi:[0,1]
	v_mov_b32_e32 v7, v48
	v_sub_f32_e32 v2, v34, v68
	v_pk_add_f32 v[6:7], v[6:7], v[68:69] neg_lo:[0,1] neg_hi:[0,1]
	v_sub_f32_e32 v2, v70, v2
	s_mov_b32 s10, 0x7f800000
	v_add_f32_e32 v2, v6, v2
	s_mov_b32 s9, 0x33800000
	v_add_f32_e32 v2, v2, v7
	v_cmp_eq_f32_e32 vcc, s10, v33
	v_cmp_lt_f32_e64 s[10:11], |v33|, s9
	v_add_f32_e32 v2, v66, v2
	s_or_b64 vcc, vcc, s[10:11]
	v_cndmask_b32_e32 v2, v2, v33, vcc
	v_add_f32_e32 v2, v3, v2
	v_cvt_f16_f32_e32 v15, v2
	v_cvt_f32_f16_e32 v2, v15
	v_mov_b32_e32 v33, v15
.LBB353_340:
	s_or_b64 exec, exec, s[6:7]
	v_max_f32_e32 v3, v21, v21
	v_max_f32_e32 v7, v2, v2
	v_min_f32_e32 v6, v7, v3
	v_cmp_u_f16_e32 vcc, v15, v15
	v_max_f32_e32 v3, v7, v3
	v_cndmask_b32_e32 v6, v6, v2, vcc
	v_cndmask_b32_e32 v3, v3, v2, vcc
	v_cndmask_b32_e64 v6, v6, v21, s[16:17]
	v_cndmask_b32_e64 v3, v3, v21, s[16:17]
	v_cmp_neq_f32_e32 vcc, v6, v3
	v_cmp_class_f32_e64 s[6:7], v6, s8
	s_or_b64 s[8:9], vcc, s[6:7]
	v_mov_b32_e32 v34, v33
	s_and_saveexec_b64 s[6:7], s[8:9]
	s_cbranch_execz .LBB353_342
; %bb.341:
	v_sub_f32_e32 v2, v6, v3
	s_mov_b32 s8, 0x3fb8aa3b
	v_mul_f32_e32 v6, 0x3fb8aa3b, v2
	v_fma_f32 v7, v2, s8, -v6
	v_rndne_f32_e32 v15, v6
	v_fmac_f32_e32 v7, 0x32a5705f, v2
	v_sub_f32_e32 v6, v6, v15
	v_add_f32_e32 v6, v6, v7
	v_exp_f32_e32 v6, v6
	v_cvt_i32_f32_e32 v7, v15
	s_mov_b32 s8, 0xc2ce8ed0
	v_cmp_ngt_f32_e32 vcc, s8, v2
	s_mov_b32 s8, 0x42b17218
	v_ldexp_f32 v6, v6, v7
	v_cndmask_b32_e32 v6, 0, v6, vcc
	v_mov_b32_e32 v7, 0x7f800000
	v_cmp_nlt_f32_e32 vcc, s8, v2
	v_cndmask_b32_e32 v80, v7, v6, vcc
	v_add_f32_e32 v2, 1.0, v80
	v_add_f32_e32 v6, -1.0, v2
	v_sub_f32_e32 v7, v6, v2
	v_add_f32_e32 v7, 1.0, v7
	v_sub_f32_e32 v6, v80, v6
	v_add_f32_e32 v15, v6, v7
	v_frexp_mant_f32_e32 v20, v2
	s_mov_b32 s8, 0x3f2aaaab
	v_cvt_f64_f32_e32 v[6:7], v2
	v_frexp_exp_i32_f64_e32 v6, v[6:7]
	v_cmp_gt_f32_e32 vcc, s8, v20
	v_subbrev_co_u32_e32 v66, vcc, 0, v6, vcc
	v_sub_u32_e32 v6, 0, v66
	v_ldexp_f32 v2, v2, v6
	v_ldexp_f32 v6, v15, v6
	v_add_f32_e32 v15, -1.0, v2
	v_add_f32_e32 v7, 1.0, v15
	v_sub_f32_e32 v7, v2, v7
	v_add_f32_e32 v20, v6, v7
	v_add_f32_e32 v7, 1.0, v2
	v_add_f32_e32 v21, -1.0, v7
	v_sub_f32_e32 v2, v2, v21
	v_add_f32_e32 v2, v6, v2
	v_add_f32_e32 v67, v7, v2
	v_rcp_f32_e32 v68, v67
	v_sub_f32_e32 v6, v7, v67
	v_add_f32_e32 v7, v15, v20
	v_add_f32_e32 v2, v2, v6
	v_sub_f32_e32 v6, v15, v7
	v_mul_f32_e32 v69, v7, v68
	v_add_f32_e32 v15, v20, v6
	v_mul_f32_e32 v20, v67, v69
	v_fma_f32 v34, v69, v67, -v20
	v_fmac_f32_e32 v34, v69, v2
	v_add_f32_e32 v6, v20, v34
	v_sub_f32_e32 v21, v7, v6
	v_pk_add_f32 v[48:49], v[6:7], v[20:21] neg_lo:[0,1] neg_hi:[0,1]
	v_mov_b32_e32 v35, v6
	v_pk_add_f32 v[6:7], v[48:49], v[34:35] neg_lo:[0,1] neg_hi:[0,1]
	v_add_f32_e32 v7, v15, v7
	v_add_f32_e32 v6, v6, v7
	;; [unrolled: 1-line block ×3, first 2 shown]
	v_mul_f32_e32 v15, v68, v7
	v_mul_f32_e32 v20, v67, v15
	v_fma_f32 v34, v15, v67, -v20
	v_fmac_f32_e32 v34, v15, v2
	v_sub_f32_e32 v2, v21, v7
	v_add_f32_e32 v2, v6, v2
	v_add_f32_e32 v6, v20, v34
	v_sub_f32_e32 v21, v7, v6
	v_pk_add_f32 v[48:49], v[6:7], v[20:21] neg_lo:[0,1] neg_hi:[0,1]
	v_mov_b32_e32 v35, v6
	v_pk_add_f32 v[6:7], v[48:49], v[34:35] neg_lo:[0,1] neg_hi:[0,1]
	v_add_f32_e32 v2, v2, v7
	v_add_f32_e32 v2, v6, v2
	;; [unrolled: 1-line block ×4, first 2 shown]
	v_sub_f32_e32 v7, v6, v69
	v_mul_f32_e32 v2, v68, v2
	v_sub_f32_e32 v7, v15, v7
	v_add_f32_e32 v2, v7, v2
	v_add_f32_e32 v15, v6, v2
	v_mul_f32_e32 v21, v15, v15
	v_mov_b32_e32 v20, 0x3ecc95a3
	v_fmac_f32_e32 v20, 0x3e9b6dac, v21
	v_mov_b32_e32 v7, 0x3f2aaada
	v_fmac_f32_e32 v7, v21, v20
	v_cvt_f32_i32_e32 v20, v66
	v_sub_f32_e32 v6, v15, v6
	v_sub_f32_e32 v2, v2, v6
	v_mul_f32_e32 v21, v15, v21
	v_mov_b32_e32 v6, 0x3f317218
	s_mov_b32 s8, 0x3f317218
	v_pk_mul_f32 v[6:7], v[20:21], v[6:7]
	v_fma_f32 v34, v20, s8, -v6
	v_ldexp_f32 v35, v15, 1
	v_fmac_f32_e32 v34, 0xb102e308, v20
	v_pk_add_f32 v[20:21], v[6:7], v[34:35]
	v_sub_f32_e32 v15, v21, v35
	v_ldexp_f32 v2, v2, 1
	v_sub_f32_e32 v15, v7, v15
	v_add_f32_e32 v49, v2, v15
	v_mov_b32_e32 v48, v6
	v_pk_add_f32 v[6:7], v[20:21], v[6:7] neg_lo:[0,1] neg_hi:[0,1]
	v_pk_add_f32 v[66:67], v[20:21], v[48:49]
	v_mov_b32_e32 v7, v67
	v_mov_b32_e32 v35, v20
	v_pk_add_f32 v[68:69], v[34:35], v[6:7] neg_lo:[0,1] neg_hi:[0,1]
	v_pk_add_f32 v[6:7], v[34:35], v[6:7]
	v_mov_b32_e32 v2, v7
	v_pk_add_f32 v[34:35], v[2:3], v[20:21] neg_lo:[0,1] neg_hi:[0,1]
	v_mov_b32_e32 v15, v34
	v_pk_add_f32 v[70:71], v[66:67], v[14:15] neg_lo:[0,1] neg_hi:[0,1]
	v_mov_b32_e32 v6, v67
	v_mov_b32_e32 v66, v21
	;; [unrolled: 1-line block ×4, first 2 shown]
	v_pk_add_f32 v[6:7], v[6:7], v[66:67] neg_lo:[0,1] neg_hi:[0,1]
	v_mov_b32_e32 v34, v49
	v_mov_b32_e32 v35, v20
	v_pk_add_f32 v[6:7], v[34:35], v[6:7] neg_lo:[0,1] neg_hi:[0,1]
	v_mov_b32_e32 v70, v68
	v_pk_add_f32 v[20:21], v[70:71], v[6:7]
	v_mov_b32_e32 v34, v21
	v_pk_add_f32 v[34:35], v[20:21], v[34:35]
	v_pk_add_f32 v[48:49], v[2:3], v[34:35]
	v_mov_b32_e32 v21, v48
	v_pk_add_f32 v[66:67], v[20:21], v[68:69] neg_lo:[0,1] neg_hi:[0,1]
	v_mov_b32_e32 v7, v34
	v_sub_f32_e32 v2, v20, v66
	v_pk_add_f32 v[6:7], v[6:7], v[66:67] neg_lo:[0,1] neg_hi:[0,1]
	v_sub_f32_e32 v2, v68, v2
	s_mov_b32 s9, 0x7f800000
	v_add_f32_e32 v2, v6, v2
	s_mov_b32 s8, 0x33800000
	v_add_f32_e32 v2, v2, v7
	v_cmp_eq_f32_e32 vcc, s9, v80
	v_cmp_lt_f32_e64 s[8:9], |v80|, s8
	v_add_f32_e32 v2, v48, v2
	s_or_b64 vcc, vcc, s[8:9]
	v_cndmask_b32_e32 v2, v2, v80, vcc
	v_add_f32_e32 v2, v3, v2
	v_cvt_f16_f32_e32 v15, v2
	v_cvt_f32_f16_e32 v2, v15
	v_mov_b32_e32 v34, v15
.LBB353_342:
	s_or_b64 exec, exec, s[6:7]
	v_max_f32_e32 v3, v22, v22
	v_max_f32_e32 v7, v2, v2
	v_min_f32_e32 v6, v7, v3
	v_cmp_u_f16_e32 vcc, v15, v15
	v_max_f32_e32 v3, v7, v3
	v_cndmask_b32_e32 v6, v6, v2, vcc
	v_cndmask_b32_e32 v3, v3, v2, vcc
	v_cndmask_b32_e64 v6, v6, v22, s[18:19]
	v_cndmask_b32_e64 v3, v3, v22, s[18:19]
	s_movk_i32 s8, 0x1f8
	v_cmp_neq_f32_e32 vcc, v6, v3
	v_cmp_class_f32_e64 s[6:7], v6, s8
	s_or_b64 s[10:11], vcc, s[6:7]
	v_mov_b32_e32 v35, v34
	s_and_saveexec_b64 s[6:7], s[10:11]
	s_cbranch_execz .LBB353_344
; %bb.343:
	v_sub_f32_e32 v2, v6, v3
	s_mov_b32 s9, 0x3fb8aa3b
	v_mul_f32_e32 v6, 0x3fb8aa3b, v2
	v_fma_f32 v7, v2, s9, -v6
	v_rndne_f32_e32 v15, v6
	v_fmac_f32_e32 v7, 0x32a5705f, v2
	v_sub_f32_e32 v6, v6, v15
	v_add_f32_e32 v6, v6, v7
	v_exp_f32_e32 v6, v6
	v_cvt_i32_f32_e32 v7, v15
	s_mov_b32 s9, 0xc2ce8ed0
	v_cmp_ngt_f32_e32 vcc, s9, v2
	s_mov_b32 s9, 0x42b17218
	v_ldexp_f32 v6, v6, v7
	v_cndmask_b32_e32 v6, 0, v6, vcc
	v_mov_b32_e32 v7, 0x7f800000
	v_cmp_nlt_f32_e32 vcc, s9, v2
	v_cndmask_b32_e32 v35, v7, v6, vcc
	v_add_f32_e32 v2, 1.0, v35
	v_add_f32_e32 v6, -1.0, v2
	v_sub_f32_e32 v7, v6, v2
	v_add_f32_e32 v7, 1.0, v7
	v_sub_f32_e32 v6, v35, v6
	v_add_f32_e32 v15, v6, v7
	v_frexp_mant_f32_e32 v20, v2
	s_mov_b32 s9, 0x3f2aaaab
	v_cvt_f64_f32_e32 v[6:7], v2
	v_frexp_exp_i32_f64_e32 v6, v[6:7]
	v_cmp_gt_f32_e32 vcc, s9, v20
	v_subbrev_co_u32_e32 v22, vcc, 0, v6, vcc
	v_sub_u32_e32 v6, 0, v22
	v_ldexp_f32 v2, v2, v6
	v_ldexp_f32 v6, v15, v6
	v_add_f32_e32 v15, -1.0, v2
	v_add_f32_e32 v7, 1.0, v15
	v_sub_f32_e32 v7, v2, v7
	v_add_f32_e32 v20, v6, v7
	v_add_f32_e32 v7, 1.0, v2
	v_add_f32_e32 v21, -1.0, v7
	v_sub_f32_e32 v2, v2, v21
	v_add_f32_e32 v2, v6, v2
	v_add_f32_e32 v68, v7, v2
	v_rcp_f32_e32 v69, v68
	v_sub_f32_e32 v6, v7, v68
	v_add_f32_e32 v7, v15, v20
	v_add_f32_e32 v2, v2, v6
	v_sub_f32_e32 v6, v15, v7
	v_mul_f32_e32 v70, v7, v69
	v_add_f32_e32 v15, v20, v6
	v_mul_f32_e32 v20, v68, v70
	v_fma_f32 v48, v70, v68, -v20
	v_fmac_f32_e32 v48, v70, v2
	v_add_f32_e32 v6, v20, v48
	v_sub_f32_e32 v21, v7, v6
	v_pk_add_f32 v[66:67], v[6:7], v[20:21] neg_lo:[0,1] neg_hi:[0,1]
	v_mov_b32_e32 v49, v6
	v_pk_add_f32 v[6:7], v[66:67], v[48:49] neg_lo:[0,1] neg_hi:[0,1]
	v_add_f32_e32 v7, v15, v7
	v_add_f32_e32 v6, v6, v7
	;; [unrolled: 1-line block ×3, first 2 shown]
	v_mul_f32_e32 v15, v69, v7
	v_mul_f32_e32 v20, v68, v15
	v_fma_f32 v48, v15, v68, -v20
	v_fmac_f32_e32 v48, v15, v2
	v_sub_f32_e32 v2, v21, v7
	v_add_f32_e32 v2, v6, v2
	v_add_f32_e32 v6, v20, v48
	v_sub_f32_e32 v21, v7, v6
	v_pk_add_f32 v[66:67], v[6:7], v[20:21] neg_lo:[0,1] neg_hi:[0,1]
	v_mov_b32_e32 v49, v6
	v_pk_add_f32 v[6:7], v[66:67], v[48:49] neg_lo:[0,1] neg_hi:[0,1]
	v_add_f32_e32 v2, v2, v7
	v_add_f32_e32 v2, v6, v2
	;; [unrolled: 1-line block ×4, first 2 shown]
	v_sub_f32_e32 v7, v6, v70
	v_mul_f32_e32 v2, v69, v2
	v_sub_f32_e32 v7, v15, v7
	v_add_f32_e32 v2, v7, v2
	v_add_f32_e32 v15, v6, v2
	v_mul_f32_e32 v21, v15, v15
	v_mov_b32_e32 v20, 0x3ecc95a3
	v_fmac_f32_e32 v20, 0x3e9b6dac, v21
	v_mov_b32_e32 v7, 0x3f2aaada
	v_fmac_f32_e32 v7, v21, v20
	v_cvt_f32_i32_e32 v20, v22
	v_sub_f32_e32 v6, v15, v6
	v_sub_f32_e32 v2, v2, v6
	v_mul_f32_e32 v21, v15, v21
	v_mov_b32_e32 v6, 0x3f317218
	s_mov_b32 s9, 0x3f317218
	v_pk_mul_f32 v[6:7], v[20:21], v[6:7]
	v_fma_f32 v48, v20, s9, -v6
	v_ldexp_f32 v49, v15, 1
	v_fmac_f32_e32 v48, 0xb102e308, v20
	v_pk_add_f32 v[20:21], v[6:7], v[48:49]
	v_sub_f32_e32 v15, v21, v49
	v_ldexp_f32 v2, v2, 1
	v_sub_f32_e32 v15, v7, v15
	v_add_f32_e32 v67, v2, v15
	v_mov_b32_e32 v66, v6
	v_pk_add_f32 v[6:7], v[20:21], v[6:7] neg_lo:[0,1] neg_hi:[0,1]
	v_pk_add_f32 v[68:69], v[20:21], v[66:67]
	v_mov_b32_e32 v7, v69
	v_mov_b32_e32 v49, v20
	v_pk_add_f32 v[70:71], v[48:49], v[6:7] neg_lo:[0,1] neg_hi:[0,1]
	v_pk_add_f32 v[6:7], v[48:49], v[6:7]
	v_mov_b32_e32 v2, v7
	v_pk_add_f32 v[48:49], v[2:3], v[20:21] neg_lo:[0,1] neg_hi:[0,1]
	v_mov_b32_e32 v15, v48
	v_pk_add_f32 v[80:81], v[68:69], v[14:15] neg_lo:[0,1] neg_hi:[0,1]
	v_mov_b32_e32 v6, v69
	v_mov_b32_e32 v68, v21
	;; [unrolled: 1-line block ×4, first 2 shown]
	v_pk_add_f32 v[6:7], v[6:7], v[68:69] neg_lo:[0,1] neg_hi:[0,1]
	v_mov_b32_e32 v48, v67
	v_mov_b32_e32 v49, v20
	v_pk_add_f32 v[6:7], v[48:49], v[6:7] neg_lo:[0,1] neg_hi:[0,1]
	v_mov_b32_e32 v80, v70
	v_pk_add_f32 v[20:21], v[80:81], v[6:7]
	v_mov_b32_e32 v22, v21
	v_pk_add_f32 v[48:49], v[20:21], v[22:23]
	v_pk_add_f32 v[66:67], v[2:3], v[48:49]
	v_mov_b32_e32 v21, v66
	v_pk_add_f32 v[68:69], v[20:21], v[70:71] neg_lo:[0,1] neg_hi:[0,1]
	v_mov_b32_e32 v7, v48
	v_sub_f32_e32 v2, v20, v68
	v_pk_add_f32 v[6:7], v[6:7], v[68:69] neg_lo:[0,1] neg_hi:[0,1]
	v_sub_f32_e32 v2, v70, v2
	s_mov_b32 s10, 0x7f800000
	v_add_f32_e32 v2, v6, v2
	s_mov_b32 s9, 0x33800000
	v_add_f32_e32 v2, v2, v7
	v_cmp_eq_f32_e32 vcc, s10, v35
	v_cmp_lt_f32_e64 s[10:11], |v35|, s9
	v_add_f32_e32 v2, v66, v2
	s_or_b64 vcc, vcc, s[10:11]
	v_cndmask_b32_e32 v2, v2, v35, vcc
	v_add_f32_e32 v2, v3, v2
	v_cvt_f16_f32_e32 v15, v2
	v_cvt_f32_f16_e32 v2, v15
	v_mov_b32_e32 v35, v15
.LBB353_344:
	s_or_b64 exec, exec, s[6:7]
	v_max_f32_e32 v3, v23, v23
	v_max_f32_e32 v7, v2, v2
	v_min_f32_e32 v6, v7, v3
	v_cmp_u_f16_e32 vcc, v15, v15
	v_max_f32_e32 v3, v7, v3
	v_cndmask_b32_e32 v6, v6, v2, vcc
	v_cndmask_b32_e32 v3, v3, v2, vcc
	v_cndmask_b32_e64 v6, v6, v23, s[20:21]
	v_cndmask_b32_e64 v3, v3, v23, s[20:21]
	v_cmp_neq_f32_e32 vcc, v6, v3
	v_cmp_class_f32_e64 s[6:7], v6, s8
	s_or_b64 s[8:9], vcc, s[6:7]
	v_mov_b32_e32 v49, v35
	s_and_saveexec_b64 s[6:7], s[8:9]
	s_cbranch_execz .LBB353_346
; %bb.345:
	v_sub_f32_e32 v2, v6, v3
	s_mov_b32 s8, 0x3fb8aa3b
	v_mul_f32_e32 v6, 0x3fb8aa3b, v2
	v_fma_f32 v7, v2, s8, -v6
	v_rndne_f32_e32 v15, v6
	v_fmac_f32_e32 v7, 0x32a5705f, v2
	v_sub_f32_e32 v6, v6, v15
	v_add_f32_e32 v6, v6, v7
	v_exp_f32_e32 v6, v6
	v_cvt_i32_f32_e32 v7, v15
	s_mov_b32 s8, 0xc2ce8ed0
	v_cmp_ngt_f32_e32 vcc, s8, v2
	s_mov_b32 s8, 0x42b17218
	v_ldexp_f32 v6, v6, v7
	v_cndmask_b32_e32 v6, 0, v6, vcc
	v_mov_b32_e32 v7, 0x7f800000
	v_cmp_nlt_f32_e32 vcc, s8, v2
	v_cndmask_b32_e32 v80, v7, v6, vcc
	v_add_f32_e32 v2, 1.0, v80
	v_add_f32_e32 v6, -1.0, v2
	v_sub_f32_e32 v7, v6, v2
	v_add_f32_e32 v7, 1.0, v7
	v_sub_f32_e32 v6, v80, v6
	v_add_f32_e32 v15, v6, v7
	v_frexp_mant_f32_e32 v20, v2
	s_mov_b32 s8, 0x3f2aaaab
	v_cvt_f64_f32_e32 v[6:7], v2
	v_frexp_exp_i32_f64_e32 v6, v[6:7]
	v_cmp_gt_f32_e32 vcc, s8, v20
	v_subbrev_co_u32_e32 v66, vcc, 0, v6, vcc
	v_sub_u32_e32 v6, 0, v66
	v_ldexp_f32 v2, v2, v6
	v_ldexp_f32 v6, v15, v6
	v_add_f32_e32 v15, -1.0, v2
	v_add_f32_e32 v7, 1.0, v15
	v_sub_f32_e32 v7, v2, v7
	v_add_f32_e32 v20, v6, v7
	v_add_f32_e32 v7, 1.0, v2
	v_add_f32_e32 v21, -1.0, v7
	v_sub_f32_e32 v2, v2, v21
	v_add_f32_e32 v2, v6, v2
	v_add_f32_e32 v67, v7, v2
	v_rcp_f32_e32 v68, v67
	v_sub_f32_e32 v6, v7, v67
	v_add_f32_e32 v7, v15, v20
	v_add_f32_e32 v2, v2, v6
	v_sub_f32_e32 v6, v15, v7
	v_mul_f32_e32 v69, v7, v68
	v_add_f32_e32 v15, v20, v6
	v_mul_f32_e32 v20, v67, v69
	v_fma_f32 v22, v69, v67, -v20
	v_fmac_f32_e32 v22, v69, v2
	v_add_f32_e32 v6, v20, v22
	v_sub_f32_e32 v21, v7, v6
	v_pk_add_f32 v[48:49], v[6:7], v[20:21] neg_lo:[0,1] neg_hi:[0,1]
	v_mov_b32_e32 v23, v6
	v_pk_add_f32 v[6:7], v[48:49], v[22:23] neg_lo:[0,1] neg_hi:[0,1]
	v_add_f32_e32 v7, v15, v7
	v_add_f32_e32 v6, v6, v7
	;; [unrolled: 1-line block ×3, first 2 shown]
	v_mul_f32_e32 v15, v68, v7
	v_mul_f32_e32 v20, v67, v15
	v_fma_f32 v22, v15, v67, -v20
	v_fmac_f32_e32 v22, v15, v2
	v_sub_f32_e32 v2, v21, v7
	v_add_f32_e32 v2, v6, v2
	v_add_f32_e32 v6, v20, v22
	v_sub_f32_e32 v21, v7, v6
	v_pk_add_f32 v[48:49], v[6:7], v[20:21] neg_lo:[0,1] neg_hi:[0,1]
	v_mov_b32_e32 v23, v6
	v_pk_add_f32 v[6:7], v[48:49], v[22:23] neg_lo:[0,1] neg_hi:[0,1]
	v_add_f32_e32 v2, v2, v7
	v_add_f32_e32 v2, v6, v2
	;; [unrolled: 1-line block ×4, first 2 shown]
	v_sub_f32_e32 v7, v6, v69
	v_mul_f32_e32 v2, v68, v2
	v_sub_f32_e32 v7, v15, v7
	v_add_f32_e32 v2, v7, v2
	v_add_f32_e32 v15, v6, v2
	v_mul_f32_e32 v21, v15, v15
	v_mov_b32_e32 v20, 0x3ecc95a3
	v_fmac_f32_e32 v20, 0x3e9b6dac, v21
	v_mov_b32_e32 v7, 0x3f2aaada
	v_fmac_f32_e32 v7, v21, v20
	v_cvt_f32_i32_e32 v20, v66
	v_sub_f32_e32 v6, v15, v6
	v_sub_f32_e32 v2, v2, v6
	v_mul_f32_e32 v21, v15, v21
	v_mov_b32_e32 v6, 0x3f317218
	s_mov_b32 s8, 0x3f317218
	v_pk_mul_f32 v[6:7], v[20:21], v[6:7]
	v_fma_f32 v22, v20, s8, -v6
	v_ldexp_f32 v23, v15, 1
	v_fmac_f32_e32 v22, 0xb102e308, v20
	v_pk_add_f32 v[20:21], v[6:7], v[22:23]
	v_sub_f32_e32 v15, v21, v23
	v_ldexp_f32 v2, v2, 1
	v_sub_f32_e32 v15, v7, v15
	v_add_f32_e32 v49, v2, v15
	v_mov_b32_e32 v48, v6
	v_pk_add_f32 v[6:7], v[20:21], v[6:7] neg_lo:[0,1] neg_hi:[0,1]
	v_pk_add_f32 v[66:67], v[20:21], v[48:49]
	v_mov_b32_e32 v7, v67
	v_mov_b32_e32 v23, v20
	v_pk_add_f32 v[68:69], v[22:23], v[6:7] neg_lo:[0,1] neg_hi:[0,1]
	v_pk_add_f32 v[6:7], v[22:23], v[6:7]
	v_mov_b32_e32 v2, v7
	v_pk_add_f32 v[22:23], v[2:3], v[20:21] neg_lo:[0,1] neg_hi:[0,1]
	v_mov_b32_e32 v15, v22
	v_pk_add_f32 v[70:71], v[66:67], v[14:15] neg_lo:[0,1] neg_hi:[0,1]
	v_mov_b32_e32 v6, v67
	v_mov_b32_e32 v66, v21
	;; [unrolled: 1-line block ×4, first 2 shown]
	v_pk_add_f32 v[6:7], v[6:7], v[66:67] neg_lo:[0,1] neg_hi:[0,1]
	v_mov_b32_e32 v22, v49
	v_mov_b32_e32 v23, v20
	v_pk_add_f32 v[6:7], v[22:23], v[6:7] neg_lo:[0,1] neg_hi:[0,1]
	v_mov_b32_e32 v70, v68
	v_pk_add_f32 v[20:21], v[70:71], v[6:7]
	v_mov_b32_e32 v22, v21
	v_pk_add_f32 v[22:23], v[20:21], v[22:23]
	v_pk_add_f32 v[48:49], v[2:3], v[22:23]
	v_mov_b32_e32 v21, v48
	v_pk_add_f32 v[66:67], v[20:21], v[68:69] neg_lo:[0,1] neg_hi:[0,1]
	v_mov_b32_e32 v7, v22
	v_sub_f32_e32 v2, v20, v66
	v_pk_add_f32 v[6:7], v[6:7], v[66:67] neg_lo:[0,1] neg_hi:[0,1]
	v_sub_f32_e32 v2, v68, v2
	s_mov_b32 s9, 0x7f800000
	v_add_f32_e32 v2, v6, v2
	s_mov_b32 s8, 0x33800000
	v_add_f32_e32 v2, v2, v7
	v_cmp_eq_f32_e32 vcc, s9, v80
	v_cmp_lt_f32_e64 s[8:9], |v80|, s8
	v_add_f32_e32 v2, v48, v2
	s_or_b64 vcc, vcc, s[8:9]
	v_cndmask_b32_e32 v2, v2, v80, vcc
	v_add_f32_e32 v2, v3, v2
	v_cvt_f16_f32_e32 v15, v2
	v_cvt_f32_f16_e32 v2, v15
	v_mov_b32_e32 v49, v15
.LBB353_346:
	s_or_b64 exec, exec, s[6:7]
	v_max_f32_e32 v3, v50, v50
	v_max_f32_e32 v7, v2, v2
	v_min_f32_e32 v6, v7, v3
	v_cmp_u_f16_e32 vcc, v15, v15
	v_max_f32_e32 v3, v7, v3
	v_cndmask_b32_e32 v6, v6, v2, vcc
	v_cndmask_b32_e32 v3, v3, v2, vcc
	v_cndmask_b32_e64 v6, v6, v50, s[22:23]
	v_cndmask_b32_e64 v3, v3, v50, s[22:23]
	s_movk_i32 s8, 0x1f8
	v_cmp_neq_f32_e32 vcc, v6, v3
	v_cmp_class_f32_e64 s[6:7], v6, s8
	s_or_b64 s[10:11], vcc, s[6:7]
	v_mov_b32_e32 v50, v49
	s_and_saveexec_b64 s[6:7], s[10:11]
	s_cbranch_execz .LBB353_348
; %bb.347:
	v_sub_f32_e32 v2, v6, v3
	s_mov_b32 s9, 0x3fb8aa3b
	v_mul_f32_e32 v6, 0x3fb8aa3b, v2
	v_fma_f32 v7, v2, s9, -v6
	v_rndne_f32_e32 v15, v6
	v_fmac_f32_e32 v7, 0x32a5705f, v2
	v_sub_f32_e32 v6, v6, v15
	v_add_f32_e32 v6, v6, v7
	v_exp_f32_e32 v6, v6
	v_cvt_i32_f32_e32 v7, v15
	s_mov_b32 s9, 0xc2ce8ed0
	v_cmp_ngt_f32_e32 vcc, s9, v2
	s_mov_b32 s9, 0x42b17218
	v_ldexp_f32 v6, v6, v7
	v_cndmask_b32_e32 v6, 0, v6, vcc
	v_mov_b32_e32 v7, 0x7f800000
	v_cmp_nlt_f32_e32 vcc, s9, v2
	v_cndmask_b32_e32 v48, v7, v6, vcc
	v_add_f32_e32 v2, 1.0, v48
	v_add_f32_e32 v6, -1.0, v2
	v_sub_f32_e32 v7, v6, v2
	v_add_f32_e32 v7, 1.0, v7
	v_sub_f32_e32 v6, v48, v6
	v_add_f32_e32 v15, v6, v7
	v_frexp_mant_f32_e32 v20, v2
	s_mov_b32 s9, 0x3f2aaaab
	v_cvt_f64_f32_e32 v[6:7], v2
	v_frexp_exp_i32_f64_e32 v6, v[6:7]
	v_cmp_gt_f32_e32 vcc, s9, v20
	v_subbrev_co_u32_e32 v50, vcc, 0, v6, vcc
	v_sub_u32_e32 v6, 0, v50
	v_ldexp_f32 v2, v2, v6
	v_ldexp_f32 v6, v15, v6
	v_add_f32_e32 v15, -1.0, v2
	v_add_f32_e32 v7, 1.0, v15
	v_sub_f32_e32 v7, v2, v7
	v_add_f32_e32 v20, v6, v7
	v_add_f32_e32 v7, 1.0, v2
	v_add_f32_e32 v21, -1.0, v7
	v_sub_f32_e32 v2, v2, v21
	v_add_f32_e32 v2, v6, v2
	v_add_f32_e32 v68, v7, v2
	v_rcp_f32_e32 v69, v68
	v_sub_f32_e32 v6, v7, v68
	v_add_f32_e32 v7, v15, v20
	v_add_f32_e32 v2, v2, v6
	v_sub_f32_e32 v6, v15, v7
	v_mul_f32_e32 v70, v7, v69
	v_add_f32_e32 v15, v20, v6
	v_mul_f32_e32 v20, v68, v70
	v_fma_f32 v22, v70, v68, -v20
	v_fmac_f32_e32 v22, v70, v2
	v_add_f32_e32 v6, v20, v22
	v_sub_f32_e32 v21, v7, v6
	v_pk_add_f32 v[66:67], v[6:7], v[20:21] neg_lo:[0,1] neg_hi:[0,1]
	v_mov_b32_e32 v23, v6
	v_pk_add_f32 v[6:7], v[66:67], v[22:23] neg_lo:[0,1] neg_hi:[0,1]
	v_add_f32_e32 v7, v15, v7
	v_add_f32_e32 v6, v6, v7
	;; [unrolled: 1-line block ×3, first 2 shown]
	v_mul_f32_e32 v15, v69, v7
	v_mul_f32_e32 v20, v68, v15
	v_fma_f32 v22, v15, v68, -v20
	v_fmac_f32_e32 v22, v15, v2
	v_sub_f32_e32 v2, v21, v7
	v_add_f32_e32 v2, v6, v2
	v_add_f32_e32 v6, v20, v22
	v_sub_f32_e32 v21, v7, v6
	v_pk_add_f32 v[66:67], v[6:7], v[20:21] neg_lo:[0,1] neg_hi:[0,1]
	v_mov_b32_e32 v23, v6
	v_pk_add_f32 v[6:7], v[66:67], v[22:23] neg_lo:[0,1] neg_hi:[0,1]
	v_add_f32_e32 v2, v2, v7
	v_add_f32_e32 v2, v6, v2
	;; [unrolled: 1-line block ×4, first 2 shown]
	v_sub_f32_e32 v7, v6, v70
	v_mul_f32_e32 v2, v69, v2
	v_sub_f32_e32 v7, v15, v7
	v_add_f32_e32 v2, v7, v2
	v_add_f32_e32 v15, v6, v2
	v_mul_f32_e32 v21, v15, v15
	v_mov_b32_e32 v20, 0x3ecc95a3
	v_fmac_f32_e32 v20, 0x3e9b6dac, v21
	v_mov_b32_e32 v7, 0x3f2aaada
	v_fmac_f32_e32 v7, v21, v20
	v_cvt_f32_i32_e32 v20, v50
	v_sub_f32_e32 v6, v15, v6
	v_sub_f32_e32 v2, v2, v6
	v_mul_f32_e32 v21, v15, v21
	v_mov_b32_e32 v6, 0x3f317218
	s_mov_b32 s9, 0x3f317218
	v_pk_mul_f32 v[6:7], v[20:21], v[6:7]
	v_fma_f32 v22, v20, s9, -v6
	v_ldexp_f32 v23, v15, 1
	v_fmac_f32_e32 v22, 0xb102e308, v20
	v_pk_add_f32 v[20:21], v[6:7], v[22:23]
	v_sub_f32_e32 v15, v21, v23
	v_ldexp_f32 v2, v2, 1
	v_sub_f32_e32 v15, v7, v15
	v_add_f32_e32 v67, v2, v15
	v_mov_b32_e32 v66, v6
	v_pk_add_f32 v[6:7], v[20:21], v[6:7] neg_lo:[0,1] neg_hi:[0,1]
	v_pk_add_f32 v[68:69], v[20:21], v[66:67]
	v_mov_b32_e32 v7, v69
	v_mov_b32_e32 v23, v20
	v_pk_add_f32 v[70:71], v[22:23], v[6:7] neg_lo:[0,1] neg_hi:[0,1]
	v_pk_add_f32 v[6:7], v[22:23], v[6:7]
	v_mov_b32_e32 v2, v7
	v_pk_add_f32 v[22:23], v[2:3], v[20:21] neg_lo:[0,1] neg_hi:[0,1]
	v_mov_b32_e32 v15, v22
	v_pk_add_f32 v[80:81], v[68:69], v[14:15] neg_lo:[0,1] neg_hi:[0,1]
	v_mov_b32_e32 v6, v69
	v_mov_b32_e32 v68, v21
	v_mov_b32_e32 v69, v22
	v_mov_b32_e32 v71, v7
	v_pk_add_f32 v[6:7], v[6:7], v[68:69] neg_lo:[0,1] neg_hi:[0,1]
	v_mov_b32_e32 v22, v67
	v_mov_b32_e32 v23, v20
	v_pk_add_f32 v[6:7], v[22:23], v[6:7] neg_lo:[0,1] neg_hi:[0,1]
	v_mov_b32_e32 v80, v70
	v_pk_add_f32 v[20:21], v[80:81], v[6:7]
	v_mov_b32_e32 v22, v21
	v_pk_add_f32 v[22:23], v[20:21], v[22:23]
	v_pk_add_f32 v[66:67], v[2:3], v[22:23]
	v_mov_b32_e32 v21, v66
	v_pk_add_f32 v[68:69], v[20:21], v[70:71] neg_lo:[0,1] neg_hi:[0,1]
	v_mov_b32_e32 v7, v22
	v_sub_f32_e32 v2, v20, v68
	v_pk_add_f32 v[6:7], v[6:7], v[68:69] neg_lo:[0,1] neg_hi:[0,1]
	v_sub_f32_e32 v2, v70, v2
	s_mov_b32 s10, 0x7f800000
	v_add_f32_e32 v2, v6, v2
	s_mov_b32 s9, 0x33800000
	v_add_f32_e32 v2, v2, v7
	v_cmp_eq_f32_e32 vcc, s10, v48
	v_cmp_lt_f32_e64 s[10:11], |v48|, s9
	v_add_f32_e32 v2, v66, v2
	s_or_b64 vcc, vcc, s[10:11]
	v_cndmask_b32_e32 v2, v2, v48, vcc
	v_add_f32_e32 v2, v3, v2
	v_cvt_f16_f32_e32 v15, v2
	v_cvt_f32_f16_e32 v2, v15
	v_mov_b32_e32 v50, v15
.LBB353_348:
	s_or_b64 exec, exec, s[6:7]
	v_max_f32_e32 v3, v16, v16
	v_max_f32_e32 v7, v2, v2
	v_min_f32_e32 v6, v7, v3
	v_cmp_u_f16_e32 vcc, v15, v15
	v_max_f32_e32 v3, v7, v3
	v_cndmask_b32_e32 v6, v6, v2, vcc
	v_cndmask_b32_e32 v3, v3, v2, vcc
	v_cndmask_b32_e64 v6, v6, v16, s[24:25]
	v_cndmask_b32_e64 v3, v3, v16, s[24:25]
	v_cmp_neq_f32_e32 vcc, v6, v3
	v_cmp_class_f32_e64 s[6:7], v6, s8
	s_or_b64 s[8:9], vcc, s[6:7]
	v_mov_b32_e32 v87, v50
	s_and_saveexec_b64 s[6:7], s[8:9]
	s_cbranch_execz .LBB353_350
; %bb.349:
	v_sub_f32_e32 v2, v6, v3
	s_mov_b32 s8, 0x3fb8aa3b
	v_mul_f32_e32 v6, 0x3fb8aa3b, v2
	v_fma_f32 v7, v2, s8, -v6
	v_rndne_f32_e32 v15, v6
	v_fmac_f32_e32 v7, 0x32a5705f, v2
	v_sub_f32_e32 v6, v6, v15
	v_add_f32_e32 v6, v6, v7
	v_exp_f32_e32 v6, v6
	v_cvt_i32_f32_e32 v7, v15
	s_mov_b32 s8, 0xc2ce8ed0
	v_cmp_ngt_f32_e32 vcc, s8, v2
	s_mov_b32 s8, 0x42b17218
	v_ldexp_f32 v6, v6, v7
	v_cndmask_b32_e32 v6, 0, v6, vcc
	v_mov_b32_e32 v7, 0x7f800000
	v_cmp_nlt_f32_e32 vcc, s8, v2
	v_cndmask_b32_e32 v48, v7, v6, vcc
	v_add_f32_e32 v2, 1.0, v48
	v_add_f32_e32 v6, -1.0, v2
	v_sub_f32_e32 v7, v6, v2
	v_add_f32_e32 v7, 1.0, v7
	v_sub_f32_e32 v6, v48, v6
	v_add_f32_e32 v15, v6, v7
	v_frexp_mant_f32_e32 v16, v2
	s_mov_b32 s8, 0x3f2aaaab
	v_cvt_f64_f32_e32 v[6:7], v2
	v_frexp_exp_i32_f64_e32 v6, v[6:7]
	v_cmp_gt_f32_e32 vcc, s8, v16
	v_subbrev_co_u32_e32 v16, vcc, 0, v6, vcc
	v_sub_u32_e32 v6, 0, v16
	v_ldexp_f32 v2, v2, v6
	v_ldexp_f32 v6, v15, v6
	v_add_f32_e32 v15, -1.0, v2
	v_add_f32_e32 v7, 1.0, v15
	v_sub_f32_e32 v7, v2, v7
	v_add_f32_e32 v20, v6, v7
	v_add_f32_e32 v7, 1.0, v2
	v_add_f32_e32 v21, -1.0, v7
	v_sub_f32_e32 v2, v2, v21
	v_add_f32_e32 v2, v6, v2
	v_add_f32_e32 v68, v7, v2
	v_rcp_f32_e32 v69, v68
	v_sub_f32_e32 v6, v7, v68
	v_add_f32_e32 v7, v15, v20
	v_add_f32_e32 v2, v2, v6
	v_sub_f32_e32 v6, v15, v7
	v_mul_f32_e32 v70, v7, v69
	v_add_f32_e32 v15, v20, v6
	v_mul_f32_e32 v20, v68, v70
	v_fma_f32 v22, v70, v68, -v20
	v_fmac_f32_e32 v22, v70, v2
	v_add_f32_e32 v6, v20, v22
	v_sub_f32_e32 v21, v7, v6
	v_pk_add_f32 v[66:67], v[6:7], v[20:21] neg_lo:[0,1] neg_hi:[0,1]
	v_mov_b32_e32 v23, v6
	v_pk_add_f32 v[6:7], v[66:67], v[22:23] neg_lo:[0,1] neg_hi:[0,1]
	v_add_f32_e32 v7, v15, v7
	v_add_f32_e32 v6, v6, v7
	v_add_f32_e32 v7, v21, v6
	v_mul_f32_e32 v15, v69, v7
	v_mul_f32_e32 v20, v68, v15
	v_fma_f32 v22, v15, v68, -v20
	v_fmac_f32_e32 v22, v15, v2
	v_sub_f32_e32 v2, v21, v7
	v_add_f32_e32 v2, v6, v2
	v_add_f32_e32 v6, v20, v22
	v_sub_f32_e32 v21, v7, v6
	v_pk_add_f32 v[66:67], v[6:7], v[20:21] neg_lo:[0,1] neg_hi:[0,1]
	v_mov_b32_e32 v23, v6
	v_pk_add_f32 v[6:7], v[66:67], v[22:23] neg_lo:[0,1] neg_hi:[0,1]
	v_add_f32_e32 v2, v2, v7
	v_add_f32_e32 v2, v6, v2
	;; [unrolled: 1-line block ×4, first 2 shown]
	v_sub_f32_e32 v7, v6, v70
	v_mul_f32_e32 v2, v69, v2
	v_sub_f32_e32 v7, v15, v7
	v_add_f32_e32 v2, v7, v2
	v_add_f32_e32 v15, v6, v2
	v_mul_f32_e32 v21, v15, v15
	v_mov_b32_e32 v20, 0x3ecc95a3
	v_fmac_f32_e32 v20, 0x3e9b6dac, v21
	v_mov_b32_e32 v7, 0x3f2aaada
	v_fmac_f32_e32 v7, v21, v20
	v_cvt_f32_i32_e32 v20, v16
	v_sub_f32_e32 v6, v15, v6
	v_sub_f32_e32 v2, v2, v6
	v_mul_f32_e32 v21, v15, v21
	v_mov_b32_e32 v6, 0x3f317218
	s_mov_b32 s8, 0x3f317218
	v_pk_mul_f32 v[6:7], v[20:21], v[6:7]
	v_fma_f32 v22, v20, s8, -v6
	v_ldexp_f32 v23, v15, 1
	v_fmac_f32_e32 v22, 0xb102e308, v20
	v_pk_add_f32 v[20:21], v[6:7], v[22:23]
	v_sub_f32_e32 v15, v21, v23
	v_ldexp_f32 v2, v2, 1
	v_sub_f32_e32 v15, v7, v15
	v_add_f32_e32 v67, v2, v15
	v_mov_b32_e32 v66, v6
	v_pk_add_f32 v[6:7], v[20:21], v[6:7] neg_lo:[0,1] neg_hi:[0,1]
	v_pk_add_f32 v[68:69], v[20:21], v[66:67]
	v_mov_b32_e32 v7, v69
	v_mov_b32_e32 v23, v20
	v_pk_add_f32 v[70:71], v[22:23], v[6:7] neg_lo:[0,1] neg_hi:[0,1]
	v_pk_add_f32 v[6:7], v[22:23], v[6:7]
	v_mov_b32_e32 v2, v7
	v_pk_add_f32 v[22:23], v[2:3], v[20:21] neg_lo:[0,1] neg_hi:[0,1]
	v_mov_b32_e32 v15, v22
	v_pk_add_f32 v[80:81], v[68:69], v[14:15] neg_lo:[0,1] neg_hi:[0,1]
	v_mov_b32_e32 v6, v69
	v_mov_b32_e32 v68, v21
	;; [unrolled: 1-line block ×4, first 2 shown]
	v_pk_add_f32 v[6:7], v[6:7], v[68:69] neg_lo:[0,1] neg_hi:[0,1]
	v_mov_b32_e32 v22, v67
	v_mov_b32_e32 v23, v20
	v_pk_add_f32 v[6:7], v[22:23], v[6:7] neg_lo:[0,1] neg_hi:[0,1]
	v_mov_b32_e32 v80, v70
	v_pk_add_f32 v[20:21], v[80:81], v[6:7]
	v_mov_b32_e32 v16, v21
	v_pk_add_f32 v[22:23], v[20:21], v[16:17]
	v_pk_add_f32 v[66:67], v[2:3], v[22:23]
	v_mov_b32_e32 v21, v66
	v_pk_add_f32 v[68:69], v[20:21], v[70:71] neg_lo:[0,1] neg_hi:[0,1]
	v_mov_b32_e32 v7, v22
	v_sub_f32_e32 v2, v20, v68
	v_pk_add_f32 v[6:7], v[6:7], v[68:69] neg_lo:[0,1] neg_hi:[0,1]
	v_sub_f32_e32 v2, v70, v2
	s_mov_b32 s9, 0x7f800000
	v_add_f32_e32 v2, v6, v2
	s_mov_b32 s8, 0x33800000
	v_add_f32_e32 v2, v2, v7
	v_cmp_eq_f32_e32 vcc, s9, v48
	v_cmp_lt_f32_e64 s[8:9], |v48|, s8
	v_add_f32_e32 v2, v66, v2
	s_or_b64 vcc, vcc, s[8:9]
	v_cndmask_b32_e32 v2, v2, v48, vcc
	v_add_f32_e32 v2, v3, v2
	v_cvt_f16_f32_e32 v15, v2
	v_cvt_f32_f16_e32 v2, v15
	v_mov_b32_e32 v87, v15
.LBB353_350:
	s_or_b64 exec, exec, s[6:7]
	v_max_f32_e32 v3, v51, v51
	v_max_f32_e32 v7, v2, v2
	v_min_f32_e32 v6, v7, v3
	v_cmp_u_f16_e32 vcc, v15, v15
	v_max_f32_e32 v3, v7, v3
	v_cndmask_b32_e32 v6, v6, v2, vcc
	v_cndmask_b32_e32 v3, v3, v2, vcc
	v_cndmask_b32_e64 v6, v6, v51, s[26:27]
	v_cndmask_b32_e64 v3, v3, v51, s[26:27]
	s_movk_i32 s8, 0x1f8
	v_cmp_neq_f32_e32 vcc, v6, v3
	v_cmp_class_f32_e64 s[6:7], v6, s8
	s_or_b64 s[10:11], vcc, s[6:7]
	v_mov_b32_e32 v51, v87
	s_and_saveexec_b64 s[6:7], s[10:11]
	s_cbranch_execz .LBB353_352
; %bb.351:
	v_sub_f32_e32 v2, v6, v3
	s_mov_b32 s9, 0x3fb8aa3b
	v_mul_f32_e32 v6, 0x3fb8aa3b, v2
	v_fma_f32 v7, v2, s9, -v6
	v_rndne_f32_e32 v15, v6
	v_fmac_f32_e32 v7, 0x32a5705f, v2
	v_sub_f32_e32 v6, v6, v15
	v_add_f32_e32 v6, v6, v7
	v_exp_f32_e32 v6, v6
	v_cvt_i32_f32_e32 v7, v15
	s_mov_b32 s9, 0xc2ce8ed0
	v_cmp_ngt_f32_e32 vcc, s9, v2
	s_mov_b32 s9, 0x42b17218
	v_ldexp_f32 v6, v6, v7
	v_cndmask_b32_e32 v6, 0, v6, vcc
	v_mov_b32_e32 v7, 0x7f800000
	v_cmp_nlt_f32_e32 vcc, s9, v2
	v_cndmask_b32_e32 v48, v7, v6, vcc
	v_add_f32_e32 v2, 1.0, v48
	v_add_f32_e32 v6, -1.0, v2
	v_sub_f32_e32 v7, v6, v2
	v_add_f32_e32 v7, 1.0, v7
	v_sub_f32_e32 v6, v48, v6
	v_add_f32_e32 v15, v6, v7
	v_frexp_mant_f32_e32 v16, v2
	s_mov_b32 s9, 0x3f2aaaab
	v_cvt_f64_f32_e32 v[6:7], v2
	v_frexp_exp_i32_f64_e32 v6, v[6:7]
	v_cmp_gt_f32_e32 vcc, s9, v16
	v_subbrev_co_u32_e32 v16, vcc, 0, v6, vcc
	v_sub_u32_e32 v6, 0, v16
	v_ldexp_f32 v2, v2, v6
	v_ldexp_f32 v6, v15, v6
	v_add_f32_e32 v15, -1.0, v2
	v_add_f32_e32 v7, 1.0, v15
	v_sub_f32_e32 v7, v2, v7
	v_add_f32_e32 v20, v6, v7
	v_add_f32_e32 v7, 1.0, v2
	v_add_f32_e32 v21, -1.0, v7
	v_sub_f32_e32 v2, v2, v21
	v_add_f32_e32 v2, v6, v2
	v_add_f32_e32 v51, v7, v2
	v_rcp_f32_e32 v68, v51
	v_sub_f32_e32 v6, v7, v51
	v_add_f32_e32 v7, v15, v20
	v_add_f32_e32 v2, v2, v6
	v_sub_f32_e32 v6, v15, v7
	v_mul_f32_e32 v69, v7, v68
	v_add_f32_e32 v15, v20, v6
	v_mul_f32_e32 v20, v51, v69
	v_fma_f32 v22, v69, v51, -v20
	v_fmac_f32_e32 v22, v69, v2
	v_add_f32_e32 v6, v20, v22
	v_sub_f32_e32 v21, v7, v6
	v_pk_add_f32 v[66:67], v[6:7], v[20:21] neg_lo:[0,1] neg_hi:[0,1]
	v_mov_b32_e32 v23, v6
	v_pk_add_f32 v[6:7], v[66:67], v[22:23] neg_lo:[0,1] neg_hi:[0,1]
	v_add_f32_e32 v7, v15, v7
	v_add_f32_e32 v6, v6, v7
	;; [unrolled: 1-line block ×3, first 2 shown]
	v_mul_f32_e32 v15, v68, v7
	v_mul_f32_e32 v20, v51, v15
	v_fma_f32 v22, v15, v51, -v20
	v_fmac_f32_e32 v22, v15, v2
	v_sub_f32_e32 v2, v21, v7
	v_add_f32_e32 v2, v6, v2
	v_add_f32_e32 v6, v20, v22
	v_sub_f32_e32 v21, v7, v6
	v_pk_add_f32 v[66:67], v[6:7], v[20:21] neg_lo:[0,1] neg_hi:[0,1]
	v_mov_b32_e32 v23, v6
	v_pk_add_f32 v[6:7], v[66:67], v[22:23] neg_lo:[0,1] neg_hi:[0,1]
	v_add_f32_e32 v2, v2, v7
	v_add_f32_e32 v2, v6, v2
	;; [unrolled: 1-line block ×4, first 2 shown]
	v_sub_f32_e32 v7, v6, v69
	v_mul_f32_e32 v2, v68, v2
	v_sub_f32_e32 v7, v15, v7
	v_add_f32_e32 v2, v7, v2
	v_add_f32_e32 v15, v6, v2
	v_mul_f32_e32 v21, v15, v15
	v_mov_b32_e32 v20, 0x3ecc95a3
	v_fmac_f32_e32 v20, 0x3e9b6dac, v21
	v_mov_b32_e32 v7, 0x3f2aaada
	v_fmac_f32_e32 v7, v21, v20
	v_cvt_f32_i32_e32 v20, v16
	v_sub_f32_e32 v6, v15, v6
	v_sub_f32_e32 v2, v2, v6
	v_mul_f32_e32 v21, v15, v21
	v_mov_b32_e32 v6, 0x3f317218
	s_mov_b32 s9, 0x3f317218
	v_pk_mul_f32 v[6:7], v[20:21], v[6:7]
	v_fma_f32 v22, v20, s9, -v6
	v_ldexp_f32 v23, v15, 1
	v_fmac_f32_e32 v22, 0xb102e308, v20
	v_pk_add_f32 v[20:21], v[6:7], v[22:23]
	v_sub_f32_e32 v15, v21, v23
	v_ldexp_f32 v2, v2, 1
	v_sub_f32_e32 v15, v7, v15
	v_add_f32_e32 v67, v2, v15
	v_mov_b32_e32 v66, v6
	v_pk_add_f32 v[6:7], v[20:21], v[6:7] neg_lo:[0,1] neg_hi:[0,1]
	v_pk_add_f32 v[68:69], v[20:21], v[66:67]
	v_mov_b32_e32 v7, v69
	v_mov_b32_e32 v23, v20
	v_pk_add_f32 v[70:71], v[22:23], v[6:7] neg_lo:[0,1] neg_hi:[0,1]
	v_pk_add_f32 v[6:7], v[22:23], v[6:7]
	v_mov_b32_e32 v2, v7
	v_pk_add_f32 v[22:23], v[2:3], v[20:21] neg_lo:[0,1] neg_hi:[0,1]
	v_mov_b32_e32 v15, v22
	v_pk_add_f32 v[80:81], v[68:69], v[14:15] neg_lo:[0,1] neg_hi:[0,1]
	v_mov_b32_e32 v6, v69
	v_mov_b32_e32 v68, v21
	;; [unrolled: 1-line block ×4, first 2 shown]
	v_pk_add_f32 v[6:7], v[6:7], v[68:69] neg_lo:[0,1] neg_hi:[0,1]
	v_mov_b32_e32 v22, v67
	v_mov_b32_e32 v23, v20
	v_pk_add_f32 v[6:7], v[22:23], v[6:7] neg_lo:[0,1] neg_hi:[0,1]
	v_mov_b32_e32 v80, v70
	v_pk_add_f32 v[20:21], v[80:81], v[6:7]
	v_mov_b32_e32 v16, v21
	v_pk_add_f32 v[22:23], v[20:21], v[16:17]
	v_pk_add_f32 v[66:67], v[2:3], v[22:23]
	v_mov_b32_e32 v21, v66
	v_pk_add_f32 v[68:69], v[20:21], v[70:71] neg_lo:[0,1] neg_hi:[0,1]
	v_mov_b32_e32 v7, v22
	v_sub_f32_e32 v2, v20, v68
	v_pk_add_f32 v[6:7], v[6:7], v[68:69] neg_lo:[0,1] neg_hi:[0,1]
	v_sub_f32_e32 v2, v70, v2
	s_mov_b32 s10, 0x7f800000
	v_add_f32_e32 v2, v6, v2
	s_mov_b32 s9, 0x33800000
	v_add_f32_e32 v2, v2, v7
	v_cmp_eq_f32_e32 vcc, s10, v48
	v_cmp_lt_f32_e64 s[10:11], |v48|, s9
	v_add_f32_e32 v2, v66, v2
	s_or_b64 vcc, vcc, s[10:11]
	v_cndmask_b32_e32 v2, v2, v48, vcc
	v_add_f32_e32 v2, v3, v2
	v_cvt_f16_f32_e32 v15, v2
	v_cvt_f32_f16_e32 v2, v15
	v_mov_b32_e32 v51, v15
.LBB353_352:
	s_or_b64 exec, exec, s[6:7]
	v_max_f32_e32 v3, v17, v17
	v_max_f32_e32 v7, v2, v2
	v_min_f32_e32 v6, v7, v3
	v_cmp_u_f16_e32 vcc, v15, v15
	v_max_f32_e32 v3, v7, v3
	v_cndmask_b32_e32 v6, v6, v2, vcc
	v_cndmask_b32_e32 v3, v3, v2, vcc
	v_cndmask_b32_e64 v6, v6, v17, s[28:29]
	v_cndmask_b32_e64 v3, v3, v17, s[28:29]
	v_cmp_neq_f32_e32 vcc, v6, v3
	v_cmp_class_f32_e64 s[6:7], v6, s8
	s_or_b64 s[8:9], vcc, s[6:7]
	v_mov_b32_e32 v66, v51
	s_and_saveexec_b64 s[6:7], s[8:9]
	s_cbranch_execz .LBB353_354
; %bb.353:
	v_sub_f32_e32 v2, v6, v3
	s_mov_b32 s8, 0x3fb8aa3b
	v_mul_f32_e32 v6, 0x3fb8aa3b, v2
	v_fma_f32 v7, v2, s8, -v6
	v_rndne_f32_e32 v15, v6
	v_fmac_f32_e32 v7, 0x32a5705f, v2
	v_sub_f32_e32 v6, v6, v15
	v_add_f32_e32 v6, v6, v7
	v_exp_f32_e32 v6, v6
	v_cvt_i32_f32_e32 v7, v15
	s_mov_b32 s8, 0xc2ce8ed0
	v_cmp_ngt_f32_e32 vcc, s8, v2
	s_mov_b32 s8, 0x42b17218
	v_ldexp_f32 v6, v6, v7
	v_cndmask_b32_e32 v6, 0, v6, vcc
	v_mov_b32_e32 v7, 0x7f800000
	v_cmp_nlt_f32_e32 vcc, s8, v2
	v_cndmask_b32_e32 v48, v7, v6, vcc
	v_add_f32_e32 v2, 1.0, v48
	v_add_f32_e32 v6, -1.0, v2
	v_sub_f32_e32 v7, v6, v2
	v_add_f32_e32 v7, 1.0, v7
	v_sub_f32_e32 v6, v48, v6
	v_add_f32_e32 v15, v6, v7
	v_frexp_mant_f32_e32 v16, v2
	s_mov_b32 s8, 0x3f2aaaab
	v_cvt_f64_f32_e32 v[6:7], v2
	v_frexp_exp_i32_f64_e32 v6, v[6:7]
	v_cmp_gt_f32_e32 vcc, s8, v16
	v_subbrev_co_u32_e32 v66, vcc, 0, v6, vcc
	v_sub_u32_e32 v6, 0, v66
	v_ldexp_f32 v2, v2, v6
	v_ldexp_f32 v6, v15, v6
	v_add_f32_e32 v15, -1.0, v2
	v_add_f32_e32 v7, 1.0, v15
	v_sub_f32_e32 v7, v2, v7
	v_add_f32_e32 v16, v6, v7
	v_add_f32_e32 v7, 1.0, v2
	v_add_f32_e32 v17, -1.0, v7
	v_sub_f32_e32 v2, v2, v17
	v_add_f32_e32 v2, v6, v2
	v_add_f32_e32 v67, v7, v2
	v_rcp_f32_e32 v68, v67
	v_sub_f32_e32 v6, v7, v67
	v_add_f32_e32 v7, v15, v16
	v_add_f32_e32 v2, v2, v6
	v_sub_f32_e32 v6, v15, v7
	v_mul_f32_e32 v69, v7, v68
	v_add_f32_e32 v15, v16, v6
	v_mul_f32_e32 v16, v67, v69
	v_fma_f32 v20, v69, v67, -v16
	v_fmac_f32_e32 v20, v69, v2
	v_add_f32_e32 v6, v16, v20
	v_sub_f32_e32 v17, v7, v6
	v_pk_add_f32 v[22:23], v[6:7], v[16:17] neg_lo:[0,1] neg_hi:[0,1]
	v_mov_b32_e32 v21, v6
	v_pk_add_f32 v[6:7], v[22:23], v[20:21] neg_lo:[0,1] neg_hi:[0,1]
	v_add_f32_e32 v7, v15, v7
	v_add_f32_e32 v6, v6, v7
	;; [unrolled: 1-line block ×3, first 2 shown]
	v_mul_f32_e32 v15, v68, v7
	v_mul_f32_e32 v16, v67, v15
	v_fma_f32 v20, v15, v67, -v16
	v_fmac_f32_e32 v20, v15, v2
	v_sub_f32_e32 v2, v17, v7
	v_add_f32_e32 v2, v6, v2
	v_add_f32_e32 v6, v16, v20
	v_sub_f32_e32 v17, v7, v6
	v_pk_add_f32 v[22:23], v[6:7], v[16:17] neg_lo:[0,1] neg_hi:[0,1]
	v_mov_b32_e32 v21, v6
	v_pk_add_f32 v[6:7], v[22:23], v[20:21] neg_lo:[0,1] neg_hi:[0,1]
	v_add_f32_e32 v2, v2, v7
	v_add_f32_e32 v2, v6, v2
	v_add_f32_e32 v6, v69, v15
	v_add_f32_e32 v2, v17, v2
	v_sub_f32_e32 v7, v6, v69
	v_mul_f32_e32 v2, v68, v2
	v_sub_f32_e32 v7, v15, v7
	v_add_f32_e32 v2, v7, v2
	v_add_f32_e32 v15, v6, v2
	v_mul_f32_e32 v17, v15, v15
	v_mov_b32_e32 v16, 0x3ecc95a3
	v_fmac_f32_e32 v16, 0x3e9b6dac, v17
	v_mov_b32_e32 v7, 0x3f2aaada
	v_fmac_f32_e32 v7, v17, v16
	v_cvt_f32_i32_e32 v16, v66
	v_sub_f32_e32 v6, v15, v6
	v_sub_f32_e32 v2, v2, v6
	v_mul_f32_e32 v17, v15, v17
	v_mov_b32_e32 v6, 0x3f317218
	s_mov_b32 s8, 0x3f317218
	v_pk_mul_f32 v[6:7], v[16:17], v[6:7]
	v_fma_f32 v20, v16, s8, -v6
	v_ldexp_f32 v21, v15, 1
	v_fmac_f32_e32 v20, 0xb102e308, v16
	v_pk_add_f32 v[16:17], v[6:7], v[20:21]
	v_sub_f32_e32 v15, v17, v21
	v_ldexp_f32 v2, v2, 1
	v_sub_f32_e32 v15, v7, v15
	v_add_f32_e32 v23, v2, v15
	v_mov_b32_e32 v22, v6
	v_pk_add_f32 v[6:7], v[16:17], v[6:7] neg_lo:[0,1] neg_hi:[0,1]
	v_pk_add_f32 v[66:67], v[16:17], v[22:23]
	v_mov_b32_e32 v7, v67
	v_mov_b32_e32 v21, v16
	v_pk_add_f32 v[68:69], v[20:21], v[6:7] neg_lo:[0,1] neg_hi:[0,1]
	v_pk_add_f32 v[6:7], v[20:21], v[6:7]
	v_mov_b32_e32 v2, v7
	v_pk_add_f32 v[20:21], v[2:3], v[16:17] neg_lo:[0,1] neg_hi:[0,1]
	v_mov_b32_e32 v15, v20
	v_pk_add_f32 v[70:71], v[66:67], v[14:15] neg_lo:[0,1] neg_hi:[0,1]
	v_mov_b32_e32 v6, v67
	v_mov_b32_e32 v66, v17
	;; [unrolled: 1-line block ×4, first 2 shown]
	v_pk_add_f32 v[6:7], v[6:7], v[66:67] neg_lo:[0,1] neg_hi:[0,1]
	v_mov_b32_e32 v20, v23
	v_mov_b32_e32 v21, v16
	v_pk_add_f32 v[6:7], v[20:21], v[6:7] neg_lo:[0,1] neg_hi:[0,1]
	v_mov_b32_e32 v70, v68
	v_pk_add_f32 v[16:17], v[70:71], v[6:7]
	v_mov_b32_e32 v20, v17
	v_pk_add_f32 v[20:21], v[16:17], v[20:21]
	v_pk_add_f32 v[22:23], v[2:3], v[20:21]
	v_mov_b32_e32 v17, v22
	v_pk_add_f32 v[66:67], v[16:17], v[68:69] neg_lo:[0,1] neg_hi:[0,1]
	v_mov_b32_e32 v7, v20
	v_sub_f32_e32 v2, v16, v66
	v_pk_add_f32 v[6:7], v[6:7], v[66:67] neg_lo:[0,1] neg_hi:[0,1]
	v_sub_f32_e32 v2, v68, v2
	s_mov_b32 s9, 0x7f800000
	v_add_f32_e32 v2, v6, v2
	s_mov_b32 s8, 0x33800000
	v_add_f32_e32 v2, v2, v7
	v_cmp_eq_f32_e32 vcc, s9, v48
	v_cmp_lt_f32_e64 s[8:9], |v48|, s8
	v_add_f32_e32 v2, v22, v2
	s_or_b64 vcc, vcc, s[8:9]
	v_cndmask_b32_e32 v2, v2, v48, vcc
	v_add_f32_e32 v2, v3, v2
	v_cvt_f16_f32_e32 v15, v2
	v_cvt_f32_f16_e32 v2, v15
	v_mov_b32_e32 v66, v15
.LBB353_354:
	s_or_b64 exec, exec, s[6:7]
	v_max_f32_e32 v3, v52, v52
	v_max_f32_e32 v7, v2, v2
	v_min_f32_e32 v6, v7, v3
	v_cmp_u_f16_e32 vcc, v15, v15
	v_max_f32_e32 v3, v7, v3
	v_cndmask_b32_e32 v6, v6, v2, vcc
	v_cndmask_b32_e32 v3, v3, v2, vcc
	v_cndmask_b32_e64 v6, v6, v52, s[30:31]
	v_cndmask_b32_e64 v3, v3, v52, s[30:31]
	s_movk_i32 s8, 0x1f8
	v_cmp_neq_f32_e32 vcc, v6, v3
	v_cmp_class_f32_e64 s[6:7], v6, s8
	s_or_b64 s[10:11], vcc, s[6:7]
	v_mov_b32_e32 v52, v66
	s_and_saveexec_b64 s[6:7], s[10:11]
	s_cbranch_execz .LBB353_356
; %bb.355:
	v_sub_f32_e32 v2, v6, v3
	s_mov_b32 s9, 0x3fb8aa3b
	v_mul_f32_e32 v6, 0x3fb8aa3b, v2
	v_fma_f32 v7, v2, s9, -v6
	v_rndne_f32_e32 v15, v6
	v_fmac_f32_e32 v7, 0x32a5705f, v2
	v_sub_f32_e32 v6, v6, v15
	v_add_f32_e32 v6, v6, v7
	v_exp_f32_e32 v6, v6
	v_cvt_i32_f32_e32 v7, v15
	s_mov_b32 s9, 0xc2ce8ed0
	v_cmp_ngt_f32_e32 vcc, s9, v2
	s_mov_b32 s9, 0x42b17218
	v_ldexp_f32 v6, v6, v7
	v_cndmask_b32_e32 v6, 0, v6, vcc
	v_mov_b32_e32 v7, 0x7f800000
	v_cmp_nlt_f32_e32 vcc, s9, v2
	v_cndmask_b32_e32 v48, v7, v6, vcc
	v_add_f32_e32 v2, 1.0, v48
	v_add_f32_e32 v6, -1.0, v2
	v_sub_f32_e32 v7, v6, v2
	v_add_f32_e32 v7, 1.0, v7
	v_sub_f32_e32 v6, v48, v6
	v_add_f32_e32 v15, v6, v7
	v_frexp_mant_f32_e32 v16, v2
	s_mov_b32 s9, 0x3f2aaaab
	v_cvt_f64_f32_e32 v[6:7], v2
	v_frexp_exp_i32_f64_e32 v6, v[6:7]
	v_cmp_gt_f32_e32 vcc, s9, v16
	v_subbrev_co_u32_e32 v52, vcc, 0, v6, vcc
	v_sub_u32_e32 v6, 0, v52
	v_ldexp_f32 v2, v2, v6
	v_ldexp_f32 v6, v15, v6
	v_add_f32_e32 v15, -1.0, v2
	v_add_f32_e32 v7, 1.0, v15
	v_sub_f32_e32 v7, v2, v7
	v_add_f32_e32 v16, v6, v7
	v_add_f32_e32 v7, 1.0, v2
	v_add_f32_e32 v17, -1.0, v7
	v_sub_f32_e32 v2, v2, v17
	v_add_f32_e32 v2, v6, v2
	v_add_f32_e32 v67, v7, v2
	v_rcp_f32_e32 v68, v67
	v_sub_f32_e32 v6, v7, v67
	v_add_f32_e32 v7, v15, v16
	v_add_f32_e32 v2, v2, v6
	v_sub_f32_e32 v6, v15, v7
	v_mul_f32_e32 v69, v7, v68
	v_add_f32_e32 v15, v16, v6
	v_mul_f32_e32 v16, v67, v69
	v_fma_f32 v20, v69, v67, -v16
	v_fmac_f32_e32 v20, v69, v2
	v_add_f32_e32 v6, v16, v20
	v_sub_f32_e32 v17, v7, v6
	v_pk_add_f32 v[22:23], v[6:7], v[16:17] neg_lo:[0,1] neg_hi:[0,1]
	v_mov_b32_e32 v21, v6
	v_pk_add_f32 v[6:7], v[22:23], v[20:21] neg_lo:[0,1] neg_hi:[0,1]
	v_add_f32_e32 v7, v15, v7
	v_add_f32_e32 v6, v6, v7
	;; [unrolled: 1-line block ×3, first 2 shown]
	v_mul_f32_e32 v15, v68, v7
	v_mul_f32_e32 v16, v67, v15
	v_fma_f32 v20, v15, v67, -v16
	v_fmac_f32_e32 v20, v15, v2
	v_sub_f32_e32 v2, v17, v7
	v_add_f32_e32 v2, v6, v2
	v_add_f32_e32 v6, v16, v20
	v_sub_f32_e32 v17, v7, v6
	v_pk_add_f32 v[22:23], v[6:7], v[16:17] neg_lo:[0,1] neg_hi:[0,1]
	v_mov_b32_e32 v21, v6
	v_pk_add_f32 v[6:7], v[22:23], v[20:21] neg_lo:[0,1] neg_hi:[0,1]
	v_add_f32_e32 v2, v2, v7
	v_add_f32_e32 v2, v6, v2
	;; [unrolled: 1-line block ×4, first 2 shown]
	v_sub_f32_e32 v7, v6, v69
	v_mul_f32_e32 v2, v68, v2
	v_sub_f32_e32 v7, v15, v7
	v_add_f32_e32 v2, v7, v2
	v_add_f32_e32 v15, v6, v2
	v_mul_f32_e32 v17, v15, v15
	v_mov_b32_e32 v16, 0x3ecc95a3
	v_fmac_f32_e32 v16, 0x3e9b6dac, v17
	v_mov_b32_e32 v7, 0x3f2aaada
	v_fmac_f32_e32 v7, v17, v16
	v_cvt_f32_i32_e32 v16, v52
	v_sub_f32_e32 v6, v15, v6
	v_sub_f32_e32 v2, v2, v6
	v_mul_f32_e32 v17, v15, v17
	v_mov_b32_e32 v6, 0x3f317218
	s_mov_b32 s9, 0x3f317218
	v_pk_mul_f32 v[6:7], v[16:17], v[6:7]
	v_fma_f32 v20, v16, s9, -v6
	v_ldexp_f32 v21, v15, 1
	v_fmac_f32_e32 v20, 0xb102e308, v16
	v_pk_add_f32 v[16:17], v[6:7], v[20:21]
	v_sub_f32_e32 v15, v17, v21
	v_ldexp_f32 v2, v2, 1
	v_sub_f32_e32 v15, v7, v15
	v_add_f32_e32 v23, v2, v15
	v_mov_b32_e32 v22, v6
	v_pk_add_f32 v[6:7], v[16:17], v[6:7] neg_lo:[0,1] neg_hi:[0,1]
	v_pk_add_f32 v[68:69], v[16:17], v[22:23]
	v_mov_b32_e32 v7, v69
	v_mov_b32_e32 v21, v16
	v_pk_add_f32 v[70:71], v[20:21], v[6:7] neg_lo:[0,1] neg_hi:[0,1]
	v_pk_add_f32 v[6:7], v[20:21], v[6:7]
	v_mov_b32_e32 v2, v7
	v_pk_add_f32 v[20:21], v[2:3], v[16:17] neg_lo:[0,1] neg_hi:[0,1]
	v_mov_b32_e32 v15, v20
	v_pk_add_f32 v[80:81], v[68:69], v[14:15] neg_lo:[0,1] neg_hi:[0,1]
	v_mov_b32_e32 v6, v69
	v_mov_b32_e32 v68, v17
	;; [unrolled: 1-line block ×4, first 2 shown]
	v_pk_add_f32 v[6:7], v[6:7], v[68:69] neg_lo:[0,1] neg_hi:[0,1]
	v_mov_b32_e32 v20, v23
	v_mov_b32_e32 v21, v16
	v_pk_add_f32 v[6:7], v[20:21], v[6:7] neg_lo:[0,1] neg_hi:[0,1]
	v_mov_b32_e32 v80, v70
	v_pk_add_f32 v[16:17], v[80:81], v[6:7]
	v_mov_b32_e32 v20, v17
	v_pk_add_f32 v[20:21], v[16:17], v[20:21]
	v_pk_add_f32 v[22:23], v[2:3], v[20:21]
	v_mov_b32_e32 v17, v22
	v_pk_add_f32 v[68:69], v[16:17], v[70:71] neg_lo:[0,1] neg_hi:[0,1]
	v_mov_b32_e32 v7, v20
	v_sub_f32_e32 v2, v16, v68
	v_pk_add_f32 v[6:7], v[6:7], v[68:69] neg_lo:[0,1] neg_hi:[0,1]
	v_sub_f32_e32 v2, v70, v2
	s_mov_b32 s10, 0x7f800000
	v_add_f32_e32 v2, v6, v2
	s_mov_b32 s9, 0x33800000
	v_add_f32_e32 v2, v2, v7
	v_cmp_eq_f32_e32 vcc, s10, v48
	v_cmp_lt_f32_e64 s[10:11], |v48|, s9
	v_add_f32_e32 v2, v22, v2
	s_or_b64 vcc, vcc, s[10:11]
	v_cndmask_b32_e32 v2, v2, v48, vcc
	v_add_f32_e32 v2, v3, v2
	v_cvt_f16_f32_e32 v15, v2
	v_cvt_f32_f16_e32 v2, v15
	v_mov_b32_e32 v52, v15
.LBB353_356:
	s_or_b64 exec, exec, s[6:7]
	v_max_f32_e32 v3, v18, v18
	v_max_f32_e32 v7, v2, v2
	v_min_f32_e32 v6, v7, v3
	v_cmp_u_f16_e32 vcc, v15, v15
	v_max_f32_e32 v3, v7, v3
	v_cndmask_b32_e32 v6, v6, v2, vcc
	v_cndmask_b32_e32 v3, v3, v2, vcc
	v_cndmask_b32_e64 v6, v6, v18, s[34:35]
	v_cndmask_b32_e64 v3, v3, v18, s[34:35]
	v_cmp_neq_f32_e32 vcc, v6, v3
	v_cmp_class_f32_e64 s[6:7], v6, s8
	s_or_b64 s[8:9], vcc, s[6:7]
	v_mov_b32_e32 v67, v52
	s_and_saveexec_b64 s[6:7], s[8:9]
	s_cbranch_execz .LBB353_358
; %bb.357:
	v_sub_f32_e32 v2, v6, v3
	s_mov_b32 s8, 0x3fb8aa3b
	v_mul_f32_e32 v6, 0x3fb8aa3b, v2
	v_fma_f32 v7, v2, s8, -v6
	v_rndne_f32_e32 v15, v6
	v_fmac_f32_e32 v7, 0x32a5705f, v2
	v_sub_f32_e32 v6, v6, v15
	v_add_f32_e32 v6, v6, v7
	v_exp_f32_e32 v6, v6
	v_cvt_i32_f32_e32 v7, v15
	s_mov_b32 s8, 0xc2ce8ed0
	v_cmp_ngt_f32_e32 vcc, s8, v2
	s_mov_b32 s8, 0x42b17218
	v_ldexp_f32 v6, v6, v7
	v_cndmask_b32_e32 v6, 0, v6, vcc
	v_mov_b32_e32 v7, 0x7f800000
	v_cmp_nlt_f32_e32 vcc, s8, v2
	v_cndmask_b32_e32 v48, v7, v6, vcc
	v_add_f32_e32 v2, 1.0, v48
	v_add_f32_e32 v6, -1.0, v2
	v_sub_f32_e32 v7, v6, v2
	v_add_f32_e32 v7, 1.0, v7
	v_sub_f32_e32 v6, v48, v6
	v_add_f32_e32 v15, v6, v7
	v_frexp_mant_f32_e32 v16, v2
	s_mov_b32 s8, 0x3f2aaaab
	v_cvt_f64_f32_e32 v[6:7], v2
	v_frexp_exp_i32_f64_e32 v6, v[6:7]
	v_cmp_gt_f32_e32 vcc, s8, v16
	v_subbrev_co_u32_e32 v18, vcc, 0, v6, vcc
	v_sub_u32_e32 v6, 0, v18
	v_ldexp_f32 v2, v2, v6
	v_ldexp_f32 v6, v15, v6
	v_add_f32_e32 v15, -1.0, v2
	v_add_f32_e32 v7, 1.0, v15
	v_sub_f32_e32 v7, v2, v7
	v_add_f32_e32 v16, v6, v7
	v_add_f32_e32 v7, 1.0, v2
	v_add_f32_e32 v17, -1.0, v7
	v_sub_f32_e32 v2, v2, v17
	v_add_f32_e32 v2, v6, v2
	v_add_f32_e32 v67, v7, v2
	v_rcp_f32_e32 v68, v67
	v_sub_f32_e32 v6, v7, v67
	v_add_f32_e32 v7, v15, v16
	v_add_f32_e32 v2, v2, v6
	v_sub_f32_e32 v6, v15, v7
	v_mul_f32_e32 v69, v7, v68
	v_add_f32_e32 v15, v16, v6
	v_mul_f32_e32 v16, v67, v69
	v_fma_f32 v20, v69, v67, -v16
	v_fmac_f32_e32 v20, v69, v2
	v_add_f32_e32 v6, v16, v20
	v_sub_f32_e32 v17, v7, v6
	v_pk_add_f32 v[22:23], v[6:7], v[16:17] neg_lo:[0,1] neg_hi:[0,1]
	v_mov_b32_e32 v21, v6
	v_pk_add_f32 v[6:7], v[22:23], v[20:21] neg_lo:[0,1] neg_hi:[0,1]
	v_add_f32_e32 v7, v15, v7
	v_add_f32_e32 v6, v6, v7
	;; [unrolled: 1-line block ×3, first 2 shown]
	v_mul_f32_e32 v15, v68, v7
	v_mul_f32_e32 v16, v67, v15
	v_fma_f32 v20, v15, v67, -v16
	v_fmac_f32_e32 v20, v15, v2
	v_sub_f32_e32 v2, v17, v7
	v_add_f32_e32 v2, v6, v2
	v_add_f32_e32 v6, v16, v20
	v_sub_f32_e32 v17, v7, v6
	v_pk_add_f32 v[22:23], v[6:7], v[16:17] neg_lo:[0,1] neg_hi:[0,1]
	v_mov_b32_e32 v21, v6
	v_pk_add_f32 v[6:7], v[22:23], v[20:21] neg_lo:[0,1] neg_hi:[0,1]
	v_add_f32_e32 v2, v2, v7
	v_add_f32_e32 v2, v6, v2
	;; [unrolled: 1-line block ×4, first 2 shown]
	v_sub_f32_e32 v7, v6, v69
	v_mul_f32_e32 v2, v68, v2
	v_sub_f32_e32 v7, v15, v7
	v_add_f32_e32 v2, v7, v2
	v_add_f32_e32 v15, v6, v2
	v_mul_f32_e32 v17, v15, v15
	v_mov_b32_e32 v16, 0x3ecc95a3
	v_fmac_f32_e32 v16, 0x3e9b6dac, v17
	v_mov_b32_e32 v7, 0x3f2aaada
	v_fmac_f32_e32 v7, v17, v16
	v_cvt_f32_i32_e32 v16, v18
	v_sub_f32_e32 v6, v15, v6
	v_sub_f32_e32 v2, v2, v6
	v_mul_f32_e32 v17, v15, v17
	v_mov_b32_e32 v6, 0x3f317218
	s_mov_b32 s8, 0x3f317218
	v_pk_mul_f32 v[6:7], v[16:17], v[6:7]
	v_fma_f32 v20, v16, s8, -v6
	v_ldexp_f32 v21, v15, 1
	v_fmac_f32_e32 v20, 0xb102e308, v16
	v_pk_add_f32 v[16:17], v[6:7], v[20:21]
	v_sub_f32_e32 v15, v17, v21
	v_ldexp_f32 v2, v2, 1
	v_sub_f32_e32 v15, v7, v15
	v_add_f32_e32 v23, v2, v15
	v_mov_b32_e32 v22, v6
	v_pk_add_f32 v[6:7], v[16:17], v[6:7] neg_lo:[0,1] neg_hi:[0,1]
	v_pk_add_f32 v[68:69], v[16:17], v[22:23]
	v_mov_b32_e32 v7, v69
	v_mov_b32_e32 v21, v16
	v_pk_add_f32 v[70:71], v[20:21], v[6:7] neg_lo:[0,1] neg_hi:[0,1]
	v_pk_add_f32 v[6:7], v[20:21], v[6:7]
	v_mov_b32_e32 v2, v7
	v_pk_add_f32 v[20:21], v[2:3], v[16:17] neg_lo:[0,1] neg_hi:[0,1]
	v_mov_b32_e32 v15, v20
	v_pk_add_f32 v[80:81], v[68:69], v[14:15] neg_lo:[0,1] neg_hi:[0,1]
	v_mov_b32_e32 v6, v69
	v_mov_b32_e32 v68, v17
	;; [unrolled: 1-line block ×4, first 2 shown]
	v_pk_add_f32 v[6:7], v[6:7], v[68:69] neg_lo:[0,1] neg_hi:[0,1]
	v_mov_b32_e32 v20, v23
	v_mov_b32_e32 v21, v16
	v_pk_add_f32 v[6:7], v[20:21], v[6:7] neg_lo:[0,1] neg_hi:[0,1]
	v_mov_b32_e32 v80, v70
	v_pk_add_f32 v[16:17], v[80:81], v[6:7]
	v_mov_b32_e32 v18, v17
	v_pk_add_f32 v[20:21], v[16:17], v[18:19]
	v_pk_add_f32 v[22:23], v[2:3], v[20:21]
	v_mov_b32_e32 v17, v22
	v_pk_add_f32 v[68:69], v[16:17], v[70:71] neg_lo:[0,1] neg_hi:[0,1]
	v_mov_b32_e32 v7, v20
	v_sub_f32_e32 v2, v16, v68
	v_pk_add_f32 v[6:7], v[6:7], v[68:69] neg_lo:[0,1] neg_hi:[0,1]
	v_sub_f32_e32 v2, v70, v2
	s_mov_b32 s9, 0x7f800000
	v_add_f32_e32 v2, v6, v2
	s_mov_b32 s8, 0x33800000
	v_add_f32_e32 v2, v2, v7
	v_cmp_eq_f32_e32 vcc, s9, v48
	v_cmp_lt_f32_e64 s[8:9], |v48|, s8
	v_add_f32_e32 v2, v22, v2
	s_or_b64 vcc, vcc, s[8:9]
	v_cndmask_b32_e32 v2, v2, v48, vcc
	v_add_f32_e32 v2, v3, v2
	v_cvt_f16_f32_e32 v15, v2
	v_cvt_f32_f16_e32 v2, v15
	v_mov_b32_e32 v67, v15
.LBB353_358:
	s_or_b64 exec, exec, s[6:7]
	v_max_f32_e32 v3, v53, v53
	v_max_f32_e32 v7, v2, v2
	v_min_f32_e32 v6, v7, v3
	v_cmp_u_f16_e32 vcc, v15, v15
	v_max_f32_e32 v3, v7, v3
	v_cndmask_b32_e32 v6, v6, v2, vcc
	v_cndmask_b32_e32 v3, v3, v2, vcc
	v_cndmask_b32_e64 v6, v6, v53, s[36:37]
	v_cndmask_b32_e64 v3, v3, v53, s[36:37]
	s_movk_i32 s8, 0x1f8
	v_cmp_neq_f32_e32 vcc, v6, v3
	v_cmp_class_f32_e64 s[6:7], v6, s8
	s_or_b64 s[10:11], vcc, s[6:7]
	v_mov_b32_e32 v53, v67
	s_and_saveexec_b64 s[6:7], s[10:11]
	s_cbranch_execz .LBB353_360
; %bb.359:
	v_sub_f32_e32 v2, v6, v3
	s_mov_b32 s9, 0x3fb8aa3b
	v_mul_f32_e32 v6, 0x3fb8aa3b, v2
	v_fma_f32 v7, v2, s9, -v6
	v_rndne_f32_e32 v15, v6
	v_fmac_f32_e32 v7, 0x32a5705f, v2
	v_sub_f32_e32 v6, v6, v15
	v_add_f32_e32 v6, v6, v7
	v_exp_f32_e32 v6, v6
	v_cvt_i32_f32_e32 v7, v15
	s_mov_b32 s9, 0xc2ce8ed0
	v_cmp_ngt_f32_e32 vcc, s9, v2
	s_mov_b32 s9, 0x42b17218
	v_ldexp_f32 v6, v6, v7
	v_cndmask_b32_e32 v6, 0, v6, vcc
	v_mov_b32_e32 v7, 0x7f800000
	v_cmp_nlt_f32_e32 vcc, s9, v2
	v_cndmask_b32_e32 v48, v7, v6, vcc
	v_add_f32_e32 v2, 1.0, v48
	v_add_f32_e32 v6, -1.0, v2
	v_sub_f32_e32 v7, v6, v2
	v_add_f32_e32 v7, 1.0, v7
	v_sub_f32_e32 v6, v48, v6
	v_add_f32_e32 v15, v6, v7
	v_frexp_mant_f32_e32 v16, v2
	s_mov_b32 s9, 0x3f2aaaab
	v_cvt_f64_f32_e32 v[6:7], v2
	v_frexp_exp_i32_f64_e32 v6, v[6:7]
	v_cmp_gt_f32_e32 vcc, s9, v16
	v_subbrev_co_u32_e32 v18, vcc, 0, v6, vcc
	v_sub_u32_e32 v6, 0, v18
	v_ldexp_f32 v2, v2, v6
	v_ldexp_f32 v6, v15, v6
	v_add_f32_e32 v15, -1.0, v2
	v_add_f32_e32 v7, 1.0, v15
	v_sub_f32_e32 v7, v2, v7
	v_add_f32_e32 v16, v6, v7
	v_add_f32_e32 v7, 1.0, v2
	v_add_f32_e32 v17, -1.0, v7
	v_sub_f32_e32 v2, v2, v17
	v_add_f32_e32 v2, v6, v2
	v_add_f32_e32 v53, v7, v2
	v_rcp_f32_e32 v68, v53
	v_sub_f32_e32 v6, v7, v53
	v_add_f32_e32 v7, v15, v16
	v_add_f32_e32 v2, v2, v6
	v_sub_f32_e32 v6, v15, v7
	v_mul_f32_e32 v69, v7, v68
	v_add_f32_e32 v15, v16, v6
	v_mul_f32_e32 v16, v53, v69
	v_fma_f32 v20, v69, v53, -v16
	v_fmac_f32_e32 v20, v69, v2
	v_add_f32_e32 v6, v16, v20
	v_sub_f32_e32 v17, v7, v6
	v_pk_add_f32 v[22:23], v[6:7], v[16:17] neg_lo:[0,1] neg_hi:[0,1]
	v_mov_b32_e32 v21, v6
	v_pk_add_f32 v[6:7], v[22:23], v[20:21] neg_lo:[0,1] neg_hi:[0,1]
	v_add_f32_e32 v7, v15, v7
	v_add_f32_e32 v6, v6, v7
	;; [unrolled: 1-line block ×3, first 2 shown]
	v_mul_f32_e32 v15, v68, v7
	v_mul_f32_e32 v16, v53, v15
	v_fma_f32 v20, v15, v53, -v16
	v_fmac_f32_e32 v20, v15, v2
	v_sub_f32_e32 v2, v17, v7
	v_add_f32_e32 v2, v6, v2
	v_add_f32_e32 v6, v16, v20
	v_sub_f32_e32 v17, v7, v6
	v_pk_add_f32 v[22:23], v[6:7], v[16:17] neg_lo:[0,1] neg_hi:[0,1]
	v_mov_b32_e32 v21, v6
	v_pk_add_f32 v[6:7], v[22:23], v[20:21] neg_lo:[0,1] neg_hi:[0,1]
	v_add_f32_e32 v2, v2, v7
	v_add_f32_e32 v2, v6, v2
	;; [unrolled: 1-line block ×4, first 2 shown]
	v_sub_f32_e32 v7, v6, v69
	v_mul_f32_e32 v2, v68, v2
	v_sub_f32_e32 v7, v15, v7
	v_add_f32_e32 v2, v7, v2
	v_add_f32_e32 v15, v6, v2
	v_mul_f32_e32 v17, v15, v15
	v_mov_b32_e32 v16, 0x3ecc95a3
	v_fmac_f32_e32 v16, 0x3e9b6dac, v17
	v_mov_b32_e32 v7, 0x3f2aaada
	v_fmac_f32_e32 v7, v17, v16
	v_cvt_f32_i32_e32 v16, v18
	v_sub_f32_e32 v6, v15, v6
	v_sub_f32_e32 v2, v2, v6
	v_mul_f32_e32 v17, v15, v17
	v_mov_b32_e32 v6, 0x3f317218
	s_mov_b32 s9, 0x3f317218
	v_pk_mul_f32 v[6:7], v[16:17], v[6:7]
	v_fma_f32 v20, v16, s9, -v6
	v_ldexp_f32 v21, v15, 1
	v_fmac_f32_e32 v20, 0xb102e308, v16
	v_pk_add_f32 v[16:17], v[6:7], v[20:21]
	v_sub_f32_e32 v15, v17, v21
	v_ldexp_f32 v2, v2, 1
	v_sub_f32_e32 v15, v7, v15
	v_add_f32_e32 v23, v2, v15
	v_mov_b32_e32 v22, v6
	v_pk_add_f32 v[6:7], v[16:17], v[6:7] neg_lo:[0,1] neg_hi:[0,1]
	v_pk_add_f32 v[68:69], v[16:17], v[22:23]
	v_mov_b32_e32 v7, v69
	v_mov_b32_e32 v21, v16
	v_pk_add_f32 v[70:71], v[20:21], v[6:7] neg_lo:[0,1] neg_hi:[0,1]
	v_pk_add_f32 v[6:7], v[20:21], v[6:7]
	v_mov_b32_e32 v2, v7
	v_pk_add_f32 v[20:21], v[2:3], v[16:17] neg_lo:[0,1] neg_hi:[0,1]
	v_mov_b32_e32 v15, v20
	v_pk_add_f32 v[80:81], v[68:69], v[14:15] neg_lo:[0,1] neg_hi:[0,1]
	v_mov_b32_e32 v6, v69
	v_mov_b32_e32 v68, v17
	;; [unrolled: 1-line block ×4, first 2 shown]
	v_pk_add_f32 v[6:7], v[6:7], v[68:69] neg_lo:[0,1] neg_hi:[0,1]
	v_mov_b32_e32 v20, v23
	v_mov_b32_e32 v21, v16
	v_pk_add_f32 v[6:7], v[20:21], v[6:7] neg_lo:[0,1] neg_hi:[0,1]
	v_mov_b32_e32 v80, v70
	v_pk_add_f32 v[16:17], v[80:81], v[6:7]
	v_mov_b32_e32 v18, v17
	v_pk_add_f32 v[20:21], v[16:17], v[18:19]
	v_pk_add_f32 v[22:23], v[2:3], v[20:21]
	v_mov_b32_e32 v17, v22
	v_pk_add_f32 v[68:69], v[16:17], v[70:71] neg_lo:[0,1] neg_hi:[0,1]
	v_mov_b32_e32 v7, v20
	v_sub_f32_e32 v2, v16, v68
	v_pk_add_f32 v[6:7], v[6:7], v[68:69] neg_lo:[0,1] neg_hi:[0,1]
	v_sub_f32_e32 v2, v70, v2
	s_mov_b32 s10, 0x7f800000
	v_add_f32_e32 v2, v6, v2
	s_mov_b32 s9, 0x33800000
	v_add_f32_e32 v2, v2, v7
	v_cmp_eq_f32_e32 vcc, s10, v48
	v_cmp_lt_f32_e64 s[10:11], |v48|, s9
	v_add_f32_e32 v2, v22, v2
	s_or_b64 vcc, vcc, s[10:11]
	v_cndmask_b32_e32 v2, v2, v48, vcc
	v_add_f32_e32 v2, v3, v2
	v_cvt_f16_f32_e32 v15, v2
	v_cvt_f32_f16_e32 v2, v15
	v_mov_b32_e32 v53, v15
.LBB353_360:
	s_or_b64 exec, exec, s[6:7]
	v_max_f32_e32 v3, v19, v19
	v_max_f32_e32 v7, v2, v2
	v_min_f32_e32 v6, v7, v3
	v_cmp_u_f16_e32 vcc, v15, v15
	v_max_f32_e32 v3, v7, v3
	v_cndmask_b32_e32 v6, v6, v2, vcc
	v_cndmask_b32_e32 v3, v3, v2, vcc
	v_cndmask_b32_e64 v6, v6, v19, s[38:39]
	v_cndmask_b32_e64 v3, v3, v19, s[38:39]
	v_cmp_neq_f32_e32 vcc, v6, v3
	v_cmp_class_f32_e64 s[6:7], v6, s8
	s_or_b64 s[8:9], vcc, s[6:7]
	v_mov_b32_e32 v68, v53
	s_and_saveexec_b64 s[6:7], s[8:9]
	s_cbranch_execz .LBB353_362
; %bb.361:
	v_sub_f32_e32 v2, v6, v3
	s_mov_b32 s8, 0x3fb8aa3b
	v_mul_f32_e32 v6, 0x3fb8aa3b, v2
	v_fma_f32 v7, v2, s8, -v6
	v_rndne_f32_e32 v15, v6
	v_fmac_f32_e32 v7, 0x32a5705f, v2
	v_sub_f32_e32 v6, v6, v15
	v_add_f32_e32 v6, v6, v7
	v_exp_f32_e32 v6, v6
	v_cvt_i32_f32_e32 v7, v15
	s_mov_b32 s8, 0xc2ce8ed0
	v_cmp_ngt_f32_e32 vcc, s8, v2
	s_mov_b32 s8, 0x42b17218
	v_ldexp_f32 v6, v6, v7
	v_cndmask_b32_e32 v6, 0, v6, vcc
	v_mov_b32_e32 v7, 0x7f800000
	v_cmp_nlt_f32_e32 vcc, s8, v2
	v_cndmask_b32_e32 v48, v7, v6, vcc
	v_add_f32_e32 v2, 1.0, v48
	v_add_f32_e32 v6, -1.0, v2
	v_sub_f32_e32 v7, v6, v2
	v_add_f32_e32 v7, 1.0, v7
	v_sub_f32_e32 v6, v48, v6
	v_add_f32_e32 v15, v6, v7
	v_frexp_mant_f32_e32 v16, v2
	s_mov_b32 s8, 0x3f2aaaab
	v_cvt_f64_f32_e32 v[6:7], v2
	v_frexp_exp_i32_f64_e32 v6, v[6:7]
	v_cmp_gt_f32_e32 vcc, s8, v16
	v_subbrev_co_u32_e32 v22, vcc, 0, v6, vcc
	v_sub_u32_e32 v6, 0, v22
	v_ldexp_f32 v2, v2, v6
	v_ldexp_f32 v6, v15, v6
	v_add_f32_e32 v15, -1.0, v2
	v_add_f32_e32 v7, 1.0, v15
	v_sub_f32_e32 v7, v2, v7
	v_add_f32_e32 v16, v6, v7
	v_add_f32_e32 v7, 1.0, v2
	v_add_f32_e32 v17, -1.0, v7
	v_sub_f32_e32 v2, v2, v17
	v_add_f32_e32 v2, v6, v2
	v_add_f32_e32 v23, v7, v2
	v_rcp_f32_e32 v68, v23
	v_sub_f32_e32 v6, v7, v23
	v_add_f32_e32 v7, v15, v16
	v_add_f32_e32 v2, v2, v6
	v_sub_f32_e32 v6, v15, v7
	v_mul_f32_e32 v69, v7, v68
	v_add_f32_e32 v15, v16, v6
	v_mul_f32_e32 v16, v23, v69
	v_fma_f32 v18, v69, v23, -v16
	v_fmac_f32_e32 v18, v69, v2
	v_add_f32_e32 v6, v16, v18
	v_sub_f32_e32 v17, v7, v6
	v_pk_add_f32 v[20:21], v[6:7], v[16:17] neg_lo:[0,1] neg_hi:[0,1]
	v_mov_b32_e32 v19, v6
	v_pk_add_f32 v[6:7], v[20:21], v[18:19] neg_lo:[0,1] neg_hi:[0,1]
	v_add_f32_e32 v7, v15, v7
	v_add_f32_e32 v6, v6, v7
	;; [unrolled: 1-line block ×3, first 2 shown]
	v_mul_f32_e32 v15, v68, v7
	v_mul_f32_e32 v16, v23, v15
	v_fma_f32 v18, v15, v23, -v16
	v_fmac_f32_e32 v18, v15, v2
	v_sub_f32_e32 v2, v17, v7
	v_add_f32_e32 v2, v6, v2
	v_add_f32_e32 v6, v16, v18
	v_sub_f32_e32 v17, v7, v6
	v_pk_add_f32 v[20:21], v[6:7], v[16:17] neg_lo:[0,1] neg_hi:[0,1]
	v_mov_b32_e32 v19, v6
	v_pk_add_f32 v[6:7], v[20:21], v[18:19] neg_lo:[0,1] neg_hi:[0,1]
	v_add_f32_e32 v2, v2, v7
	v_add_f32_e32 v2, v6, v2
	;; [unrolled: 1-line block ×4, first 2 shown]
	v_sub_f32_e32 v7, v6, v69
	v_mul_f32_e32 v2, v68, v2
	v_sub_f32_e32 v7, v15, v7
	v_add_f32_e32 v2, v7, v2
	v_add_f32_e32 v15, v6, v2
	v_mul_f32_e32 v17, v15, v15
	v_mov_b32_e32 v16, 0x3ecc95a3
	v_fmac_f32_e32 v16, 0x3e9b6dac, v17
	v_mov_b32_e32 v7, 0x3f2aaada
	v_fmac_f32_e32 v7, v17, v16
	v_cvt_f32_i32_e32 v16, v22
	v_sub_f32_e32 v6, v15, v6
	v_sub_f32_e32 v2, v2, v6
	v_mul_f32_e32 v17, v15, v17
	v_mov_b32_e32 v6, 0x3f317218
	s_mov_b32 s8, 0x3f317218
	v_pk_mul_f32 v[6:7], v[16:17], v[6:7]
	v_fma_f32 v18, v16, s8, -v6
	v_ldexp_f32 v19, v15, 1
	v_fmac_f32_e32 v18, 0xb102e308, v16
	v_pk_add_f32 v[16:17], v[6:7], v[18:19]
	v_sub_f32_e32 v15, v17, v19
	v_ldexp_f32 v2, v2, 1
	v_sub_f32_e32 v15, v7, v15
	v_add_f32_e32 v21, v2, v15
	v_mov_b32_e32 v20, v6
	v_pk_add_f32 v[6:7], v[16:17], v[6:7] neg_lo:[0,1] neg_hi:[0,1]
	v_pk_add_f32 v[22:23], v[16:17], v[20:21]
	v_mov_b32_e32 v7, v23
	v_mov_b32_e32 v19, v16
	v_pk_add_f32 v[68:69], v[18:19], v[6:7] neg_lo:[0,1] neg_hi:[0,1]
	v_pk_add_f32 v[6:7], v[18:19], v[6:7]
	v_mov_b32_e32 v2, v7
	v_pk_add_f32 v[18:19], v[2:3], v[16:17] neg_lo:[0,1] neg_hi:[0,1]
	v_mov_b32_e32 v15, v18
	v_pk_add_f32 v[70:71], v[22:23], v[14:15] neg_lo:[0,1] neg_hi:[0,1]
	v_mov_b32_e32 v6, v23
	v_mov_b32_e32 v22, v17
	;; [unrolled: 1-line block ×4, first 2 shown]
	v_pk_add_f32 v[6:7], v[6:7], v[22:23] neg_lo:[0,1] neg_hi:[0,1]
	v_mov_b32_e32 v18, v21
	v_mov_b32_e32 v19, v16
	v_pk_add_f32 v[6:7], v[18:19], v[6:7] neg_lo:[0,1] neg_hi:[0,1]
	v_mov_b32_e32 v70, v68
	v_pk_add_f32 v[16:17], v[70:71], v[6:7]
	v_mov_b32_e32 v18, v17
	v_pk_add_f32 v[18:19], v[16:17], v[18:19]
	v_pk_add_f32 v[20:21], v[2:3], v[18:19]
	v_mov_b32_e32 v17, v20
	v_pk_add_f32 v[22:23], v[16:17], v[68:69] neg_lo:[0,1] neg_hi:[0,1]
	v_mov_b32_e32 v7, v18
	v_sub_f32_e32 v2, v16, v22
	v_pk_add_f32 v[6:7], v[6:7], v[22:23] neg_lo:[0,1] neg_hi:[0,1]
	v_sub_f32_e32 v2, v68, v2
	s_mov_b32 s9, 0x7f800000
	v_add_f32_e32 v2, v6, v2
	s_mov_b32 s8, 0x33800000
	v_add_f32_e32 v2, v2, v7
	v_cmp_eq_f32_e32 vcc, s9, v48
	v_cmp_lt_f32_e64 s[8:9], |v48|, s8
	v_add_f32_e32 v2, v20, v2
	s_or_b64 vcc, vcc, s[8:9]
	v_cndmask_b32_e32 v2, v2, v48, vcc
	v_add_f32_e32 v2, v3, v2
	v_cvt_f16_f32_e32 v15, v2
	v_cvt_f32_f16_e32 v2, v15
	v_mov_b32_e32 v68, v15
.LBB353_362:
	s_or_b64 exec, exec, s[6:7]
	v_max_f32_e32 v3, v54, v54
	v_max_f32_e32 v7, v2, v2
	v_min_f32_e32 v6, v7, v3
	v_cmp_u_f16_e32 vcc, v15, v15
	v_max_f32_e32 v3, v7, v3
	v_cndmask_b32_e32 v6, v6, v2, vcc
	v_cndmask_b32_e32 v3, v3, v2, vcc
	v_cndmask_b32_e64 v6, v6, v54, s[40:41]
	v_cndmask_b32_e64 v3, v3, v54, s[40:41]
	s_movk_i32 s8, 0x1f8
	v_cmp_neq_f32_e32 vcc, v6, v3
	v_cmp_class_f32_e64 s[6:7], v6, s8
	s_or_b64 s[10:11], vcc, s[6:7]
	v_mov_b32_e32 v54, v68
	s_and_saveexec_b64 s[6:7], s[10:11]
	s_cbranch_execz .LBB353_364
; %bb.363:
	v_sub_f32_e32 v2, v6, v3
	s_mov_b32 s9, 0x3fb8aa3b
	v_mul_f32_e32 v6, 0x3fb8aa3b, v2
	v_fma_f32 v7, v2, s9, -v6
	v_rndne_f32_e32 v15, v6
	v_fmac_f32_e32 v7, 0x32a5705f, v2
	v_sub_f32_e32 v6, v6, v15
	v_add_f32_e32 v6, v6, v7
	v_exp_f32_e32 v6, v6
	v_cvt_i32_f32_e32 v7, v15
	s_mov_b32 s9, 0xc2ce8ed0
	v_cmp_ngt_f32_e32 vcc, s9, v2
	s_mov_b32 s9, 0x42b17218
	v_ldexp_f32 v6, v6, v7
	v_cndmask_b32_e32 v6, 0, v6, vcc
	v_mov_b32_e32 v7, 0x7f800000
	v_cmp_nlt_f32_e32 vcc, s9, v2
	v_cndmask_b32_e32 v48, v7, v6, vcc
	v_add_f32_e32 v2, 1.0, v48
	v_add_f32_e32 v6, -1.0, v2
	v_sub_f32_e32 v7, v6, v2
	v_add_f32_e32 v7, 1.0, v7
	v_sub_f32_e32 v6, v48, v6
	v_add_f32_e32 v15, v6, v7
	v_frexp_mant_f32_e32 v16, v2
	s_mov_b32 s9, 0x3f2aaaab
	v_cvt_f64_f32_e32 v[6:7], v2
	v_frexp_exp_i32_f64_e32 v6, v[6:7]
	v_cmp_gt_f32_e32 vcc, s9, v16
	v_subbrev_co_u32_e32 v22, vcc, 0, v6, vcc
	v_sub_u32_e32 v6, 0, v22
	v_ldexp_f32 v2, v2, v6
	v_ldexp_f32 v6, v15, v6
	v_add_f32_e32 v15, -1.0, v2
	v_add_f32_e32 v7, 1.0, v15
	v_sub_f32_e32 v7, v2, v7
	v_add_f32_e32 v16, v6, v7
	v_add_f32_e32 v7, 1.0, v2
	v_add_f32_e32 v17, -1.0, v7
	v_sub_f32_e32 v2, v2, v17
	v_add_f32_e32 v2, v6, v2
	v_add_f32_e32 v23, v7, v2
	v_rcp_f32_e32 v54, v23
	v_sub_f32_e32 v6, v7, v23
	v_add_f32_e32 v7, v15, v16
	v_add_f32_e32 v2, v2, v6
	v_sub_f32_e32 v6, v15, v7
	v_mul_f32_e32 v69, v7, v54
	v_add_f32_e32 v15, v16, v6
	v_mul_f32_e32 v16, v23, v69
	v_fma_f32 v18, v69, v23, -v16
	v_fmac_f32_e32 v18, v69, v2
	v_add_f32_e32 v6, v16, v18
	v_sub_f32_e32 v17, v7, v6
	v_pk_add_f32 v[20:21], v[6:7], v[16:17] neg_lo:[0,1] neg_hi:[0,1]
	v_mov_b32_e32 v19, v6
	v_pk_add_f32 v[6:7], v[20:21], v[18:19] neg_lo:[0,1] neg_hi:[0,1]
	v_add_f32_e32 v7, v15, v7
	v_add_f32_e32 v6, v6, v7
	v_add_f32_e32 v7, v17, v6
	v_mul_f32_e32 v15, v54, v7
	v_mul_f32_e32 v16, v23, v15
	v_fma_f32 v18, v15, v23, -v16
	v_fmac_f32_e32 v18, v15, v2
	v_sub_f32_e32 v2, v17, v7
	v_add_f32_e32 v2, v6, v2
	v_add_f32_e32 v6, v16, v18
	v_sub_f32_e32 v17, v7, v6
	v_pk_add_f32 v[20:21], v[6:7], v[16:17] neg_lo:[0,1] neg_hi:[0,1]
	v_mov_b32_e32 v19, v6
	v_pk_add_f32 v[6:7], v[20:21], v[18:19] neg_lo:[0,1] neg_hi:[0,1]
	v_add_f32_e32 v2, v2, v7
	v_add_f32_e32 v2, v6, v2
	;; [unrolled: 1-line block ×4, first 2 shown]
	v_sub_f32_e32 v7, v6, v69
	v_mul_f32_e32 v2, v54, v2
	v_sub_f32_e32 v7, v15, v7
	v_add_f32_e32 v2, v7, v2
	v_add_f32_e32 v15, v6, v2
	v_mul_f32_e32 v17, v15, v15
	v_mov_b32_e32 v16, 0x3ecc95a3
	v_fmac_f32_e32 v16, 0x3e9b6dac, v17
	v_mov_b32_e32 v7, 0x3f2aaada
	v_fmac_f32_e32 v7, v17, v16
	v_cvt_f32_i32_e32 v16, v22
	v_sub_f32_e32 v6, v15, v6
	v_sub_f32_e32 v2, v2, v6
	v_mul_f32_e32 v17, v15, v17
	v_mov_b32_e32 v6, 0x3f317218
	s_mov_b32 s9, 0x3f317218
	v_pk_mul_f32 v[6:7], v[16:17], v[6:7]
	v_fma_f32 v18, v16, s9, -v6
	v_ldexp_f32 v19, v15, 1
	v_fmac_f32_e32 v18, 0xb102e308, v16
	v_pk_add_f32 v[16:17], v[6:7], v[18:19]
	v_sub_f32_e32 v15, v17, v19
	v_ldexp_f32 v2, v2, 1
	v_sub_f32_e32 v15, v7, v15
	v_add_f32_e32 v21, v2, v15
	v_mov_b32_e32 v20, v6
	v_pk_add_f32 v[6:7], v[16:17], v[6:7] neg_lo:[0,1] neg_hi:[0,1]
	v_pk_add_f32 v[22:23], v[16:17], v[20:21]
	v_mov_b32_e32 v7, v23
	v_mov_b32_e32 v19, v16
	v_pk_add_f32 v[70:71], v[18:19], v[6:7] neg_lo:[0,1] neg_hi:[0,1]
	v_pk_add_f32 v[6:7], v[18:19], v[6:7]
	v_mov_b32_e32 v2, v7
	v_pk_add_f32 v[18:19], v[2:3], v[16:17] neg_lo:[0,1] neg_hi:[0,1]
	v_mov_b32_e32 v15, v18
	v_pk_add_f32 v[80:81], v[22:23], v[14:15] neg_lo:[0,1] neg_hi:[0,1]
	v_mov_b32_e32 v6, v23
	v_mov_b32_e32 v22, v17
	;; [unrolled: 1-line block ×4, first 2 shown]
	v_pk_add_f32 v[6:7], v[6:7], v[22:23] neg_lo:[0,1] neg_hi:[0,1]
	v_mov_b32_e32 v18, v21
	v_mov_b32_e32 v19, v16
	v_pk_add_f32 v[6:7], v[18:19], v[6:7] neg_lo:[0,1] neg_hi:[0,1]
	v_mov_b32_e32 v80, v70
	v_pk_add_f32 v[16:17], v[80:81], v[6:7]
	v_mov_b32_e32 v18, v17
	v_pk_add_f32 v[18:19], v[16:17], v[18:19]
	v_pk_add_f32 v[20:21], v[2:3], v[18:19]
	v_mov_b32_e32 v17, v20
	v_pk_add_f32 v[22:23], v[16:17], v[70:71] neg_lo:[0,1] neg_hi:[0,1]
	v_mov_b32_e32 v7, v18
	v_sub_f32_e32 v2, v16, v22
	v_pk_add_f32 v[6:7], v[6:7], v[22:23] neg_lo:[0,1] neg_hi:[0,1]
	v_sub_f32_e32 v2, v70, v2
	s_mov_b32 s10, 0x7f800000
	v_add_f32_e32 v2, v6, v2
	s_mov_b32 s9, 0x33800000
	v_add_f32_e32 v2, v2, v7
	v_cmp_eq_f32_e32 vcc, s10, v48
	v_cmp_lt_f32_e64 s[10:11], |v48|, s9
	v_add_f32_e32 v2, v20, v2
	s_or_b64 vcc, vcc, s[10:11]
	v_cndmask_b32_e32 v2, v2, v48, vcc
	v_add_f32_e32 v2, v3, v2
	v_cvt_f16_f32_e32 v15, v2
	v_cvt_f32_f16_e32 v2, v15
	v_mov_b32_e32 v54, v15
.LBB353_364:
	s_or_b64 exec, exec, s[6:7]
	v_max_f32_e32 v3, v12, v12
	v_max_f32_e32 v7, v2, v2
	v_min_f32_e32 v6, v7, v3
	v_cmp_u_f16_e32 vcc, v15, v15
	v_max_f32_e32 v3, v7, v3
	v_cndmask_b32_e32 v6, v6, v2, vcc
	v_cndmask_b32_e32 v3, v3, v2, vcc
	v_cndmask_b32_e64 v6, v6, v12, s[42:43]
	v_cndmask_b32_e64 v3, v3, v12, s[42:43]
	v_cmp_neq_f32_e32 vcc, v6, v3
	v_cmp_class_f32_e64 s[6:7], v6, s8
	s_or_b64 s[8:9], vcc, s[6:7]
	v_mov_b32_e32 v69, v54
	s_and_saveexec_b64 s[6:7], s[8:9]
	s_cbranch_execz .LBB353_366
; %bb.365:
	v_sub_f32_e32 v2, v6, v3
	s_mov_b32 s8, 0x3fb8aa3b
	v_mul_f32_e32 v6, 0x3fb8aa3b, v2
	v_fma_f32 v7, v2, s8, -v6
	v_rndne_f32_e32 v12, v6
	v_fmac_f32_e32 v7, 0x32a5705f, v2
	v_sub_f32_e32 v6, v6, v12
	v_add_f32_e32 v6, v6, v7
	v_exp_f32_e32 v6, v6
	v_cvt_i32_f32_e32 v7, v12
	s_mov_b32 s8, 0xc2ce8ed0
	v_cmp_ngt_f32_e32 vcc, s8, v2
	s_mov_b32 s8, 0x42b17218
	v_ldexp_f32 v6, v6, v7
	v_cndmask_b32_e32 v6, 0, v6, vcc
	v_mov_b32_e32 v7, 0x7f800000
	v_cmp_nlt_f32_e32 vcc, s8, v2
	v_cndmask_b32_e32 v48, v7, v6, vcc
	v_add_f32_e32 v2, 1.0, v48
	v_add_f32_e32 v6, -1.0, v2
	v_sub_f32_e32 v7, v6, v2
	v_add_f32_e32 v7, 1.0, v7
	v_sub_f32_e32 v6, v48, v6
	v_add_f32_e32 v12, v6, v7
	v_frexp_mant_f32_e32 v15, v2
	s_mov_b32 s8, 0x3f2aaaab
	v_cvt_f64_f32_e32 v[6:7], v2
	v_frexp_exp_i32_f64_e32 v6, v[6:7]
	v_cmp_gt_f32_e32 vcc, s8, v15
	v_subbrev_co_u32_e32 v15, vcc, 0, v6, vcc
	v_sub_u32_e32 v6, 0, v15
	v_ldexp_f32 v2, v2, v6
	v_ldexp_f32 v6, v12, v6
	v_add_f32_e32 v12, -1.0, v2
	v_add_f32_e32 v7, 1.0, v12
	v_sub_f32_e32 v7, v2, v7
	v_add_f32_e32 v16, v6, v7
	v_add_f32_e32 v7, 1.0, v2
	v_add_f32_e32 v17, -1.0, v7
	v_sub_f32_e32 v2, v2, v17
	v_add_f32_e32 v2, v6, v2
	v_add_f32_e32 v22, v7, v2
	v_rcp_f32_e32 v23, v22
	v_sub_f32_e32 v6, v7, v22
	v_add_f32_e32 v7, v12, v16
	v_add_f32_e32 v2, v2, v6
	v_sub_f32_e32 v6, v12, v7
	v_mul_f32_e32 v69, v7, v23
	v_add_f32_e32 v12, v16, v6
	v_mul_f32_e32 v16, v22, v69
	v_fma_f32 v18, v69, v22, -v16
	v_fmac_f32_e32 v18, v69, v2
	v_add_f32_e32 v6, v16, v18
	v_sub_f32_e32 v17, v7, v6
	v_pk_add_f32 v[20:21], v[6:7], v[16:17] neg_lo:[0,1] neg_hi:[0,1]
	v_mov_b32_e32 v19, v6
	v_pk_add_f32 v[6:7], v[20:21], v[18:19] neg_lo:[0,1] neg_hi:[0,1]
	v_add_f32_e32 v7, v12, v7
	v_add_f32_e32 v6, v6, v7
	;; [unrolled: 1-line block ×3, first 2 shown]
	v_mul_f32_e32 v12, v23, v7
	v_mul_f32_e32 v16, v22, v12
	v_fma_f32 v18, v12, v22, -v16
	v_fmac_f32_e32 v18, v12, v2
	v_sub_f32_e32 v2, v17, v7
	v_add_f32_e32 v2, v6, v2
	v_add_f32_e32 v6, v16, v18
	v_sub_f32_e32 v17, v7, v6
	v_pk_add_f32 v[20:21], v[6:7], v[16:17] neg_lo:[0,1] neg_hi:[0,1]
	v_mov_b32_e32 v19, v6
	v_pk_add_f32 v[6:7], v[20:21], v[18:19] neg_lo:[0,1] neg_hi:[0,1]
	v_add_f32_e32 v2, v2, v7
	v_add_f32_e32 v2, v6, v2
	;; [unrolled: 1-line block ×4, first 2 shown]
	v_sub_f32_e32 v7, v6, v69
	v_mul_f32_e32 v2, v23, v2
	v_sub_f32_e32 v7, v12, v7
	v_add_f32_e32 v2, v7, v2
	v_add_f32_e32 v12, v6, v2
	v_mul_f32_e32 v17, v12, v12
	v_mov_b32_e32 v16, 0x3ecc95a3
	v_fmac_f32_e32 v16, 0x3e9b6dac, v17
	v_mov_b32_e32 v7, 0x3f2aaada
	v_fmac_f32_e32 v7, v17, v16
	v_cvt_f32_i32_e32 v16, v15
	v_sub_f32_e32 v6, v12, v6
	v_sub_f32_e32 v2, v2, v6
	v_mul_f32_e32 v17, v12, v17
	v_mov_b32_e32 v6, 0x3f317218
	s_mov_b32 s8, 0x3f317218
	v_pk_mul_f32 v[6:7], v[16:17], v[6:7]
	v_fma_f32 v18, v16, s8, -v6
	v_ldexp_f32 v19, v12, 1
	v_fmac_f32_e32 v18, 0xb102e308, v16
	v_pk_add_f32 v[16:17], v[6:7], v[18:19]
	v_sub_f32_e32 v12, v17, v19
	v_ldexp_f32 v2, v2, 1
	v_sub_f32_e32 v12, v7, v12
	v_add_f32_e32 v21, v2, v12
	v_mov_b32_e32 v20, v6
	v_pk_add_f32 v[6:7], v[16:17], v[6:7] neg_lo:[0,1] neg_hi:[0,1]
	v_pk_add_f32 v[22:23], v[16:17], v[20:21]
	v_mov_b32_e32 v7, v23
	v_mov_b32_e32 v19, v16
	v_pk_add_f32 v[70:71], v[18:19], v[6:7] neg_lo:[0,1] neg_hi:[0,1]
	v_pk_add_f32 v[6:7], v[18:19], v[6:7]
	v_mov_b32_e32 v2, v7
	v_pk_add_f32 v[18:19], v[2:3], v[16:17] neg_lo:[0,1] neg_hi:[0,1]
	v_mov_b32_e32 v15, v18
	v_pk_add_f32 v[80:81], v[22:23], v[14:15] neg_lo:[0,1] neg_hi:[0,1]
	v_mov_b32_e32 v6, v23
	v_mov_b32_e32 v22, v17
	;; [unrolled: 1-line block ×4, first 2 shown]
	v_pk_add_f32 v[6:7], v[6:7], v[22:23] neg_lo:[0,1] neg_hi:[0,1]
	v_mov_b32_e32 v18, v21
	v_mov_b32_e32 v19, v16
	v_pk_add_f32 v[6:7], v[18:19], v[6:7] neg_lo:[0,1] neg_hi:[0,1]
	v_mov_b32_e32 v80, v70
	v_pk_add_f32 v[16:17], v[80:81], v[6:7]
	v_mov_b32_e32 v12, v17
	v_pk_add_f32 v[18:19], v[16:17], v[12:13]
	v_pk_add_f32 v[20:21], v[2:3], v[18:19]
	v_mov_b32_e32 v17, v20
	v_pk_add_f32 v[22:23], v[16:17], v[70:71] neg_lo:[0,1] neg_hi:[0,1]
	v_mov_b32_e32 v7, v18
	v_sub_f32_e32 v2, v16, v22
	v_pk_add_f32 v[6:7], v[6:7], v[22:23] neg_lo:[0,1] neg_hi:[0,1]
	v_sub_f32_e32 v2, v70, v2
	s_mov_b32 s9, 0x7f800000
	v_add_f32_e32 v2, v6, v2
	s_mov_b32 s8, 0x33800000
	v_add_f32_e32 v2, v2, v7
	v_cmp_eq_f32_e32 vcc, s9, v48
	v_cmp_lt_f32_e64 s[8:9], |v48|, s8
	v_add_f32_e32 v2, v20, v2
	s_or_b64 vcc, vcc, s[8:9]
	v_cndmask_b32_e32 v2, v2, v48, vcc
	v_add_f32_e32 v2, v3, v2
	v_cvt_f16_f32_e32 v15, v2
	v_cvt_f32_f16_e32 v2, v15
	v_mov_b32_e32 v69, v15
.LBB353_366:
	s_or_b64 exec, exec, s[6:7]
	v_max_f32_e32 v3, v55, v55
	v_max_f32_e32 v7, v2, v2
	v_min_f32_e32 v6, v7, v3
	v_cmp_u_f16_e32 vcc, v15, v15
	v_max_f32_e32 v3, v7, v3
	v_cndmask_b32_e32 v6, v6, v2, vcc
	v_cndmask_b32_e32 v3, v3, v2, vcc
	v_cndmask_b32_e64 v6, v6, v55, s[44:45]
	v_cndmask_b32_e64 v3, v3, v55, s[44:45]
	s_movk_i32 s8, 0x1f8
	v_cmp_neq_f32_e32 vcc, v6, v3
	v_cmp_class_f32_e64 s[6:7], v6, s8
	s_or_b64 s[10:11], vcc, s[6:7]
	v_mov_b32_e32 v55, v69
	s_and_saveexec_b64 s[6:7], s[10:11]
	s_cbranch_execz .LBB353_368
; %bb.367:
	v_sub_f32_e32 v2, v6, v3
	s_mov_b32 s9, 0x3fb8aa3b
	v_mul_f32_e32 v6, 0x3fb8aa3b, v2
	v_fma_f32 v7, v2, s9, -v6
	v_rndne_f32_e32 v12, v6
	v_fmac_f32_e32 v7, 0x32a5705f, v2
	v_sub_f32_e32 v6, v6, v12
	v_add_f32_e32 v6, v6, v7
	v_exp_f32_e32 v6, v6
	v_cvt_i32_f32_e32 v7, v12
	s_mov_b32 s9, 0xc2ce8ed0
	v_cmp_ngt_f32_e32 vcc, s9, v2
	s_mov_b32 s9, 0x42b17218
	v_ldexp_f32 v6, v6, v7
	v_cndmask_b32_e32 v6, 0, v6, vcc
	v_mov_b32_e32 v7, 0x7f800000
	v_cmp_nlt_f32_e32 vcc, s9, v2
	v_cndmask_b32_e32 v48, v7, v6, vcc
	v_add_f32_e32 v2, 1.0, v48
	v_add_f32_e32 v6, -1.0, v2
	v_sub_f32_e32 v7, v6, v2
	v_add_f32_e32 v7, 1.0, v7
	v_sub_f32_e32 v6, v48, v6
	v_add_f32_e32 v12, v6, v7
	v_frexp_mant_f32_e32 v15, v2
	s_mov_b32 s9, 0x3f2aaaab
	v_cvt_f64_f32_e32 v[6:7], v2
	v_frexp_exp_i32_f64_e32 v6, v[6:7]
	v_cmp_gt_f32_e32 vcc, s9, v15
	v_subbrev_co_u32_e32 v15, vcc, 0, v6, vcc
	v_sub_u32_e32 v6, 0, v15
	v_ldexp_f32 v2, v2, v6
	v_ldexp_f32 v6, v12, v6
	v_add_f32_e32 v12, -1.0, v2
	v_add_f32_e32 v7, 1.0, v12
	v_sub_f32_e32 v7, v2, v7
	v_add_f32_e32 v16, v6, v7
	v_add_f32_e32 v7, 1.0, v2
	v_add_f32_e32 v17, -1.0, v7
	v_sub_f32_e32 v2, v2, v17
	v_add_f32_e32 v2, v6, v2
	v_add_f32_e32 v22, v7, v2
	v_rcp_f32_e32 v23, v22
	v_sub_f32_e32 v6, v7, v22
	v_add_f32_e32 v7, v12, v16
	v_add_f32_e32 v2, v2, v6
	v_sub_f32_e32 v6, v12, v7
	v_mul_f32_e32 v55, v7, v23
	v_add_f32_e32 v12, v16, v6
	v_mul_f32_e32 v16, v22, v55
	v_fma_f32 v18, v55, v22, -v16
	v_fmac_f32_e32 v18, v55, v2
	v_add_f32_e32 v6, v16, v18
	v_sub_f32_e32 v17, v7, v6
	v_pk_add_f32 v[20:21], v[6:7], v[16:17] neg_lo:[0,1] neg_hi:[0,1]
	v_mov_b32_e32 v19, v6
	v_pk_add_f32 v[6:7], v[20:21], v[18:19] neg_lo:[0,1] neg_hi:[0,1]
	v_add_f32_e32 v7, v12, v7
	v_add_f32_e32 v6, v6, v7
	;; [unrolled: 1-line block ×3, first 2 shown]
	v_mul_f32_e32 v12, v23, v7
	v_mul_f32_e32 v16, v22, v12
	v_fma_f32 v18, v12, v22, -v16
	v_fmac_f32_e32 v18, v12, v2
	v_sub_f32_e32 v2, v17, v7
	v_add_f32_e32 v2, v6, v2
	v_add_f32_e32 v6, v16, v18
	v_sub_f32_e32 v17, v7, v6
	v_pk_add_f32 v[20:21], v[6:7], v[16:17] neg_lo:[0,1] neg_hi:[0,1]
	v_mov_b32_e32 v19, v6
	v_pk_add_f32 v[6:7], v[20:21], v[18:19] neg_lo:[0,1] neg_hi:[0,1]
	v_add_f32_e32 v2, v2, v7
	v_add_f32_e32 v2, v6, v2
	;; [unrolled: 1-line block ×4, first 2 shown]
	v_sub_f32_e32 v7, v6, v55
	v_mul_f32_e32 v2, v23, v2
	v_sub_f32_e32 v7, v12, v7
	v_add_f32_e32 v2, v7, v2
	v_add_f32_e32 v12, v6, v2
	v_mul_f32_e32 v17, v12, v12
	v_mov_b32_e32 v16, 0x3ecc95a3
	v_fmac_f32_e32 v16, 0x3e9b6dac, v17
	v_mov_b32_e32 v7, 0x3f2aaada
	v_fmac_f32_e32 v7, v17, v16
	v_cvt_f32_i32_e32 v16, v15
	v_sub_f32_e32 v6, v12, v6
	v_sub_f32_e32 v2, v2, v6
	v_mul_f32_e32 v17, v12, v17
	v_mov_b32_e32 v6, 0x3f317218
	s_mov_b32 s9, 0x3f317218
	v_pk_mul_f32 v[6:7], v[16:17], v[6:7]
	v_fma_f32 v18, v16, s9, -v6
	v_ldexp_f32 v19, v12, 1
	v_fmac_f32_e32 v18, 0xb102e308, v16
	v_pk_add_f32 v[16:17], v[6:7], v[18:19]
	v_sub_f32_e32 v12, v17, v19
	v_ldexp_f32 v2, v2, 1
	v_sub_f32_e32 v12, v7, v12
	v_add_f32_e32 v21, v2, v12
	v_mov_b32_e32 v20, v6
	v_pk_add_f32 v[6:7], v[16:17], v[6:7] neg_lo:[0,1] neg_hi:[0,1]
	v_pk_add_f32 v[22:23], v[16:17], v[20:21]
	v_mov_b32_e32 v7, v23
	v_mov_b32_e32 v19, v16
	v_pk_add_f32 v[70:71], v[18:19], v[6:7] neg_lo:[0,1] neg_hi:[0,1]
	v_pk_add_f32 v[6:7], v[18:19], v[6:7]
	v_mov_b32_e32 v2, v7
	v_pk_add_f32 v[18:19], v[2:3], v[16:17] neg_lo:[0,1] neg_hi:[0,1]
	v_mov_b32_e32 v15, v18
	v_pk_add_f32 v[80:81], v[22:23], v[14:15] neg_lo:[0,1] neg_hi:[0,1]
	v_mov_b32_e32 v6, v23
	v_mov_b32_e32 v22, v17
	;; [unrolled: 1-line block ×4, first 2 shown]
	v_pk_add_f32 v[6:7], v[6:7], v[22:23] neg_lo:[0,1] neg_hi:[0,1]
	v_mov_b32_e32 v18, v21
	v_mov_b32_e32 v19, v16
	v_pk_add_f32 v[6:7], v[18:19], v[6:7] neg_lo:[0,1] neg_hi:[0,1]
	v_mov_b32_e32 v80, v70
	v_pk_add_f32 v[16:17], v[80:81], v[6:7]
	v_mov_b32_e32 v12, v17
	v_pk_add_f32 v[18:19], v[16:17], v[12:13]
	v_pk_add_f32 v[20:21], v[2:3], v[18:19]
	v_mov_b32_e32 v17, v20
	v_pk_add_f32 v[22:23], v[16:17], v[70:71] neg_lo:[0,1] neg_hi:[0,1]
	v_mov_b32_e32 v7, v18
	v_sub_f32_e32 v2, v16, v22
	v_pk_add_f32 v[6:7], v[6:7], v[22:23] neg_lo:[0,1] neg_hi:[0,1]
	v_sub_f32_e32 v2, v70, v2
	s_mov_b32 s10, 0x7f800000
	v_add_f32_e32 v2, v6, v2
	s_mov_b32 s9, 0x33800000
	v_add_f32_e32 v2, v2, v7
	v_cmp_eq_f32_e32 vcc, s10, v48
	v_cmp_lt_f32_e64 s[10:11], |v48|, s9
	v_add_f32_e32 v2, v20, v2
	s_or_b64 vcc, vcc, s[10:11]
	v_cndmask_b32_e32 v2, v2, v48, vcc
	v_add_f32_e32 v2, v3, v2
	v_cvt_f16_f32_e32 v15, v2
	v_cvt_f32_f16_e32 v2, v15
	v_mov_b32_e32 v55, v15
.LBB353_368:
	s_or_b64 exec, exec, s[6:7]
	v_max_f32_e32 v3, v13, v13
	v_max_f32_e32 v7, v2, v2
	v_min_f32_e32 v6, v7, v3
	v_cmp_u_f16_e32 vcc, v15, v15
	v_max_f32_e32 v3, v7, v3
	v_cndmask_b32_e32 v6, v6, v2, vcc
	v_cndmask_b32_e32 v3, v3, v2, vcc
	v_cndmask_b32_e64 v6, v6, v13, s[46:47]
	v_cndmask_b32_e64 v3, v3, v13, s[46:47]
	v_cmp_neq_f32_e32 vcc, v6, v3
	v_cmp_class_f32_e64 s[6:7], v6, s8
	s_or_b64 s[8:9], vcc, s[6:7]
	v_mov_b32_e32 v70, v55
	s_and_saveexec_b64 s[6:7], s[8:9]
	s_cbranch_execz .LBB353_370
; %bb.369:
	v_sub_f32_e32 v2, v6, v3
	s_mov_b32 s8, 0x3fb8aa3b
	v_mul_f32_e32 v6, 0x3fb8aa3b, v2
	v_fma_f32 v7, v2, s8, -v6
	v_rndne_f32_e32 v12, v6
	v_fmac_f32_e32 v7, 0x32a5705f, v2
	v_sub_f32_e32 v6, v6, v12
	v_add_f32_e32 v6, v6, v7
	v_exp_f32_e32 v6, v6
	v_cvt_i32_f32_e32 v7, v12
	s_mov_b32 s8, 0xc2ce8ed0
	v_cmp_ngt_f32_e32 vcc, s8, v2
	s_mov_b32 s8, 0x42b17218
	v_ldexp_f32 v6, v6, v7
	v_cndmask_b32_e32 v6, 0, v6, vcc
	v_mov_b32_e32 v7, 0x7f800000
	v_cmp_nlt_f32_e32 vcc, s8, v2
	v_cndmask_b32_e32 v48, v7, v6, vcc
	v_add_f32_e32 v2, 1.0, v48
	v_add_f32_e32 v6, -1.0, v2
	v_sub_f32_e32 v7, v6, v2
	v_add_f32_e32 v7, 1.0, v7
	v_sub_f32_e32 v6, v48, v6
	v_add_f32_e32 v12, v6, v7
	v_frexp_mant_f32_e32 v13, v2
	s_mov_b32 s8, 0x3f2aaaab
	v_cvt_f64_f32_e32 v[6:7], v2
	v_frexp_exp_i32_f64_e32 v6, v[6:7]
	v_cmp_gt_f32_e32 vcc, s8, v13
	v_subbrev_co_u32_e32 v15, vcc, 0, v6, vcc
	v_sub_u32_e32 v6, 0, v15
	v_ldexp_f32 v2, v2, v6
	v_ldexp_f32 v6, v12, v6
	v_add_f32_e32 v12, -1.0, v2
	v_add_f32_e32 v7, 1.0, v12
	v_sub_f32_e32 v7, v2, v7
	v_add_f32_e32 v13, v6, v7
	v_add_f32_e32 v7, 1.0, v2
	v_add_f32_e32 v16, -1.0, v7
	v_sub_f32_e32 v2, v2, v16
	v_add_f32_e32 v2, v6, v2
	v_add_f32_e32 v20, v7, v2
	v_rcp_f32_e32 v21, v20
	v_sub_f32_e32 v6, v7, v20
	v_add_f32_e32 v7, v12, v13
	v_add_f32_e32 v2, v2, v6
	v_mul_f32_e32 v23, v7, v21
	v_sub_f32_e32 v6, v12, v7
	v_mul_f32_e32 v12, v20, v23
	v_fma_f32 v16, v23, v20, -v12
	v_fmac_f32_e32 v16, v23, v2
	v_add_f32_e32 v22, v13, v6
	v_add_f32_e32 v6, v12, v16
	v_sub_f32_e32 v13, v7, v6
	v_pk_add_f32 v[18:19], v[6:7], v[12:13] neg_lo:[0,1] neg_hi:[0,1]
	v_mov_b32_e32 v17, v6
	v_pk_add_f32 v[6:7], v[18:19], v[16:17] neg_lo:[0,1] neg_hi:[0,1]
	v_add_f32_e32 v7, v22, v7
	v_add_f32_e32 v6, v6, v7
	;; [unrolled: 1-line block ×3, first 2 shown]
	v_mul_f32_e32 v22, v21, v7
	v_mul_f32_e32 v12, v20, v22
	v_fma_f32 v16, v22, v20, -v12
	v_fmac_f32_e32 v16, v22, v2
	v_sub_f32_e32 v2, v13, v7
	v_add_f32_e32 v2, v6, v2
	v_add_f32_e32 v6, v12, v16
	v_sub_f32_e32 v13, v7, v6
	v_pk_add_f32 v[18:19], v[6:7], v[12:13] neg_lo:[0,1] neg_hi:[0,1]
	v_mov_b32_e32 v17, v6
	v_pk_add_f32 v[6:7], v[18:19], v[16:17] neg_lo:[0,1] neg_hi:[0,1]
	v_add_f32_e32 v2, v2, v7
	v_add_f32_e32 v2, v6, v2
	;; [unrolled: 1-line block ×4, first 2 shown]
	v_sub_f32_e32 v7, v6, v23
	v_mul_f32_e32 v2, v21, v2
	v_sub_f32_e32 v7, v22, v7
	v_add_f32_e32 v2, v7, v2
	v_add_f32_e32 v13, v6, v2
	v_mul_f32_e32 v16, v13, v13
	v_mov_b32_e32 v12, 0x3ecc95a3
	v_fmac_f32_e32 v12, 0x3e9b6dac, v16
	v_mov_b32_e32 v7, 0x3f2aaada
	v_fmac_f32_e32 v7, v16, v12
	v_cvt_f32_i32_e32 v12, v15
	v_sub_f32_e32 v6, v13, v6
	v_sub_f32_e32 v2, v2, v6
	v_ldexp_f32 v17, v13, 1
	v_mul_f32_e32 v13, v13, v16
	v_mov_b32_e32 v6, 0x3f317218
	s_mov_b32 s8, 0x3f317218
	v_pk_mul_f32 v[6:7], v[12:13], v[6:7]
	v_fma_f32 v16, v12, s8, -v6
	v_fmac_f32_e32 v16, 0xb102e308, v12
	v_pk_add_f32 v[12:13], v[6:7], v[16:17]
	v_sub_f32_e32 v15, v13, v17
	v_ldexp_f32 v2, v2, 1
	v_sub_f32_e32 v15, v7, v15
	v_add_f32_e32 v19, v2, v15
	v_mov_b32_e32 v18, v6
	v_pk_add_f32 v[6:7], v[12:13], v[6:7] neg_lo:[0,1] neg_hi:[0,1]
	v_pk_add_f32 v[20:21], v[12:13], v[18:19]
	v_mov_b32_e32 v7, v21
	v_mov_b32_e32 v17, v12
	v_pk_add_f32 v[22:23], v[16:17], v[6:7] neg_lo:[0,1] neg_hi:[0,1]
	v_pk_add_f32 v[6:7], v[16:17], v[6:7]
	v_mov_b32_e32 v2, v7
	v_pk_add_f32 v[16:17], v[2:3], v[12:13] neg_lo:[0,1] neg_hi:[0,1]
	v_mov_b32_e32 v15, v16
	v_pk_add_f32 v[70:71], v[20:21], v[14:15] neg_lo:[0,1] neg_hi:[0,1]
	v_mov_b32_e32 v6, v21
	v_mov_b32_e32 v20, v13
	;; [unrolled: 1-line block ×4, first 2 shown]
	v_pk_add_f32 v[6:7], v[6:7], v[20:21] neg_lo:[0,1] neg_hi:[0,1]
	v_mov_b32_e32 v16, v19
	v_mov_b32_e32 v17, v12
	v_pk_add_f32 v[6:7], v[16:17], v[6:7] neg_lo:[0,1] neg_hi:[0,1]
	v_mov_b32_e32 v70, v22
	v_pk_add_f32 v[12:13], v[70:71], v[6:7]
	v_mov_b32_e32 v16, v13
	v_pk_add_f32 v[16:17], v[12:13], v[16:17]
	v_pk_add_f32 v[18:19], v[2:3], v[16:17]
	v_mov_b32_e32 v13, v18
	v_pk_add_f32 v[20:21], v[12:13], v[22:23] neg_lo:[0,1] neg_hi:[0,1]
	v_mov_b32_e32 v7, v16
	v_sub_f32_e32 v2, v12, v20
	v_pk_add_f32 v[6:7], v[6:7], v[20:21] neg_lo:[0,1] neg_hi:[0,1]
	v_sub_f32_e32 v2, v22, v2
	s_mov_b32 s9, 0x7f800000
	v_add_f32_e32 v2, v6, v2
	s_mov_b32 s8, 0x33800000
	v_add_f32_e32 v2, v2, v7
	v_cmp_eq_f32_e32 vcc, s9, v48
	v_cmp_lt_f32_e64 s[8:9], |v48|, s8
	v_add_f32_e32 v2, v18, v2
	s_or_b64 vcc, vcc, s[8:9]
	v_cndmask_b32_e32 v2, v2, v48, vcc
	v_add_f32_e32 v2, v3, v2
	v_cvt_f16_f32_e32 v15, v2
	v_cvt_f32_f16_e32 v2, v15
	v_mov_b32_e32 v70, v15
.LBB353_370:
	s_or_b64 exec, exec, s[6:7]
	v_max_f32_e32 v3, v64, v64
	v_max_f32_e32 v7, v2, v2
	v_min_f32_e32 v6, v7, v3
	v_cmp_u_f16_e32 vcc, v15, v15
	v_max_f32_e32 v3, v7, v3
	v_cndmask_b32_e32 v6, v6, v2, vcc
	v_cndmask_b32_e32 v3, v3, v2, vcc
	v_cndmask_b32_e64 v6, v6, v64, s[48:49]
	v_cndmask_b32_e64 v3, v3, v64, s[48:49]
	s_movk_i32 s8, 0x1f8
	v_cmp_neq_f32_e32 vcc, v6, v3
	v_cmp_class_f32_e64 s[6:7], v6, s8
	s_or_b64 s[10:11], vcc, s[6:7]
	v_mov_b32_e32 v64, v70
	s_and_saveexec_b64 s[6:7], s[10:11]
	s_cbranch_execz .LBB353_372
; %bb.371:
	v_sub_f32_e32 v2, v6, v3
	s_mov_b32 s9, 0x3fb8aa3b
	v_mul_f32_e32 v6, 0x3fb8aa3b, v2
	v_fma_f32 v7, v2, s9, -v6
	v_rndne_f32_e32 v12, v6
	v_fmac_f32_e32 v7, 0x32a5705f, v2
	v_sub_f32_e32 v6, v6, v12
	v_add_f32_e32 v6, v6, v7
	v_exp_f32_e32 v6, v6
	v_cvt_i32_f32_e32 v7, v12
	s_mov_b32 s9, 0xc2ce8ed0
	v_cmp_ngt_f32_e32 vcc, s9, v2
	s_mov_b32 s9, 0x42b17218
	v_ldexp_f32 v6, v6, v7
	v_cndmask_b32_e32 v6, 0, v6, vcc
	v_mov_b32_e32 v7, 0x7f800000
	v_cmp_nlt_f32_e32 vcc, s9, v2
	v_cndmask_b32_e32 v48, v7, v6, vcc
	v_add_f32_e32 v2, 1.0, v48
	v_add_f32_e32 v6, -1.0, v2
	v_sub_f32_e32 v7, v6, v2
	v_add_f32_e32 v7, 1.0, v7
	v_sub_f32_e32 v6, v48, v6
	v_add_f32_e32 v12, v6, v7
	v_frexp_mant_f32_e32 v13, v2
	s_mov_b32 s9, 0x3f2aaaab
	v_cvt_f64_f32_e32 v[6:7], v2
	v_frexp_exp_i32_f64_e32 v6, v[6:7]
	v_cmp_gt_f32_e32 vcc, s9, v13
	v_subbrev_co_u32_e32 v15, vcc, 0, v6, vcc
	v_sub_u32_e32 v6, 0, v15
	v_ldexp_f32 v2, v2, v6
	v_ldexp_f32 v6, v12, v6
	v_add_f32_e32 v12, -1.0, v2
	v_add_f32_e32 v7, 1.0, v12
	v_sub_f32_e32 v7, v2, v7
	v_add_f32_e32 v13, v6, v7
	v_add_f32_e32 v7, 1.0, v2
	v_add_f32_e32 v16, -1.0, v7
	v_sub_f32_e32 v2, v2, v16
	v_add_f32_e32 v2, v6, v2
	v_add_f32_e32 v20, v7, v2
	v_rcp_f32_e32 v21, v20
	v_sub_f32_e32 v6, v7, v20
	v_add_f32_e32 v7, v12, v13
	v_add_f32_e32 v2, v2, v6
	v_mul_f32_e32 v23, v7, v21
	v_sub_f32_e32 v6, v12, v7
	v_mul_f32_e32 v12, v20, v23
	v_fma_f32 v16, v23, v20, -v12
	v_fmac_f32_e32 v16, v23, v2
	v_add_f32_e32 v22, v13, v6
	v_add_f32_e32 v6, v12, v16
	v_sub_f32_e32 v13, v7, v6
	v_pk_add_f32 v[18:19], v[6:7], v[12:13] neg_lo:[0,1] neg_hi:[0,1]
	v_mov_b32_e32 v17, v6
	v_pk_add_f32 v[6:7], v[18:19], v[16:17] neg_lo:[0,1] neg_hi:[0,1]
	v_add_f32_e32 v7, v22, v7
	v_add_f32_e32 v6, v6, v7
	;; [unrolled: 1-line block ×3, first 2 shown]
	v_mul_f32_e32 v22, v21, v7
	v_mul_f32_e32 v12, v20, v22
	v_fma_f32 v16, v22, v20, -v12
	v_fmac_f32_e32 v16, v22, v2
	v_sub_f32_e32 v2, v13, v7
	v_add_f32_e32 v2, v6, v2
	v_add_f32_e32 v6, v12, v16
	v_sub_f32_e32 v13, v7, v6
	v_pk_add_f32 v[18:19], v[6:7], v[12:13] neg_lo:[0,1] neg_hi:[0,1]
	v_mov_b32_e32 v17, v6
	v_pk_add_f32 v[6:7], v[18:19], v[16:17] neg_lo:[0,1] neg_hi:[0,1]
	v_add_f32_e32 v2, v2, v7
	v_add_f32_e32 v2, v6, v2
	;; [unrolled: 1-line block ×4, first 2 shown]
	v_sub_f32_e32 v7, v6, v23
	v_mul_f32_e32 v2, v21, v2
	v_sub_f32_e32 v7, v22, v7
	v_add_f32_e32 v2, v7, v2
	v_add_f32_e32 v13, v6, v2
	v_mul_f32_e32 v16, v13, v13
	v_mov_b32_e32 v12, 0x3ecc95a3
	v_fmac_f32_e32 v12, 0x3e9b6dac, v16
	v_mov_b32_e32 v7, 0x3f2aaada
	v_fmac_f32_e32 v7, v16, v12
	v_cvt_f32_i32_e32 v12, v15
	v_sub_f32_e32 v6, v13, v6
	v_sub_f32_e32 v2, v2, v6
	v_ldexp_f32 v17, v13, 1
	v_mul_f32_e32 v13, v13, v16
	v_mov_b32_e32 v6, 0x3f317218
	s_mov_b32 s9, 0x3f317218
	v_pk_mul_f32 v[6:7], v[12:13], v[6:7]
	v_fma_f32 v16, v12, s9, -v6
	v_fmac_f32_e32 v16, 0xb102e308, v12
	v_pk_add_f32 v[12:13], v[6:7], v[16:17]
	v_sub_f32_e32 v15, v13, v17
	v_ldexp_f32 v2, v2, 1
	v_sub_f32_e32 v15, v7, v15
	v_add_f32_e32 v19, v2, v15
	v_mov_b32_e32 v18, v6
	v_pk_add_f32 v[6:7], v[12:13], v[6:7] neg_lo:[0,1] neg_hi:[0,1]
	v_pk_add_f32 v[20:21], v[12:13], v[18:19]
	v_mov_b32_e32 v7, v21
	v_mov_b32_e32 v17, v12
	v_pk_add_f32 v[22:23], v[16:17], v[6:7] neg_lo:[0,1] neg_hi:[0,1]
	v_pk_add_f32 v[6:7], v[16:17], v[6:7]
	v_mov_b32_e32 v2, v7
	v_pk_add_f32 v[16:17], v[2:3], v[12:13] neg_lo:[0,1] neg_hi:[0,1]
	v_mov_b32_e32 v15, v16
	v_pk_add_f32 v[80:81], v[20:21], v[14:15] neg_lo:[0,1] neg_hi:[0,1]
	v_mov_b32_e32 v6, v21
	v_mov_b32_e32 v20, v13
	;; [unrolled: 1-line block ×4, first 2 shown]
	v_pk_add_f32 v[6:7], v[6:7], v[20:21] neg_lo:[0,1] neg_hi:[0,1]
	v_mov_b32_e32 v16, v19
	v_mov_b32_e32 v17, v12
	v_pk_add_f32 v[6:7], v[16:17], v[6:7] neg_lo:[0,1] neg_hi:[0,1]
	v_mov_b32_e32 v80, v22
	v_pk_add_f32 v[12:13], v[80:81], v[6:7]
	v_mov_b32_e32 v16, v13
	v_pk_add_f32 v[16:17], v[12:13], v[16:17]
	v_pk_add_f32 v[18:19], v[2:3], v[16:17]
	v_mov_b32_e32 v13, v18
	v_pk_add_f32 v[20:21], v[12:13], v[22:23] neg_lo:[0,1] neg_hi:[0,1]
	v_mov_b32_e32 v7, v16
	v_sub_f32_e32 v2, v12, v20
	v_pk_add_f32 v[6:7], v[6:7], v[20:21] neg_lo:[0,1] neg_hi:[0,1]
	v_sub_f32_e32 v2, v22, v2
	s_mov_b32 s10, 0x7f800000
	v_add_f32_e32 v2, v6, v2
	s_mov_b32 s9, 0x33800000
	v_add_f32_e32 v2, v2, v7
	v_cmp_eq_f32_e32 vcc, s10, v48
	v_cmp_lt_f32_e64 s[10:11], |v48|, s9
	v_add_f32_e32 v2, v18, v2
	s_or_b64 vcc, vcc, s[10:11]
	v_cndmask_b32_e32 v2, v2, v48, vcc
	v_add_f32_e32 v2, v3, v2
	v_cvt_f16_f32_e32 v15, v2
	v_cvt_f32_f16_e32 v2, v15
	v_mov_b32_e32 v64, v15
.LBB353_372:
	s_or_b64 exec, exec, s[6:7]
	v_max_f32_e32 v3, v14, v14
	v_max_f32_e32 v7, v2, v2
	v_min_f32_e32 v6, v7, v3
	v_cmp_u_f16_e32 vcc, v15, v15
	v_max_f32_e32 v3, v7, v3
	v_cndmask_b32_e32 v6, v6, v2, vcc
	v_cndmask_b32_e32 v3, v3, v2, vcc
	v_cndmask_b32_e64 v6, v6, v14, s[50:51]
	v_cndmask_b32_e64 v3, v3, v14, s[50:51]
	v_cmp_neq_f32_e32 vcc, v6, v3
	v_cmp_class_f32_e64 s[6:7], v6, s8
	s_or_b64 s[8:9], vcc, s[6:7]
	v_mov_b32_e32 v71, v64
	s_and_saveexec_b64 s[6:7], s[8:9]
	s_cbranch_execz .LBB353_374
; %bb.373:
	v_sub_f32_e32 v2, v6, v3
	s_mov_b32 s8, 0x3fb8aa3b
	v_mul_f32_e32 v6, 0x3fb8aa3b, v2
	v_fma_f32 v7, v2, s8, -v6
	v_rndne_f32_e32 v12, v6
	v_fmac_f32_e32 v7, 0x32a5705f, v2
	v_sub_f32_e32 v6, v6, v12
	v_add_f32_e32 v6, v6, v7
	v_exp_f32_e32 v6, v6
	v_cvt_i32_f32_e32 v7, v12
	s_mov_b32 s8, 0xc2ce8ed0
	v_cmp_ngt_f32_e32 vcc, s8, v2
	s_mov_b32 s8, 0x42b17218
	v_ldexp_f32 v6, v6, v7
	v_cndmask_b32_e32 v6, 0, v6, vcc
	v_mov_b32_e32 v7, 0x7f800000
	v_cmp_nlt_f32_e32 vcc, s8, v2
	v_cndmask_b32_e32 v48, v7, v6, vcc
	v_add_f32_e32 v2, 1.0, v48
	v_add_f32_e32 v6, -1.0, v2
	v_sub_f32_e32 v7, v6, v2
	v_add_f32_e32 v7, 1.0, v7
	v_sub_f32_e32 v6, v48, v6
	v_add_f32_e32 v12, v6, v7
	v_frexp_mant_f32_e32 v13, v2
	s_mov_b32 s8, 0x3f2aaaab
	v_cvt_f64_f32_e32 v[6:7], v2
	v_frexp_exp_i32_f64_e32 v6, v[6:7]
	v_cmp_gt_f32_e32 vcc, s8, v13
	v_subbrev_co_u32_e32 v18, vcc, 0, v6, vcc
	v_sub_u32_e32 v6, 0, v18
	v_ldexp_f32 v2, v2, v6
	v_ldexp_f32 v6, v12, v6
	v_add_f32_e32 v12, -1.0, v2
	v_add_f32_e32 v7, 1.0, v12
	v_sub_f32_e32 v7, v2, v7
	v_add_f32_e32 v13, v6, v7
	v_add_f32_e32 v7, 1.0, v2
	v_add_f32_e32 v14, -1.0, v7
	v_sub_f32_e32 v2, v2, v14
	v_add_f32_e32 v2, v6, v2
	v_add_f32_e32 v19, v7, v2
	v_rcp_f32_e32 v20, v19
	v_sub_f32_e32 v6, v7, v19
	v_add_f32_e32 v7, v12, v13
	v_add_f32_e32 v2, v2, v6
	v_mul_f32_e32 v22, v7, v20
	v_sub_f32_e32 v6, v12, v7
	v_mul_f32_e32 v12, v19, v22
	v_fma_f32 v14, v22, v19, -v12
	v_fmac_f32_e32 v14, v22, v2
	v_add_f32_e32 v21, v13, v6
	v_add_f32_e32 v6, v12, v14
	v_sub_f32_e32 v13, v7, v6
	v_pk_add_f32 v[16:17], v[6:7], v[12:13] neg_lo:[0,1] neg_hi:[0,1]
	v_mov_b32_e32 v15, v6
	v_pk_add_f32 v[6:7], v[16:17], v[14:15] neg_lo:[0,1] neg_hi:[0,1]
	v_add_f32_e32 v7, v21, v7
	v_add_f32_e32 v6, v6, v7
	;; [unrolled: 1-line block ×3, first 2 shown]
	v_mul_f32_e32 v21, v20, v7
	v_mul_f32_e32 v12, v19, v21
	v_fma_f32 v14, v21, v19, -v12
	v_fmac_f32_e32 v14, v21, v2
	v_sub_f32_e32 v2, v13, v7
	v_add_f32_e32 v2, v6, v2
	v_add_f32_e32 v6, v12, v14
	v_sub_f32_e32 v13, v7, v6
	v_pk_add_f32 v[16:17], v[6:7], v[12:13] neg_lo:[0,1] neg_hi:[0,1]
	v_mov_b32_e32 v15, v6
	v_pk_add_f32 v[6:7], v[16:17], v[14:15] neg_lo:[0,1] neg_hi:[0,1]
	v_add_f32_e32 v2, v2, v7
	v_add_f32_e32 v2, v6, v2
	;; [unrolled: 1-line block ×4, first 2 shown]
	v_sub_f32_e32 v7, v6, v22
	v_mul_f32_e32 v2, v20, v2
	v_sub_f32_e32 v7, v21, v7
	v_add_f32_e32 v2, v7, v2
	v_add_f32_e32 v13, v6, v2
	v_mul_f32_e32 v14, v13, v13
	v_mov_b32_e32 v12, 0x3ecc95a3
	v_fmac_f32_e32 v12, 0x3e9b6dac, v14
	v_mov_b32_e32 v7, 0x3f2aaada
	v_fmac_f32_e32 v7, v14, v12
	v_cvt_f32_i32_e32 v12, v18
	v_sub_f32_e32 v6, v13, v6
	v_sub_f32_e32 v2, v2, v6
	v_ldexp_f32 v15, v13, 1
	v_mul_f32_e32 v13, v13, v14
	v_mov_b32_e32 v6, 0x3f317218
	s_mov_b32 s8, 0x3f317218
	v_pk_mul_f32 v[6:7], v[12:13], v[6:7]
	v_fma_f32 v14, v12, s8, -v6
	v_fmac_f32_e32 v14, 0xb102e308, v12
	v_pk_add_f32 v[12:13], v[6:7], v[14:15]
	v_sub_f32_e32 v15, v13, v15
	v_ldexp_f32 v2, v2, 1
	v_sub_f32_e32 v15, v7, v15
	v_add_f32_e32 v17, v2, v15
	v_mov_b32_e32 v16, v6
	v_pk_add_f32 v[6:7], v[12:13], v[6:7] neg_lo:[0,1] neg_hi:[0,1]
	v_pk_add_f32 v[18:19], v[12:13], v[16:17]
	v_mov_b32_e32 v7, v19
	v_mov_b32_e32 v15, v12
	v_pk_add_f32 v[20:21], v[14:15], v[6:7] neg_lo:[0,1] neg_hi:[0,1]
	v_pk_add_f32 v[6:7], v[14:15], v[6:7]
	v_mov_b32_e32 v2, v7
	v_pk_add_f32 v[14:15], v[2:3], v[12:13] neg_lo:[0,1] neg_hi:[0,1]
	v_mov_b32_e32 v15, v14
	v_pk_add_f32 v[22:23], v[18:19], v[14:15] neg_lo:[0,1] neg_hi:[0,1]
	v_mov_b32_e32 v6, v19
	v_mov_b32_e32 v18, v13
	;; [unrolled: 1-line block ×4, first 2 shown]
	v_pk_add_f32 v[6:7], v[6:7], v[18:19] neg_lo:[0,1] neg_hi:[0,1]
	v_mov_b32_e32 v14, v17
	v_mov_b32_e32 v15, v12
	v_pk_add_f32 v[6:7], v[14:15], v[6:7] neg_lo:[0,1] neg_hi:[0,1]
	v_mov_b32_e32 v22, v20
	v_pk_add_f32 v[12:13], v[22:23], v[6:7]
	v_mov_b32_e32 v14, v13
	v_pk_add_f32 v[14:15], v[12:13], v[14:15]
	v_pk_add_f32 v[16:17], v[2:3], v[14:15]
	v_mov_b32_e32 v13, v16
	v_pk_add_f32 v[18:19], v[12:13], v[20:21] neg_lo:[0,1] neg_hi:[0,1]
	v_mov_b32_e32 v7, v14
	v_sub_f32_e32 v2, v12, v18
	v_pk_add_f32 v[6:7], v[6:7], v[18:19] neg_lo:[0,1] neg_hi:[0,1]
	v_sub_f32_e32 v2, v20, v2
	s_mov_b32 s9, 0x7f800000
	v_add_f32_e32 v2, v6, v2
	s_mov_b32 s8, 0x33800000
	v_add_f32_e32 v2, v2, v7
	v_cmp_eq_f32_e32 vcc, s9, v48
	v_cmp_lt_f32_e64 s[8:9], |v48|, s8
	v_add_f32_e32 v2, v16, v2
	s_or_b64 vcc, vcc, s[8:9]
	v_cndmask_b32_e32 v2, v2, v48, vcc
	v_add_f32_e32 v2, v3, v2
	v_cvt_f16_f32_e32 v15, v2
	v_cvt_f32_f16_e32 v2, v15
	v_mov_b32_e32 v71, v15
.LBB353_374:
	s_or_b64 exec, exec, s[6:7]
	v_max_f32_e32 v6, v65, v65
	v_max_f32_e32 v7, v2, v2
	v_min_f32_e32 v3, v7, v6
	v_cmp_u_f16_e32 vcc, v15, v15
	v_max_f32_e32 v6, v7, v6
	v_cndmask_b32_e32 v3, v3, v2, vcc
	v_cndmask_b32_e32 v2, v6, v2, vcc
	v_cndmask_b32_e64 v3, v3, v65, s[52:53]
	v_cndmask_b32_e64 v2, v2, v65, s[52:53]
	s_movk_i32 s6, 0x1f8
	v_cmp_neq_f32_e32 vcc, v3, v2
	v_cmp_class_f32_e64 s[6:7], v3, s6
	s_or_b64 s[8:9], vcc, s[6:7]
	v_mov_b32_e32 v65, v71
	s_and_saveexec_b64 s[6:7], s[8:9]
	s_cbranch_execz .LBB353_376
; %bb.375:
	v_sub_f32_e32 v3, v3, v2
	s_mov_b32 s8, 0x3fb8aa3b
	v_mul_f32_e32 v6, 0x3fb8aa3b, v3
	v_fma_f32 v7, v3, s8, -v6
	v_rndne_f32_e32 v12, v6
	v_fmac_f32_e32 v7, 0x32a5705f, v3
	v_sub_f32_e32 v6, v6, v12
	v_add_f32_e32 v6, v6, v7
	v_exp_f32_e32 v6, v6
	v_cvt_i32_f32_e32 v7, v12
	s_mov_b32 s8, 0xc2ce8ed0
	v_cmp_ngt_f32_e32 vcc, s8, v3
	s_mov_b32 s8, 0x42b17218
	v_ldexp_f32 v6, v6, v7
	v_cndmask_b32_e32 v6, 0, v6, vcc
	v_mov_b32_e32 v7, 0x7f800000
	v_cmp_nlt_f32_e32 vcc, s8, v3
	v_cndmask_b32_e32 v48, v7, v6, vcc
	v_add_f32_e32 v3, 1.0, v48
	v_add_f32_e32 v6, -1.0, v3
	v_sub_f32_e32 v7, v6, v3
	v_add_f32_e32 v7, 1.0, v7
	v_sub_f32_e32 v6, v48, v6
	v_add_f32_e32 v12, v6, v7
	v_frexp_mant_f32_e32 v13, v3
	s_mov_b32 s8, 0x3f2aaaab
	v_cvt_f64_f32_e32 v[6:7], v3
	v_frexp_exp_i32_f64_e32 v6, v[6:7]
	v_cmp_gt_f32_e32 vcc, s8, v13
	v_subbrev_co_u32_e32 v18, vcc, 0, v6, vcc
	v_sub_u32_e32 v6, 0, v18
	v_ldexp_f32 v3, v3, v6
	v_ldexp_f32 v6, v12, v6
	v_add_f32_e32 v12, -1.0, v3
	v_add_f32_e32 v7, 1.0, v12
	v_sub_f32_e32 v7, v3, v7
	v_add_f32_e32 v13, v6, v7
	v_add_f32_e32 v7, 1.0, v3
	v_add_f32_e32 v14, -1.0, v7
	v_sub_f32_e32 v3, v3, v14
	v_add_f32_e32 v3, v6, v3
	v_add_f32_e32 v19, v7, v3
	v_rcp_f32_e32 v20, v19
	v_sub_f32_e32 v6, v7, v19
	v_add_f32_e32 v7, v12, v13
	v_add_f32_e32 v3, v3, v6
	v_mul_f32_e32 v22, v7, v20
	v_sub_f32_e32 v6, v12, v7
	v_mul_f32_e32 v12, v19, v22
	v_fma_f32 v14, v22, v19, -v12
	v_fmac_f32_e32 v14, v22, v3
	v_add_f32_e32 v21, v13, v6
	v_add_f32_e32 v6, v12, v14
	v_sub_f32_e32 v13, v7, v6
	v_pk_add_f32 v[16:17], v[6:7], v[12:13] neg_lo:[0,1] neg_hi:[0,1]
	v_mov_b32_e32 v15, v6
	v_pk_add_f32 v[6:7], v[16:17], v[14:15] neg_lo:[0,1] neg_hi:[0,1]
	v_add_f32_e32 v7, v21, v7
	v_add_f32_e32 v6, v6, v7
	;; [unrolled: 1-line block ×3, first 2 shown]
	v_mul_f32_e32 v21, v20, v7
	v_mul_f32_e32 v12, v19, v21
	v_fma_f32 v14, v21, v19, -v12
	v_fmac_f32_e32 v14, v21, v3
	v_sub_f32_e32 v3, v13, v7
	v_add_f32_e32 v3, v6, v3
	v_add_f32_e32 v6, v12, v14
	v_sub_f32_e32 v13, v7, v6
	v_pk_add_f32 v[16:17], v[6:7], v[12:13] neg_lo:[0,1] neg_hi:[0,1]
	v_mov_b32_e32 v15, v6
	v_pk_add_f32 v[6:7], v[16:17], v[14:15] neg_lo:[0,1] neg_hi:[0,1]
	v_add_f32_e32 v3, v3, v7
	v_add_f32_e32 v3, v6, v3
	;; [unrolled: 1-line block ×4, first 2 shown]
	v_sub_f32_e32 v7, v6, v22
	v_mul_f32_e32 v3, v20, v3
	v_sub_f32_e32 v7, v21, v7
	v_add_f32_e32 v3, v7, v3
	v_add_f32_e32 v13, v6, v3
	v_mul_f32_e32 v14, v13, v13
	v_mov_b32_e32 v12, 0x3ecc95a3
	v_fmac_f32_e32 v12, 0x3e9b6dac, v14
	v_mov_b32_e32 v7, 0x3f2aaada
	v_fmac_f32_e32 v7, v14, v12
	v_cvt_f32_i32_e32 v12, v18
	v_sub_f32_e32 v6, v13, v6
	v_sub_f32_e32 v3, v3, v6
	v_ldexp_f32 v15, v13, 1
	v_mul_f32_e32 v13, v13, v14
	v_mov_b32_e32 v6, 0x3f317218
	s_mov_b32 s8, 0x3f317218
	v_pk_mul_f32 v[6:7], v[12:13], v[6:7]
	v_fma_f32 v14, v12, s8, -v6
	v_fmac_f32_e32 v14, 0xb102e308, v12
	v_pk_add_f32 v[12:13], v[6:7], v[14:15]
	v_sub_f32_e32 v15, v13, v15
	v_ldexp_f32 v3, v3, 1
	v_sub_f32_e32 v15, v7, v15
	v_add_f32_e32 v17, v3, v15
	v_mov_b32_e32 v16, v6
	v_pk_add_f32 v[6:7], v[12:13], v[6:7] neg_lo:[0,1] neg_hi:[0,1]
	v_pk_add_f32 v[18:19], v[12:13], v[16:17]
	v_mov_b32_e32 v7, v19
	v_mov_b32_e32 v15, v12
	v_pk_add_f32 v[20:21], v[14:15], v[6:7] neg_lo:[0,1] neg_hi:[0,1]
	v_pk_add_f32 v[6:7], v[14:15], v[6:7]
	v_mov_b32_e32 v14, v7
	v_pk_add_f32 v[22:23], v[14:15], v[12:13] neg_lo:[0,1] neg_hi:[0,1]
	v_mov_b32_e32 v3, v22
	v_pk_add_f32 v[80:81], v[18:19], v[2:3] neg_lo:[0,1] neg_hi:[0,1]
	v_mov_b32_e32 v6, v19
	v_mov_b32_e32 v18, v13
	;; [unrolled: 1-line block ×4, first 2 shown]
	v_pk_add_f32 v[6:7], v[6:7], v[18:19] neg_lo:[0,1] neg_hi:[0,1]
	v_mov_b32_e32 v16, v17
	v_mov_b32_e32 v17, v12
	v_pk_add_f32 v[6:7], v[16:17], v[6:7] neg_lo:[0,1] neg_hi:[0,1]
	v_mov_b32_e32 v80, v20
	v_pk_add_f32 v[12:13], v[80:81], v[6:7]
	v_mov_b32_e32 v16, v13
	v_pk_add_f32 v[16:17], v[12:13], v[16:17]
	v_pk_add_f32 v[14:15], v[14:15], v[16:17]
	v_mov_b32_e32 v13, v14
	v_pk_add_f32 v[18:19], v[12:13], v[20:21] neg_lo:[0,1] neg_hi:[0,1]
	v_mov_b32_e32 v7, v16
	v_sub_f32_e32 v3, v12, v18
	v_pk_add_f32 v[6:7], v[6:7], v[18:19] neg_lo:[0,1] neg_hi:[0,1]
	v_sub_f32_e32 v3, v20, v3
	s_mov_b32 s9, 0x7f800000
	v_add_f32_e32 v3, v6, v3
	s_mov_b32 s8, 0x33800000
	v_add_f32_e32 v3, v3, v7
	v_cmp_eq_f32_e32 vcc, s9, v48
	v_cmp_lt_f32_e64 s[8:9], |v48|, s8
	v_add_f32_e32 v3, v14, v3
	s_or_b64 vcc, vcc, s[8:9]
	v_cndmask_b32_e32 v3, v3, v48, vcc
	v_add_f32_e32 v2, v2, v3
	v_cvt_f16_f32_e32 v65, v2
.LBB353_376:
	s_or_b64 exec, exec, s[6:7]
	s_and_saveexec_b64 s[6:7], s[56:57]
	s_cbranch_execz .LBB353_378
; %bb.377:
	s_mov_b32 s8, 0x20000
	v_or_b32_sdwa v2, v65, s8 dst_sel:DWORD dst_unused:UNUSED_PAD src0_sel:WORD_0 src1_sel:DWORD
	flat_store_dword v[24:25], v2 offset:256
.LBB353_378:
	s_or_b64 exec, exec, s[6:7]
.LBB353_379:
	v_add_co_u32_e32 v2, vcc, v10, v28
	v_addc_co_u32_e32 v3, vcc, v11, v29, vcc
	v_mov_b32_e32 v6, s63
	v_add_co_u32_e32 v2, vcc, s62, v2
	v_addc_co_u32_e32 v3, vcc, v3, v6, vcc
	s_waitcnt lgkmcnt(0)
	; wave barrier
	s_waitcnt lgkmcnt(0)
	s_and_saveexec_b64 s[6:7], s[4:5]
	s_xor_b64 s[4:5], exec, s[6:7]
	s_cbranch_execz .LBB353_381
; %bb.380:
	s_mov_b32 s6, 0x5040100
	v_perm_b32 v7, v35, v34, s6
	v_perm_b32 v6, v33, v32, s6
	;; [unrolled: 1-line block ×4, first 2 shown]
	ds_write_b128 v1, v[4:7]
	v_perm_b32 v7, v53, v67, s6
	v_perm_b32 v6, v52, v66, s6
	;; [unrolled: 1-line block ×4, first 2 shown]
	ds_write_b128 v1, v[4:7] offset:16
	v_perm_b32 v7, v65, v71, s6
	v_perm_b32 v6, v64, v70, s6
	;; [unrolled: 1-line block ×4, first 2 shown]
	ds_write_b128 v1, v[4:7] offset:32
	s_waitcnt lgkmcnt(0)
	; wave barrier
	s_waitcnt lgkmcnt(0)
	ds_read_u16 v4, v38
	ds_read_u16 v5, v38 offset:128
	ds_read_u16 v6, v38 offset:256
	;; [unrolled: 1-line block ×23, first 2 shown]
	v_add_co_u32_e32 v0, vcc, v2, v38
	v_addc_co_u32_e32 v1, vcc, 0, v3, vcc
	s_waitcnt lgkmcnt(0)
	flat_store_short v[0:1], v4
	flat_store_short v[0:1], v5 offset:128
	flat_store_short v[0:1], v6 offset:256
	;; [unrolled: 1-line block ×23, first 2 shown]
                                        ; implicit-def: $vgpr2_vgpr3_vgpr4_vgpr5
                                        ; implicit-def: $vgpr6_vgpr7_vgpr8_vgpr9
                                        ; implicit-def: $vgpr0
                                        ; implicit-def: $vgpr1
                                        ; implicit-def: $vgpr26
                                        ; implicit-def: $vgpr27
                                        ; implicit-def: $vgpr30
                                        ; implicit-def: $vgpr31
                                        ; implicit-def: $vgpr32
                                        ; implicit-def: $vgpr33
                                        ; implicit-def: $vgpr34
                                        ; implicit-def: $vgpr35
                                        ; implicit-def: $vgpr49
                                        ; implicit-def: $vgpr50
                                        ; implicit-def: $vgpr87
                                        ; implicit-def: $vgpr51
                                        ; implicit-def: $vgpr66
                                        ; implicit-def: $vgpr52
                                        ; implicit-def: $vgpr67
                                        ; implicit-def: $vgpr53
                                        ; implicit-def: $vgpr68
                                        ; implicit-def: $vgpr54
                                        ; implicit-def: $vgpr69
                                        ; implicit-def: $vgpr55
                                        ; implicit-def: $vgpr70
                                        ; implicit-def: $vgpr64
                                        ; implicit-def: $vgpr71
                                        ; implicit-def: $vgpr65
                                        ; implicit-def: $vgpr39
                                        ; implicit-def: $vgpr36
                                        ; implicit-def: $vgpr37
                                        ; implicit-def: $vgpr2
                                        ; implicit-def: $vgpr3
                                        ; implicit-def: $vgpr38
.LBB353_381:
	s_andn2_saveexec_b64 s[6:7], s[4:5]
	s_cbranch_execz .LBB353_522
; %bb.382:
	s_mov_b32 s4, 0x5040100
	v_perm_b32 v13, v35, v34, s4
	v_perm_b32 v12, v33, v32, s4
	v_perm_b32 v11, v31, v30, s4
	v_perm_b32 v10, v27, v26, s4
	ds_write_b128 v1, v[10:13]
	v_perm_b32 v13, v53, v67, s4
	v_perm_b32 v12, v52, v66, s4
	v_perm_b32 v11, v51, v87, s4
	v_perm_b32 v10, v50, v49, s4
	ds_write_b128 v1, v[10:13] offset:16
	v_perm_b32 v13, v65, v71, s4
	v_perm_b32 v12, v64, v70, s4
	;; [unrolled: 1-line block ×4, first 2 shown]
	ds_write_b128 v1, v[10:13] offset:32
	s_waitcnt lgkmcnt(0)
	; wave barrier
	s_waitcnt lgkmcnt(0)
	ds_read_u16 v7, v38
	ds_read_u16 v6, v38 offset:128
	ds_read_u16 v11, v38 offset:256
	ds_read_u16 v12, v38 offset:384
	ds_read_u16 v10, v38 offset:512
	ds_read_u16 v13, v38 offset:640
	ds_read_u16 v21, v38 offset:768
	ds_read_u16 v19, v38 offset:896
	ds_read_u16 v20, v38 offset:1024
	ds_read_u16 v27, v38 offset:1152
	ds_read_u16 v24, v38 offset:1280
	ds_read_u16 v23, v38 offset:1408
	ds_read_u16 v22, v38 offset:1536
	ds_read_u16 v17, v38 offset:1664
	ds_read_u16 v18, v38 offset:1792
	ds_read_u16 v14, v38 offset:1920
	ds_read_u16 v26, v38 offset:2048
	ds_read_u16 v30, v38 offset:2176
	ds_read_u16 v28, v38 offset:2304
	ds_read_u16 v25, v38 offset:2432
	ds_read_u16 v16, v38 offset:2560
	ds_read_u16 v15, v38 offset:2688
	ds_read_u16 v29, v38 offset:2816
	ds_read_u16 v31, v38 offset:2944
	v_add_co_u32_e32 v2, vcc, v2, v38
	v_addc_co_u32_e32 v3, vcc, 0, v3, vcc
	v_mov_b32_e32 v1, 0
	v_cmp_lt_u32_e32 vcc, v0, v36
	s_and_saveexec_b64 s[4:5], vcc
	s_cbranch_execz .LBB353_384
; %bb.383:
	s_waitcnt lgkmcnt(0)
	flat_store_short v[2:3], v7
.LBB353_384:
	s_or_b64 exec, exec, s[4:5]
	v_add_u32_e32 v32, 64, v0
	v_cmp_lt_u32_e32 vcc, v32, v36
	s_and_saveexec_b64 s[4:5], vcc
	s_cbranch_execz .LBB353_386
; %bb.385:
	s_waitcnt lgkmcnt(0)
	flat_store_short v[2:3], v6 offset:128
.LBB353_386:
	s_or_b64 exec, exec, s[4:5]
	v_add_u32_e32 v32, 0x80, v0
	v_cmp_lt_u32_e32 vcc, v32, v36
	s_and_saveexec_b64 s[4:5], vcc
	s_cbranch_execz .LBB353_388
; %bb.387:
	s_waitcnt lgkmcnt(0)
	flat_store_short v[2:3], v11 offset:256
.LBB353_388:
	;; [unrolled: 9-line block ×15, first 2 shown]
	s_or_b64 exec, exec, s[4:5]
	v_or_b32_e32 v32, 0x400, v0
	v_cmp_lt_u32_e32 vcc, v32, v36
	s_and_saveexec_b64 s[4:5], vcc
	s_cbranch_execz .LBB353_416
; %bb.415:
	s_waitcnt lgkmcnt(0)
	flat_store_short v[2:3], v26 offset:2048
.LBB353_416:
	s_or_b64 exec, exec, s[4:5]
	v_add_u32_e32 v32, 0x440, v0
	v_cmp_lt_u32_e32 vcc, v32, v36
	s_and_saveexec_b64 s[4:5], vcc
	s_cbranch_execz .LBB353_418
; %bb.417:
	s_waitcnt lgkmcnt(0)
	flat_store_short v[2:3], v30 offset:2176
.LBB353_418:
	s_or_b64 exec, exec, s[4:5]
	v_add_u32_e32 v32, 0x480, v0
	;; [unrolled: 9-line block ×7, first 2 shown]
	v_cmp_lt_u32_e32 vcc, v32, v36
	s_and_saveexec_b64 s[4:5], vcc
	s_cbranch_execz .LBB353_430
; %bb.429:
	s_waitcnt lgkmcnt(0)
	flat_store_short v[2:3], v31 offset:2944
.LBB353_430:
	s_or_b64 exec, exec, s[4:5]
	v_cmp_lt_u64_e32 vcc, 1, v[8:9]
	s_and_saveexec_b64 s[8:9], vcc
	s_cbranch_execz .LBB353_521
; %bb.431:
	s_add_u32 s4, 0, 0xaaaa0000
	s_addc_u32 s5, 0, 42
	s_add_i32 s5, s5, 0xaaaaa80
	s_mul_hi_u32 s13, s4, 0xffffffe8
	s_sub_i32 s13, s13, s4
	s_mul_i32 s14, s5, 0xffffffe8
	s_mul_i32 s10, s4, 0xffffffe8
	s_add_i32 s13, s13, s14
	s_mul_hi_u32 s11, s5, s10
	s_mul_i32 s12, s5, s10
	s_mul_i32 s15, s4, s13
	s_mul_hi_u32 s10, s4, s10
	s_mul_hi_u32 s14, s4, s13
	s_add_u32 s10, s10, s15
	s_addc_u32 s14, 0, s14
	s_add_u32 s10, s10, s12
	s_mul_hi_u32 s15, s5, s13
	s_addc_u32 s10, s14, s11
	s_addc_u32 s11, s15, 0
	s_mul_i32 s12, s5, s13
	v_add_co_u32_e32 v2, vcc, -1, v36
	s_add_u32 s10, s10, s12
	v_addc_co_u32_e32 v3, vcc, -1, v37, vcc
	v_mov_b32_e32 v8, s10
	s_addc_u32 s11, 0, s11
	v_add_co_u32_e32 v32, vcc, s4, v8
	s_cmp_lg_u64 vcc, 0
	s_addc_u32 s10, s5, s11
	v_mad_u64_u32 v[8:9], s[4:5], v2, s10, 0
	v_mul_hi_u32 v33, v2, v32
	v_add_co_u32_e32 v34, vcc, v33, v8
	v_addc_co_u32_e32 v35, vcc, 0, v9, vcc
	v_mad_u64_u32 v[32:33], s[4:5], v3, v32, 0
	v_add_co_u32_e32 v32, vcc, v34, v32
	v_mad_u64_u32 v[8:9], s[4:5], v3, s10, 0
	v_addc_co_u32_e32 v32, vcc, v35, v33, vcc
	v_addc_co_u32_e32 v9, vcc, 0, v9, vcc
	v_add_co_u32_e32 v34, vcc, v32, v8
	v_addc_co_u32_e32 v35, vcc, 0, v9, vcc
	v_mad_u64_u32 v[8:9], s[4:5], v34, 24, 0
	v_mov_b32_e32 v32, v9
	v_mad_u64_u32 v[32:33], s[4:5], v35, 24, v[32:33]
	v_sub_co_u32_e32 v8, vcc, v2, v8
	v_subb_co_u32_e32 v9, vcc, v3, v32, vcc
	v_subrev_co_u32_e32 v32, vcc, 24, v8
	v_subbrev_co_u32_e32 v33, vcc, 0, v9, vcc
	v_cmp_lt_u32_e32 vcc, 23, v32
	v_cndmask_b32_e64 v32, 0, -1, vcc
	v_cmp_eq_u32_e32 vcc, 0, v33
	v_cndmask_b32_e32 v32, -1, v32, vcc
	v_add_co_u32_e32 v33, vcc, 2, v34
	v_addc_co_u32_e32 v36, vcc, 0, v35, vcc
	v_add_co_u32_e32 v37, vcc, 1, v34
	v_cmp_lt_u32_e64 s[4:5], 23, v8
	v_addc_co_u32_e32 v38, vcc, 0, v35, vcc
	v_cndmask_b32_e64 v8, 0, -1, s[4:5]
	v_cmp_eq_u32_e64 s[4:5], 0, v9
	v_cmp_ne_u32_e32 vcc, 0, v32
	v_cndmask_b32_e64 v8, -1, v8, s[4:5]
	v_cndmask_b32_e32 v32, v38, v36, vcc
	v_cmp_ne_u32_e64 s[4:5], 0, v8
	v_cndmask_b32_e32 v8, v37, v33, vcc
	v_cndmask_b32_e64 v9, v35, v32, s[4:5]
	v_cndmask_b32_e64 v8, v34, v8, s[4:5]
	v_cmp_eq_u64_e32 vcc, v[8:9], v[0:1]
	s_and_b64 exec, exec, vcc
	s_cbranch_execz .LBB353_521
; %bb.432:
	v_mul_hi_u32_u24_e32 v1, 24, v0
	v_sub_co_u32_e32 v0, vcc, v2, v39
	v_subb_co_u32_e32 v1, vcc, v3, v1, vcc
	v_cmp_lt_i64_e32 vcc, 11, v[0:1]
	s_mov_b64 s[4:5], 0
	s_mov_b64 s[16:17], 0
	;; [unrolled: 1-line block ×4, first 2 shown]
	s_and_saveexec_b64 s[10:11], vcc
	s_xor_b64 s[10:11], exec, s[10:11]
	s_cbranch_execnz .LBB353_438
; %bb.433:
	s_andn2_saveexec_b64 s[10:11], s[10:11]
	s_cbranch_execnz .LBB353_483
.LBB353_434:
	s_or_b64 exec, exec, s[10:11]
	s_and_saveexec_b64 s[10:11], s[16:17]
	s_cbranch_execnz .LBB353_500
.LBB353_435:
	s_or_b64 exec, exec, s[10:11]
	s_and_saveexec_b64 s[10:11], s[14:15]
	s_cbranch_execnz .LBB353_501
.LBB353_436:
	s_or_b64 exec, exec, s[10:11]
	s_and_saveexec_b64 s[10:11], s[12:13]
	s_xor_b64 s[10:11], exec, s[10:11]
	s_cbranch_execnz .LBB353_502
.LBB353_437:
	s_or_b64 exec, exec, s[10:11]
	s_and_b64 exec, exec, s[4:5]
	s_cbranch_execnz .LBB353_503
	s_branch .LBB353_521
.LBB353_438:
	v_cmp_lt_i64_e32 vcc, 17, v[0:1]
	s_and_saveexec_b64 s[18:19], vcc
	s_xor_b64 s[18:19], exec, s[18:19]
	s_cbranch_execz .LBB353_460
; %bb.439:
	v_cmp_lt_i64_e32 vcc, 20, v[0:1]
                                        ; implicit-def: $vgpr14
	s_and_saveexec_b64 s[20:21], vcc
	s_xor_b64 s[20:21], exec, s[20:21]
	s_cbranch_execz .LBB353_449
; %bb.440:
	v_cmp_lt_i64_e32 vcc, 21, v[0:1]
	s_mov_b64 s[22:23], 0
                                        ; implicit-def: $vgpr14
	s_and_saveexec_b64 s[12:13], vcc
	s_xor_b64 s[12:13], exec, s[12:13]
	s_cbranch_execz .LBB353_446
; %bb.441:
	v_cmp_lt_i64_e32 vcc, 22, v[0:1]
	s_and_saveexec_b64 s[22:23], vcc
	s_xor_b64 s[22:23], exec, s[22:23]
	s_cbranch_execz .LBB353_443
; %bb.442:
	s_waitcnt lgkmcnt(0)
	flat_store_short v[4:5], v31
                                        ; implicit-def: $vgpr29
.LBB353_443:
	s_or_saveexec_b64 s[22:23], s[22:23]
	s_mov_b64 s[24:25], 0
	s_xor_b64 exec, exec, s[22:23]
; %bb.444:
	s_mov_b64 s[24:25], exec
; %bb.445:
	s_or_b64 exec, exec, s[22:23]
	s_and_b64 s[22:23], s[24:25], exec
	s_waitcnt lgkmcnt(0)
	v_mov_b32_e32 v14, v29
                                        ; implicit-def: $vgpr15
.LBB353_446:
	s_andn2_saveexec_b64 s[12:13], s[12:13]
; %bb.447:
	s_mov_b64 s[14:15], exec
                                        ; implicit-def: $vgpr14
; %bb.448:
	s_or_b64 exec, exec, s[12:13]
	s_and_b64 s[12:13], s[22:23], exec
	s_and_b64 s[14:15], s[14:15], exec
                                        ; implicit-def: $vgpr28
                                        ; implicit-def: $vgpr16
                                        ; implicit-def: $vgpr25
.LBB353_449:
	s_andn2_saveexec_b64 s[20:21], s[20:21]
	s_cbranch_execz .LBB353_459
; %bb.450:
	v_cmp_lt_i64_e32 vcc, 18, v[0:1]
	s_mov_b64 s[22:23], 0
	s_and_saveexec_b64 s[16:17], vcc
	s_xor_b64 s[16:17], exec, s[16:17]
	s_cbranch_execz .LBB353_456
; %bb.451:
	v_cmp_lt_i64_e32 vcc, 19, v[0:1]
	s_and_saveexec_b64 s[24:25], vcc
	s_xor_b64 s[24:25], exec, s[24:25]
; %bb.452:
	s_mov_b64 s[22:23], exec
                                        ; implicit-def: $vgpr25
; %bb.453:
	s_andn2_saveexec_b64 s[24:25], s[24:25]
	s_cbranch_execz .LBB353_455
; %bb.454:
	s_waitcnt lgkmcnt(0)
	flat_store_short v[4:5], v25
                                        ; implicit-def: $vgpr16
.LBB353_455:
	s_or_b64 exec, exec, s[24:25]
	s_and_b64 s[22:23], s[22:23], exec
                                        ; implicit-def: $vgpr28
.LBB353_456:
	s_andn2_saveexec_b64 s[16:17], s[16:17]
	s_cbranch_execz .LBB353_458
; %bb.457:
	s_waitcnt lgkmcnt(0)
	flat_store_short v[4:5], v28
                                        ; implicit-def: $vgpr16
.LBB353_458:
	s_or_b64 exec, exec, s[16:17]
	s_and_b64 s[16:17], s[22:23], exec
                                        ; implicit-def: $vgpr14
                                        ; implicit-def: $vgpr15
.LBB353_459:
	s_or_b64 exec, exec, s[20:21]
	s_and_b64 s[12:13], s[12:13], exec
	s_and_b64 s[14:15], s[14:15], exec
	;; [unrolled: 1-line block ×3, first 2 shown]
                                        ; implicit-def: $vgpr22
                                        ; implicit-def: $vgpr17
                                        ; implicit-def: $vgpr18
                                        ; implicit-def: $vgpr26
                                        ; implicit-def: $vgpr30
.LBB353_460:
	s_andn2_saveexec_b64 s[18:19], s[18:19]
	s_cbranch_execz .LBB353_482
; %bb.461:
	v_cmp_lt_i64_e32 vcc, 14, v[0:1]
	s_mov_b64 s[20:21], s[12:13]
	s_and_saveexec_b64 s[22:23], vcc
	s_xor_b64 s[22:23], exec, s[22:23]
	s_cbranch_execz .LBB353_471
; %bb.462:
	v_cmp_lt_i64_e32 vcc, 15, v[0:1]
	s_and_saveexec_b64 s[20:21], vcc
	s_xor_b64 s[20:21], exec, s[20:21]
	s_cbranch_execz .LBB353_468
; %bb.463:
	v_cmp_lt_i64_e32 vcc, 16, v[0:1]
	s_and_saveexec_b64 s[24:25], vcc
	s_xor_b64 s[24:25], exec, s[24:25]
	s_cbranch_execz .LBB353_465
; %bb.464:
	s_waitcnt lgkmcnt(0)
	flat_store_short v[4:5], v30
                                        ; implicit-def: $vgpr26
.LBB353_465:
	s_andn2_saveexec_b64 s[24:25], s[24:25]
	s_cbranch_execz .LBB353_467
; %bb.466:
	s_waitcnt lgkmcnt(0)
	flat_store_short v[4:5], v26
.LBB353_467:
	s_or_b64 exec, exec, s[24:25]
                                        ; implicit-def: $vgpr14
.LBB353_468:
	s_or_saveexec_b64 s[20:21], s[20:21]
	s_mov_b64 s[24:25], s[12:13]
	s_xor_b64 exec, exec, s[20:21]
; %bb.469:
	s_or_b64 s[24:25], s[12:13], exec
; %bb.470:
	s_or_b64 exec, exec, s[20:21]
	s_andn2_b64 s[20:21], s[12:13], exec
	s_and_b64 s[24:25], s[24:25], exec
	s_or_b64 s[20:21], s[20:21], s[24:25]
                                        ; implicit-def: $vgpr22
                                        ; implicit-def: $vgpr17
                                        ; implicit-def: $vgpr18
.LBB353_471:
	s_or_saveexec_b64 s[22:23], s[22:23]
	s_mov_b64 s[24:25], s[14:15]
                                        ; implicit-def: $vgpr15
	s_xor_b64 exec, exec, s[22:23]
	s_cbranch_execz .LBB353_481
; %bb.472:
	v_cmp_lt_i64_e32 vcc, 12, v[0:1]
	s_mov_b64 s[26:27], s[14:15]
	s_mov_b64 s[28:29], s[20:21]
                                        ; implicit-def: $vgpr14
                                        ; implicit-def: $vgpr15
	s_and_saveexec_b64 s[24:25], vcc
	s_xor_b64 s[24:25], exec, s[24:25]
	s_cbranch_execz .LBB353_478
; %bb.473:
	v_cmp_lt_i64_e32 vcc, 13, v[0:1]
	s_mov_b64 s[26:27], s[20:21]
	s_and_saveexec_b64 s[28:29], vcc
	s_xor_b64 s[28:29], exec, s[28:29]
; %bb.474:
	s_or_b64 s[26:27], s[20:21], exec
                                        ; implicit-def: $vgpr17
; %bb.475:
	s_or_saveexec_b64 s[28:29], s[28:29]
	s_mov_b64 vcc, s[14:15]
	s_xor_b64 exec, exec, s[28:29]
; %bb.476:
	s_or_b64 vcc, s[14:15], exec
                                        ; implicit-def: $vgpr18
; %bb.477:
	s_or_b64 exec, exec, s[28:29]
	s_andn2_b64 s[28:29], s[20:21], exec
	s_and_b64 s[26:27], s[26:27], exec
	s_or_b64 s[28:29], s[28:29], s[26:27]
	s_andn2_b64 s[26:27], s[14:15], exec
	s_and_b64 vcc, vcc, exec
	s_or_b64 s[26:27], s[26:27], vcc
	s_waitcnt lgkmcnt(0)
	v_mov_b32_e32 v14, v18
	v_mov_b32_e32 v15, v17
                                        ; implicit-def: $vgpr22
.LBB353_478:
	s_andn2_saveexec_b64 s[24:25], s[24:25]
	s_cbranch_execz .LBB353_480
; %bb.479:
	s_or_b64 s[26:27], s[26:27], exec
                                        ; implicit-def: $vgpr14
	s_waitcnt lgkmcnt(0)
	v_mov_b32_e32 v15, v22
.LBB353_480:
	s_or_b64 exec, exec, s[24:25]
	s_andn2_b64 s[20:21], s[20:21], exec
	s_and_b64 s[24:25], s[28:29], exec
	s_or_b64 s[20:21], s[20:21], s[24:25]
	s_andn2_b64 s[24:25], s[14:15], exec
	s_and_b64 s[26:27], s[26:27], exec
	s_or_b64 s[24:25], s[24:25], s[26:27]
.LBB353_481:
	s_or_b64 exec, exec, s[22:23]
	s_andn2_b64 s[12:13], s[12:13], exec
	s_and_b64 s[20:21], s[20:21], exec
	s_or_b64 s[12:13], s[12:13], s[20:21]
	s_andn2_b64 s[14:15], s[14:15], exec
	s_and_b64 s[20:21], s[24:25], exec
	s_or_b64 s[14:15], s[14:15], s[20:21]
                                        ; implicit-def: $vgpr16
.LBB353_482:
	s_or_b64 exec, exec, s[18:19]
	s_and_b64 s[12:13], s[12:13], exec
	s_and_b64 s[14:15], s[14:15], exec
	s_and_b64 s[16:17], s[16:17], exec
                                        ; implicit-def: $vgpr21
                                        ; implicit-def: $vgpr19
                                        ; implicit-def: $vgpr20
                                        ; implicit-def: $vgpr27
                                        ; implicit-def: $vgpr24
                                        ; implicit-def: $vgpr23
	s_andn2_saveexec_b64 s[10:11], s[10:11]
	s_cbranch_execz .LBB353_434
.LBB353_483:
	v_cmp_lt_i64_e32 vcc, 5, v[0:1]
	s_mov_b64 s[20:21], -1
	s_mov_b64 s[18:19], s[16:17]
	s_mov_b64 s[22:23], s[14:15]
	;; [unrolled: 1-line block ×3, first 2 shown]
                                        ; implicit-def: $vgpr14
                                        ; implicit-def: $vgpr15
                                        ; implicit-def: $vgpr16
	s_and_saveexec_b64 s[4:5], vcc
	s_cbranch_execz .LBB353_499
; %bb.484:
	v_cmp_lt_i64_e32 vcc, 8, v[0:1]
	s_mov_b64 s[18:19], s[16:17]
                                        ; implicit-def: $vgpr16
	s_and_saveexec_b64 s[20:21], vcc
	s_xor_b64 s[20:21], exec, s[20:21]
	s_cbranch_execz .LBB353_494
; %bb.485:
	v_cmp_lt_i64_e32 vcc, 9, v[0:1]
	s_and_saveexec_b64 s[18:19], vcc
	s_xor_b64 s[18:19], exec, s[18:19]
	s_cbranch_execz .LBB353_491
; %bb.486:
	v_cmp_lt_i64_e32 vcc, 10, v[0:1]
	s_and_saveexec_b64 s[22:23], vcc
	s_xor_b64 s[22:23], exec, s[22:23]
; %bb.487:
                                        ; implicit-def: $vgpr24
; %bb.488:
	s_andn2_saveexec_b64 s[22:23], s[22:23]
	s_cbranch_execz .LBB353_490
; %bb.489:
	s_waitcnt lgkmcnt(0)
	v_mov_b32_e32 v23, v24
.LBB353_490:
	s_or_b64 exec, exec, s[22:23]
                                        ; implicit-def: $vgpr27
.LBB353_491:
	s_andn2_saveexec_b64 s[18:19], s[18:19]
	s_cbranch_execz .LBB353_493
; %bb.492:
	s_waitcnt lgkmcnt(0)
	v_mov_b32_e32 v23, v27
.LBB353_493:
	s_or_b64 exec, exec, s[18:19]
	s_or_b64 s[18:19], s[16:17], exec
	s_waitcnt lgkmcnt(0)
	v_mov_b32_e32 v16, v23
                                        ; implicit-def: $vgpr21
                                        ; implicit-def: $vgpr19
                                        ; implicit-def: $vgpr20
.LBB353_494:
	s_or_saveexec_b64 s[20:21], s[20:21]
	s_mov_b64 s[22:23], s[14:15]
	s_mov_b64 s[26:27], s[12:13]
                                        ; implicit-def: $vgpr14
                                        ; implicit-def: $vgpr15
	s_xor_b64 exec, exec, s[20:21]
	s_cbranch_execz .LBB353_498
; %bb.495:
	v_cmp_lt_i64_e32 vcc, 6, v[0:1]
	s_mov_b64 s[26:27], -1
	s_mov_b64 s[24:25], s[18:19]
	s_mov_b64 s[22:23], s[14:15]
	s_and_saveexec_b64 s[28:29], vcc
; %bb.496:
	v_cmp_lt_i64_e32 vcc, 7, v[0:1]
	s_andn2_b64 s[24:25], s[18:19], exec
	s_and_b64 vcc, vcc, exec
	s_xor_b64 s[26:27], exec, -1
	s_or_b64 s[22:23], s[14:15], exec
	s_or_b64 s[24:25], s[24:25], vcc
                                        ; implicit-def: $vgpr21
; %bb.497:
	s_or_b64 exec, exec, s[28:29]
	s_andn2_b64 s[28:29], s[12:13], exec
	s_and_b64 s[26:27], s[26:27], exec
	s_or_b64 s[26:27], s[28:29], s[26:27]
	s_andn2_b64 s[28:29], s[14:15], exec
	s_and_b64 s[22:23], s[22:23], exec
	s_andn2_b64 s[18:19], s[18:19], exec
	s_and_b64 s[24:25], s[24:25], exec
	s_or_b64 s[22:23], s[28:29], s[22:23]
	s_or_b64 s[18:19], s[18:19], s[24:25]
	s_waitcnt lgkmcnt(0)
	v_mov_b32_e32 v14, v21
	v_mov_b32_e32 v15, v19
	;; [unrolled: 1-line block ×3, first 2 shown]
.LBB353_498:
	s_or_b64 exec, exec, s[20:21]
	s_andn2_b64 s[24:25], s[12:13], exec
	s_and_b64 s[26:27], s[26:27], exec
	s_or_b64 s[24:25], s[24:25], s[26:27]
	s_andn2_b64 s[26:27], s[14:15], exec
	s_and_b64 s[22:23], s[22:23], exec
	s_or_b64 s[22:23], s[26:27], s[22:23]
	s_andn2_b64 s[26:27], s[16:17], exec
	s_and_b64 s[18:19], s[18:19], exec
	s_xor_b64 s[20:21], exec, -1
	s_or_b64 s[18:19], s[26:27], s[18:19]
.LBB353_499:
	s_or_b64 exec, exec, s[4:5]
	s_and_b64 s[4:5], s[20:21], exec
	s_andn2_b64 s[12:13], s[12:13], exec
	s_and_b64 s[20:21], s[24:25], exec
	s_or_b64 s[12:13], s[12:13], s[20:21]
	s_andn2_b64 s[14:15], s[14:15], exec
	s_and_b64 s[20:21], s[22:23], exec
	s_andn2_b64 s[16:17], s[16:17], exec
	s_and_b64 s[18:19], s[18:19], exec
	s_or_b64 s[14:15], s[14:15], s[20:21]
	s_or_b64 s[16:17], s[16:17], s[18:19]
	s_or_b64 exec, exec, s[10:11]
	s_and_saveexec_b64 s[10:11], s[16:17]
	s_cbranch_execz .LBB353_435
.LBB353_500:
	s_andn2_b64 s[14:15], s[14:15], exec
	s_waitcnt lgkmcnt(0)
	flat_store_short v[4:5], v16
                                        ; implicit-def: $vgpr14
                                        ; implicit-def: $vgpr15
	s_or_b64 exec, exec, s[10:11]
	s_and_saveexec_b64 s[10:11], s[14:15]
	s_cbranch_execz .LBB353_436
.LBB353_501:
	s_waitcnt lgkmcnt(0)
	flat_store_short v[4:5], v15
                                        ; implicit-def: $vgpr14
	s_or_b64 exec, exec, s[10:11]
	s_and_saveexec_b64 s[10:11], s[12:13]
	s_xor_b64 s[10:11], exec, s[10:11]
	s_cbranch_execz .LBB353_437
.LBB353_502:
	s_waitcnt lgkmcnt(0)
	flat_store_short v[4:5], v14
	s_or_b64 exec, exec, s[10:11]
	s_and_b64 exec, exec, s[4:5]
	s_cbranch_execz .LBB353_521
.LBB353_503:
	v_cmp_lt_i64_e32 vcc, 2, v[0:1]
	s_and_saveexec_b64 s[4:5], vcc
	s_xor_b64 s[4:5], exec, s[4:5]
	s_cbranch_execz .LBB353_513
; %bb.504:
	v_cmp_lt_i64_e32 vcc, 3, v[0:1]
	s_and_saveexec_b64 s[10:11], vcc
	s_xor_b64 s[10:11], exec, s[10:11]
	s_cbranch_execz .LBB353_510
; %bb.505:
	;; [unrolled: 5-line block ×3, first 2 shown]
	s_waitcnt lgkmcnt(0)
	flat_store_short v[4:5], v13
                                        ; implicit-def: $vgpr4_vgpr5
                                        ; implicit-def: $vgpr10
.LBB353_507:
	s_andn2_saveexec_b64 s[12:13], s[12:13]
	s_cbranch_execz .LBB353_509
; %bb.508:
	s_waitcnt lgkmcnt(0)
	flat_store_short v[4:5], v10
.LBB353_509:
	s_or_b64 exec, exec, s[12:13]
                                        ; implicit-def: $vgpr4_vgpr5
                                        ; implicit-def: $vgpr12
.LBB353_510:
	s_andn2_saveexec_b64 s[10:11], s[10:11]
	s_cbranch_execz .LBB353_512
; %bb.511:
	s_waitcnt lgkmcnt(0)
	flat_store_short v[4:5], v12
.LBB353_512:
	s_or_b64 exec, exec, s[10:11]
                                        ; implicit-def: $vgpr0_vgpr1
                                        ; implicit-def: $vgpr4_vgpr5
                                        ; implicit-def: $vgpr11
                                        ; implicit-def: $vgpr6
                                        ; implicit-def: $vgpr7
.LBB353_513:
	s_andn2_saveexec_b64 s[4:5], s[4:5]
	s_cbranch_execz .LBB353_521
; %bb.514:
	v_cmp_lt_i64_e32 vcc, 1, v[0:1]
	s_and_saveexec_b64 s[4:5], vcc
	s_xor_b64 s[4:5], exec, s[4:5]
	s_cbranch_execz .LBB353_516
; %bb.515:
	s_waitcnt lgkmcnt(0)
	flat_store_short v[4:5], v11
                                        ; implicit-def: $vgpr4_vgpr5
                                        ; implicit-def: $vgpr6
                                        ; implicit-def: $vgpr0_vgpr1
                                        ; implicit-def: $vgpr7
.LBB353_516:
	s_andn2_saveexec_b64 s[4:5], s[4:5]
	s_cbranch_execz .LBB353_521
; %bb.517:
	v_cmp_ne_u64_e32 vcc, 1, v[0:1]
	s_and_saveexec_b64 s[4:5], vcc
	s_xor_b64 s[4:5], exec, s[4:5]
	s_cbranch_execz .LBB353_519
; %bb.518:
	s_waitcnt lgkmcnt(0)
	flat_store_short v[4:5], v7
                                        ; implicit-def: $vgpr4_vgpr5
                                        ; implicit-def: $vgpr6
.LBB353_519:
	s_andn2_saveexec_b64 s[4:5], s[4:5]
	s_cbranch_execz .LBB353_521
; %bb.520:
	s_waitcnt lgkmcnt(0)
	flat_store_short v[4:5], v6
.LBB353_521:
	s_or_b64 exec, exec, s[8:9]
.LBB353_522:
	s_or_b64 exec, exec, s[6:7]
	v_readlane_b32 s30, v40, 0
	v_readlane_b32 s31, v40, 1
	s_or_saveexec_b64 s[4:5], -1
	buffer_load_dword v40, off, s[0:3], s32 ; 4-byte Folded Reload
	s_mov_b64 exec, s[4:5]
	s_waitcnt vmcnt(0) lgkmcnt(0)
	s_setpc_b64 s[30:31]
.Lfunc_end353:
	.size	_ZZZN7rocprim17ROCPRIM_400000_NS6detail9scan_implILNS1_25lookback_scan_determinismE0ELb0ELb0ENS0_14default_configEPKN3c104HalfEPS6_S6_ZZZN2at6native31launch_logcumsumexp_cuda_kernelERKNSA_10TensorBaseESE_lENKUlvE_clEvENKUlvE3_clEvEUlS6_S6_E_S6_EEDaPvRmT3_T4_T5_mT6_P12ihipStream_tbENKUlT_T0_E_clISt17integral_constantIbLb0EESV_EEDaSQ_SR_ENKUlSQ_E_clINS1_13target_configIS4_NS1_20scan_config_selectorIS6_EENS1_11comp_targetILNS1_3genE4ELNS1_11target_archE910ELNS1_3gpuE8ELNS1_3repE0EEELNS0_4arch9wavefront6targetE1EEEEEDaSQ_, .Lfunc_end353-_ZZZN7rocprim17ROCPRIM_400000_NS6detail9scan_implILNS1_25lookback_scan_determinismE0ELb0ELb0ENS0_14default_configEPKN3c104HalfEPS6_S6_ZZZN2at6native31launch_logcumsumexp_cuda_kernelERKNSA_10TensorBaseESE_lENKUlvE_clEvENKUlvE3_clEvEUlS6_S6_E_S6_EEDaPvRmT3_T4_T5_mT6_P12ihipStream_tbENKUlT_T0_E_clISt17integral_constantIbLb0EESV_EEDaSQ_SR_ENKUlSQ_E_clINS1_13target_configIS4_NS1_20scan_config_selectorIS6_EENS1_11comp_targetILNS1_3genE4ELNS1_11target_archE910ELNS1_3gpuE8ELNS1_3repE0EEELNS0_4arch9wavefront6targetE1EEEEEDaSQ_
                                        ; -- End function
	.section	.AMDGPU.csdata,"",@progbits
; Function info:
; codeLenInByte = 109300
; NumSgprs: 82
; NumVgprs: 164
; NumAgprs: 0
; TotalNumVgprs: 164
; ScratchSize: 8
; MemoryBound: 0
	.section	.text._ZN7rocprim17ROCPRIM_400000_NS6detail17trampoline_kernelINS0_14default_configENS1_20scan_config_selectorIN3c104HalfEEEZZNS1_9scan_implILNS1_25lookback_scan_determinismE0ELb0ELb0ES3_PKS6_PS6_S6_ZZZN2at6native31launch_logcumsumexp_cuda_kernelERKNSD_10TensorBaseESH_lENKUlvE_clEvENKUlvE3_clEvEUlS6_S6_E_S6_EEDaPvRmT3_T4_T5_mT6_P12ihipStream_tbENKUlT_T0_E_clISt17integral_constantIbLb0EESY_EEDaST_SU_EUlST_E_NS1_11comp_targetILNS1_3genE4ELNS1_11target_archE910ELNS1_3gpuE8ELNS1_3repE0EEENS1_30default_config_static_selectorELNS0_4arch9wavefront6targetE1EEEvT1_,"axG",@progbits,_ZN7rocprim17ROCPRIM_400000_NS6detail17trampoline_kernelINS0_14default_configENS1_20scan_config_selectorIN3c104HalfEEEZZNS1_9scan_implILNS1_25lookback_scan_determinismE0ELb0ELb0ES3_PKS6_PS6_S6_ZZZN2at6native31launch_logcumsumexp_cuda_kernelERKNSD_10TensorBaseESH_lENKUlvE_clEvENKUlvE3_clEvEUlS6_S6_E_S6_EEDaPvRmT3_T4_T5_mT6_P12ihipStream_tbENKUlT_T0_E_clISt17integral_constantIbLb0EESY_EEDaST_SU_EUlST_E_NS1_11comp_targetILNS1_3genE4ELNS1_11target_archE910ELNS1_3gpuE8ELNS1_3repE0EEENS1_30default_config_static_selectorELNS0_4arch9wavefront6targetE1EEEvT1_,comdat
	.globl	_ZN7rocprim17ROCPRIM_400000_NS6detail17trampoline_kernelINS0_14default_configENS1_20scan_config_selectorIN3c104HalfEEEZZNS1_9scan_implILNS1_25lookback_scan_determinismE0ELb0ELb0ES3_PKS6_PS6_S6_ZZZN2at6native31launch_logcumsumexp_cuda_kernelERKNSD_10TensorBaseESH_lENKUlvE_clEvENKUlvE3_clEvEUlS6_S6_E_S6_EEDaPvRmT3_T4_T5_mT6_P12ihipStream_tbENKUlT_T0_E_clISt17integral_constantIbLb0EESY_EEDaST_SU_EUlST_E_NS1_11comp_targetILNS1_3genE4ELNS1_11target_archE910ELNS1_3gpuE8ELNS1_3repE0EEENS1_30default_config_static_selectorELNS0_4arch9wavefront6targetE1EEEvT1_ ; -- Begin function _ZN7rocprim17ROCPRIM_400000_NS6detail17trampoline_kernelINS0_14default_configENS1_20scan_config_selectorIN3c104HalfEEEZZNS1_9scan_implILNS1_25lookback_scan_determinismE0ELb0ELb0ES3_PKS6_PS6_S6_ZZZN2at6native31launch_logcumsumexp_cuda_kernelERKNSD_10TensorBaseESH_lENKUlvE_clEvENKUlvE3_clEvEUlS6_S6_E_S6_EEDaPvRmT3_T4_T5_mT6_P12ihipStream_tbENKUlT_T0_E_clISt17integral_constantIbLb0EESY_EEDaST_SU_EUlST_E_NS1_11comp_targetILNS1_3genE4ELNS1_11target_archE910ELNS1_3gpuE8ELNS1_3repE0EEENS1_30default_config_static_selectorELNS0_4arch9wavefront6targetE1EEEvT1_
	.p2align	8
	.type	_ZN7rocprim17ROCPRIM_400000_NS6detail17trampoline_kernelINS0_14default_configENS1_20scan_config_selectorIN3c104HalfEEEZZNS1_9scan_implILNS1_25lookback_scan_determinismE0ELb0ELb0ES3_PKS6_PS6_S6_ZZZN2at6native31launch_logcumsumexp_cuda_kernelERKNSD_10TensorBaseESH_lENKUlvE_clEvENKUlvE3_clEvEUlS6_S6_E_S6_EEDaPvRmT3_T4_T5_mT6_P12ihipStream_tbENKUlT_T0_E_clISt17integral_constantIbLb0EESY_EEDaST_SU_EUlST_E_NS1_11comp_targetILNS1_3genE4ELNS1_11target_archE910ELNS1_3gpuE8ELNS1_3repE0EEENS1_30default_config_static_selectorELNS0_4arch9wavefront6targetE1EEEvT1_,@function
_ZN7rocprim17ROCPRIM_400000_NS6detail17trampoline_kernelINS0_14default_configENS1_20scan_config_selectorIN3c104HalfEEEZZNS1_9scan_implILNS1_25lookback_scan_determinismE0ELb0ELb0ES3_PKS6_PS6_S6_ZZZN2at6native31launch_logcumsumexp_cuda_kernelERKNSD_10TensorBaseESH_lENKUlvE_clEvENKUlvE3_clEvEUlS6_S6_E_S6_EEDaPvRmT3_T4_T5_mT6_P12ihipStream_tbENKUlT_T0_E_clISt17integral_constantIbLb0EESY_EEDaST_SU_EUlST_E_NS1_11comp_targetILNS1_3genE4ELNS1_11target_archE910ELNS1_3gpuE8ELNS1_3repE0EEENS1_30default_config_static_selectorELNS0_4arch9wavefront6targetE1EEEvT1_: ; @_ZN7rocprim17ROCPRIM_400000_NS6detail17trampoline_kernelINS0_14default_configENS1_20scan_config_selectorIN3c104HalfEEEZZNS1_9scan_implILNS1_25lookback_scan_determinismE0ELb0ELb0ES3_PKS6_PS6_S6_ZZZN2at6native31launch_logcumsumexp_cuda_kernelERKNSD_10TensorBaseESH_lENKUlvE_clEvENKUlvE3_clEvEUlS6_S6_E_S6_EEDaPvRmT3_T4_T5_mT6_P12ihipStream_tbENKUlT_T0_E_clISt17integral_constantIbLb0EESY_EEDaST_SU_EUlST_E_NS1_11comp_targetILNS1_3genE4ELNS1_11target_archE910ELNS1_3gpuE8ELNS1_3repE0EEENS1_30default_config_static_selectorELNS0_4arch9wavefront6targetE1EEEvT1_
; %bb.0:
	s_load_dwordx8 s[16:23], s[4:5], 0x0
	s_add_u32 flat_scratch_lo, s6, s9
	s_addc_u32 flat_scratch_hi, s7, 0
	s_add_u32 s0, s0, s9
	s_addc_u32 s1, s1, 0
	s_waitcnt lgkmcnt(0)
	v_mov_b32_e32 v1, s19
	buffer_store_dword v1, off, s[0:3], 0 offset:12
	v_mov_b32_e32 v1, s18
	buffer_store_dword v1, off, s[0:3], 0 offset:8
	v_mov_b32_e32 v1, s17
	s_load_dwordx8 s[24:31], s[4:5], 0x20
	buffer_store_dword v1, off, s[0:3], 0 offset:4
	v_mov_b32_e32 v1, s16
	buffer_store_dword v1, off, s[0:3], 0
	v_mov_b32_e32 v1, s23
	buffer_store_dword v1, off, s[0:3], 0 offset:28
	v_mov_b32_e32 v1, s22
	buffer_store_dword v1, off, s[0:3], 0 offset:24
	;; [unrolled: 2-line block ×4, first 2 shown]
	s_waitcnt lgkmcnt(0)
	v_mov_b32_e32 v1, s27
	buffer_store_dword v1, off, s[0:3], 0 offset:44
	v_mov_b32_e32 v1, s26
	buffer_store_dword v1, off, s[0:3], 0 offset:40
	v_mov_b32_e32 v1, s25
	buffer_store_dword v1, off, s[0:3], 0 offset:36
	v_mov_b32_e32 v1, s24
	s_load_dwordx8 s[16:23], s[4:5], 0x40
	buffer_store_dword v1, off, s[0:3], 0 offset:32
	v_mov_b32_e32 v1, s31
	buffer_store_dword v1, off, s[0:3], 0 offset:60
	v_mov_b32_e32 v1, s30
	;; [unrolled: 2-line block ×4, first 2 shown]
	buffer_store_dword v1, off, s[0:3], 0 offset:48
	s_waitcnt lgkmcnt(0)
	v_mov_b32_e32 v1, s19
	buffer_store_dword v1, off, s[0:3], 0 offset:76
	v_mov_b32_e32 v1, s18
	buffer_store_dword v1, off, s[0:3], 0 offset:72
	;; [unrolled: 2-line block ×6, first 2 shown]
	v_mov_b32_e32 v1, s21
	s_mov_b32 s12, s8
	s_mov_b64 s[6:7], src_private_base
	buffer_store_dword v1, off, s[0:3], 0 offset:84
	v_mov_b32_e32 v1, s20
	s_add_u32 s8, s4, 0x60
	buffer_store_dword v1, off, s[0:3], 0 offset:80
	s_addc_u32 s9, s5, 0
	v_mov_b32_e32 v31, v0
	v_mov_b32_e32 v0, 0
	;; [unrolled: 1-line block ×3, first 2 shown]
	s_movk_i32 s32, 0x1c00
	s_getpc_b64 s[4:5]
	s_add_u32 s4, s4, _ZZZN7rocprim17ROCPRIM_400000_NS6detail9scan_implILNS1_25lookback_scan_determinismE0ELb0ELb0ENS0_14default_configEPKN3c104HalfEPS6_S6_ZZZN2at6native31launch_logcumsumexp_cuda_kernelERKNSA_10TensorBaseESE_lENKUlvE_clEvENKUlvE3_clEvEUlS6_S6_E_S6_EEDaPvRmT3_T4_T5_mT6_P12ihipStream_tbENKUlT_T0_E_clISt17integral_constantIbLb0EESV_EEDaSQ_SR_ENKUlSQ_E_clINS1_13target_configIS4_NS1_20scan_config_selectorIS6_EENS1_11comp_targetILNS1_3genE4ELNS1_11target_archE910ELNS1_3gpuE8ELNS1_3repE0EEELNS0_4arch9wavefront6targetE1EEEEEDaSQ_@rel32@lo+4
	s_addc_u32 s5, s5, _ZZZN7rocprim17ROCPRIM_400000_NS6detail9scan_implILNS1_25lookback_scan_determinismE0ELb0ELb0ENS0_14default_configEPKN3c104HalfEPS6_S6_ZZZN2at6native31launch_logcumsumexp_cuda_kernelERKNSA_10TensorBaseESE_lENKUlvE_clEvENKUlvE3_clEvEUlS6_S6_E_S6_EEDaPvRmT3_T4_T5_mT6_P12ihipStream_tbENKUlT_T0_E_clISt17integral_constantIbLb0EESV_EEDaSQ_SR_ENKUlSQ_E_clINS1_13target_configIS4_NS1_20scan_config_selectorIS6_EENS1_11comp_targetILNS1_3genE4ELNS1_11target_archE910ELNS1_3gpuE8ELNS1_3repE0EEELNS0_4arch9wavefront6targetE1EEEEEDaSQ_@rel32@hi+12
	s_swappc_b64 s[30:31], s[4:5]
	s_endpgm
	.section	.rodata,"a",@progbits
	.p2align	6, 0x0
	.amdhsa_kernel _ZN7rocprim17ROCPRIM_400000_NS6detail17trampoline_kernelINS0_14default_configENS1_20scan_config_selectorIN3c104HalfEEEZZNS1_9scan_implILNS1_25lookback_scan_determinismE0ELb0ELb0ES3_PKS6_PS6_S6_ZZZN2at6native31launch_logcumsumexp_cuda_kernelERKNSD_10TensorBaseESH_lENKUlvE_clEvENKUlvE3_clEvEUlS6_S6_E_S6_EEDaPvRmT3_T4_T5_mT6_P12ihipStream_tbENKUlT_T0_E_clISt17integral_constantIbLb0EESY_EEDaST_SU_EUlST_E_NS1_11comp_targetILNS1_3genE4ELNS1_11target_archE910ELNS1_3gpuE8ELNS1_3repE0EEENS1_30default_config_static_selectorELNS0_4arch9wavefront6targetE1EEEvT1_
		.amdhsa_group_segment_fixed_size 3072
		.amdhsa_private_segment_fixed_size 120
		.amdhsa_kernarg_size 352
		.amdhsa_user_sgpr_count 8
		.amdhsa_user_sgpr_private_segment_buffer 1
		.amdhsa_user_sgpr_dispatch_ptr 0
		.amdhsa_user_sgpr_queue_ptr 0
		.amdhsa_user_sgpr_kernarg_segment_ptr 1
		.amdhsa_user_sgpr_dispatch_id 0
		.amdhsa_user_sgpr_flat_scratch_init 1
		.amdhsa_user_sgpr_kernarg_preload_length 0
		.amdhsa_user_sgpr_kernarg_preload_offset 0
		.amdhsa_user_sgpr_private_segment_size 0
		.amdhsa_uses_dynamic_stack 0
		.amdhsa_system_sgpr_private_segment_wavefront_offset 1
		.amdhsa_system_sgpr_workgroup_id_x 1
		.amdhsa_system_sgpr_workgroup_id_y 0
		.amdhsa_system_sgpr_workgroup_id_z 0
		.amdhsa_system_sgpr_workgroup_info 0
		.amdhsa_system_vgpr_workitem_id 0
		.amdhsa_next_free_vgpr 164
		.amdhsa_next_free_sgpr 78
		.amdhsa_accum_offset 164
		.amdhsa_reserve_vcc 1
		.amdhsa_reserve_flat_scratch 1
		.amdhsa_float_round_mode_32 0
		.amdhsa_float_round_mode_16_64 0
		.amdhsa_float_denorm_mode_32 3
		.amdhsa_float_denorm_mode_16_64 3
		.amdhsa_dx10_clamp 1
		.amdhsa_ieee_mode 1
		.amdhsa_fp16_overflow 0
		.amdhsa_tg_split 0
		.amdhsa_exception_fp_ieee_invalid_op 0
		.amdhsa_exception_fp_denorm_src 0
		.amdhsa_exception_fp_ieee_div_zero 0
		.amdhsa_exception_fp_ieee_overflow 0
		.amdhsa_exception_fp_ieee_underflow 0
		.amdhsa_exception_fp_ieee_inexact 0
		.amdhsa_exception_int_div_zero 0
	.end_amdhsa_kernel
	.section	.text._ZN7rocprim17ROCPRIM_400000_NS6detail17trampoline_kernelINS0_14default_configENS1_20scan_config_selectorIN3c104HalfEEEZZNS1_9scan_implILNS1_25lookback_scan_determinismE0ELb0ELb0ES3_PKS6_PS6_S6_ZZZN2at6native31launch_logcumsumexp_cuda_kernelERKNSD_10TensorBaseESH_lENKUlvE_clEvENKUlvE3_clEvEUlS6_S6_E_S6_EEDaPvRmT3_T4_T5_mT6_P12ihipStream_tbENKUlT_T0_E_clISt17integral_constantIbLb0EESY_EEDaST_SU_EUlST_E_NS1_11comp_targetILNS1_3genE4ELNS1_11target_archE910ELNS1_3gpuE8ELNS1_3repE0EEENS1_30default_config_static_selectorELNS0_4arch9wavefront6targetE1EEEvT1_,"axG",@progbits,_ZN7rocprim17ROCPRIM_400000_NS6detail17trampoline_kernelINS0_14default_configENS1_20scan_config_selectorIN3c104HalfEEEZZNS1_9scan_implILNS1_25lookback_scan_determinismE0ELb0ELb0ES3_PKS6_PS6_S6_ZZZN2at6native31launch_logcumsumexp_cuda_kernelERKNSD_10TensorBaseESH_lENKUlvE_clEvENKUlvE3_clEvEUlS6_S6_E_S6_EEDaPvRmT3_T4_T5_mT6_P12ihipStream_tbENKUlT_T0_E_clISt17integral_constantIbLb0EESY_EEDaST_SU_EUlST_E_NS1_11comp_targetILNS1_3genE4ELNS1_11target_archE910ELNS1_3gpuE8ELNS1_3repE0EEENS1_30default_config_static_selectorELNS0_4arch9wavefront6targetE1EEEvT1_,comdat
.Lfunc_end354:
	.size	_ZN7rocprim17ROCPRIM_400000_NS6detail17trampoline_kernelINS0_14default_configENS1_20scan_config_selectorIN3c104HalfEEEZZNS1_9scan_implILNS1_25lookback_scan_determinismE0ELb0ELb0ES3_PKS6_PS6_S6_ZZZN2at6native31launch_logcumsumexp_cuda_kernelERKNSD_10TensorBaseESH_lENKUlvE_clEvENKUlvE3_clEvEUlS6_S6_E_S6_EEDaPvRmT3_T4_T5_mT6_P12ihipStream_tbENKUlT_T0_E_clISt17integral_constantIbLb0EESY_EEDaST_SU_EUlST_E_NS1_11comp_targetILNS1_3genE4ELNS1_11target_archE910ELNS1_3gpuE8ELNS1_3repE0EEENS1_30default_config_static_selectorELNS0_4arch9wavefront6targetE1EEEvT1_, .Lfunc_end354-_ZN7rocprim17ROCPRIM_400000_NS6detail17trampoline_kernelINS0_14default_configENS1_20scan_config_selectorIN3c104HalfEEEZZNS1_9scan_implILNS1_25lookback_scan_determinismE0ELb0ELb0ES3_PKS6_PS6_S6_ZZZN2at6native31launch_logcumsumexp_cuda_kernelERKNSD_10TensorBaseESH_lENKUlvE_clEvENKUlvE3_clEvEUlS6_S6_E_S6_EEDaPvRmT3_T4_T5_mT6_P12ihipStream_tbENKUlT_T0_E_clISt17integral_constantIbLb0EESY_EEDaST_SU_EUlST_E_NS1_11comp_targetILNS1_3genE4ELNS1_11target_archE910ELNS1_3gpuE8ELNS1_3repE0EEENS1_30default_config_static_selectorELNS0_4arch9wavefront6targetE1EEEvT1_
                                        ; -- End function
	.section	.AMDGPU.csdata,"",@progbits
; Kernel info:
; codeLenInByte = 404
; NumSgprs: 84
; NumVgprs: 164
; NumAgprs: 0
; TotalNumVgprs: 164
; ScratchSize: 120
; MemoryBound: 0
; FloatMode: 240
; IeeeMode: 1
; LDSByteSize: 3072 bytes/workgroup (compile time only)
; SGPRBlocks: 10
; VGPRBlocks: 20
; NumSGPRsForWavesPerEU: 84
; NumVGPRsForWavesPerEU: 164
; AccumOffset: 164
; Occupancy: 3
; WaveLimiterHint : 1
; COMPUTE_PGM_RSRC2:SCRATCH_EN: 1
; COMPUTE_PGM_RSRC2:USER_SGPR: 8
; COMPUTE_PGM_RSRC2:TRAP_HANDLER: 0
; COMPUTE_PGM_RSRC2:TGID_X_EN: 1
; COMPUTE_PGM_RSRC2:TGID_Y_EN: 0
; COMPUTE_PGM_RSRC2:TGID_Z_EN: 0
; COMPUTE_PGM_RSRC2:TIDIG_COMP_CNT: 0
; COMPUTE_PGM_RSRC3_GFX90A:ACCUM_OFFSET: 40
; COMPUTE_PGM_RSRC3_GFX90A:TG_SPLIT: 0
	.section	.text._ZN7rocprim17ROCPRIM_400000_NS6detail17trampoline_kernelINS0_14default_configENS1_20scan_config_selectorIN3c104HalfEEEZZNS1_9scan_implILNS1_25lookback_scan_determinismE0ELb0ELb0ES3_PKS6_PS6_S6_ZZZN2at6native31launch_logcumsumexp_cuda_kernelERKNSD_10TensorBaseESH_lENKUlvE_clEvENKUlvE3_clEvEUlS6_S6_E_S6_EEDaPvRmT3_T4_T5_mT6_P12ihipStream_tbENKUlT_T0_E_clISt17integral_constantIbLb0EESY_EEDaST_SU_EUlST_E_NS1_11comp_targetILNS1_3genE3ELNS1_11target_archE908ELNS1_3gpuE7ELNS1_3repE0EEENS1_30default_config_static_selectorELNS0_4arch9wavefront6targetE1EEEvT1_,"axG",@progbits,_ZN7rocprim17ROCPRIM_400000_NS6detail17trampoline_kernelINS0_14default_configENS1_20scan_config_selectorIN3c104HalfEEEZZNS1_9scan_implILNS1_25lookback_scan_determinismE0ELb0ELb0ES3_PKS6_PS6_S6_ZZZN2at6native31launch_logcumsumexp_cuda_kernelERKNSD_10TensorBaseESH_lENKUlvE_clEvENKUlvE3_clEvEUlS6_S6_E_S6_EEDaPvRmT3_T4_T5_mT6_P12ihipStream_tbENKUlT_T0_E_clISt17integral_constantIbLb0EESY_EEDaST_SU_EUlST_E_NS1_11comp_targetILNS1_3genE3ELNS1_11target_archE908ELNS1_3gpuE7ELNS1_3repE0EEENS1_30default_config_static_selectorELNS0_4arch9wavefront6targetE1EEEvT1_,comdat
	.globl	_ZN7rocprim17ROCPRIM_400000_NS6detail17trampoline_kernelINS0_14default_configENS1_20scan_config_selectorIN3c104HalfEEEZZNS1_9scan_implILNS1_25lookback_scan_determinismE0ELb0ELb0ES3_PKS6_PS6_S6_ZZZN2at6native31launch_logcumsumexp_cuda_kernelERKNSD_10TensorBaseESH_lENKUlvE_clEvENKUlvE3_clEvEUlS6_S6_E_S6_EEDaPvRmT3_T4_T5_mT6_P12ihipStream_tbENKUlT_T0_E_clISt17integral_constantIbLb0EESY_EEDaST_SU_EUlST_E_NS1_11comp_targetILNS1_3genE3ELNS1_11target_archE908ELNS1_3gpuE7ELNS1_3repE0EEENS1_30default_config_static_selectorELNS0_4arch9wavefront6targetE1EEEvT1_ ; -- Begin function _ZN7rocprim17ROCPRIM_400000_NS6detail17trampoline_kernelINS0_14default_configENS1_20scan_config_selectorIN3c104HalfEEEZZNS1_9scan_implILNS1_25lookback_scan_determinismE0ELb0ELb0ES3_PKS6_PS6_S6_ZZZN2at6native31launch_logcumsumexp_cuda_kernelERKNSD_10TensorBaseESH_lENKUlvE_clEvENKUlvE3_clEvEUlS6_S6_E_S6_EEDaPvRmT3_T4_T5_mT6_P12ihipStream_tbENKUlT_T0_E_clISt17integral_constantIbLb0EESY_EEDaST_SU_EUlST_E_NS1_11comp_targetILNS1_3genE3ELNS1_11target_archE908ELNS1_3gpuE7ELNS1_3repE0EEENS1_30default_config_static_selectorELNS0_4arch9wavefront6targetE1EEEvT1_
	.p2align	8
	.type	_ZN7rocprim17ROCPRIM_400000_NS6detail17trampoline_kernelINS0_14default_configENS1_20scan_config_selectorIN3c104HalfEEEZZNS1_9scan_implILNS1_25lookback_scan_determinismE0ELb0ELb0ES3_PKS6_PS6_S6_ZZZN2at6native31launch_logcumsumexp_cuda_kernelERKNSD_10TensorBaseESH_lENKUlvE_clEvENKUlvE3_clEvEUlS6_S6_E_S6_EEDaPvRmT3_T4_T5_mT6_P12ihipStream_tbENKUlT_T0_E_clISt17integral_constantIbLb0EESY_EEDaST_SU_EUlST_E_NS1_11comp_targetILNS1_3genE3ELNS1_11target_archE908ELNS1_3gpuE7ELNS1_3repE0EEENS1_30default_config_static_selectorELNS0_4arch9wavefront6targetE1EEEvT1_,@function
_ZN7rocprim17ROCPRIM_400000_NS6detail17trampoline_kernelINS0_14default_configENS1_20scan_config_selectorIN3c104HalfEEEZZNS1_9scan_implILNS1_25lookback_scan_determinismE0ELb0ELb0ES3_PKS6_PS6_S6_ZZZN2at6native31launch_logcumsumexp_cuda_kernelERKNSD_10TensorBaseESH_lENKUlvE_clEvENKUlvE3_clEvEUlS6_S6_E_S6_EEDaPvRmT3_T4_T5_mT6_P12ihipStream_tbENKUlT_T0_E_clISt17integral_constantIbLb0EESY_EEDaST_SU_EUlST_E_NS1_11comp_targetILNS1_3genE3ELNS1_11target_archE908ELNS1_3gpuE7ELNS1_3repE0EEENS1_30default_config_static_selectorELNS0_4arch9wavefront6targetE1EEEvT1_: ; @_ZN7rocprim17ROCPRIM_400000_NS6detail17trampoline_kernelINS0_14default_configENS1_20scan_config_selectorIN3c104HalfEEEZZNS1_9scan_implILNS1_25lookback_scan_determinismE0ELb0ELb0ES3_PKS6_PS6_S6_ZZZN2at6native31launch_logcumsumexp_cuda_kernelERKNSD_10TensorBaseESH_lENKUlvE_clEvENKUlvE3_clEvEUlS6_S6_E_S6_EEDaPvRmT3_T4_T5_mT6_P12ihipStream_tbENKUlT_T0_E_clISt17integral_constantIbLb0EESY_EEDaST_SU_EUlST_E_NS1_11comp_targetILNS1_3genE3ELNS1_11target_archE908ELNS1_3gpuE7ELNS1_3repE0EEENS1_30default_config_static_selectorELNS0_4arch9wavefront6targetE1EEEvT1_
; %bb.0:
	.section	.rodata,"a",@progbits
	.p2align	6, 0x0
	.amdhsa_kernel _ZN7rocprim17ROCPRIM_400000_NS6detail17trampoline_kernelINS0_14default_configENS1_20scan_config_selectorIN3c104HalfEEEZZNS1_9scan_implILNS1_25lookback_scan_determinismE0ELb0ELb0ES3_PKS6_PS6_S6_ZZZN2at6native31launch_logcumsumexp_cuda_kernelERKNSD_10TensorBaseESH_lENKUlvE_clEvENKUlvE3_clEvEUlS6_S6_E_S6_EEDaPvRmT3_T4_T5_mT6_P12ihipStream_tbENKUlT_T0_E_clISt17integral_constantIbLb0EESY_EEDaST_SU_EUlST_E_NS1_11comp_targetILNS1_3genE3ELNS1_11target_archE908ELNS1_3gpuE7ELNS1_3repE0EEENS1_30default_config_static_selectorELNS0_4arch9wavefront6targetE1EEEvT1_
		.amdhsa_group_segment_fixed_size 0
		.amdhsa_private_segment_fixed_size 0
		.amdhsa_kernarg_size 96
		.amdhsa_user_sgpr_count 6
		.amdhsa_user_sgpr_private_segment_buffer 1
		.amdhsa_user_sgpr_dispatch_ptr 0
		.amdhsa_user_sgpr_queue_ptr 0
		.amdhsa_user_sgpr_kernarg_segment_ptr 1
		.amdhsa_user_sgpr_dispatch_id 0
		.amdhsa_user_sgpr_flat_scratch_init 0
		.amdhsa_user_sgpr_kernarg_preload_length 0
		.amdhsa_user_sgpr_kernarg_preload_offset 0
		.amdhsa_user_sgpr_private_segment_size 0
		.amdhsa_uses_dynamic_stack 0
		.amdhsa_system_sgpr_private_segment_wavefront_offset 0
		.amdhsa_system_sgpr_workgroup_id_x 1
		.amdhsa_system_sgpr_workgroup_id_y 0
		.amdhsa_system_sgpr_workgroup_id_z 0
		.amdhsa_system_sgpr_workgroup_info 0
		.amdhsa_system_vgpr_workitem_id 0
		.amdhsa_next_free_vgpr 1
		.amdhsa_next_free_sgpr 0
		.amdhsa_accum_offset 4
		.amdhsa_reserve_vcc 0
		.amdhsa_reserve_flat_scratch 0
		.amdhsa_float_round_mode_32 0
		.amdhsa_float_round_mode_16_64 0
		.amdhsa_float_denorm_mode_32 3
		.amdhsa_float_denorm_mode_16_64 3
		.amdhsa_dx10_clamp 1
		.amdhsa_ieee_mode 1
		.amdhsa_fp16_overflow 0
		.amdhsa_tg_split 0
		.amdhsa_exception_fp_ieee_invalid_op 0
		.amdhsa_exception_fp_denorm_src 0
		.amdhsa_exception_fp_ieee_div_zero 0
		.amdhsa_exception_fp_ieee_overflow 0
		.amdhsa_exception_fp_ieee_underflow 0
		.amdhsa_exception_fp_ieee_inexact 0
		.amdhsa_exception_int_div_zero 0
	.end_amdhsa_kernel
	.section	.text._ZN7rocprim17ROCPRIM_400000_NS6detail17trampoline_kernelINS0_14default_configENS1_20scan_config_selectorIN3c104HalfEEEZZNS1_9scan_implILNS1_25lookback_scan_determinismE0ELb0ELb0ES3_PKS6_PS6_S6_ZZZN2at6native31launch_logcumsumexp_cuda_kernelERKNSD_10TensorBaseESH_lENKUlvE_clEvENKUlvE3_clEvEUlS6_S6_E_S6_EEDaPvRmT3_T4_T5_mT6_P12ihipStream_tbENKUlT_T0_E_clISt17integral_constantIbLb0EESY_EEDaST_SU_EUlST_E_NS1_11comp_targetILNS1_3genE3ELNS1_11target_archE908ELNS1_3gpuE7ELNS1_3repE0EEENS1_30default_config_static_selectorELNS0_4arch9wavefront6targetE1EEEvT1_,"axG",@progbits,_ZN7rocprim17ROCPRIM_400000_NS6detail17trampoline_kernelINS0_14default_configENS1_20scan_config_selectorIN3c104HalfEEEZZNS1_9scan_implILNS1_25lookback_scan_determinismE0ELb0ELb0ES3_PKS6_PS6_S6_ZZZN2at6native31launch_logcumsumexp_cuda_kernelERKNSD_10TensorBaseESH_lENKUlvE_clEvENKUlvE3_clEvEUlS6_S6_E_S6_EEDaPvRmT3_T4_T5_mT6_P12ihipStream_tbENKUlT_T0_E_clISt17integral_constantIbLb0EESY_EEDaST_SU_EUlST_E_NS1_11comp_targetILNS1_3genE3ELNS1_11target_archE908ELNS1_3gpuE7ELNS1_3repE0EEENS1_30default_config_static_selectorELNS0_4arch9wavefront6targetE1EEEvT1_,comdat
.Lfunc_end355:
	.size	_ZN7rocprim17ROCPRIM_400000_NS6detail17trampoline_kernelINS0_14default_configENS1_20scan_config_selectorIN3c104HalfEEEZZNS1_9scan_implILNS1_25lookback_scan_determinismE0ELb0ELb0ES3_PKS6_PS6_S6_ZZZN2at6native31launch_logcumsumexp_cuda_kernelERKNSD_10TensorBaseESH_lENKUlvE_clEvENKUlvE3_clEvEUlS6_S6_E_S6_EEDaPvRmT3_T4_T5_mT6_P12ihipStream_tbENKUlT_T0_E_clISt17integral_constantIbLb0EESY_EEDaST_SU_EUlST_E_NS1_11comp_targetILNS1_3genE3ELNS1_11target_archE908ELNS1_3gpuE7ELNS1_3repE0EEENS1_30default_config_static_selectorELNS0_4arch9wavefront6targetE1EEEvT1_, .Lfunc_end355-_ZN7rocprim17ROCPRIM_400000_NS6detail17trampoline_kernelINS0_14default_configENS1_20scan_config_selectorIN3c104HalfEEEZZNS1_9scan_implILNS1_25lookback_scan_determinismE0ELb0ELb0ES3_PKS6_PS6_S6_ZZZN2at6native31launch_logcumsumexp_cuda_kernelERKNSD_10TensorBaseESH_lENKUlvE_clEvENKUlvE3_clEvEUlS6_S6_E_S6_EEDaPvRmT3_T4_T5_mT6_P12ihipStream_tbENKUlT_T0_E_clISt17integral_constantIbLb0EESY_EEDaST_SU_EUlST_E_NS1_11comp_targetILNS1_3genE3ELNS1_11target_archE908ELNS1_3gpuE7ELNS1_3repE0EEENS1_30default_config_static_selectorELNS0_4arch9wavefront6targetE1EEEvT1_
                                        ; -- End function
	.section	.AMDGPU.csdata,"",@progbits
; Kernel info:
; codeLenInByte = 0
; NumSgprs: 4
; NumVgprs: 0
; NumAgprs: 0
; TotalNumVgprs: 0
; ScratchSize: 0
; MemoryBound: 0
; FloatMode: 240
; IeeeMode: 1
; LDSByteSize: 0 bytes/workgroup (compile time only)
; SGPRBlocks: 0
; VGPRBlocks: 0
; NumSGPRsForWavesPerEU: 4
; NumVGPRsForWavesPerEU: 1
; AccumOffset: 4
; Occupancy: 8
; WaveLimiterHint : 0
; COMPUTE_PGM_RSRC2:SCRATCH_EN: 0
; COMPUTE_PGM_RSRC2:USER_SGPR: 6
; COMPUTE_PGM_RSRC2:TRAP_HANDLER: 0
; COMPUTE_PGM_RSRC2:TGID_X_EN: 1
; COMPUTE_PGM_RSRC2:TGID_Y_EN: 0
; COMPUTE_PGM_RSRC2:TGID_Z_EN: 0
; COMPUTE_PGM_RSRC2:TIDIG_COMP_CNT: 0
; COMPUTE_PGM_RSRC3_GFX90A:ACCUM_OFFSET: 0
; COMPUTE_PGM_RSRC3_GFX90A:TG_SPLIT: 0
	.section	.text._ZN7rocprim17ROCPRIM_400000_NS6detail17trampoline_kernelINS0_14default_configENS1_20scan_config_selectorIN3c104HalfEEEZZNS1_9scan_implILNS1_25lookback_scan_determinismE0ELb0ELb0ES3_PKS6_PS6_S6_ZZZN2at6native31launch_logcumsumexp_cuda_kernelERKNSD_10TensorBaseESH_lENKUlvE_clEvENKUlvE3_clEvEUlS6_S6_E_S6_EEDaPvRmT3_T4_T5_mT6_P12ihipStream_tbENKUlT_T0_E_clISt17integral_constantIbLb0EESY_EEDaST_SU_EUlST_E_NS1_11comp_targetILNS1_3genE2ELNS1_11target_archE906ELNS1_3gpuE6ELNS1_3repE0EEENS1_30default_config_static_selectorELNS0_4arch9wavefront6targetE1EEEvT1_,"axG",@progbits,_ZN7rocprim17ROCPRIM_400000_NS6detail17trampoline_kernelINS0_14default_configENS1_20scan_config_selectorIN3c104HalfEEEZZNS1_9scan_implILNS1_25lookback_scan_determinismE0ELb0ELb0ES3_PKS6_PS6_S6_ZZZN2at6native31launch_logcumsumexp_cuda_kernelERKNSD_10TensorBaseESH_lENKUlvE_clEvENKUlvE3_clEvEUlS6_S6_E_S6_EEDaPvRmT3_T4_T5_mT6_P12ihipStream_tbENKUlT_T0_E_clISt17integral_constantIbLb0EESY_EEDaST_SU_EUlST_E_NS1_11comp_targetILNS1_3genE2ELNS1_11target_archE906ELNS1_3gpuE6ELNS1_3repE0EEENS1_30default_config_static_selectorELNS0_4arch9wavefront6targetE1EEEvT1_,comdat
	.globl	_ZN7rocprim17ROCPRIM_400000_NS6detail17trampoline_kernelINS0_14default_configENS1_20scan_config_selectorIN3c104HalfEEEZZNS1_9scan_implILNS1_25lookback_scan_determinismE0ELb0ELb0ES3_PKS6_PS6_S6_ZZZN2at6native31launch_logcumsumexp_cuda_kernelERKNSD_10TensorBaseESH_lENKUlvE_clEvENKUlvE3_clEvEUlS6_S6_E_S6_EEDaPvRmT3_T4_T5_mT6_P12ihipStream_tbENKUlT_T0_E_clISt17integral_constantIbLb0EESY_EEDaST_SU_EUlST_E_NS1_11comp_targetILNS1_3genE2ELNS1_11target_archE906ELNS1_3gpuE6ELNS1_3repE0EEENS1_30default_config_static_selectorELNS0_4arch9wavefront6targetE1EEEvT1_ ; -- Begin function _ZN7rocprim17ROCPRIM_400000_NS6detail17trampoline_kernelINS0_14default_configENS1_20scan_config_selectorIN3c104HalfEEEZZNS1_9scan_implILNS1_25lookback_scan_determinismE0ELb0ELb0ES3_PKS6_PS6_S6_ZZZN2at6native31launch_logcumsumexp_cuda_kernelERKNSD_10TensorBaseESH_lENKUlvE_clEvENKUlvE3_clEvEUlS6_S6_E_S6_EEDaPvRmT3_T4_T5_mT6_P12ihipStream_tbENKUlT_T0_E_clISt17integral_constantIbLb0EESY_EEDaST_SU_EUlST_E_NS1_11comp_targetILNS1_3genE2ELNS1_11target_archE906ELNS1_3gpuE6ELNS1_3repE0EEENS1_30default_config_static_selectorELNS0_4arch9wavefront6targetE1EEEvT1_
	.p2align	8
	.type	_ZN7rocprim17ROCPRIM_400000_NS6detail17trampoline_kernelINS0_14default_configENS1_20scan_config_selectorIN3c104HalfEEEZZNS1_9scan_implILNS1_25lookback_scan_determinismE0ELb0ELb0ES3_PKS6_PS6_S6_ZZZN2at6native31launch_logcumsumexp_cuda_kernelERKNSD_10TensorBaseESH_lENKUlvE_clEvENKUlvE3_clEvEUlS6_S6_E_S6_EEDaPvRmT3_T4_T5_mT6_P12ihipStream_tbENKUlT_T0_E_clISt17integral_constantIbLb0EESY_EEDaST_SU_EUlST_E_NS1_11comp_targetILNS1_3genE2ELNS1_11target_archE906ELNS1_3gpuE6ELNS1_3repE0EEENS1_30default_config_static_selectorELNS0_4arch9wavefront6targetE1EEEvT1_,@function
_ZN7rocprim17ROCPRIM_400000_NS6detail17trampoline_kernelINS0_14default_configENS1_20scan_config_selectorIN3c104HalfEEEZZNS1_9scan_implILNS1_25lookback_scan_determinismE0ELb0ELb0ES3_PKS6_PS6_S6_ZZZN2at6native31launch_logcumsumexp_cuda_kernelERKNSD_10TensorBaseESH_lENKUlvE_clEvENKUlvE3_clEvEUlS6_S6_E_S6_EEDaPvRmT3_T4_T5_mT6_P12ihipStream_tbENKUlT_T0_E_clISt17integral_constantIbLb0EESY_EEDaST_SU_EUlST_E_NS1_11comp_targetILNS1_3genE2ELNS1_11target_archE906ELNS1_3gpuE6ELNS1_3repE0EEENS1_30default_config_static_selectorELNS0_4arch9wavefront6targetE1EEEvT1_: ; @_ZN7rocprim17ROCPRIM_400000_NS6detail17trampoline_kernelINS0_14default_configENS1_20scan_config_selectorIN3c104HalfEEEZZNS1_9scan_implILNS1_25lookback_scan_determinismE0ELb0ELb0ES3_PKS6_PS6_S6_ZZZN2at6native31launch_logcumsumexp_cuda_kernelERKNSD_10TensorBaseESH_lENKUlvE_clEvENKUlvE3_clEvEUlS6_S6_E_S6_EEDaPvRmT3_T4_T5_mT6_P12ihipStream_tbENKUlT_T0_E_clISt17integral_constantIbLb0EESY_EEDaST_SU_EUlST_E_NS1_11comp_targetILNS1_3genE2ELNS1_11target_archE906ELNS1_3gpuE6ELNS1_3repE0EEENS1_30default_config_static_selectorELNS0_4arch9wavefront6targetE1EEEvT1_
; %bb.0:
	.section	.rodata,"a",@progbits
	.p2align	6, 0x0
	.amdhsa_kernel _ZN7rocprim17ROCPRIM_400000_NS6detail17trampoline_kernelINS0_14default_configENS1_20scan_config_selectorIN3c104HalfEEEZZNS1_9scan_implILNS1_25lookback_scan_determinismE0ELb0ELb0ES3_PKS6_PS6_S6_ZZZN2at6native31launch_logcumsumexp_cuda_kernelERKNSD_10TensorBaseESH_lENKUlvE_clEvENKUlvE3_clEvEUlS6_S6_E_S6_EEDaPvRmT3_T4_T5_mT6_P12ihipStream_tbENKUlT_T0_E_clISt17integral_constantIbLb0EESY_EEDaST_SU_EUlST_E_NS1_11comp_targetILNS1_3genE2ELNS1_11target_archE906ELNS1_3gpuE6ELNS1_3repE0EEENS1_30default_config_static_selectorELNS0_4arch9wavefront6targetE1EEEvT1_
		.amdhsa_group_segment_fixed_size 0
		.amdhsa_private_segment_fixed_size 0
		.amdhsa_kernarg_size 96
		.amdhsa_user_sgpr_count 6
		.amdhsa_user_sgpr_private_segment_buffer 1
		.amdhsa_user_sgpr_dispatch_ptr 0
		.amdhsa_user_sgpr_queue_ptr 0
		.amdhsa_user_sgpr_kernarg_segment_ptr 1
		.amdhsa_user_sgpr_dispatch_id 0
		.amdhsa_user_sgpr_flat_scratch_init 0
		.amdhsa_user_sgpr_kernarg_preload_length 0
		.amdhsa_user_sgpr_kernarg_preload_offset 0
		.amdhsa_user_sgpr_private_segment_size 0
		.amdhsa_uses_dynamic_stack 0
		.amdhsa_system_sgpr_private_segment_wavefront_offset 0
		.amdhsa_system_sgpr_workgroup_id_x 1
		.amdhsa_system_sgpr_workgroup_id_y 0
		.amdhsa_system_sgpr_workgroup_id_z 0
		.amdhsa_system_sgpr_workgroup_info 0
		.amdhsa_system_vgpr_workitem_id 0
		.amdhsa_next_free_vgpr 1
		.amdhsa_next_free_sgpr 0
		.amdhsa_accum_offset 4
		.amdhsa_reserve_vcc 0
		.amdhsa_reserve_flat_scratch 0
		.amdhsa_float_round_mode_32 0
		.amdhsa_float_round_mode_16_64 0
		.amdhsa_float_denorm_mode_32 3
		.amdhsa_float_denorm_mode_16_64 3
		.amdhsa_dx10_clamp 1
		.amdhsa_ieee_mode 1
		.amdhsa_fp16_overflow 0
		.amdhsa_tg_split 0
		.amdhsa_exception_fp_ieee_invalid_op 0
		.amdhsa_exception_fp_denorm_src 0
		.amdhsa_exception_fp_ieee_div_zero 0
		.amdhsa_exception_fp_ieee_overflow 0
		.amdhsa_exception_fp_ieee_underflow 0
		.amdhsa_exception_fp_ieee_inexact 0
		.amdhsa_exception_int_div_zero 0
	.end_amdhsa_kernel
	.section	.text._ZN7rocprim17ROCPRIM_400000_NS6detail17trampoline_kernelINS0_14default_configENS1_20scan_config_selectorIN3c104HalfEEEZZNS1_9scan_implILNS1_25lookback_scan_determinismE0ELb0ELb0ES3_PKS6_PS6_S6_ZZZN2at6native31launch_logcumsumexp_cuda_kernelERKNSD_10TensorBaseESH_lENKUlvE_clEvENKUlvE3_clEvEUlS6_S6_E_S6_EEDaPvRmT3_T4_T5_mT6_P12ihipStream_tbENKUlT_T0_E_clISt17integral_constantIbLb0EESY_EEDaST_SU_EUlST_E_NS1_11comp_targetILNS1_3genE2ELNS1_11target_archE906ELNS1_3gpuE6ELNS1_3repE0EEENS1_30default_config_static_selectorELNS0_4arch9wavefront6targetE1EEEvT1_,"axG",@progbits,_ZN7rocprim17ROCPRIM_400000_NS6detail17trampoline_kernelINS0_14default_configENS1_20scan_config_selectorIN3c104HalfEEEZZNS1_9scan_implILNS1_25lookback_scan_determinismE0ELb0ELb0ES3_PKS6_PS6_S6_ZZZN2at6native31launch_logcumsumexp_cuda_kernelERKNSD_10TensorBaseESH_lENKUlvE_clEvENKUlvE3_clEvEUlS6_S6_E_S6_EEDaPvRmT3_T4_T5_mT6_P12ihipStream_tbENKUlT_T0_E_clISt17integral_constantIbLb0EESY_EEDaST_SU_EUlST_E_NS1_11comp_targetILNS1_3genE2ELNS1_11target_archE906ELNS1_3gpuE6ELNS1_3repE0EEENS1_30default_config_static_selectorELNS0_4arch9wavefront6targetE1EEEvT1_,comdat
.Lfunc_end356:
	.size	_ZN7rocprim17ROCPRIM_400000_NS6detail17trampoline_kernelINS0_14default_configENS1_20scan_config_selectorIN3c104HalfEEEZZNS1_9scan_implILNS1_25lookback_scan_determinismE0ELb0ELb0ES3_PKS6_PS6_S6_ZZZN2at6native31launch_logcumsumexp_cuda_kernelERKNSD_10TensorBaseESH_lENKUlvE_clEvENKUlvE3_clEvEUlS6_S6_E_S6_EEDaPvRmT3_T4_T5_mT6_P12ihipStream_tbENKUlT_T0_E_clISt17integral_constantIbLb0EESY_EEDaST_SU_EUlST_E_NS1_11comp_targetILNS1_3genE2ELNS1_11target_archE906ELNS1_3gpuE6ELNS1_3repE0EEENS1_30default_config_static_selectorELNS0_4arch9wavefront6targetE1EEEvT1_, .Lfunc_end356-_ZN7rocprim17ROCPRIM_400000_NS6detail17trampoline_kernelINS0_14default_configENS1_20scan_config_selectorIN3c104HalfEEEZZNS1_9scan_implILNS1_25lookback_scan_determinismE0ELb0ELb0ES3_PKS6_PS6_S6_ZZZN2at6native31launch_logcumsumexp_cuda_kernelERKNSD_10TensorBaseESH_lENKUlvE_clEvENKUlvE3_clEvEUlS6_S6_E_S6_EEDaPvRmT3_T4_T5_mT6_P12ihipStream_tbENKUlT_T0_E_clISt17integral_constantIbLb0EESY_EEDaST_SU_EUlST_E_NS1_11comp_targetILNS1_3genE2ELNS1_11target_archE906ELNS1_3gpuE6ELNS1_3repE0EEENS1_30default_config_static_selectorELNS0_4arch9wavefront6targetE1EEEvT1_
                                        ; -- End function
	.section	.AMDGPU.csdata,"",@progbits
; Kernel info:
; codeLenInByte = 0
; NumSgprs: 4
; NumVgprs: 0
; NumAgprs: 0
; TotalNumVgprs: 0
; ScratchSize: 0
; MemoryBound: 0
; FloatMode: 240
; IeeeMode: 1
; LDSByteSize: 0 bytes/workgroup (compile time only)
; SGPRBlocks: 0
; VGPRBlocks: 0
; NumSGPRsForWavesPerEU: 4
; NumVGPRsForWavesPerEU: 1
; AccumOffset: 4
; Occupancy: 8
; WaveLimiterHint : 0
; COMPUTE_PGM_RSRC2:SCRATCH_EN: 0
; COMPUTE_PGM_RSRC2:USER_SGPR: 6
; COMPUTE_PGM_RSRC2:TRAP_HANDLER: 0
; COMPUTE_PGM_RSRC2:TGID_X_EN: 1
; COMPUTE_PGM_RSRC2:TGID_Y_EN: 0
; COMPUTE_PGM_RSRC2:TGID_Z_EN: 0
; COMPUTE_PGM_RSRC2:TIDIG_COMP_CNT: 0
; COMPUTE_PGM_RSRC3_GFX90A:ACCUM_OFFSET: 0
; COMPUTE_PGM_RSRC3_GFX90A:TG_SPLIT: 0
	.section	.text._ZN7rocprim17ROCPRIM_400000_NS6detail17trampoline_kernelINS0_14default_configENS1_20scan_config_selectorIN3c104HalfEEEZZNS1_9scan_implILNS1_25lookback_scan_determinismE0ELb0ELb0ES3_PKS6_PS6_S6_ZZZN2at6native31launch_logcumsumexp_cuda_kernelERKNSD_10TensorBaseESH_lENKUlvE_clEvENKUlvE3_clEvEUlS6_S6_E_S6_EEDaPvRmT3_T4_T5_mT6_P12ihipStream_tbENKUlT_T0_E_clISt17integral_constantIbLb0EESY_EEDaST_SU_EUlST_E_NS1_11comp_targetILNS1_3genE10ELNS1_11target_archE1201ELNS1_3gpuE5ELNS1_3repE0EEENS1_30default_config_static_selectorELNS0_4arch9wavefront6targetE1EEEvT1_,"axG",@progbits,_ZN7rocprim17ROCPRIM_400000_NS6detail17trampoline_kernelINS0_14default_configENS1_20scan_config_selectorIN3c104HalfEEEZZNS1_9scan_implILNS1_25lookback_scan_determinismE0ELb0ELb0ES3_PKS6_PS6_S6_ZZZN2at6native31launch_logcumsumexp_cuda_kernelERKNSD_10TensorBaseESH_lENKUlvE_clEvENKUlvE3_clEvEUlS6_S6_E_S6_EEDaPvRmT3_T4_T5_mT6_P12ihipStream_tbENKUlT_T0_E_clISt17integral_constantIbLb0EESY_EEDaST_SU_EUlST_E_NS1_11comp_targetILNS1_3genE10ELNS1_11target_archE1201ELNS1_3gpuE5ELNS1_3repE0EEENS1_30default_config_static_selectorELNS0_4arch9wavefront6targetE1EEEvT1_,comdat
	.globl	_ZN7rocprim17ROCPRIM_400000_NS6detail17trampoline_kernelINS0_14default_configENS1_20scan_config_selectorIN3c104HalfEEEZZNS1_9scan_implILNS1_25lookback_scan_determinismE0ELb0ELb0ES3_PKS6_PS6_S6_ZZZN2at6native31launch_logcumsumexp_cuda_kernelERKNSD_10TensorBaseESH_lENKUlvE_clEvENKUlvE3_clEvEUlS6_S6_E_S6_EEDaPvRmT3_T4_T5_mT6_P12ihipStream_tbENKUlT_T0_E_clISt17integral_constantIbLb0EESY_EEDaST_SU_EUlST_E_NS1_11comp_targetILNS1_3genE10ELNS1_11target_archE1201ELNS1_3gpuE5ELNS1_3repE0EEENS1_30default_config_static_selectorELNS0_4arch9wavefront6targetE1EEEvT1_ ; -- Begin function _ZN7rocprim17ROCPRIM_400000_NS6detail17trampoline_kernelINS0_14default_configENS1_20scan_config_selectorIN3c104HalfEEEZZNS1_9scan_implILNS1_25lookback_scan_determinismE0ELb0ELb0ES3_PKS6_PS6_S6_ZZZN2at6native31launch_logcumsumexp_cuda_kernelERKNSD_10TensorBaseESH_lENKUlvE_clEvENKUlvE3_clEvEUlS6_S6_E_S6_EEDaPvRmT3_T4_T5_mT6_P12ihipStream_tbENKUlT_T0_E_clISt17integral_constantIbLb0EESY_EEDaST_SU_EUlST_E_NS1_11comp_targetILNS1_3genE10ELNS1_11target_archE1201ELNS1_3gpuE5ELNS1_3repE0EEENS1_30default_config_static_selectorELNS0_4arch9wavefront6targetE1EEEvT1_
	.p2align	8
	.type	_ZN7rocprim17ROCPRIM_400000_NS6detail17trampoline_kernelINS0_14default_configENS1_20scan_config_selectorIN3c104HalfEEEZZNS1_9scan_implILNS1_25lookback_scan_determinismE0ELb0ELb0ES3_PKS6_PS6_S6_ZZZN2at6native31launch_logcumsumexp_cuda_kernelERKNSD_10TensorBaseESH_lENKUlvE_clEvENKUlvE3_clEvEUlS6_S6_E_S6_EEDaPvRmT3_T4_T5_mT6_P12ihipStream_tbENKUlT_T0_E_clISt17integral_constantIbLb0EESY_EEDaST_SU_EUlST_E_NS1_11comp_targetILNS1_3genE10ELNS1_11target_archE1201ELNS1_3gpuE5ELNS1_3repE0EEENS1_30default_config_static_selectorELNS0_4arch9wavefront6targetE1EEEvT1_,@function
_ZN7rocprim17ROCPRIM_400000_NS6detail17trampoline_kernelINS0_14default_configENS1_20scan_config_selectorIN3c104HalfEEEZZNS1_9scan_implILNS1_25lookback_scan_determinismE0ELb0ELb0ES3_PKS6_PS6_S6_ZZZN2at6native31launch_logcumsumexp_cuda_kernelERKNSD_10TensorBaseESH_lENKUlvE_clEvENKUlvE3_clEvEUlS6_S6_E_S6_EEDaPvRmT3_T4_T5_mT6_P12ihipStream_tbENKUlT_T0_E_clISt17integral_constantIbLb0EESY_EEDaST_SU_EUlST_E_NS1_11comp_targetILNS1_3genE10ELNS1_11target_archE1201ELNS1_3gpuE5ELNS1_3repE0EEENS1_30default_config_static_selectorELNS0_4arch9wavefront6targetE1EEEvT1_: ; @_ZN7rocprim17ROCPRIM_400000_NS6detail17trampoline_kernelINS0_14default_configENS1_20scan_config_selectorIN3c104HalfEEEZZNS1_9scan_implILNS1_25lookback_scan_determinismE0ELb0ELb0ES3_PKS6_PS6_S6_ZZZN2at6native31launch_logcumsumexp_cuda_kernelERKNSD_10TensorBaseESH_lENKUlvE_clEvENKUlvE3_clEvEUlS6_S6_E_S6_EEDaPvRmT3_T4_T5_mT6_P12ihipStream_tbENKUlT_T0_E_clISt17integral_constantIbLb0EESY_EEDaST_SU_EUlST_E_NS1_11comp_targetILNS1_3genE10ELNS1_11target_archE1201ELNS1_3gpuE5ELNS1_3repE0EEENS1_30default_config_static_selectorELNS0_4arch9wavefront6targetE1EEEvT1_
; %bb.0:
	.section	.rodata,"a",@progbits
	.p2align	6, 0x0
	.amdhsa_kernel _ZN7rocprim17ROCPRIM_400000_NS6detail17trampoline_kernelINS0_14default_configENS1_20scan_config_selectorIN3c104HalfEEEZZNS1_9scan_implILNS1_25lookback_scan_determinismE0ELb0ELb0ES3_PKS6_PS6_S6_ZZZN2at6native31launch_logcumsumexp_cuda_kernelERKNSD_10TensorBaseESH_lENKUlvE_clEvENKUlvE3_clEvEUlS6_S6_E_S6_EEDaPvRmT3_T4_T5_mT6_P12ihipStream_tbENKUlT_T0_E_clISt17integral_constantIbLb0EESY_EEDaST_SU_EUlST_E_NS1_11comp_targetILNS1_3genE10ELNS1_11target_archE1201ELNS1_3gpuE5ELNS1_3repE0EEENS1_30default_config_static_selectorELNS0_4arch9wavefront6targetE1EEEvT1_
		.amdhsa_group_segment_fixed_size 0
		.amdhsa_private_segment_fixed_size 0
		.amdhsa_kernarg_size 96
		.amdhsa_user_sgpr_count 6
		.amdhsa_user_sgpr_private_segment_buffer 1
		.amdhsa_user_sgpr_dispatch_ptr 0
		.amdhsa_user_sgpr_queue_ptr 0
		.amdhsa_user_sgpr_kernarg_segment_ptr 1
		.amdhsa_user_sgpr_dispatch_id 0
		.amdhsa_user_sgpr_flat_scratch_init 0
		.amdhsa_user_sgpr_kernarg_preload_length 0
		.amdhsa_user_sgpr_kernarg_preload_offset 0
		.amdhsa_user_sgpr_private_segment_size 0
		.amdhsa_uses_dynamic_stack 0
		.amdhsa_system_sgpr_private_segment_wavefront_offset 0
		.amdhsa_system_sgpr_workgroup_id_x 1
		.amdhsa_system_sgpr_workgroup_id_y 0
		.amdhsa_system_sgpr_workgroup_id_z 0
		.amdhsa_system_sgpr_workgroup_info 0
		.amdhsa_system_vgpr_workitem_id 0
		.amdhsa_next_free_vgpr 1
		.amdhsa_next_free_sgpr 0
		.amdhsa_accum_offset 4
		.amdhsa_reserve_vcc 0
		.amdhsa_reserve_flat_scratch 0
		.amdhsa_float_round_mode_32 0
		.amdhsa_float_round_mode_16_64 0
		.amdhsa_float_denorm_mode_32 3
		.amdhsa_float_denorm_mode_16_64 3
		.amdhsa_dx10_clamp 1
		.amdhsa_ieee_mode 1
		.amdhsa_fp16_overflow 0
		.amdhsa_tg_split 0
		.amdhsa_exception_fp_ieee_invalid_op 0
		.amdhsa_exception_fp_denorm_src 0
		.amdhsa_exception_fp_ieee_div_zero 0
		.amdhsa_exception_fp_ieee_overflow 0
		.amdhsa_exception_fp_ieee_underflow 0
		.amdhsa_exception_fp_ieee_inexact 0
		.amdhsa_exception_int_div_zero 0
	.end_amdhsa_kernel
	.section	.text._ZN7rocprim17ROCPRIM_400000_NS6detail17trampoline_kernelINS0_14default_configENS1_20scan_config_selectorIN3c104HalfEEEZZNS1_9scan_implILNS1_25lookback_scan_determinismE0ELb0ELb0ES3_PKS6_PS6_S6_ZZZN2at6native31launch_logcumsumexp_cuda_kernelERKNSD_10TensorBaseESH_lENKUlvE_clEvENKUlvE3_clEvEUlS6_S6_E_S6_EEDaPvRmT3_T4_T5_mT6_P12ihipStream_tbENKUlT_T0_E_clISt17integral_constantIbLb0EESY_EEDaST_SU_EUlST_E_NS1_11comp_targetILNS1_3genE10ELNS1_11target_archE1201ELNS1_3gpuE5ELNS1_3repE0EEENS1_30default_config_static_selectorELNS0_4arch9wavefront6targetE1EEEvT1_,"axG",@progbits,_ZN7rocprim17ROCPRIM_400000_NS6detail17trampoline_kernelINS0_14default_configENS1_20scan_config_selectorIN3c104HalfEEEZZNS1_9scan_implILNS1_25lookback_scan_determinismE0ELb0ELb0ES3_PKS6_PS6_S6_ZZZN2at6native31launch_logcumsumexp_cuda_kernelERKNSD_10TensorBaseESH_lENKUlvE_clEvENKUlvE3_clEvEUlS6_S6_E_S6_EEDaPvRmT3_T4_T5_mT6_P12ihipStream_tbENKUlT_T0_E_clISt17integral_constantIbLb0EESY_EEDaST_SU_EUlST_E_NS1_11comp_targetILNS1_3genE10ELNS1_11target_archE1201ELNS1_3gpuE5ELNS1_3repE0EEENS1_30default_config_static_selectorELNS0_4arch9wavefront6targetE1EEEvT1_,comdat
.Lfunc_end357:
	.size	_ZN7rocprim17ROCPRIM_400000_NS6detail17trampoline_kernelINS0_14default_configENS1_20scan_config_selectorIN3c104HalfEEEZZNS1_9scan_implILNS1_25lookback_scan_determinismE0ELb0ELb0ES3_PKS6_PS6_S6_ZZZN2at6native31launch_logcumsumexp_cuda_kernelERKNSD_10TensorBaseESH_lENKUlvE_clEvENKUlvE3_clEvEUlS6_S6_E_S6_EEDaPvRmT3_T4_T5_mT6_P12ihipStream_tbENKUlT_T0_E_clISt17integral_constantIbLb0EESY_EEDaST_SU_EUlST_E_NS1_11comp_targetILNS1_3genE10ELNS1_11target_archE1201ELNS1_3gpuE5ELNS1_3repE0EEENS1_30default_config_static_selectorELNS0_4arch9wavefront6targetE1EEEvT1_, .Lfunc_end357-_ZN7rocprim17ROCPRIM_400000_NS6detail17trampoline_kernelINS0_14default_configENS1_20scan_config_selectorIN3c104HalfEEEZZNS1_9scan_implILNS1_25lookback_scan_determinismE0ELb0ELb0ES3_PKS6_PS6_S6_ZZZN2at6native31launch_logcumsumexp_cuda_kernelERKNSD_10TensorBaseESH_lENKUlvE_clEvENKUlvE3_clEvEUlS6_S6_E_S6_EEDaPvRmT3_T4_T5_mT6_P12ihipStream_tbENKUlT_T0_E_clISt17integral_constantIbLb0EESY_EEDaST_SU_EUlST_E_NS1_11comp_targetILNS1_3genE10ELNS1_11target_archE1201ELNS1_3gpuE5ELNS1_3repE0EEENS1_30default_config_static_selectorELNS0_4arch9wavefront6targetE1EEEvT1_
                                        ; -- End function
	.section	.AMDGPU.csdata,"",@progbits
; Kernel info:
; codeLenInByte = 0
; NumSgprs: 4
; NumVgprs: 0
; NumAgprs: 0
; TotalNumVgprs: 0
; ScratchSize: 0
; MemoryBound: 0
; FloatMode: 240
; IeeeMode: 1
; LDSByteSize: 0 bytes/workgroup (compile time only)
; SGPRBlocks: 0
; VGPRBlocks: 0
; NumSGPRsForWavesPerEU: 4
; NumVGPRsForWavesPerEU: 1
; AccumOffset: 4
; Occupancy: 8
; WaveLimiterHint : 0
; COMPUTE_PGM_RSRC2:SCRATCH_EN: 0
; COMPUTE_PGM_RSRC2:USER_SGPR: 6
; COMPUTE_PGM_RSRC2:TRAP_HANDLER: 0
; COMPUTE_PGM_RSRC2:TGID_X_EN: 1
; COMPUTE_PGM_RSRC2:TGID_Y_EN: 0
; COMPUTE_PGM_RSRC2:TGID_Z_EN: 0
; COMPUTE_PGM_RSRC2:TIDIG_COMP_CNT: 0
; COMPUTE_PGM_RSRC3_GFX90A:ACCUM_OFFSET: 0
; COMPUTE_PGM_RSRC3_GFX90A:TG_SPLIT: 0
	.section	.text._ZN7rocprim17ROCPRIM_400000_NS6detail17trampoline_kernelINS0_14default_configENS1_20scan_config_selectorIN3c104HalfEEEZZNS1_9scan_implILNS1_25lookback_scan_determinismE0ELb0ELb0ES3_PKS6_PS6_S6_ZZZN2at6native31launch_logcumsumexp_cuda_kernelERKNSD_10TensorBaseESH_lENKUlvE_clEvENKUlvE3_clEvEUlS6_S6_E_S6_EEDaPvRmT3_T4_T5_mT6_P12ihipStream_tbENKUlT_T0_E_clISt17integral_constantIbLb0EESY_EEDaST_SU_EUlST_E_NS1_11comp_targetILNS1_3genE10ELNS1_11target_archE1200ELNS1_3gpuE4ELNS1_3repE0EEENS1_30default_config_static_selectorELNS0_4arch9wavefront6targetE1EEEvT1_,"axG",@progbits,_ZN7rocprim17ROCPRIM_400000_NS6detail17trampoline_kernelINS0_14default_configENS1_20scan_config_selectorIN3c104HalfEEEZZNS1_9scan_implILNS1_25lookback_scan_determinismE0ELb0ELb0ES3_PKS6_PS6_S6_ZZZN2at6native31launch_logcumsumexp_cuda_kernelERKNSD_10TensorBaseESH_lENKUlvE_clEvENKUlvE3_clEvEUlS6_S6_E_S6_EEDaPvRmT3_T4_T5_mT6_P12ihipStream_tbENKUlT_T0_E_clISt17integral_constantIbLb0EESY_EEDaST_SU_EUlST_E_NS1_11comp_targetILNS1_3genE10ELNS1_11target_archE1200ELNS1_3gpuE4ELNS1_3repE0EEENS1_30default_config_static_selectorELNS0_4arch9wavefront6targetE1EEEvT1_,comdat
	.globl	_ZN7rocprim17ROCPRIM_400000_NS6detail17trampoline_kernelINS0_14default_configENS1_20scan_config_selectorIN3c104HalfEEEZZNS1_9scan_implILNS1_25lookback_scan_determinismE0ELb0ELb0ES3_PKS6_PS6_S6_ZZZN2at6native31launch_logcumsumexp_cuda_kernelERKNSD_10TensorBaseESH_lENKUlvE_clEvENKUlvE3_clEvEUlS6_S6_E_S6_EEDaPvRmT3_T4_T5_mT6_P12ihipStream_tbENKUlT_T0_E_clISt17integral_constantIbLb0EESY_EEDaST_SU_EUlST_E_NS1_11comp_targetILNS1_3genE10ELNS1_11target_archE1200ELNS1_3gpuE4ELNS1_3repE0EEENS1_30default_config_static_selectorELNS0_4arch9wavefront6targetE1EEEvT1_ ; -- Begin function _ZN7rocprim17ROCPRIM_400000_NS6detail17trampoline_kernelINS0_14default_configENS1_20scan_config_selectorIN3c104HalfEEEZZNS1_9scan_implILNS1_25lookback_scan_determinismE0ELb0ELb0ES3_PKS6_PS6_S6_ZZZN2at6native31launch_logcumsumexp_cuda_kernelERKNSD_10TensorBaseESH_lENKUlvE_clEvENKUlvE3_clEvEUlS6_S6_E_S6_EEDaPvRmT3_T4_T5_mT6_P12ihipStream_tbENKUlT_T0_E_clISt17integral_constantIbLb0EESY_EEDaST_SU_EUlST_E_NS1_11comp_targetILNS1_3genE10ELNS1_11target_archE1200ELNS1_3gpuE4ELNS1_3repE0EEENS1_30default_config_static_selectorELNS0_4arch9wavefront6targetE1EEEvT1_
	.p2align	8
	.type	_ZN7rocprim17ROCPRIM_400000_NS6detail17trampoline_kernelINS0_14default_configENS1_20scan_config_selectorIN3c104HalfEEEZZNS1_9scan_implILNS1_25lookback_scan_determinismE0ELb0ELb0ES3_PKS6_PS6_S6_ZZZN2at6native31launch_logcumsumexp_cuda_kernelERKNSD_10TensorBaseESH_lENKUlvE_clEvENKUlvE3_clEvEUlS6_S6_E_S6_EEDaPvRmT3_T4_T5_mT6_P12ihipStream_tbENKUlT_T0_E_clISt17integral_constantIbLb0EESY_EEDaST_SU_EUlST_E_NS1_11comp_targetILNS1_3genE10ELNS1_11target_archE1200ELNS1_3gpuE4ELNS1_3repE0EEENS1_30default_config_static_selectorELNS0_4arch9wavefront6targetE1EEEvT1_,@function
_ZN7rocprim17ROCPRIM_400000_NS6detail17trampoline_kernelINS0_14default_configENS1_20scan_config_selectorIN3c104HalfEEEZZNS1_9scan_implILNS1_25lookback_scan_determinismE0ELb0ELb0ES3_PKS6_PS6_S6_ZZZN2at6native31launch_logcumsumexp_cuda_kernelERKNSD_10TensorBaseESH_lENKUlvE_clEvENKUlvE3_clEvEUlS6_S6_E_S6_EEDaPvRmT3_T4_T5_mT6_P12ihipStream_tbENKUlT_T0_E_clISt17integral_constantIbLb0EESY_EEDaST_SU_EUlST_E_NS1_11comp_targetILNS1_3genE10ELNS1_11target_archE1200ELNS1_3gpuE4ELNS1_3repE0EEENS1_30default_config_static_selectorELNS0_4arch9wavefront6targetE1EEEvT1_: ; @_ZN7rocprim17ROCPRIM_400000_NS6detail17trampoline_kernelINS0_14default_configENS1_20scan_config_selectorIN3c104HalfEEEZZNS1_9scan_implILNS1_25lookback_scan_determinismE0ELb0ELb0ES3_PKS6_PS6_S6_ZZZN2at6native31launch_logcumsumexp_cuda_kernelERKNSD_10TensorBaseESH_lENKUlvE_clEvENKUlvE3_clEvEUlS6_S6_E_S6_EEDaPvRmT3_T4_T5_mT6_P12ihipStream_tbENKUlT_T0_E_clISt17integral_constantIbLb0EESY_EEDaST_SU_EUlST_E_NS1_11comp_targetILNS1_3genE10ELNS1_11target_archE1200ELNS1_3gpuE4ELNS1_3repE0EEENS1_30default_config_static_selectorELNS0_4arch9wavefront6targetE1EEEvT1_
; %bb.0:
	.section	.rodata,"a",@progbits
	.p2align	6, 0x0
	.amdhsa_kernel _ZN7rocprim17ROCPRIM_400000_NS6detail17trampoline_kernelINS0_14default_configENS1_20scan_config_selectorIN3c104HalfEEEZZNS1_9scan_implILNS1_25lookback_scan_determinismE0ELb0ELb0ES3_PKS6_PS6_S6_ZZZN2at6native31launch_logcumsumexp_cuda_kernelERKNSD_10TensorBaseESH_lENKUlvE_clEvENKUlvE3_clEvEUlS6_S6_E_S6_EEDaPvRmT3_T4_T5_mT6_P12ihipStream_tbENKUlT_T0_E_clISt17integral_constantIbLb0EESY_EEDaST_SU_EUlST_E_NS1_11comp_targetILNS1_3genE10ELNS1_11target_archE1200ELNS1_3gpuE4ELNS1_3repE0EEENS1_30default_config_static_selectorELNS0_4arch9wavefront6targetE1EEEvT1_
		.amdhsa_group_segment_fixed_size 0
		.amdhsa_private_segment_fixed_size 0
		.amdhsa_kernarg_size 96
		.amdhsa_user_sgpr_count 6
		.amdhsa_user_sgpr_private_segment_buffer 1
		.amdhsa_user_sgpr_dispatch_ptr 0
		.amdhsa_user_sgpr_queue_ptr 0
		.amdhsa_user_sgpr_kernarg_segment_ptr 1
		.amdhsa_user_sgpr_dispatch_id 0
		.amdhsa_user_sgpr_flat_scratch_init 0
		.amdhsa_user_sgpr_kernarg_preload_length 0
		.amdhsa_user_sgpr_kernarg_preload_offset 0
		.amdhsa_user_sgpr_private_segment_size 0
		.amdhsa_uses_dynamic_stack 0
		.amdhsa_system_sgpr_private_segment_wavefront_offset 0
		.amdhsa_system_sgpr_workgroup_id_x 1
		.amdhsa_system_sgpr_workgroup_id_y 0
		.amdhsa_system_sgpr_workgroup_id_z 0
		.amdhsa_system_sgpr_workgroup_info 0
		.amdhsa_system_vgpr_workitem_id 0
		.amdhsa_next_free_vgpr 1
		.amdhsa_next_free_sgpr 0
		.amdhsa_accum_offset 4
		.amdhsa_reserve_vcc 0
		.amdhsa_reserve_flat_scratch 0
		.amdhsa_float_round_mode_32 0
		.amdhsa_float_round_mode_16_64 0
		.amdhsa_float_denorm_mode_32 3
		.amdhsa_float_denorm_mode_16_64 3
		.amdhsa_dx10_clamp 1
		.amdhsa_ieee_mode 1
		.amdhsa_fp16_overflow 0
		.amdhsa_tg_split 0
		.amdhsa_exception_fp_ieee_invalid_op 0
		.amdhsa_exception_fp_denorm_src 0
		.amdhsa_exception_fp_ieee_div_zero 0
		.amdhsa_exception_fp_ieee_overflow 0
		.amdhsa_exception_fp_ieee_underflow 0
		.amdhsa_exception_fp_ieee_inexact 0
		.amdhsa_exception_int_div_zero 0
	.end_amdhsa_kernel
	.section	.text._ZN7rocprim17ROCPRIM_400000_NS6detail17trampoline_kernelINS0_14default_configENS1_20scan_config_selectorIN3c104HalfEEEZZNS1_9scan_implILNS1_25lookback_scan_determinismE0ELb0ELb0ES3_PKS6_PS6_S6_ZZZN2at6native31launch_logcumsumexp_cuda_kernelERKNSD_10TensorBaseESH_lENKUlvE_clEvENKUlvE3_clEvEUlS6_S6_E_S6_EEDaPvRmT3_T4_T5_mT6_P12ihipStream_tbENKUlT_T0_E_clISt17integral_constantIbLb0EESY_EEDaST_SU_EUlST_E_NS1_11comp_targetILNS1_3genE10ELNS1_11target_archE1200ELNS1_3gpuE4ELNS1_3repE0EEENS1_30default_config_static_selectorELNS0_4arch9wavefront6targetE1EEEvT1_,"axG",@progbits,_ZN7rocprim17ROCPRIM_400000_NS6detail17trampoline_kernelINS0_14default_configENS1_20scan_config_selectorIN3c104HalfEEEZZNS1_9scan_implILNS1_25lookback_scan_determinismE0ELb0ELb0ES3_PKS6_PS6_S6_ZZZN2at6native31launch_logcumsumexp_cuda_kernelERKNSD_10TensorBaseESH_lENKUlvE_clEvENKUlvE3_clEvEUlS6_S6_E_S6_EEDaPvRmT3_T4_T5_mT6_P12ihipStream_tbENKUlT_T0_E_clISt17integral_constantIbLb0EESY_EEDaST_SU_EUlST_E_NS1_11comp_targetILNS1_3genE10ELNS1_11target_archE1200ELNS1_3gpuE4ELNS1_3repE0EEENS1_30default_config_static_selectorELNS0_4arch9wavefront6targetE1EEEvT1_,comdat
.Lfunc_end358:
	.size	_ZN7rocprim17ROCPRIM_400000_NS6detail17trampoline_kernelINS0_14default_configENS1_20scan_config_selectorIN3c104HalfEEEZZNS1_9scan_implILNS1_25lookback_scan_determinismE0ELb0ELb0ES3_PKS6_PS6_S6_ZZZN2at6native31launch_logcumsumexp_cuda_kernelERKNSD_10TensorBaseESH_lENKUlvE_clEvENKUlvE3_clEvEUlS6_S6_E_S6_EEDaPvRmT3_T4_T5_mT6_P12ihipStream_tbENKUlT_T0_E_clISt17integral_constantIbLb0EESY_EEDaST_SU_EUlST_E_NS1_11comp_targetILNS1_3genE10ELNS1_11target_archE1200ELNS1_3gpuE4ELNS1_3repE0EEENS1_30default_config_static_selectorELNS0_4arch9wavefront6targetE1EEEvT1_, .Lfunc_end358-_ZN7rocprim17ROCPRIM_400000_NS6detail17trampoline_kernelINS0_14default_configENS1_20scan_config_selectorIN3c104HalfEEEZZNS1_9scan_implILNS1_25lookback_scan_determinismE0ELb0ELb0ES3_PKS6_PS6_S6_ZZZN2at6native31launch_logcumsumexp_cuda_kernelERKNSD_10TensorBaseESH_lENKUlvE_clEvENKUlvE3_clEvEUlS6_S6_E_S6_EEDaPvRmT3_T4_T5_mT6_P12ihipStream_tbENKUlT_T0_E_clISt17integral_constantIbLb0EESY_EEDaST_SU_EUlST_E_NS1_11comp_targetILNS1_3genE10ELNS1_11target_archE1200ELNS1_3gpuE4ELNS1_3repE0EEENS1_30default_config_static_selectorELNS0_4arch9wavefront6targetE1EEEvT1_
                                        ; -- End function
	.section	.AMDGPU.csdata,"",@progbits
; Kernel info:
; codeLenInByte = 0
; NumSgprs: 4
; NumVgprs: 0
; NumAgprs: 0
; TotalNumVgprs: 0
; ScratchSize: 0
; MemoryBound: 0
; FloatMode: 240
; IeeeMode: 1
; LDSByteSize: 0 bytes/workgroup (compile time only)
; SGPRBlocks: 0
; VGPRBlocks: 0
; NumSGPRsForWavesPerEU: 4
; NumVGPRsForWavesPerEU: 1
; AccumOffset: 4
; Occupancy: 8
; WaveLimiterHint : 0
; COMPUTE_PGM_RSRC2:SCRATCH_EN: 0
; COMPUTE_PGM_RSRC2:USER_SGPR: 6
; COMPUTE_PGM_RSRC2:TRAP_HANDLER: 0
; COMPUTE_PGM_RSRC2:TGID_X_EN: 1
; COMPUTE_PGM_RSRC2:TGID_Y_EN: 0
; COMPUTE_PGM_RSRC2:TGID_Z_EN: 0
; COMPUTE_PGM_RSRC2:TIDIG_COMP_CNT: 0
; COMPUTE_PGM_RSRC3_GFX90A:ACCUM_OFFSET: 0
; COMPUTE_PGM_RSRC3_GFX90A:TG_SPLIT: 0
	.section	.text._ZN7rocprim17ROCPRIM_400000_NS6detail17trampoline_kernelINS0_14default_configENS1_20scan_config_selectorIN3c104HalfEEEZZNS1_9scan_implILNS1_25lookback_scan_determinismE0ELb0ELb0ES3_PKS6_PS6_S6_ZZZN2at6native31launch_logcumsumexp_cuda_kernelERKNSD_10TensorBaseESH_lENKUlvE_clEvENKUlvE3_clEvEUlS6_S6_E_S6_EEDaPvRmT3_T4_T5_mT6_P12ihipStream_tbENKUlT_T0_E_clISt17integral_constantIbLb0EESY_EEDaST_SU_EUlST_E_NS1_11comp_targetILNS1_3genE9ELNS1_11target_archE1100ELNS1_3gpuE3ELNS1_3repE0EEENS1_30default_config_static_selectorELNS0_4arch9wavefront6targetE1EEEvT1_,"axG",@progbits,_ZN7rocprim17ROCPRIM_400000_NS6detail17trampoline_kernelINS0_14default_configENS1_20scan_config_selectorIN3c104HalfEEEZZNS1_9scan_implILNS1_25lookback_scan_determinismE0ELb0ELb0ES3_PKS6_PS6_S6_ZZZN2at6native31launch_logcumsumexp_cuda_kernelERKNSD_10TensorBaseESH_lENKUlvE_clEvENKUlvE3_clEvEUlS6_S6_E_S6_EEDaPvRmT3_T4_T5_mT6_P12ihipStream_tbENKUlT_T0_E_clISt17integral_constantIbLb0EESY_EEDaST_SU_EUlST_E_NS1_11comp_targetILNS1_3genE9ELNS1_11target_archE1100ELNS1_3gpuE3ELNS1_3repE0EEENS1_30default_config_static_selectorELNS0_4arch9wavefront6targetE1EEEvT1_,comdat
	.globl	_ZN7rocprim17ROCPRIM_400000_NS6detail17trampoline_kernelINS0_14default_configENS1_20scan_config_selectorIN3c104HalfEEEZZNS1_9scan_implILNS1_25lookback_scan_determinismE0ELb0ELb0ES3_PKS6_PS6_S6_ZZZN2at6native31launch_logcumsumexp_cuda_kernelERKNSD_10TensorBaseESH_lENKUlvE_clEvENKUlvE3_clEvEUlS6_S6_E_S6_EEDaPvRmT3_T4_T5_mT6_P12ihipStream_tbENKUlT_T0_E_clISt17integral_constantIbLb0EESY_EEDaST_SU_EUlST_E_NS1_11comp_targetILNS1_3genE9ELNS1_11target_archE1100ELNS1_3gpuE3ELNS1_3repE0EEENS1_30default_config_static_selectorELNS0_4arch9wavefront6targetE1EEEvT1_ ; -- Begin function _ZN7rocprim17ROCPRIM_400000_NS6detail17trampoline_kernelINS0_14default_configENS1_20scan_config_selectorIN3c104HalfEEEZZNS1_9scan_implILNS1_25lookback_scan_determinismE0ELb0ELb0ES3_PKS6_PS6_S6_ZZZN2at6native31launch_logcumsumexp_cuda_kernelERKNSD_10TensorBaseESH_lENKUlvE_clEvENKUlvE3_clEvEUlS6_S6_E_S6_EEDaPvRmT3_T4_T5_mT6_P12ihipStream_tbENKUlT_T0_E_clISt17integral_constantIbLb0EESY_EEDaST_SU_EUlST_E_NS1_11comp_targetILNS1_3genE9ELNS1_11target_archE1100ELNS1_3gpuE3ELNS1_3repE0EEENS1_30default_config_static_selectorELNS0_4arch9wavefront6targetE1EEEvT1_
	.p2align	8
	.type	_ZN7rocprim17ROCPRIM_400000_NS6detail17trampoline_kernelINS0_14default_configENS1_20scan_config_selectorIN3c104HalfEEEZZNS1_9scan_implILNS1_25lookback_scan_determinismE0ELb0ELb0ES3_PKS6_PS6_S6_ZZZN2at6native31launch_logcumsumexp_cuda_kernelERKNSD_10TensorBaseESH_lENKUlvE_clEvENKUlvE3_clEvEUlS6_S6_E_S6_EEDaPvRmT3_T4_T5_mT6_P12ihipStream_tbENKUlT_T0_E_clISt17integral_constantIbLb0EESY_EEDaST_SU_EUlST_E_NS1_11comp_targetILNS1_3genE9ELNS1_11target_archE1100ELNS1_3gpuE3ELNS1_3repE0EEENS1_30default_config_static_selectorELNS0_4arch9wavefront6targetE1EEEvT1_,@function
_ZN7rocprim17ROCPRIM_400000_NS6detail17trampoline_kernelINS0_14default_configENS1_20scan_config_selectorIN3c104HalfEEEZZNS1_9scan_implILNS1_25lookback_scan_determinismE0ELb0ELb0ES3_PKS6_PS6_S6_ZZZN2at6native31launch_logcumsumexp_cuda_kernelERKNSD_10TensorBaseESH_lENKUlvE_clEvENKUlvE3_clEvEUlS6_S6_E_S6_EEDaPvRmT3_T4_T5_mT6_P12ihipStream_tbENKUlT_T0_E_clISt17integral_constantIbLb0EESY_EEDaST_SU_EUlST_E_NS1_11comp_targetILNS1_3genE9ELNS1_11target_archE1100ELNS1_3gpuE3ELNS1_3repE0EEENS1_30default_config_static_selectorELNS0_4arch9wavefront6targetE1EEEvT1_: ; @_ZN7rocprim17ROCPRIM_400000_NS6detail17trampoline_kernelINS0_14default_configENS1_20scan_config_selectorIN3c104HalfEEEZZNS1_9scan_implILNS1_25lookback_scan_determinismE0ELb0ELb0ES3_PKS6_PS6_S6_ZZZN2at6native31launch_logcumsumexp_cuda_kernelERKNSD_10TensorBaseESH_lENKUlvE_clEvENKUlvE3_clEvEUlS6_S6_E_S6_EEDaPvRmT3_T4_T5_mT6_P12ihipStream_tbENKUlT_T0_E_clISt17integral_constantIbLb0EESY_EEDaST_SU_EUlST_E_NS1_11comp_targetILNS1_3genE9ELNS1_11target_archE1100ELNS1_3gpuE3ELNS1_3repE0EEENS1_30default_config_static_selectorELNS0_4arch9wavefront6targetE1EEEvT1_
; %bb.0:
	.section	.rodata,"a",@progbits
	.p2align	6, 0x0
	.amdhsa_kernel _ZN7rocprim17ROCPRIM_400000_NS6detail17trampoline_kernelINS0_14default_configENS1_20scan_config_selectorIN3c104HalfEEEZZNS1_9scan_implILNS1_25lookback_scan_determinismE0ELb0ELb0ES3_PKS6_PS6_S6_ZZZN2at6native31launch_logcumsumexp_cuda_kernelERKNSD_10TensorBaseESH_lENKUlvE_clEvENKUlvE3_clEvEUlS6_S6_E_S6_EEDaPvRmT3_T4_T5_mT6_P12ihipStream_tbENKUlT_T0_E_clISt17integral_constantIbLb0EESY_EEDaST_SU_EUlST_E_NS1_11comp_targetILNS1_3genE9ELNS1_11target_archE1100ELNS1_3gpuE3ELNS1_3repE0EEENS1_30default_config_static_selectorELNS0_4arch9wavefront6targetE1EEEvT1_
		.amdhsa_group_segment_fixed_size 0
		.amdhsa_private_segment_fixed_size 0
		.amdhsa_kernarg_size 96
		.amdhsa_user_sgpr_count 6
		.amdhsa_user_sgpr_private_segment_buffer 1
		.amdhsa_user_sgpr_dispatch_ptr 0
		.amdhsa_user_sgpr_queue_ptr 0
		.amdhsa_user_sgpr_kernarg_segment_ptr 1
		.amdhsa_user_sgpr_dispatch_id 0
		.amdhsa_user_sgpr_flat_scratch_init 0
		.amdhsa_user_sgpr_kernarg_preload_length 0
		.amdhsa_user_sgpr_kernarg_preload_offset 0
		.amdhsa_user_sgpr_private_segment_size 0
		.amdhsa_uses_dynamic_stack 0
		.amdhsa_system_sgpr_private_segment_wavefront_offset 0
		.amdhsa_system_sgpr_workgroup_id_x 1
		.amdhsa_system_sgpr_workgroup_id_y 0
		.amdhsa_system_sgpr_workgroup_id_z 0
		.amdhsa_system_sgpr_workgroup_info 0
		.amdhsa_system_vgpr_workitem_id 0
		.amdhsa_next_free_vgpr 1
		.amdhsa_next_free_sgpr 0
		.amdhsa_accum_offset 4
		.amdhsa_reserve_vcc 0
		.amdhsa_reserve_flat_scratch 0
		.amdhsa_float_round_mode_32 0
		.amdhsa_float_round_mode_16_64 0
		.amdhsa_float_denorm_mode_32 3
		.amdhsa_float_denorm_mode_16_64 3
		.amdhsa_dx10_clamp 1
		.amdhsa_ieee_mode 1
		.amdhsa_fp16_overflow 0
		.amdhsa_tg_split 0
		.amdhsa_exception_fp_ieee_invalid_op 0
		.amdhsa_exception_fp_denorm_src 0
		.amdhsa_exception_fp_ieee_div_zero 0
		.amdhsa_exception_fp_ieee_overflow 0
		.amdhsa_exception_fp_ieee_underflow 0
		.amdhsa_exception_fp_ieee_inexact 0
		.amdhsa_exception_int_div_zero 0
	.end_amdhsa_kernel
	.section	.text._ZN7rocprim17ROCPRIM_400000_NS6detail17trampoline_kernelINS0_14default_configENS1_20scan_config_selectorIN3c104HalfEEEZZNS1_9scan_implILNS1_25lookback_scan_determinismE0ELb0ELb0ES3_PKS6_PS6_S6_ZZZN2at6native31launch_logcumsumexp_cuda_kernelERKNSD_10TensorBaseESH_lENKUlvE_clEvENKUlvE3_clEvEUlS6_S6_E_S6_EEDaPvRmT3_T4_T5_mT6_P12ihipStream_tbENKUlT_T0_E_clISt17integral_constantIbLb0EESY_EEDaST_SU_EUlST_E_NS1_11comp_targetILNS1_3genE9ELNS1_11target_archE1100ELNS1_3gpuE3ELNS1_3repE0EEENS1_30default_config_static_selectorELNS0_4arch9wavefront6targetE1EEEvT1_,"axG",@progbits,_ZN7rocprim17ROCPRIM_400000_NS6detail17trampoline_kernelINS0_14default_configENS1_20scan_config_selectorIN3c104HalfEEEZZNS1_9scan_implILNS1_25lookback_scan_determinismE0ELb0ELb0ES3_PKS6_PS6_S6_ZZZN2at6native31launch_logcumsumexp_cuda_kernelERKNSD_10TensorBaseESH_lENKUlvE_clEvENKUlvE3_clEvEUlS6_S6_E_S6_EEDaPvRmT3_T4_T5_mT6_P12ihipStream_tbENKUlT_T0_E_clISt17integral_constantIbLb0EESY_EEDaST_SU_EUlST_E_NS1_11comp_targetILNS1_3genE9ELNS1_11target_archE1100ELNS1_3gpuE3ELNS1_3repE0EEENS1_30default_config_static_selectorELNS0_4arch9wavefront6targetE1EEEvT1_,comdat
.Lfunc_end359:
	.size	_ZN7rocprim17ROCPRIM_400000_NS6detail17trampoline_kernelINS0_14default_configENS1_20scan_config_selectorIN3c104HalfEEEZZNS1_9scan_implILNS1_25lookback_scan_determinismE0ELb0ELb0ES3_PKS6_PS6_S6_ZZZN2at6native31launch_logcumsumexp_cuda_kernelERKNSD_10TensorBaseESH_lENKUlvE_clEvENKUlvE3_clEvEUlS6_S6_E_S6_EEDaPvRmT3_T4_T5_mT6_P12ihipStream_tbENKUlT_T0_E_clISt17integral_constantIbLb0EESY_EEDaST_SU_EUlST_E_NS1_11comp_targetILNS1_3genE9ELNS1_11target_archE1100ELNS1_3gpuE3ELNS1_3repE0EEENS1_30default_config_static_selectorELNS0_4arch9wavefront6targetE1EEEvT1_, .Lfunc_end359-_ZN7rocprim17ROCPRIM_400000_NS6detail17trampoline_kernelINS0_14default_configENS1_20scan_config_selectorIN3c104HalfEEEZZNS1_9scan_implILNS1_25lookback_scan_determinismE0ELb0ELb0ES3_PKS6_PS6_S6_ZZZN2at6native31launch_logcumsumexp_cuda_kernelERKNSD_10TensorBaseESH_lENKUlvE_clEvENKUlvE3_clEvEUlS6_S6_E_S6_EEDaPvRmT3_T4_T5_mT6_P12ihipStream_tbENKUlT_T0_E_clISt17integral_constantIbLb0EESY_EEDaST_SU_EUlST_E_NS1_11comp_targetILNS1_3genE9ELNS1_11target_archE1100ELNS1_3gpuE3ELNS1_3repE0EEENS1_30default_config_static_selectorELNS0_4arch9wavefront6targetE1EEEvT1_
                                        ; -- End function
	.section	.AMDGPU.csdata,"",@progbits
; Kernel info:
; codeLenInByte = 0
; NumSgprs: 4
; NumVgprs: 0
; NumAgprs: 0
; TotalNumVgprs: 0
; ScratchSize: 0
; MemoryBound: 0
; FloatMode: 240
; IeeeMode: 1
; LDSByteSize: 0 bytes/workgroup (compile time only)
; SGPRBlocks: 0
; VGPRBlocks: 0
; NumSGPRsForWavesPerEU: 4
; NumVGPRsForWavesPerEU: 1
; AccumOffset: 4
; Occupancy: 8
; WaveLimiterHint : 0
; COMPUTE_PGM_RSRC2:SCRATCH_EN: 0
; COMPUTE_PGM_RSRC2:USER_SGPR: 6
; COMPUTE_PGM_RSRC2:TRAP_HANDLER: 0
; COMPUTE_PGM_RSRC2:TGID_X_EN: 1
; COMPUTE_PGM_RSRC2:TGID_Y_EN: 0
; COMPUTE_PGM_RSRC2:TGID_Z_EN: 0
; COMPUTE_PGM_RSRC2:TIDIG_COMP_CNT: 0
; COMPUTE_PGM_RSRC3_GFX90A:ACCUM_OFFSET: 0
; COMPUTE_PGM_RSRC3_GFX90A:TG_SPLIT: 0
	.section	.text._ZN7rocprim17ROCPRIM_400000_NS6detail17trampoline_kernelINS0_14default_configENS1_20scan_config_selectorIN3c104HalfEEEZZNS1_9scan_implILNS1_25lookback_scan_determinismE0ELb0ELb0ES3_PKS6_PS6_S6_ZZZN2at6native31launch_logcumsumexp_cuda_kernelERKNSD_10TensorBaseESH_lENKUlvE_clEvENKUlvE3_clEvEUlS6_S6_E_S6_EEDaPvRmT3_T4_T5_mT6_P12ihipStream_tbENKUlT_T0_E_clISt17integral_constantIbLb0EESY_EEDaST_SU_EUlST_E_NS1_11comp_targetILNS1_3genE8ELNS1_11target_archE1030ELNS1_3gpuE2ELNS1_3repE0EEENS1_30default_config_static_selectorELNS0_4arch9wavefront6targetE1EEEvT1_,"axG",@progbits,_ZN7rocprim17ROCPRIM_400000_NS6detail17trampoline_kernelINS0_14default_configENS1_20scan_config_selectorIN3c104HalfEEEZZNS1_9scan_implILNS1_25lookback_scan_determinismE0ELb0ELb0ES3_PKS6_PS6_S6_ZZZN2at6native31launch_logcumsumexp_cuda_kernelERKNSD_10TensorBaseESH_lENKUlvE_clEvENKUlvE3_clEvEUlS6_S6_E_S6_EEDaPvRmT3_T4_T5_mT6_P12ihipStream_tbENKUlT_T0_E_clISt17integral_constantIbLb0EESY_EEDaST_SU_EUlST_E_NS1_11comp_targetILNS1_3genE8ELNS1_11target_archE1030ELNS1_3gpuE2ELNS1_3repE0EEENS1_30default_config_static_selectorELNS0_4arch9wavefront6targetE1EEEvT1_,comdat
	.globl	_ZN7rocprim17ROCPRIM_400000_NS6detail17trampoline_kernelINS0_14default_configENS1_20scan_config_selectorIN3c104HalfEEEZZNS1_9scan_implILNS1_25lookback_scan_determinismE0ELb0ELb0ES3_PKS6_PS6_S6_ZZZN2at6native31launch_logcumsumexp_cuda_kernelERKNSD_10TensorBaseESH_lENKUlvE_clEvENKUlvE3_clEvEUlS6_S6_E_S6_EEDaPvRmT3_T4_T5_mT6_P12ihipStream_tbENKUlT_T0_E_clISt17integral_constantIbLb0EESY_EEDaST_SU_EUlST_E_NS1_11comp_targetILNS1_3genE8ELNS1_11target_archE1030ELNS1_3gpuE2ELNS1_3repE0EEENS1_30default_config_static_selectorELNS0_4arch9wavefront6targetE1EEEvT1_ ; -- Begin function _ZN7rocprim17ROCPRIM_400000_NS6detail17trampoline_kernelINS0_14default_configENS1_20scan_config_selectorIN3c104HalfEEEZZNS1_9scan_implILNS1_25lookback_scan_determinismE0ELb0ELb0ES3_PKS6_PS6_S6_ZZZN2at6native31launch_logcumsumexp_cuda_kernelERKNSD_10TensorBaseESH_lENKUlvE_clEvENKUlvE3_clEvEUlS6_S6_E_S6_EEDaPvRmT3_T4_T5_mT6_P12ihipStream_tbENKUlT_T0_E_clISt17integral_constantIbLb0EESY_EEDaST_SU_EUlST_E_NS1_11comp_targetILNS1_3genE8ELNS1_11target_archE1030ELNS1_3gpuE2ELNS1_3repE0EEENS1_30default_config_static_selectorELNS0_4arch9wavefront6targetE1EEEvT1_
	.p2align	8
	.type	_ZN7rocprim17ROCPRIM_400000_NS6detail17trampoline_kernelINS0_14default_configENS1_20scan_config_selectorIN3c104HalfEEEZZNS1_9scan_implILNS1_25lookback_scan_determinismE0ELb0ELb0ES3_PKS6_PS6_S6_ZZZN2at6native31launch_logcumsumexp_cuda_kernelERKNSD_10TensorBaseESH_lENKUlvE_clEvENKUlvE3_clEvEUlS6_S6_E_S6_EEDaPvRmT3_T4_T5_mT6_P12ihipStream_tbENKUlT_T0_E_clISt17integral_constantIbLb0EESY_EEDaST_SU_EUlST_E_NS1_11comp_targetILNS1_3genE8ELNS1_11target_archE1030ELNS1_3gpuE2ELNS1_3repE0EEENS1_30default_config_static_selectorELNS0_4arch9wavefront6targetE1EEEvT1_,@function
_ZN7rocprim17ROCPRIM_400000_NS6detail17trampoline_kernelINS0_14default_configENS1_20scan_config_selectorIN3c104HalfEEEZZNS1_9scan_implILNS1_25lookback_scan_determinismE0ELb0ELb0ES3_PKS6_PS6_S6_ZZZN2at6native31launch_logcumsumexp_cuda_kernelERKNSD_10TensorBaseESH_lENKUlvE_clEvENKUlvE3_clEvEUlS6_S6_E_S6_EEDaPvRmT3_T4_T5_mT6_P12ihipStream_tbENKUlT_T0_E_clISt17integral_constantIbLb0EESY_EEDaST_SU_EUlST_E_NS1_11comp_targetILNS1_3genE8ELNS1_11target_archE1030ELNS1_3gpuE2ELNS1_3repE0EEENS1_30default_config_static_selectorELNS0_4arch9wavefront6targetE1EEEvT1_: ; @_ZN7rocprim17ROCPRIM_400000_NS6detail17trampoline_kernelINS0_14default_configENS1_20scan_config_selectorIN3c104HalfEEEZZNS1_9scan_implILNS1_25lookback_scan_determinismE0ELb0ELb0ES3_PKS6_PS6_S6_ZZZN2at6native31launch_logcumsumexp_cuda_kernelERKNSD_10TensorBaseESH_lENKUlvE_clEvENKUlvE3_clEvEUlS6_S6_E_S6_EEDaPvRmT3_T4_T5_mT6_P12ihipStream_tbENKUlT_T0_E_clISt17integral_constantIbLb0EESY_EEDaST_SU_EUlST_E_NS1_11comp_targetILNS1_3genE8ELNS1_11target_archE1030ELNS1_3gpuE2ELNS1_3repE0EEENS1_30default_config_static_selectorELNS0_4arch9wavefront6targetE1EEEvT1_
; %bb.0:
	.section	.rodata,"a",@progbits
	.p2align	6, 0x0
	.amdhsa_kernel _ZN7rocprim17ROCPRIM_400000_NS6detail17trampoline_kernelINS0_14default_configENS1_20scan_config_selectorIN3c104HalfEEEZZNS1_9scan_implILNS1_25lookback_scan_determinismE0ELb0ELb0ES3_PKS6_PS6_S6_ZZZN2at6native31launch_logcumsumexp_cuda_kernelERKNSD_10TensorBaseESH_lENKUlvE_clEvENKUlvE3_clEvEUlS6_S6_E_S6_EEDaPvRmT3_T4_T5_mT6_P12ihipStream_tbENKUlT_T0_E_clISt17integral_constantIbLb0EESY_EEDaST_SU_EUlST_E_NS1_11comp_targetILNS1_3genE8ELNS1_11target_archE1030ELNS1_3gpuE2ELNS1_3repE0EEENS1_30default_config_static_selectorELNS0_4arch9wavefront6targetE1EEEvT1_
		.amdhsa_group_segment_fixed_size 0
		.amdhsa_private_segment_fixed_size 0
		.amdhsa_kernarg_size 96
		.amdhsa_user_sgpr_count 6
		.amdhsa_user_sgpr_private_segment_buffer 1
		.amdhsa_user_sgpr_dispatch_ptr 0
		.amdhsa_user_sgpr_queue_ptr 0
		.amdhsa_user_sgpr_kernarg_segment_ptr 1
		.amdhsa_user_sgpr_dispatch_id 0
		.amdhsa_user_sgpr_flat_scratch_init 0
		.amdhsa_user_sgpr_kernarg_preload_length 0
		.amdhsa_user_sgpr_kernarg_preload_offset 0
		.amdhsa_user_sgpr_private_segment_size 0
		.amdhsa_uses_dynamic_stack 0
		.amdhsa_system_sgpr_private_segment_wavefront_offset 0
		.amdhsa_system_sgpr_workgroup_id_x 1
		.amdhsa_system_sgpr_workgroup_id_y 0
		.amdhsa_system_sgpr_workgroup_id_z 0
		.amdhsa_system_sgpr_workgroup_info 0
		.amdhsa_system_vgpr_workitem_id 0
		.amdhsa_next_free_vgpr 1
		.amdhsa_next_free_sgpr 0
		.amdhsa_accum_offset 4
		.amdhsa_reserve_vcc 0
		.amdhsa_reserve_flat_scratch 0
		.amdhsa_float_round_mode_32 0
		.amdhsa_float_round_mode_16_64 0
		.amdhsa_float_denorm_mode_32 3
		.amdhsa_float_denorm_mode_16_64 3
		.amdhsa_dx10_clamp 1
		.amdhsa_ieee_mode 1
		.amdhsa_fp16_overflow 0
		.amdhsa_tg_split 0
		.amdhsa_exception_fp_ieee_invalid_op 0
		.amdhsa_exception_fp_denorm_src 0
		.amdhsa_exception_fp_ieee_div_zero 0
		.amdhsa_exception_fp_ieee_overflow 0
		.amdhsa_exception_fp_ieee_underflow 0
		.amdhsa_exception_fp_ieee_inexact 0
		.amdhsa_exception_int_div_zero 0
	.end_amdhsa_kernel
	.section	.text._ZN7rocprim17ROCPRIM_400000_NS6detail17trampoline_kernelINS0_14default_configENS1_20scan_config_selectorIN3c104HalfEEEZZNS1_9scan_implILNS1_25lookback_scan_determinismE0ELb0ELb0ES3_PKS6_PS6_S6_ZZZN2at6native31launch_logcumsumexp_cuda_kernelERKNSD_10TensorBaseESH_lENKUlvE_clEvENKUlvE3_clEvEUlS6_S6_E_S6_EEDaPvRmT3_T4_T5_mT6_P12ihipStream_tbENKUlT_T0_E_clISt17integral_constantIbLb0EESY_EEDaST_SU_EUlST_E_NS1_11comp_targetILNS1_3genE8ELNS1_11target_archE1030ELNS1_3gpuE2ELNS1_3repE0EEENS1_30default_config_static_selectorELNS0_4arch9wavefront6targetE1EEEvT1_,"axG",@progbits,_ZN7rocprim17ROCPRIM_400000_NS6detail17trampoline_kernelINS0_14default_configENS1_20scan_config_selectorIN3c104HalfEEEZZNS1_9scan_implILNS1_25lookback_scan_determinismE0ELb0ELb0ES3_PKS6_PS6_S6_ZZZN2at6native31launch_logcumsumexp_cuda_kernelERKNSD_10TensorBaseESH_lENKUlvE_clEvENKUlvE3_clEvEUlS6_S6_E_S6_EEDaPvRmT3_T4_T5_mT6_P12ihipStream_tbENKUlT_T0_E_clISt17integral_constantIbLb0EESY_EEDaST_SU_EUlST_E_NS1_11comp_targetILNS1_3genE8ELNS1_11target_archE1030ELNS1_3gpuE2ELNS1_3repE0EEENS1_30default_config_static_selectorELNS0_4arch9wavefront6targetE1EEEvT1_,comdat
.Lfunc_end360:
	.size	_ZN7rocprim17ROCPRIM_400000_NS6detail17trampoline_kernelINS0_14default_configENS1_20scan_config_selectorIN3c104HalfEEEZZNS1_9scan_implILNS1_25lookback_scan_determinismE0ELb0ELb0ES3_PKS6_PS6_S6_ZZZN2at6native31launch_logcumsumexp_cuda_kernelERKNSD_10TensorBaseESH_lENKUlvE_clEvENKUlvE3_clEvEUlS6_S6_E_S6_EEDaPvRmT3_T4_T5_mT6_P12ihipStream_tbENKUlT_T0_E_clISt17integral_constantIbLb0EESY_EEDaST_SU_EUlST_E_NS1_11comp_targetILNS1_3genE8ELNS1_11target_archE1030ELNS1_3gpuE2ELNS1_3repE0EEENS1_30default_config_static_selectorELNS0_4arch9wavefront6targetE1EEEvT1_, .Lfunc_end360-_ZN7rocprim17ROCPRIM_400000_NS6detail17trampoline_kernelINS0_14default_configENS1_20scan_config_selectorIN3c104HalfEEEZZNS1_9scan_implILNS1_25lookback_scan_determinismE0ELb0ELb0ES3_PKS6_PS6_S6_ZZZN2at6native31launch_logcumsumexp_cuda_kernelERKNSD_10TensorBaseESH_lENKUlvE_clEvENKUlvE3_clEvEUlS6_S6_E_S6_EEDaPvRmT3_T4_T5_mT6_P12ihipStream_tbENKUlT_T0_E_clISt17integral_constantIbLb0EESY_EEDaST_SU_EUlST_E_NS1_11comp_targetILNS1_3genE8ELNS1_11target_archE1030ELNS1_3gpuE2ELNS1_3repE0EEENS1_30default_config_static_selectorELNS0_4arch9wavefront6targetE1EEEvT1_
                                        ; -- End function
	.section	.AMDGPU.csdata,"",@progbits
; Kernel info:
; codeLenInByte = 0
; NumSgprs: 4
; NumVgprs: 0
; NumAgprs: 0
; TotalNumVgprs: 0
; ScratchSize: 0
; MemoryBound: 0
; FloatMode: 240
; IeeeMode: 1
; LDSByteSize: 0 bytes/workgroup (compile time only)
; SGPRBlocks: 0
; VGPRBlocks: 0
; NumSGPRsForWavesPerEU: 4
; NumVGPRsForWavesPerEU: 1
; AccumOffset: 4
; Occupancy: 8
; WaveLimiterHint : 0
; COMPUTE_PGM_RSRC2:SCRATCH_EN: 0
; COMPUTE_PGM_RSRC2:USER_SGPR: 6
; COMPUTE_PGM_RSRC2:TRAP_HANDLER: 0
; COMPUTE_PGM_RSRC2:TGID_X_EN: 1
; COMPUTE_PGM_RSRC2:TGID_Y_EN: 0
; COMPUTE_PGM_RSRC2:TGID_Z_EN: 0
; COMPUTE_PGM_RSRC2:TIDIG_COMP_CNT: 0
; COMPUTE_PGM_RSRC3_GFX90A:ACCUM_OFFSET: 0
; COMPUTE_PGM_RSRC3_GFX90A:TG_SPLIT: 0
	.section	.text._ZN7rocprim17ROCPRIM_400000_NS6detail17trampoline_kernelINS0_14default_configENS1_25transform_config_selectorIN3c104HalfELb1EEEZNS1_14transform_implILb1ES3_S7_PS6_S9_NS0_8identityIS6_EEEE10hipError_tT2_T3_mT4_P12ihipStream_tbEUlT_E_NS1_11comp_targetILNS1_3genE0ELNS1_11target_archE4294967295ELNS1_3gpuE0ELNS1_3repE0EEENS1_30default_config_static_selectorELNS0_4arch9wavefront6targetE1EEEvT1_,"axG",@progbits,_ZN7rocprim17ROCPRIM_400000_NS6detail17trampoline_kernelINS0_14default_configENS1_25transform_config_selectorIN3c104HalfELb1EEEZNS1_14transform_implILb1ES3_S7_PS6_S9_NS0_8identityIS6_EEEE10hipError_tT2_T3_mT4_P12ihipStream_tbEUlT_E_NS1_11comp_targetILNS1_3genE0ELNS1_11target_archE4294967295ELNS1_3gpuE0ELNS1_3repE0EEENS1_30default_config_static_selectorELNS0_4arch9wavefront6targetE1EEEvT1_,comdat
	.protected	_ZN7rocprim17ROCPRIM_400000_NS6detail17trampoline_kernelINS0_14default_configENS1_25transform_config_selectorIN3c104HalfELb1EEEZNS1_14transform_implILb1ES3_S7_PS6_S9_NS0_8identityIS6_EEEE10hipError_tT2_T3_mT4_P12ihipStream_tbEUlT_E_NS1_11comp_targetILNS1_3genE0ELNS1_11target_archE4294967295ELNS1_3gpuE0ELNS1_3repE0EEENS1_30default_config_static_selectorELNS0_4arch9wavefront6targetE1EEEvT1_ ; -- Begin function _ZN7rocprim17ROCPRIM_400000_NS6detail17trampoline_kernelINS0_14default_configENS1_25transform_config_selectorIN3c104HalfELb1EEEZNS1_14transform_implILb1ES3_S7_PS6_S9_NS0_8identityIS6_EEEE10hipError_tT2_T3_mT4_P12ihipStream_tbEUlT_E_NS1_11comp_targetILNS1_3genE0ELNS1_11target_archE4294967295ELNS1_3gpuE0ELNS1_3repE0EEENS1_30default_config_static_selectorELNS0_4arch9wavefront6targetE1EEEvT1_
	.globl	_ZN7rocprim17ROCPRIM_400000_NS6detail17trampoline_kernelINS0_14default_configENS1_25transform_config_selectorIN3c104HalfELb1EEEZNS1_14transform_implILb1ES3_S7_PS6_S9_NS0_8identityIS6_EEEE10hipError_tT2_T3_mT4_P12ihipStream_tbEUlT_E_NS1_11comp_targetILNS1_3genE0ELNS1_11target_archE4294967295ELNS1_3gpuE0ELNS1_3repE0EEENS1_30default_config_static_selectorELNS0_4arch9wavefront6targetE1EEEvT1_
	.p2align	8
	.type	_ZN7rocprim17ROCPRIM_400000_NS6detail17trampoline_kernelINS0_14default_configENS1_25transform_config_selectorIN3c104HalfELb1EEEZNS1_14transform_implILb1ES3_S7_PS6_S9_NS0_8identityIS6_EEEE10hipError_tT2_T3_mT4_P12ihipStream_tbEUlT_E_NS1_11comp_targetILNS1_3genE0ELNS1_11target_archE4294967295ELNS1_3gpuE0ELNS1_3repE0EEENS1_30default_config_static_selectorELNS0_4arch9wavefront6targetE1EEEvT1_,@function
_ZN7rocprim17ROCPRIM_400000_NS6detail17trampoline_kernelINS0_14default_configENS1_25transform_config_selectorIN3c104HalfELb1EEEZNS1_14transform_implILb1ES3_S7_PS6_S9_NS0_8identityIS6_EEEE10hipError_tT2_T3_mT4_P12ihipStream_tbEUlT_E_NS1_11comp_targetILNS1_3genE0ELNS1_11target_archE4294967295ELNS1_3gpuE0ELNS1_3repE0EEENS1_30default_config_static_selectorELNS0_4arch9wavefront6targetE1EEEvT1_: ; @_ZN7rocprim17ROCPRIM_400000_NS6detail17trampoline_kernelINS0_14default_configENS1_25transform_config_selectorIN3c104HalfELb1EEEZNS1_14transform_implILb1ES3_S7_PS6_S9_NS0_8identityIS6_EEEE10hipError_tT2_T3_mT4_P12ihipStream_tbEUlT_E_NS1_11comp_targetILNS1_3genE0ELNS1_11target_archE4294967295ELNS1_3gpuE0ELNS1_3repE0EEENS1_30default_config_static_selectorELNS0_4arch9wavefront6targetE1EEEvT1_
; %bb.0:
	.section	.rodata,"a",@progbits
	.p2align	6, 0x0
	.amdhsa_kernel _ZN7rocprim17ROCPRIM_400000_NS6detail17trampoline_kernelINS0_14default_configENS1_25transform_config_selectorIN3c104HalfELb1EEEZNS1_14transform_implILb1ES3_S7_PS6_S9_NS0_8identityIS6_EEEE10hipError_tT2_T3_mT4_P12ihipStream_tbEUlT_E_NS1_11comp_targetILNS1_3genE0ELNS1_11target_archE4294967295ELNS1_3gpuE0ELNS1_3repE0EEENS1_30default_config_static_selectorELNS0_4arch9wavefront6targetE1EEEvT1_
		.amdhsa_group_segment_fixed_size 0
		.amdhsa_private_segment_fixed_size 0
		.amdhsa_kernarg_size 40
		.amdhsa_user_sgpr_count 6
		.amdhsa_user_sgpr_private_segment_buffer 1
		.amdhsa_user_sgpr_dispatch_ptr 0
		.amdhsa_user_sgpr_queue_ptr 0
		.amdhsa_user_sgpr_kernarg_segment_ptr 1
		.amdhsa_user_sgpr_dispatch_id 0
		.amdhsa_user_sgpr_flat_scratch_init 0
		.amdhsa_user_sgpr_kernarg_preload_length 0
		.amdhsa_user_sgpr_kernarg_preload_offset 0
		.amdhsa_user_sgpr_private_segment_size 0
		.amdhsa_uses_dynamic_stack 0
		.amdhsa_system_sgpr_private_segment_wavefront_offset 0
		.amdhsa_system_sgpr_workgroup_id_x 1
		.amdhsa_system_sgpr_workgroup_id_y 0
		.amdhsa_system_sgpr_workgroup_id_z 0
		.amdhsa_system_sgpr_workgroup_info 0
		.amdhsa_system_vgpr_workitem_id 0
		.amdhsa_next_free_vgpr 1
		.amdhsa_next_free_sgpr 0
		.amdhsa_accum_offset 4
		.amdhsa_reserve_vcc 0
		.amdhsa_reserve_flat_scratch 0
		.amdhsa_float_round_mode_32 0
		.amdhsa_float_round_mode_16_64 0
		.amdhsa_float_denorm_mode_32 3
		.amdhsa_float_denorm_mode_16_64 3
		.amdhsa_dx10_clamp 1
		.amdhsa_ieee_mode 1
		.amdhsa_fp16_overflow 0
		.amdhsa_tg_split 0
		.amdhsa_exception_fp_ieee_invalid_op 0
		.amdhsa_exception_fp_denorm_src 0
		.amdhsa_exception_fp_ieee_div_zero 0
		.amdhsa_exception_fp_ieee_overflow 0
		.amdhsa_exception_fp_ieee_underflow 0
		.amdhsa_exception_fp_ieee_inexact 0
		.amdhsa_exception_int_div_zero 0
	.end_amdhsa_kernel
	.section	.text._ZN7rocprim17ROCPRIM_400000_NS6detail17trampoline_kernelINS0_14default_configENS1_25transform_config_selectorIN3c104HalfELb1EEEZNS1_14transform_implILb1ES3_S7_PS6_S9_NS0_8identityIS6_EEEE10hipError_tT2_T3_mT4_P12ihipStream_tbEUlT_E_NS1_11comp_targetILNS1_3genE0ELNS1_11target_archE4294967295ELNS1_3gpuE0ELNS1_3repE0EEENS1_30default_config_static_selectorELNS0_4arch9wavefront6targetE1EEEvT1_,"axG",@progbits,_ZN7rocprim17ROCPRIM_400000_NS6detail17trampoline_kernelINS0_14default_configENS1_25transform_config_selectorIN3c104HalfELb1EEEZNS1_14transform_implILb1ES3_S7_PS6_S9_NS0_8identityIS6_EEEE10hipError_tT2_T3_mT4_P12ihipStream_tbEUlT_E_NS1_11comp_targetILNS1_3genE0ELNS1_11target_archE4294967295ELNS1_3gpuE0ELNS1_3repE0EEENS1_30default_config_static_selectorELNS0_4arch9wavefront6targetE1EEEvT1_,comdat
.Lfunc_end361:
	.size	_ZN7rocprim17ROCPRIM_400000_NS6detail17trampoline_kernelINS0_14default_configENS1_25transform_config_selectorIN3c104HalfELb1EEEZNS1_14transform_implILb1ES3_S7_PS6_S9_NS0_8identityIS6_EEEE10hipError_tT2_T3_mT4_P12ihipStream_tbEUlT_E_NS1_11comp_targetILNS1_3genE0ELNS1_11target_archE4294967295ELNS1_3gpuE0ELNS1_3repE0EEENS1_30default_config_static_selectorELNS0_4arch9wavefront6targetE1EEEvT1_, .Lfunc_end361-_ZN7rocprim17ROCPRIM_400000_NS6detail17trampoline_kernelINS0_14default_configENS1_25transform_config_selectorIN3c104HalfELb1EEEZNS1_14transform_implILb1ES3_S7_PS6_S9_NS0_8identityIS6_EEEE10hipError_tT2_T3_mT4_P12ihipStream_tbEUlT_E_NS1_11comp_targetILNS1_3genE0ELNS1_11target_archE4294967295ELNS1_3gpuE0ELNS1_3repE0EEENS1_30default_config_static_selectorELNS0_4arch9wavefront6targetE1EEEvT1_
                                        ; -- End function
	.section	.AMDGPU.csdata,"",@progbits
; Kernel info:
; codeLenInByte = 0
; NumSgprs: 4
; NumVgprs: 0
; NumAgprs: 0
; TotalNumVgprs: 0
; ScratchSize: 0
; MemoryBound: 0
; FloatMode: 240
; IeeeMode: 1
; LDSByteSize: 0 bytes/workgroup (compile time only)
; SGPRBlocks: 0
; VGPRBlocks: 0
; NumSGPRsForWavesPerEU: 4
; NumVGPRsForWavesPerEU: 1
; AccumOffset: 4
; Occupancy: 8
; WaveLimiterHint : 0
; COMPUTE_PGM_RSRC2:SCRATCH_EN: 0
; COMPUTE_PGM_RSRC2:USER_SGPR: 6
; COMPUTE_PGM_RSRC2:TRAP_HANDLER: 0
; COMPUTE_PGM_RSRC2:TGID_X_EN: 1
; COMPUTE_PGM_RSRC2:TGID_Y_EN: 0
; COMPUTE_PGM_RSRC2:TGID_Z_EN: 0
; COMPUTE_PGM_RSRC2:TIDIG_COMP_CNT: 0
; COMPUTE_PGM_RSRC3_GFX90A:ACCUM_OFFSET: 0
; COMPUTE_PGM_RSRC3_GFX90A:TG_SPLIT: 0
	.section	.text._ZN7rocprim17ROCPRIM_400000_NS6detail17trampoline_kernelINS0_14default_configENS1_25transform_config_selectorIN3c104HalfELb1EEEZNS1_14transform_implILb1ES3_S7_PS6_S9_NS0_8identityIS6_EEEE10hipError_tT2_T3_mT4_P12ihipStream_tbEUlT_E_NS1_11comp_targetILNS1_3genE10ELNS1_11target_archE1201ELNS1_3gpuE5ELNS1_3repE0EEENS1_30default_config_static_selectorELNS0_4arch9wavefront6targetE1EEEvT1_,"axG",@progbits,_ZN7rocprim17ROCPRIM_400000_NS6detail17trampoline_kernelINS0_14default_configENS1_25transform_config_selectorIN3c104HalfELb1EEEZNS1_14transform_implILb1ES3_S7_PS6_S9_NS0_8identityIS6_EEEE10hipError_tT2_T3_mT4_P12ihipStream_tbEUlT_E_NS1_11comp_targetILNS1_3genE10ELNS1_11target_archE1201ELNS1_3gpuE5ELNS1_3repE0EEENS1_30default_config_static_selectorELNS0_4arch9wavefront6targetE1EEEvT1_,comdat
	.protected	_ZN7rocprim17ROCPRIM_400000_NS6detail17trampoline_kernelINS0_14default_configENS1_25transform_config_selectorIN3c104HalfELb1EEEZNS1_14transform_implILb1ES3_S7_PS6_S9_NS0_8identityIS6_EEEE10hipError_tT2_T3_mT4_P12ihipStream_tbEUlT_E_NS1_11comp_targetILNS1_3genE10ELNS1_11target_archE1201ELNS1_3gpuE5ELNS1_3repE0EEENS1_30default_config_static_selectorELNS0_4arch9wavefront6targetE1EEEvT1_ ; -- Begin function _ZN7rocprim17ROCPRIM_400000_NS6detail17trampoline_kernelINS0_14default_configENS1_25transform_config_selectorIN3c104HalfELb1EEEZNS1_14transform_implILb1ES3_S7_PS6_S9_NS0_8identityIS6_EEEE10hipError_tT2_T3_mT4_P12ihipStream_tbEUlT_E_NS1_11comp_targetILNS1_3genE10ELNS1_11target_archE1201ELNS1_3gpuE5ELNS1_3repE0EEENS1_30default_config_static_selectorELNS0_4arch9wavefront6targetE1EEEvT1_
	.globl	_ZN7rocprim17ROCPRIM_400000_NS6detail17trampoline_kernelINS0_14default_configENS1_25transform_config_selectorIN3c104HalfELb1EEEZNS1_14transform_implILb1ES3_S7_PS6_S9_NS0_8identityIS6_EEEE10hipError_tT2_T3_mT4_P12ihipStream_tbEUlT_E_NS1_11comp_targetILNS1_3genE10ELNS1_11target_archE1201ELNS1_3gpuE5ELNS1_3repE0EEENS1_30default_config_static_selectorELNS0_4arch9wavefront6targetE1EEEvT1_
	.p2align	8
	.type	_ZN7rocprim17ROCPRIM_400000_NS6detail17trampoline_kernelINS0_14default_configENS1_25transform_config_selectorIN3c104HalfELb1EEEZNS1_14transform_implILb1ES3_S7_PS6_S9_NS0_8identityIS6_EEEE10hipError_tT2_T3_mT4_P12ihipStream_tbEUlT_E_NS1_11comp_targetILNS1_3genE10ELNS1_11target_archE1201ELNS1_3gpuE5ELNS1_3repE0EEENS1_30default_config_static_selectorELNS0_4arch9wavefront6targetE1EEEvT1_,@function
_ZN7rocprim17ROCPRIM_400000_NS6detail17trampoline_kernelINS0_14default_configENS1_25transform_config_selectorIN3c104HalfELb1EEEZNS1_14transform_implILb1ES3_S7_PS6_S9_NS0_8identityIS6_EEEE10hipError_tT2_T3_mT4_P12ihipStream_tbEUlT_E_NS1_11comp_targetILNS1_3genE10ELNS1_11target_archE1201ELNS1_3gpuE5ELNS1_3repE0EEENS1_30default_config_static_selectorELNS0_4arch9wavefront6targetE1EEEvT1_: ; @_ZN7rocprim17ROCPRIM_400000_NS6detail17trampoline_kernelINS0_14default_configENS1_25transform_config_selectorIN3c104HalfELb1EEEZNS1_14transform_implILb1ES3_S7_PS6_S9_NS0_8identityIS6_EEEE10hipError_tT2_T3_mT4_P12ihipStream_tbEUlT_E_NS1_11comp_targetILNS1_3genE10ELNS1_11target_archE1201ELNS1_3gpuE5ELNS1_3repE0EEENS1_30default_config_static_selectorELNS0_4arch9wavefront6targetE1EEEvT1_
; %bb.0:
	.section	.rodata,"a",@progbits
	.p2align	6, 0x0
	.amdhsa_kernel _ZN7rocprim17ROCPRIM_400000_NS6detail17trampoline_kernelINS0_14default_configENS1_25transform_config_selectorIN3c104HalfELb1EEEZNS1_14transform_implILb1ES3_S7_PS6_S9_NS0_8identityIS6_EEEE10hipError_tT2_T3_mT4_P12ihipStream_tbEUlT_E_NS1_11comp_targetILNS1_3genE10ELNS1_11target_archE1201ELNS1_3gpuE5ELNS1_3repE0EEENS1_30default_config_static_selectorELNS0_4arch9wavefront6targetE1EEEvT1_
		.amdhsa_group_segment_fixed_size 0
		.amdhsa_private_segment_fixed_size 0
		.amdhsa_kernarg_size 40
		.amdhsa_user_sgpr_count 6
		.amdhsa_user_sgpr_private_segment_buffer 1
		.amdhsa_user_sgpr_dispatch_ptr 0
		.amdhsa_user_sgpr_queue_ptr 0
		.amdhsa_user_sgpr_kernarg_segment_ptr 1
		.amdhsa_user_sgpr_dispatch_id 0
		.amdhsa_user_sgpr_flat_scratch_init 0
		.amdhsa_user_sgpr_kernarg_preload_length 0
		.amdhsa_user_sgpr_kernarg_preload_offset 0
		.amdhsa_user_sgpr_private_segment_size 0
		.amdhsa_uses_dynamic_stack 0
		.amdhsa_system_sgpr_private_segment_wavefront_offset 0
		.amdhsa_system_sgpr_workgroup_id_x 1
		.amdhsa_system_sgpr_workgroup_id_y 0
		.amdhsa_system_sgpr_workgroup_id_z 0
		.amdhsa_system_sgpr_workgroup_info 0
		.amdhsa_system_vgpr_workitem_id 0
		.amdhsa_next_free_vgpr 1
		.amdhsa_next_free_sgpr 0
		.amdhsa_accum_offset 4
		.amdhsa_reserve_vcc 0
		.amdhsa_reserve_flat_scratch 0
		.amdhsa_float_round_mode_32 0
		.amdhsa_float_round_mode_16_64 0
		.amdhsa_float_denorm_mode_32 3
		.amdhsa_float_denorm_mode_16_64 3
		.amdhsa_dx10_clamp 1
		.amdhsa_ieee_mode 1
		.amdhsa_fp16_overflow 0
		.amdhsa_tg_split 0
		.amdhsa_exception_fp_ieee_invalid_op 0
		.amdhsa_exception_fp_denorm_src 0
		.amdhsa_exception_fp_ieee_div_zero 0
		.amdhsa_exception_fp_ieee_overflow 0
		.amdhsa_exception_fp_ieee_underflow 0
		.amdhsa_exception_fp_ieee_inexact 0
		.amdhsa_exception_int_div_zero 0
	.end_amdhsa_kernel
	.section	.text._ZN7rocprim17ROCPRIM_400000_NS6detail17trampoline_kernelINS0_14default_configENS1_25transform_config_selectorIN3c104HalfELb1EEEZNS1_14transform_implILb1ES3_S7_PS6_S9_NS0_8identityIS6_EEEE10hipError_tT2_T3_mT4_P12ihipStream_tbEUlT_E_NS1_11comp_targetILNS1_3genE10ELNS1_11target_archE1201ELNS1_3gpuE5ELNS1_3repE0EEENS1_30default_config_static_selectorELNS0_4arch9wavefront6targetE1EEEvT1_,"axG",@progbits,_ZN7rocprim17ROCPRIM_400000_NS6detail17trampoline_kernelINS0_14default_configENS1_25transform_config_selectorIN3c104HalfELb1EEEZNS1_14transform_implILb1ES3_S7_PS6_S9_NS0_8identityIS6_EEEE10hipError_tT2_T3_mT4_P12ihipStream_tbEUlT_E_NS1_11comp_targetILNS1_3genE10ELNS1_11target_archE1201ELNS1_3gpuE5ELNS1_3repE0EEENS1_30default_config_static_selectorELNS0_4arch9wavefront6targetE1EEEvT1_,comdat
.Lfunc_end362:
	.size	_ZN7rocprim17ROCPRIM_400000_NS6detail17trampoline_kernelINS0_14default_configENS1_25transform_config_selectorIN3c104HalfELb1EEEZNS1_14transform_implILb1ES3_S7_PS6_S9_NS0_8identityIS6_EEEE10hipError_tT2_T3_mT4_P12ihipStream_tbEUlT_E_NS1_11comp_targetILNS1_3genE10ELNS1_11target_archE1201ELNS1_3gpuE5ELNS1_3repE0EEENS1_30default_config_static_selectorELNS0_4arch9wavefront6targetE1EEEvT1_, .Lfunc_end362-_ZN7rocprim17ROCPRIM_400000_NS6detail17trampoline_kernelINS0_14default_configENS1_25transform_config_selectorIN3c104HalfELb1EEEZNS1_14transform_implILb1ES3_S7_PS6_S9_NS0_8identityIS6_EEEE10hipError_tT2_T3_mT4_P12ihipStream_tbEUlT_E_NS1_11comp_targetILNS1_3genE10ELNS1_11target_archE1201ELNS1_3gpuE5ELNS1_3repE0EEENS1_30default_config_static_selectorELNS0_4arch9wavefront6targetE1EEEvT1_
                                        ; -- End function
	.section	.AMDGPU.csdata,"",@progbits
; Kernel info:
; codeLenInByte = 0
; NumSgprs: 4
; NumVgprs: 0
; NumAgprs: 0
; TotalNumVgprs: 0
; ScratchSize: 0
; MemoryBound: 0
; FloatMode: 240
; IeeeMode: 1
; LDSByteSize: 0 bytes/workgroup (compile time only)
; SGPRBlocks: 0
; VGPRBlocks: 0
; NumSGPRsForWavesPerEU: 4
; NumVGPRsForWavesPerEU: 1
; AccumOffset: 4
; Occupancy: 8
; WaveLimiterHint : 0
; COMPUTE_PGM_RSRC2:SCRATCH_EN: 0
; COMPUTE_PGM_RSRC2:USER_SGPR: 6
; COMPUTE_PGM_RSRC2:TRAP_HANDLER: 0
; COMPUTE_PGM_RSRC2:TGID_X_EN: 1
; COMPUTE_PGM_RSRC2:TGID_Y_EN: 0
; COMPUTE_PGM_RSRC2:TGID_Z_EN: 0
; COMPUTE_PGM_RSRC2:TIDIG_COMP_CNT: 0
; COMPUTE_PGM_RSRC3_GFX90A:ACCUM_OFFSET: 0
; COMPUTE_PGM_RSRC3_GFX90A:TG_SPLIT: 0
	.section	.text._ZN7rocprim17ROCPRIM_400000_NS6detail17trampoline_kernelINS0_14default_configENS1_25transform_config_selectorIN3c104HalfELb1EEEZNS1_14transform_implILb1ES3_S7_PS6_S9_NS0_8identityIS6_EEEE10hipError_tT2_T3_mT4_P12ihipStream_tbEUlT_E_NS1_11comp_targetILNS1_3genE5ELNS1_11target_archE942ELNS1_3gpuE9ELNS1_3repE0EEENS1_30default_config_static_selectorELNS0_4arch9wavefront6targetE1EEEvT1_,"axG",@progbits,_ZN7rocprim17ROCPRIM_400000_NS6detail17trampoline_kernelINS0_14default_configENS1_25transform_config_selectorIN3c104HalfELb1EEEZNS1_14transform_implILb1ES3_S7_PS6_S9_NS0_8identityIS6_EEEE10hipError_tT2_T3_mT4_P12ihipStream_tbEUlT_E_NS1_11comp_targetILNS1_3genE5ELNS1_11target_archE942ELNS1_3gpuE9ELNS1_3repE0EEENS1_30default_config_static_selectorELNS0_4arch9wavefront6targetE1EEEvT1_,comdat
	.protected	_ZN7rocprim17ROCPRIM_400000_NS6detail17trampoline_kernelINS0_14default_configENS1_25transform_config_selectorIN3c104HalfELb1EEEZNS1_14transform_implILb1ES3_S7_PS6_S9_NS0_8identityIS6_EEEE10hipError_tT2_T3_mT4_P12ihipStream_tbEUlT_E_NS1_11comp_targetILNS1_3genE5ELNS1_11target_archE942ELNS1_3gpuE9ELNS1_3repE0EEENS1_30default_config_static_selectorELNS0_4arch9wavefront6targetE1EEEvT1_ ; -- Begin function _ZN7rocprim17ROCPRIM_400000_NS6detail17trampoline_kernelINS0_14default_configENS1_25transform_config_selectorIN3c104HalfELb1EEEZNS1_14transform_implILb1ES3_S7_PS6_S9_NS0_8identityIS6_EEEE10hipError_tT2_T3_mT4_P12ihipStream_tbEUlT_E_NS1_11comp_targetILNS1_3genE5ELNS1_11target_archE942ELNS1_3gpuE9ELNS1_3repE0EEENS1_30default_config_static_selectorELNS0_4arch9wavefront6targetE1EEEvT1_
	.globl	_ZN7rocprim17ROCPRIM_400000_NS6detail17trampoline_kernelINS0_14default_configENS1_25transform_config_selectorIN3c104HalfELb1EEEZNS1_14transform_implILb1ES3_S7_PS6_S9_NS0_8identityIS6_EEEE10hipError_tT2_T3_mT4_P12ihipStream_tbEUlT_E_NS1_11comp_targetILNS1_3genE5ELNS1_11target_archE942ELNS1_3gpuE9ELNS1_3repE0EEENS1_30default_config_static_selectorELNS0_4arch9wavefront6targetE1EEEvT1_
	.p2align	8
	.type	_ZN7rocprim17ROCPRIM_400000_NS6detail17trampoline_kernelINS0_14default_configENS1_25transform_config_selectorIN3c104HalfELb1EEEZNS1_14transform_implILb1ES3_S7_PS6_S9_NS0_8identityIS6_EEEE10hipError_tT2_T3_mT4_P12ihipStream_tbEUlT_E_NS1_11comp_targetILNS1_3genE5ELNS1_11target_archE942ELNS1_3gpuE9ELNS1_3repE0EEENS1_30default_config_static_selectorELNS0_4arch9wavefront6targetE1EEEvT1_,@function
_ZN7rocprim17ROCPRIM_400000_NS6detail17trampoline_kernelINS0_14default_configENS1_25transform_config_selectorIN3c104HalfELb1EEEZNS1_14transform_implILb1ES3_S7_PS6_S9_NS0_8identityIS6_EEEE10hipError_tT2_T3_mT4_P12ihipStream_tbEUlT_E_NS1_11comp_targetILNS1_3genE5ELNS1_11target_archE942ELNS1_3gpuE9ELNS1_3repE0EEENS1_30default_config_static_selectorELNS0_4arch9wavefront6targetE1EEEvT1_: ; @_ZN7rocprim17ROCPRIM_400000_NS6detail17trampoline_kernelINS0_14default_configENS1_25transform_config_selectorIN3c104HalfELb1EEEZNS1_14transform_implILb1ES3_S7_PS6_S9_NS0_8identityIS6_EEEE10hipError_tT2_T3_mT4_P12ihipStream_tbEUlT_E_NS1_11comp_targetILNS1_3genE5ELNS1_11target_archE942ELNS1_3gpuE9ELNS1_3repE0EEENS1_30default_config_static_selectorELNS0_4arch9wavefront6targetE1EEEvT1_
; %bb.0:
	.section	.rodata,"a",@progbits
	.p2align	6, 0x0
	.amdhsa_kernel _ZN7rocprim17ROCPRIM_400000_NS6detail17trampoline_kernelINS0_14default_configENS1_25transform_config_selectorIN3c104HalfELb1EEEZNS1_14transform_implILb1ES3_S7_PS6_S9_NS0_8identityIS6_EEEE10hipError_tT2_T3_mT4_P12ihipStream_tbEUlT_E_NS1_11comp_targetILNS1_3genE5ELNS1_11target_archE942ELNS1_3gpuE9ELNS1_3repE0EEENS1_30default_config_static_selectorELNS0_4arch9wavefront6targetE1EEEvT1_
		.amdhsa_group_segment_fixed_size 0
		.amdhsa_private_segment_fixed_size 0
		.amdhsa_kernarg_size 40
		.amdhsa_user_sgpr_count 6
		.amdhsa_user_sgpr_private_segment_buffer 1
		.amdhsa_user_sgpr_dispatch_ptr 0
		.amdhsa_user_sgpr_queue_ptr 0
		.amdhsa_user_sgpr_kernarg_segment_ptr 1
		.amdhsa_user_sgpr_dispatch_id 0
		.amdhsa_user_sgpr_flat_scratch_init 0
		.amdhsa_user_sgpr_kernarg_preload_length 0
		.amdhsa_user_sgpr_kernarg_preload_offset 0
		.amdhsa_user_sgpr_private_segment_size 0
		.amdhsa_uses_dynamic_stack 0
		.amdhsa_system_sgpr_private_segment_wavefront_offset 0
		.amdhsa_system_sgpr_workgroup_id_x 1
		.amdhsa_system_sgpr_workgroup_id_y 0
		.amdhsa_system_sgpr_workgroup_id_z 0
		.amdhsa_system_sgpr_workgroup_info 0
		.amdhsa_system_vgpr_workitem_id 0
		.amdhsa_next_free_vgpr 1
		.amdhsa_next_free_sgpr 0
		.amdhsa_accum_offset 4
		.amdhsa_reserve_vcc 0
		.amdhsa_reserve_flat_scratch 0
		.amdhsa_float_round_mode_32 0
		.amdhsa_float_round_mode_16_64 0
		.amdhsa_float_denorm_mode_32 3
		.amdhsa_float_denorm_mode_16_64 3
		.amdhsa_dx10_clamp 1
		.amdhsa_ieee_mode 1
		.amdhsa_fp16_overflow 0
		.amdhsa_tg_split 0
		.amdhsa_exception_fp_ieee_invalid_op 0
		.amdhsa_exception_fp_denorm_src 0
		.amdhsa_exception_fp_ieee_div_zero 0
		.amdhsa_exception_fp_ieee_overflow 0
		.amdhsa_exception_fp_ieee_underflow 0
		.amdhsa_exception_fp_ieee_inexact 0
		.amdhsa_exception_int_div_zero 0
	.end_amdhsa_kernel
	.section	.text._ZN7rocprim17ROCPRIM_400000_NS6detail17trampoline_kernelINS0_14default_configENS1_25transform_config_selectorIN3c104HalfELb1EEEZNS1_14transform_implILb1ES3_S7_PS6_S9_NS0_8identityIS6_EEEE10hipError_tT2_T3_mT4_P12ihipStream_tbEUlT_E_NS1_11comp_targetILNS1_3genE5ELNS1_11target_archE942ELNS1_3gpuE9ELNS1_3repE0EEENS1_30default_config_static_selectorELNS0_4arch9wavefront6targetE1EEEvT1_,"axG",@progbits,_ZN7rocprim17ROCPRIM_400000_NS6detail17trampoline_kernelINS0_14default_configENS1_25transform_config_selectorIN3c104HalfELb1EEEZNS1_14transform_implILb1ES3_S7_PS6_S9_NS0_8identityIS6_EEEE10hipError_tT2_T3_mT4_P12ihipStream_tbEUlT_E_NS1_11comp_targetILNS1_3genE5ELNS1_11target_archE942ELNS1_3gpuE9ELNS1_3repE0EEENS1_30default_config_static_selectorELNS0_4arch9wavefront6targetE1EEEvT1_,comdat
.Lfunc_end363:
	.size	_ZN7rocprim17ROCPRIM_400000_NS6detail17trampoline_kernelINS0_14default_configENS1_25transform_config_selectorIN3c104HalfELb1EEEZNS1_14transform_implILb1ES3_S7_PS6_S9_NS0_8identityIS6_EEEE10hipError_tT2_T3_mT4_P12ihipStream_tbEUlT_E_NS1_11comp_targetILNS1_3genE5ELNS1_11target_archE942ELNS1_3gpuE9ELNS1_3repE0EEENS1_30default_config_static_selectorELNS0_4arch9wavefront6targetE1EEEvT1_, .Lfunc_end363-_ZN7rocprim17ROCPRIM_400000_NS6detail17trampoline_kernelINS0_14default_configENS1_25transform_config_selectorIN3c104HalfELb1EEEZNS1_14transform_implILb1ES3_S7_PS6_S9_NS0_8identityIS6_EEEE10hipError_tT2_T3_mT4_P12ihipStream_tbEUlT_E_NS1_11comp_targetILNS1_3genE5ELNS1_11target_archE942ELNS1_3gpuE9ELNS1_3repE0EEENS1_30default_config_static_selectorELNS0_4arch9wavefront6targetE1EEEvT1_
                                        ; -- End function
	.section	.AMDGPU.csdata,"",@progbits
; Kernel info:
; codeLenInByte = 0
; NumSgprs: 4
; NumVgprs: 0
; NumAgprs: 0
; TotalNumVgprs: 0
; ScratchSize: 0
; MemoryBound: 0
; FloatMode: 240
; IeeeMode: 1
; LDSByteSize: 0 bytes/workgroup (compile time only)
; SGPRBlocks: 0
; VGPRBlocks: 0
; NumSGPRsForWavesPerEU: 4
; NumVGPRsForWavesPerEU: 1
; AccumOffset: 4
; Occupancy: 8
; WaveLimiterHint : 0
; COMPUTE_PGM_RSRC2:SCRATCH_EN: 0
; COMPUTE_PGM_RSRC2:USER_SGPR: 6
; COMPUTE_PGM_RSRC2:TRAP_HANDLER: 0
; COMPUTE_PGM_RSRC2:TGID_X_EN: 1
; COMPUTE_PGM_RSRC2:TGID_Y_EN: 0
; COMPUTE_PGM_RSRC2:TGID_Z_EN: 0
; COMPUTE_PGM_RSRC2:TIDIG_COMP_CNT: 0
; COMPUTE_PGM_RSRC3_GFX90A:ACCUM_OFFSET: 0
; COMPUTE_PGM_RSRC3_GFX90A:TG_SPLIT: 0
	.section	.text._ZN7rocprim17ROCPRIM_400000_NS6detail17trampoline_kernelINS0_14default_configENS1_25transform_config_selectorIN3c104HalfELb1EEEZNS1_14transform_implILb1ES3_S7_PS6_S9_NS0_8identityIS6_EEEE10hipError_tT2_T3_mT4_P12ihipStream_tbEUlT_E_NS1_11comp_targetILNS1_3genE4ELNS1_11target_archE910ELNS1_3gpuE8ELNS1_3repE0EEENS1_30default_config_static_selectorELNS0_4arch9wavefront6targetE1EEEvT1_,"axG",@progbits,_ZN7rocprim17ROCPRIM_400000_NS6detail17trampoline_kernelINS0_14default_configENS1_25transform_config_selectorIN3c104HalfELb1EEEZNS1_14transform_implILb1ES3_S7_PS6_S9_NS0_8identityIS6_EEEE10hipError_tT2_T3_mT4_P12ihipStream_tbEUlT_E_NS1_11comp_targetILNS1_3genE4ELNS1_11target_archE910ELNS1_3gpuE8ELNS1_3repE0EEENS1_30default_config_static_selectorELNS0_4arch9wavefront6targetE1EEEvT1_,comdat
	.protected	_ZN7rocprim17ROCPRIM_400000_NS6detail17trampoline_kernelINS0_14default_configENS1_25transform_config_selectorIN3c104HalfELb1EEEZNS1_14transform_implILb1ES3_S7_PS6_S9_NS0_8identityIS6_EEEE10hipError_tT2_T3_mT4_P12ihipStream_tbEUlT_E_NS1_11comp_targetILNS1_3genE4ELNS1_11target_archE910ELNS1_3gpuE8ELNS1_3repE0EEENS1_30default_config_static_selectorELNS0_4arch9wavefront6targetE1EEEvT1_ ; -- Begin function _ZN7rocprim17ROCPRIM_400000_NS6detail17trampoline_kernelINS0_14default_configENS1_25transform_config_selectorIN3c104HalfELb1EEEZNS1_14transform_implILb1ES3_S7_PS6_S9_NS0_8identityIS6_EEEE10hipError_tT2_T3_mT4_P12ihipStream_tbEUlT_E_NS1_11comp_targetILNS1_3genE4ELNS1_11target_archE910ELNS1_3gpuE8ELNS1_3repE0EEENS1_30default_config_static_selectorELNS0_4arch9wavefront6targetE1EEEvT1_
	.globl	_ZN7rocprim17ROCPRIM_400000_NS6detail17trampoline_kernelINS0_14default_configENS1_25transform_config_selectorIN3c104HalfELb1EEEZNS1_14transform_implILb1ES3_S7_PS6_S9_NS0_8identityIS6_EEEE10hipError_tT2_T3_mT4_P12ihipStream_tbEUlT_E_NS1_11comp_targetILNS1_3genE4ELNS1_11target_archE910ELNS1_3gpuE8ELNS1_3repE0EEENS1_30default_config_static_selectorELNS0_4arch9wavefront6targetE1EEEvT1_
	.p2align	8
	.type	_ZN7rocprim17ROCPRIM_400000_NS6detail17trampoline_kernelINS0_14default_configENS1_25transform_config_selectorIN3c104HalfELb1EEEZNS1_14transform_implILb1ES3_S7_PS6_S9_NS0_8identityIS6_EEEE10hipError_tT2_T3_mT4_P12ihipStream_tbEUlT_E_NS1_11comp_targetILNS1_3genE4ELNS1_11target_archE910ELNS1_3gpuE8ELNS1_3repE0EEENS1_30default_config_static_selectorELNS0_4arch9wavefront6targetE1EEEvT1_,@function
_ZN7rocprim17ROCPRIM_400000_NS6detail17trampoline_kernelINS0_14default_configENS1_25transform_config_selectorIN3c104HalfELb1EEEZNS1_14transform_implILb1ES3_S7_PS6_S9_NS0_8identityIS6_EEEE10hipError_tT2_T3_mT4_P12ihipStream_tbEUlT_E_NS1_11comp_targetILNS1_3genE4ELNS1_11target_archE910ELNS1_3gpuE8ELNS1_3repE0EEENS1_30default_config_static_selectorELNS0_4arch9wavefront6targetE1EEEvT1_: ; @_ZN7rocprim17ROCPRIM_400000_NS6detail17trampoline_kernelINS0_14default_configENS1_25transform_config_selectorIN3c104HalfELb1EEEZNS1_14transform_implILb1ES3_S7_PS6_S9_NS0_8identityIS6_EEEE10hipError_tT2_T3_mT4_P12ihipStream_tbEUlT_E_NS1_11comp_targetILNS1_3genE4ELNS1_11target_archE910ELNS1_3gpuE8ELNS1_3repE0EEENS1_30default_config_static_selectorELNS0_4arch9wavefront6targetE1EEEvT1_
; %bb.0:
	s_load_dwordx8 s[8:15], s[4:5], 0x0
	s_load_dword s2, s[4:5], 0x28
	s_waitcnt lgkmcnt(0)
	s_lshl_b64 s[0:1], s[10:11], 1
	s_add_u32 s3, s8, s0
	s_addc_u32 s4, s9, s1
	s_add_u32 s20, s14, s0
	s_addc_u32 s21, s15, s1
	s_lshl_b32 s0, s6, 13
	s_mov_b32 s1, 0
	s_add_i32 s2, s2, -1
	s_lshl_b64 s[14:15], s[0:1], 1
	s_add_u32 s16, s3, s14
	s_addc_u32 s17, s4, s15
	s_cmp_lg_u32 s6, s2
	s_mov_b64 s[2:3], -1
	s_cbranch_scc0 .LBB364_2
; %bb.1:
	v_lshlrev_b32_e32 v1, 4, v0
	global_load_dwordx4 v[2:5], v1, s[16:17]
	s_add_u32 s2, s20, s14
	s_addc_u32 s3, s21, s15
	s_waitcnt vmcnt(0)
	global_store_dwordx4 v1, v[2:5], s[2:3]
	s_mov_b64 s[2:3], 0
.LBB364_2:
	s_andn2_b64 vcc, exec, s[2:3]
	s_cbranch_vccnz .LBB364_28
; %bb.3:
	s_sub_i32 s18, s12, s0
	v_cmp_gt_u32_e32 vcc, s18, v0
	v_lshlrev_b32_e32 v1, 1, v0
                                        ; implicit-def: $vgpr2
	s_and_saveexec_b64 s[0:1], vcc
	s_cbranch_execz .LBB364_5
; %bb.4:
	global_load_ushort v2, v1, s[16:17]
.LBB364_5:
	s_or_b64 exec, exec, s[0:1]
	v_or_b32_e32 v3, 0x400, v0
	v_cmp_gt_u32_e64 s[0:1], s18, v3
                                        ; implicit-def: $vgpr3
	s_and_saveexec_b64 s[2:3], s[0:1]
	s_cbranch_execz .LBB364_7
; %bb.6:
	global_load_ushort v3, v1, s[16:17] offset:2048
.LBB364_7:
	s_or_b64 exec, exec, s[2:3]
	v_or_b32_e32 v5, 0x800, v0
	v_cmp_gt_u32_e64 s[2:3], s18, v5
                                        ; implicit-def: $vgpr4
	s_and_saveexec_b64 s[4:5], s[2:3]
	s_cbranch_execz .LBB364_9
; %bb.8:
	v_lshlrev_b32_e32 v4, 1, v5
	global_load_ushort v4, v4, s[16:17]
.LBB364_9:
	s_or_b64 exec, exec, s[4:5]
	v_or_b32_e32 v6, 0xc00, v0
	v_cmp_gt_u32_e64 s[4:5], s18, v6
                                        ; implicit-def: $vgpr5
	s_and_saveexec_b64 s[6:7], s[4:5]
	s_cbranch_execz .LBB364_11
; %bb.10:
	v_lshlrev_b32_e32 v5, 1, v6
	global_load_ushort v5, v5, s[16:17]
.LBB364_11:
	s_or_b64 exec, exec, s[6:7]
	v_or_b32_e32 v7, 0x1000, v0
	v_cmp_gt_u32_e64 s[6:7], s18, v7
                                        ; implicit-def: $vgpr6
	s_and_saveexec_b64 s[8:9], s[6:7]
	s_cbranch_execz .LBB364_13
; %bb.12:
	v_lshlrev_b32_e32 v6, 1, v7
	global_load_ushort v6, v6, s[16:17]
.LBB364_13:
	s_or_b64 exec, exec, s[8:9]
	v_or_b32_e32 v8, 0x1400, v0
	v_cmp_gt_u32_e64 s[8:9], s18, v8
                                        ; implicit-def: $vgpr7
	s_and_saveexec_b64 s[10:11], s[8:9]
	s_cbranch_execz .LBB364_15
; %bb.14:
	v_lshlrev_b32_e32 v7, 1, v8
	global_load_ushort v7, v7, s[16:17]
.LBB364_15:
	s_or_b64 exec, exec, s[10:11]
	v_or_b32_e32 v9, 0x1800, v0
	v_cmp_gt_u32_e64 s[10:11], s18, v9
                                        ; implicit-def: $vgpr8
	s_and_saveexec_b64 s[12:13], s[10:11]
	s_cbranch_execz .LBB364_17
; %bb.16:
	v_lshlrev_b32_e32 v8, 1, v9
	global_load_ushort v8, v8, s[16:17]
.LBB364_17:
	s_or_b64 exec, exec, s[12:13]
	v_or_b32_e32 v0, 0x1c00, v0
	v_cmp_gt_u32_e64 s[12:13], s18, v0
                                        ; implicit-def: $vgpr9
	s_and_saveexec_b64 s[18:19], s[12:13]
	s_cbranch_execz .LBB364_19
; %bb.18:
	v_lshlrev_b32_e32 v0, 1, v0
	global_load_ushort v9, v0, s[16:17]
.LBB364_19:
	s_or_b64 exec, exec, s[18:19]
	s_add_u32 s14, s20, s14
	s_addc_u32 s15, s21, s15
	v_mov_b32_e32 v10, s15
	v_add_co_u32_e64 v0, s[14:15], s14, v1
	v_addc_co_u32_e64 v1, s[14:15], 0, v10, s[14:15]
	s_and_saveexec_b64 s[14:15], vcc
	s_xor_b64 s[14:15], exec, s[14:15]
	s_cbranch_execnz .LBB364_29
; %bb.20:
	s_or_b64 exec, exec, s[14:15]
	s_and_saveexec_b64 s[14:15], s[0:1]
	s_cbranch_execnz .LBB364_30
.LBB364_21:
	s_or_b64 exec, exec, s[14:15]
	s_and_saveexec_b64 s[0:1], s[2:3]
	s_cbranch_execnz .LBB364_31
.LBB364_22:
	s_or_b64 exec, exec, s[0:1]
	s_and_saveexec_b64 s[0:1], s[4:5]
	s_cbranch_execnz .LBB364_32
.LBB364_23:
	s_or_b64 exec, exec, s[0:1]
	s_and_saveexec_b64 s[0:1], s[6:7]
	s_cbranch_execnz .LBB364_33
.LBB364_24:
	s_or_b64 exec, exec, s[0:1]
	s_and_saveexec_b64 s[0:1], s[8:9]
	s_cbranch_execnz .LBB364_34
.LBB364_25:
	s_or_b64 exec, exec, s[0:1]
	s_and_saveexec_b64 s[0:1], s[10:11]
	s_cbranch_execnz .LBB364_35
.LBB364_26:
	s_or_b64 exec, exec, s[0:1]
	s_and_saveexec_b64 s[0:1], s[12:13]
	s_cbranch_execz .LBB364_28
.LBB364_27:
	v_add_co_u32_e32 v0, vcc, 0x3000, v0
	v_addc_co_u32_e32 v1, vcc, 0, v1, vcc
	s_waitcnt vmcnt(0)
	global_store_short v[0:1], v9, off offset:2048
.LBB364_28:
	s_endpgm
.LBB364_29:
	s_waitcnt vmcnt(0)
	global_store_short v[0:1], v2, off
	s_or_b64 exec, exec, s[14:15]
	s_and_saveexec_b64 s[14:15], s[0:1]
	s_cbranch_execz .LBB364_21
.LBB364_30:
	s_waitcnt vmcnt(0)
	global_store_short v[0:1], v3, off offset:2048
	s_or_b64 exec, exec, s[14:15]
	s_and_saveexec_b64 s[0:1], s[2:3]
	s_cbranch_execz .LBB364_22
.LBB364_31:
	s_waitcnt vmcnt(0)
	v_add_co_u32_e32 v2, vcc, 0x1000, v0
	v_addc_co_u32_e32 v3, vcc, 0, v1, vcc
	global_store_short v[2:3], v4, off
	s_or_b64 exec, exec, s[0:1]
	s_and_saveexec_b64 s[0:1], s[4:5]
	s_cbranch_execz .LBB364_23
.LBB364_32:
	s_waitcnt vmcnt(0)
	v_add_co_u32_e32 v2, vcc, 0x1000, v0
	v_addc_co_u32_e32 v3, vcc, 0, v1, vcc
	global_store_short v[2:3], v5, off offset:2048
	s_or_b64 exec, exec, s[0:1]
	s_and_saveexec_b64 s[0:1], s[6:7]
	s_cbranch_execz .LBB364_24
.LBB364_33:
	s_waitcnt vmcnt(0)
	v_add_co_u32_e32 v2, vcc, 0x2000, v0
	v_addc_co_u32_e32 v3, vcc, 0, v1, vcc
	global_store_short v[2:3], v6, off
	s_or_b64 exec, exec, s[0:1]
	s_and_saveexec_b64 s[0:1], s[8:9]
	s_cbranch_execz .LBB364_25
.LBB364_34:
	s_waitcnt vmcnt(0)
	v_add_co_u32_e32 v2, vcc, 0x2000, v0
	v_addc_co_u32_e32 v3, vcc, 0, v1, vcc
	global_store_short v[2:3], v7, off offset:2048
	s_or_b64 exec, exec, s[0:1]
	s_and_saveexec_b64 s[0:1], s[10:11]
	s_cbranch_execz .LBB364_26
.LBB364_35:
	s_waitcnt vmcnt(0)
	v_add_co_u32_e32 v2, vcc, 0x3000, v0
	v_addc_co_u32_e32 v3, vcc, 0, v1, vcc
	global_store_short v[2:3], v8, off
	s_or_b64 exec, exec, s[0:1]
	s_and_saveexec_b64 s[0:1], s[12:13]
	s_cbranch_execnz .LBB364_27
	s_branch .LBB364_28
	.section	.rodata,"a",@progbits
	.p2align	6, 0x0
	.amdhsa_kernel _ZN7rocprim17ROCPRIM_400000_NS6detail17trampoline_kernelINS0_14default_configENS1_25transform_config_selectorIN3c104HalfELb1EEEZNS1_14transform_implILb1ES3_S7_PS6_S9_NS0_8identityIS6_EEEE10hipError_tT2_T3_mT4_P12ihipStream_tbEUlT_E_NS1_11comp_targetILNS1_3genE4ELNS1_11target_archE910ELNS1_3gpuE8ELNS1_3repE0EEENS1_30default_config_static_selectorELNS0_4arch9wavefront6targetE1EEEvT1_
		.amdhsa_group_segment_fixed_size 0
		.amdhsa_private_segment_fixed_size 0
		.amdhsa_kernarg_size 296
		.amdhsa_user_sgpr_count 6
		.amdhsa_user_sgpr_private_segment_buffer 1
		.amdhsa_user_sgpr_dispatch_ptr 0
		.amdhsa_user_sgpr_queue_ptr 0
		.amdhsa_user_sgpr_kernarg_segment_ptr 1
		.amdhsa_user_sgpr_dispatch_id 0
		.amdhsa_user_sgpr_flat_scratch_init 0
		.amdhsa_user_sgpr_kernarg_preload_length 0
		.amdhsa_user_sgpr_kernarg_preload_offset 0
		.amdhsa_user_sgpr_private_segment_size 0
		.amdhsa_uses_dynamic_stack 0
		.amdhsa_system_sgpr_private_segment_wavefront_offset 0
		.amdhsa_system_sgpr_workgroup_id_x 1
		.amdhsa_system_sgpr_workgroup_id_y 0
		.amdhsa_system_sgpr_workgroup_id_z 0
		.amdhsa_system_sgpr_workgroup_info 0
		.amdhsa_system_vgpr_workitem_id 0
		.amdhsa_next_free_vgpr 11
		.amdhsa_next_free_sgpr 22
		.amdhsa_accum_offset 12
		.amdhsa_reserve_vcc 1
		.amdhsa_reserve_flat_scratch 0
		.amdhsa_float_round_mode_32 0
		.amdhsa_float_round_mode_16_64 0
		.amdhsa_float_denorm_mode_32 3
		.amdhsa_float_denorm_mode_16_64 3
		.amdhsa_dx10_clamp 1
		.amdhsa_ieee_mode 1
		.amdhsa_fp16_overflow 0
		.amdhsa_tg_split 0
		.amdhsa_exception_fp_ieee_invalid_op 0
		.amdhsa_exception_fp_denorm_src 0
		.amdhsa_exception_fp_ieee_div_zero 0
		.amdhsa_exception_fp_ieee_overflow 0
		.amdhsa_exception_fp_ieee_underflow 0
		.amdhsa_exception_fp_ieee_inexact 0
		.amdhsa_exception_int_div_zero 0
	.end_amdhsa_kernel
	.section	.text._ZN7rocprim17ROCPRIM_400000_NS6detail17trampoline_kernelINS0_14default_configENS1_25transform_config_selectorIN3c104HalfELb1EEEZNS1_14transform_implILb1ES3_S7_PS6_S9_NS0_8identityIS6_EEEE10hipError_tT2_T3_mT4_P12ihipStream_tbEUlT_E_NS1_11comp_targetILNS1_3genE4ELNS1_11target_archE910ELNS1_3gpuE8ELNS1_3repE0EEENS1_30default_config_static_selectorELNS0_4arch9wavefront6targetE1EEEvT1_,"axG",@progbits,_ZN7rocprim17ROCPRIM_400000_NS6detail17trampoline_kernelINS0_14default_configENS1_25transform_config_selectorIN3c104HalfELb1EEEZNS1_14transform_implILb1ES3_S7_PS6_S9_NS0_8identityIS6_EEEE10hipError_tT2_T3_mT4_P12ihipStream_tbEUlT_E_NS1_11comp_targetILNS1_3genE4ELNS1_11target_archE910ELNS1_3gpuE8ELNS1_3repE0EEENS1_30default_config_static_selectorELNS0_4arch9wavefront6targetE1EEEvT1_,comdat
.Lfunc_end364:
	.size	_ZN7rocprim17ROCPRIM_400000_NS6detail17trampoline_kernelINS0_14default_configENS1_25transform_config_selectorIN3c104HalfELb1EEEZNS1_14transform_implILb1ES3_S7_PS6_S9_NS0_8identityIS6_EEEE10hipError_tT2_T3_mT4_P12ihipStream_tbEUlT_E_NS1_11comp_targetILNS1_3genE4ELNS1_11target_archE910ELNS1_3gpuE8ELNS1_3repE0EEENS1_30default_config_static_selectorELNS0_4arch9wavefront6targetE1EEEvT1_, .Lfunc_end364-_ZN7rocprim17ROCPRIM_400000_NS6detail17trampoline_kernelINS0_14default_configENS1_25transform_config_selectorIN3c104HalfELb1EEEZNS1_14transform_implILb1ES3_S7_PS6_S9_NS0_8identityIS6_EEEE10hipError_tT2_T3_mT4_P12ihipStream_tbEUlT_E_NS1_11comp_targetILNS1_3genE4ELNS1_11target_archE910ELNS1_3gpuE8ELNS1_3repE0EEENS1_30default_config_static_selectorELNS0_4arch9wavefront6targetE1EEEvT1_
                                        ; -- End function
	.section	.AMDGPU.csdata,"",@progbits
; Kernel info:
; codeLenInByte = 812
; NumSgprs: 26
; NumVgprs: 11
; NumAgprs: 0
; TotalNumVgprs: 11
; ScratchSize: 0
; MemoryBound: 1
; FloatMode: 240
; IeeeMode: 1
; LDSByteSize: 0 bytes/workgroup (compile time only)
; SGPRBlocks: 3
; VGPRBlocks: 1
; NumSGPRsForWavesPerEU: 26
; NumVGPRsForWavesPerEU: 11
; AccumOffset: 12
; Occupancy: 8
; WaveLimiterHint : 0
; COMPUTE_PGM_RSRC2:SCRATCH_EN: 0
; COMPUTE_PGM_RSRC2:USER_SGPR: 6
; COMPUTE_PGM_RSRC2:TRAP_HANDLER: 0
; COMPUTE_PGM_RSRC2:TGID_X_EN: 1
; COMPUTE_PGM_RSRC2:TGID_Y_EN: 0
; COMPUTE_PGM_RSRC2:TGID_Z_EN: 0
; COMPUTE_PGM_RSRC2:TIDIG_COMP_CNT: 0
; COMPUTE_PGM_RSRC3_GFX90A:ACCUM_OFFSET: 2
; COMPUTE_PGM_RSRC3_GFX90A:TG_SPLIT: 0
	.section	.text._ZN7rocprim17ROCPRIM_400000_NS6detail17trampoline_kernelINS0_14default_configENS1_25transform_config_selectorIN3c104HalfELb1EEEZNS1_14transform_implILb1ES3_S7_PS6_S9_NS0_8identityIS6_EEEE10hipError_tT2_T3_mT4_P12ihipStream_tbEUlT_E_NS1_11comp_targetILNS1_3genE3ELNS1_11target_archE908ELNS1_3gpuE7ELNS1_3repE0EEENS1_30default_config_static_selectorELNS0_4arch9wavefront6targetE1EEEvT1_,"axG",@progbits,_ZN7rocprim17ROCPRIM_400000_NS6detail17trampoline_kernelINS0_14default_configENS1_25transform_config_selectorIN3c104HalfELb1EEEZNS1_14transform_implILb1ES3_S7_PS6_S9_NS0_8identityIS6_EEEE10hipError_tT2_T3_mT4_P12ihipStream_tbEUlT_E_NS1_11comp_targetILNS1_3genE3ELNS1_11target_archE908ELNS1_3gpuE7ELNS1_3repE0EEENS1_30default_config_static_selectorELNS0_4arch9wavefront6targetE1EEEvT1_,comdat
	.protected	_ZN7rocprim17ROCPRIM_400000_NS6detail17trampoline_kernelINS0_14default_configENS1_25transform_config_selectorIN3c104HalfELb1EEEZNS1_14transform_implILb1ES3_S7_PS6_S9_NS0_8identityIS6_EEEE10hipError_tT2_T3_mT4_P12ihipStream_tbEUlT_E_NS1_11comp_targetILNS1_3genE3ELNS1_11target_archE908ELNS1_3gpuE7ELNS1_3repE0EEENS1_30default_config_static_selectorELNS0_4arch9wavefront6targetE1EEEvT1_ ; -- Begin function _ZN7rocprim17ROCPRIM_400000_NS6detail17trampoline_kernelINS0_14default_configENS1_25transform_config_selectorIN3c104HalfELb1EEEZNS1_14transform_implILb1ES3_S7_PS6_S9_NS0_8identityIS6_EEEE10hipError_tT2_T3_mT4_P12ihipStream_tbEUlT_E_NS1_11comp_targetILNS1_3genE3ELNS1_11target_archE908ELNS1_3gpuE7ELNS1_3repE0EEENS1_30default_config_static_selectorELNS0_4arch9wavefront6targetE1EEEvT1_
	.globl	_ZN7rocprim17ROCPRIM_400000_NS6detail17trampoline_kernelINS0_14default_configENS1_25transform_config_selectorIN3c104HalfELb1EEEZNS1_14transform_implILb1ES3_S7_PS6_S9_NS0_8identityIS6_EEEE10hipError_tT2_T3_mT4_P12ihipStream_tbEUlT_E_NS1_11comp_targetILNS1_3genE3ELNS1_11target_archE908ELNS1_3gpuE7ELNS1_3repE0EEENS1_30default_config_static_selectorELNS0_4arch9wavefront6targetE1EEEvT1_
	.p2align	8
	.type	_ZN7rocprim17ROCPRIM_400000_NS6detail17trampoline_kernelINS0_14default_configENS1_25transform_config_selectorIN3c104HalfELb1EEEZNS1_14transform_implILb1ES3_S7_PS6_S9_NS0_8identityIS6_EEEE10hipError_tT2_T3_mT4_P12ihipStream_tbEUlT_E_NS1_11comp_targetILNS1_3genE3ELNS1_11target_archE908ELNS1_3gpuE7ELNS1_3repE0EEENS1_30default_config_static_selectorELNS0_4arch9wavefront6targetE1EEEvT1_,@function
_ZN7rocprim17ROCPRIM_400000_NS6detail17trampoline_kernelINS0_14default_configENS1_25transform_config_selectorIN3c104HalfELb1EEEZNS1_14transform_implILb1ES3_S7_PS6_S9_NS0_8identityIS6_EEEE10hipError_tT2_T3_mT4_P12ihipStream_tbEUlT_E_NS1_11comp_targetILNS1_3genE3ELNS1_11target_archE908ELNS1_3gpuE7ELNS1_3repE0EEENS1_30default_config_static_selectorELNS0_4arch9wavefront6targetE1EEEvT1_: ; @_ZN7rocprim17ROCPRIM_400000_NS6detail17trampoline_kernelINS0_14default_configENS1_25transform_config_selectorIN3c104HalfELb1EEEZNS1_14transform_implILb1ES3_S7_PS6_S9_NS0_8identityIS6_EEEE10hipError_tT2_T3_mT4_P12ihipStream_tbEUlT_E_NS1_11comp_targetILNS1_3genE3ELNS1_11target_archE908ELNS1_3gpuE7ELNS1_3repE0EEENS1_30default_config_static_selectorELNS0_4arch9wavefront6targetE1EEEvT1_
; %bb.0:
	.section	.rodata,"a",@progbits
	.p2align	6, 0x0
	.amdhsa_kernel _ZN7rocprim17ROCPRIM_400000_NS6detail17trampoline_kernelINS0_14default_configENS1_25transform_config_selectorIN3c104HalfELb1EEEZNS1_14transform_implILb1ES3_S7_PS6_S9_NS0_8identityIS6_EEEE10hipError_tT2_T3_mT4_P12ihipStream_tbEUlT_E_NS1_11comp_targetILNS1_3genE3ELNS1_11target_archE908ELNS1_3gpuE7ELNS1_3repE0EEENS1_30default_config_static_selectorELNS0_4arch9wavefront6targetE1EEEvT1_
		.amdhsa_group_segment_fixed_size 0
		.amdhsa_private_segment_fixed_size 0
		.amdhsa_kernarg_size 40
		.amdhsa_user_sgpr_count 6
		.amdhsa_user_sgpr_private_segment_buffer 1
		.amdhsa_user_sgpr_dispatch_ptr 0
		.amdhsa_user_sgpr_queue_ptr 0
		.amdhsa_user_sgpr_kernarg_segment_ptr 1
		.amdhsa_user_sgpr_dispatch_id 0
		.amdhsa_user_sgpr_flat_scratch_init 0
		.amdhsa_user_sgpr_kernarg_preload_length 0
		.amdhsa_user_sgpr_kernarg_preload_offset 0
		.amdhsa_user_sgpr_private_segment_size 0
		.amdhsa_uses_dynamic_stack 0
		.amdhsa_system_sgpr_private_segment_wavefront_offset 0
		.amdhsa_system_sgpr_workgroup_id_x 1
		.amdhsa_system_sgpr_workgroup_id_y 0
		.amdhsa_system_sgpr_workgroup_id_z 0
		.amdhsa_system_sgpr_workgroup_info 0
		.amdhsa_system_vgpr_workitem_id 0
		.amdhsa_next_free_vgpr 1
		.amdhsa_next_free_sgpr 0
		.amdhsa_accum_offset 4
		.amdhsa_reserve_vcc 0
		.amdhsa_reserve_flat_scratch 0
		.amdhsa_float_round_mode_32 0
		.amdhsa_float_round_mode_16_64 0
		.amdhsa_float_denorm_mode_32 3
		.amdhsa_float_denorm_mode_16_64 3
		.amdhsa_dx10_clamp 1
		.amdhsa_ieee_mode 1
		.amdhsa_fp16_overflow 0
		.amdhsa_tg_split 0
		.amdhsa_exception_fp_ieee_invalid_op 0
		.amdhsa_exception_fp_denorm_src 0
		.amdhsa_exception_fp_ieee_div_zero 0
		.amdhsa_exception_fp_ieee_overflow 0
		.amdhsa_exception_fp_ieee_underflow 0
		.amdhsa_exception_fp_ieee_inexact 0
		.amdhsa_exception_int_div_zero 0
	.end_amdhsa_kernel
	.section	.text._ZN7rocprim17ROCPRIM_400000_NS6detail17trampoline_kernelINS0_14default_configENS1_25transform_config_selectorIN3c104HalfELb1EEEZNS1_14transform_implILb1ES3_S7_PS6_S9_NS0_8identityIS6_EEEE10hipError_tT2_T3_mT4_P12ihipStream_tbEUlT_E_NS1_11comp_targetILNS1_3genE3ELNS1_11target_archE908ELNS1_3gpuE7ELNS1_3repE0EEENS1_30default_config_static_selectorELNS0_4arch9wavefront6targetE1EEEvT1_,"axG",@progbits,_ZN7rocprim17ROCPRIM_400000_NS6detail17trampoline_kernelINS0_14default_configENS1_25transform_config_selectorIN3c104HalfELb1EEEZNS1_14transform_implILb1ES3_S7_PS6_S9_NS0_8identityIS6_EEEE10hipError_tT2_T3_mT4_P12ihipStream_tbEUlT_E_NS1_11comp_targetILNS1_3genE3ELNS1_11target_archE908ELNS1_3gpuE7ELNS1_3repE0EEENS1_30default_config_static_selectorELNS0_4arch9wavefront6targetE1EEEvT1_,comdat
.Lfunc_end365:
	.size	_ZN7rocprim17ROCPRIM_400000_NS6detail17trampoline_kernelINS0_14default_configENS1_25transform_config_selectorIN3c104HalfELb1EEEZNS1_14transform_implILb1ES3_S7_PS6_S9_NS0_8identityIS6_EEEE10hipError_tT2_T3_mT4_P12ihipStream_tbEUlT_E_NS1_11comp_targetILNS1_3genE3ELNS1_11target_archE908ELNS1_3gpuE7ELNS1_3repE0EEENS1_30default_config_static_selectorELNS0_4arch9wavefront6targetE1EEEvT1_, .Lfunc_end365-_ZN7rocprim17ROCPRIM_400000_NS6detail17trampoline_kernelINS0_14default_configENS1_25transform_config_selectorIN3c104HalfELb1EEEZNS1_14transform_implILb1ES3_S7_PS6_S9_NS0_8identityIS6_EEEE10hipError_tT2_T3_mT4_P12ihipStream_tbEUlT_E_NS1_11comp_targetILNS1_3genE3ELNS1_11target_archE908ELNS1_3gpuE7ELNS1_3repE0EEENS1_30default_config_static_selectorELNS0_4arch9wavefront6targetE1EEEvT1_
                                        ; -- End function
	.section	.AMDGPU.csdata,"",@progbits
; Kernel info:
; codeLenInByte = 0
; NumSgprs: 4
; NumVgprs: 0
; NumAgprs: 0
; TotalNumVgprs: 0
; ScratchSize: 0
; MemoryBound: 0
; FloatMode: 240
; IeeeMode: 1
; LDSByteSize: 0 bytes/workgroup (compile time only)
; SGPRBlocks: 0
; VGPRBlocks: 0
; NumSGPRsForWavesPerEU: 4
; NumVGPRsForWavesPerEU: 1
; AccumOffset: 4
; Occupancy: 8
; WaveLimiterHint : 0
; COMPUTE_PGM_RSRC2:SCRATCH_EN: 0
; COMPUTE_PGM_RSRC2:USER_SGPR: 6
; COMPUTE_PGM_RSRC2:TRAP_HANDLER: 0
; COMPUTE_PGM_RSRC2:TGID_X_EN: 1
; COMPUTE_PGM_RSRC2:TGID_Y_EN: 0
; COMPUTE_PGM_RSRC2:TGID_Z_EN: 0
; COMPUTE_PGM_RSRC2:TIDIG_COMP_CNT: 0
; COMPUTE_PGM_RSRC3_GFX90A:ACCUM_OFFSET: 0
; COMPUTE_PGM_RSRC3_GFX90A:TG_SPLIT: 0
	.section	.text._ZN7rocprim17ROCPRIM_400000_NS6detail17trampoline_kernelINS0_14default_configENS1_25transform_config_selectorIN3c104HalfELb1EEEZNS1_14transform_implILb1ES3_S7_PS6_S9_NS0_8identityIS6_EEEE10hipError_tT2_T3_mT4_P12ihipStream_tbEUlT_E_NS1_11comp_targetILNS1_3genE2ELNS1_11target_archE906ELNS1_3gpuE6ELNS1_3repE0EEENS1_30default_config_static_selectorELNS0_4arch9wavefront6targetE1EEEvT1_,"axG",@progbits,_ZN7rocprim17ROCPRIM_400000_NS6detail17trampoline_kernelINS0_14default_configENS1_25transform_config_selectorIN3c104HalfELb1EEEZNS1_14transform_implILb1ES3_S7_PS6_S9_NS0_8identityIS6_EEEE10hipError_tT2_T3_mT4_P12ihipStream_tbEUlT_E_NS1_11comp_targetILNS1_3genE2ELNS1_11target_archE906ELNS1_3gpuE6ELNS1_3repE0EEENS1_30default_config_static_selectorELNS0_4arch9wavefront6targetE1EEEvT1_,comdat
	.protected	_ZN7rocprim17ROCPRIM_400000_NS6detail17trampoline_kernelINS0_14default_configENS1_25transform_config_selectorIN3c104HalfELb1EEEZNS1_14transform_implILb1ES3_S7_PS6_S9_NS0_8identityIS6_EEEE10hipError_tT2_T3_mT4_P12ihipStream_tbEUlT_E_NS1_11comp_targetILNS1_3genE2ELNS1_11target_archE906ELNS1_3gpuE6ELNS1_3repE0EEENS1_30default_config_static_selectorELNS0_4arch9wavefront6targetE1EEEvT1_ ; -- Begin function _ZN7rocprim17ROCPRIM_400000_NS6detail17trampoline_kernelINS0_14default_configENS1_25transform_config_selectorIN3c104HalfELb1EEEZNS1_14transform_implILb1ES3_S7_PS6_S9_NS0_8identityIS6_EEEE10hipError_tT2_T3_mT4_P12ihipStream_tbEUlT_E_NS1_11comp_targetILNS1_3genE2ELNS1_11target_archE906ELNS1_3gpuE6ELNS1_3repE0EEENS1_30default_config_static_selectorELNS0_4arch9wavefront6targetE1EEEvT1_
	.globl	_ZN7rocprim17ROCPRIM_400000_NS6detail17trampoline_kernelINS0_14default_configENS1_25transform_config_selectorIN3c104HalfELb1EEEZNS1_14transform_implILb1ES3_S7_PS6_S9_NS0_8identityIS6_EEEE10hipError_tT2_T3_mT4_P12ihipStream_tbEUlT_E_NS1_11comp_targetILNS1_3genE2ELNS1_11target_archE906ELNS1_3gpuE6ELNS1_3repE0EEENS1_30default_config_static_selectorELNS0_4arch9wavefront6targetE1EEEvT1_
	.p2align	8
	.type	_ZN7rocprim17ROCPRIM_400000_NS6detail17trampoline_kernelINS0_14default_configENS1_25transform_config_selectorIN3c104HalfELb1EEEZNS1_14transform_implILb1ES3_S7_PS6_S9_NS0_8identityIS6_EEEE10hipError_tT2_T3_mT4_P12ihipStream_tbEUlT_E_NS1_11comp_targetILNS1_3genE2ELNS1_11target_archE906ELNS1_3gpuE6ELNS1_3repE0EEENS1_30default_config_static_selectorELNS0_4arch9wavefront6targetE1EEEvT1_,@function
_ZN7rocprim17ROCPRIM_400000_NS6detail17trampoline_kernelINS0_14default_configENS1_25transform_config_selectorIN3c104HalfELb1EEEZNS1_14transform_implILb1ES3_S7_PS6_S9_NS0_8identityIS6_EEEE10hipError_tT2_T3_mT4_P12ihipStream_tbEUlT_E_NS1_11comp_targetILNS1_3genE2ELNS1_11target_archE906ELNS1_3gpuE6ELNS1_3repE0EEENS1_30default_config_static_selectorELNS0_4arch9wavefront6targetE1EEEvT1_: ; @_ZN7rocprim17ROCPRIM_400000_NS6detail17trampoline_kernelINS0_14default_configENS1_25transform_config_selectorIN3c104HalfELb1EEEZNS1_14transform_implILb1ES3_S7_PS6_S9_NS0_8identityIS6_EEEE10hipError_tT2_T3_mT4_P12ihipStream_tbEUlT_E_NS1_11comp_targetILNS1_3genE2ELNS1_11target_archE906ELNS1_3gpuE6ELNS1_3repE0EEENS1_30default_config_static_selectorELNS0_4arch9wavefront6targetE1EEEvT1_
; %bb.0:
	.section	.rodata,"a",@progbits
	.p2align	6, 0x0
	.amdhsa_kernel _ZN7rocprim17ROCPRIM_400000_NS6detail17trampoline_kernelINS0_14default_configENS1_25transform_config_selectorIN3c104HalfELb1EEEZNS1_14transform_implILb1ES3_S7_PS6_S9_NS0_8identityIS6_EEEE10hipError_tT2_T3_mT4_P12ihipStream_tbEUlT_E_NS1_11comp_targetILNS1_3genE2ELNS1_11target_archE906ELNS1_3gpuE6ELNS1_3repE0EEENS1_30default_config_static_selectorELNS0_4arch9wavefront6targetE1EEEvT1_
		.amdhsa_group_segment_fixed_size 0
		.amdhsa_private_segment_fixed_size 0
		.amdhsa_kernarg_size 40
		.amdhsa_user_sgpr_count 6
		.amdhsa_user_sgpr_private_segment_buffer 1
		.amdhsa_user_sgpr_dispatch_ptr 0
		.amdhsa_user_sgpr_queue_ptr 0
		.amdhsa_user_sgpr_kernarg_segment_ptr 1
		.amdhsa_user_sgpr_dispatch_id 0
		.amdhsa_user_sgpr_flat_scratch_init 0
		.amdhsa_user_sgpr_kernarg_preload_length 0
		.amdhsa_user_sgpr_kernarg_preload_offset 0
		.amdhsa_user_sgpr_private_segment_size 0
		.amdhsa_uses_dynamic_stack 0
		.amdhsa_system_sgpr_private_segment_wavefront_offset 0
		.amdhsa_system_sgpr_workgroup_id_x 1
		.amdhsa_system_sgpr_workgroup_id_y 0
		.amdhsa_system_sgpr_workgroup_id_z 0
		.amdhsa_system_sgpr_workgroup_info 0
		.amdhsa_system_vgpr_workitem_id 0
		.amdhsa_next_free_vgpr 1
		.amdhsa_next_free_sgpr 0
		.amdhsa_accum_offset 4
		.amdhsa_reserve_vcc 0
		.amdhsa_reserve_flat_scratch 0
		.amdhsa_float_round_mode_32 0
		.amdhsa_float_round_mode_16_64 0
		.amdhsa_float_denorm_mode_32 3
		.amdhsa_float_denorm_mode_16_64 3
		.amdhsa_dx10_clamp 1
		.amdhsa_ieee_mode 1
		.amdhsa_fp16_overflow 0
		.amdhsa_tg_split 0
		.amdhsa_exception_fp_ieee_invalid_op 0
		.amdhsa_exception_fp_denorm_src 0
		.amdhsa_exception_fp_ieee_div_zero 0
		.amdhsa_exception_fp_ieee_overflow 0
		.amdhsa_exception_fp_ieee_underflow 0
		.amdhsa_exception_fp_ieee_inexact 0
		.amdhsa_exception_int_div_zero 0
	.end_amdhsa_kernel
	.section	.text._ZN7rocprim17ROCPRIM_400000_NS6detail17trampoline_kernelINS0_14default_configENS1_25transform_config_selectorIN3c104HalfELb1EEEZNS1_14transform_implILb1ES3_S7_PS6_S9_NS0_8identityIS6_EEEE10hipError_tT2_T3_mT4_P12ihipStream_tbEUlT_E_NS1_11comp_targetILNS1_3genE2ELNS1_11target_archE906ELNS1_3gpuE6ELNS1_3repE0EEENS1_30default_config_static_selectorELNS0_4arch9wavefront6targetE1EEEvT1_,"axG",@progbits,_ZN7rocprim17ROCPRIM_400000_NS6detail17trampoline_kernelINS0_14default_configENS1_25transform_config_selectorIN3c104HalfELb1EEEZNS1_14transform_implILb1ES3_S7_PS6_S9_NS0_8identityIS6_EEEE10hipError_tT2_T3_mT4_P12ihipStream_tbEUlT_E_NS1_11comp_targetILNS1_3genE2ELNS1_11target_archE906ELNS1_3gpuE6ELNS1_3repE0EEENS1_30default_config_static_selectorELNS0_4arch9wavefront6targetE1EEEvT1_,comdat
.Lfunc_end366:
	.size	_ZN7rocprim17ROCPRIM_400000_NS6detail17trampoline_kernelINS0_14default_configENS1_25transform_config_selectorIN3c104HalfELb1EEEZNS1_14transform_implILb1ES3_S7_PS6_S9_NS0_8identityIS6_EEEE10hipError_tT2_T3_mT4_P12ihipStream_tbEUlT_E_NS1_11comp_targetILNS1_3genE2ELNS1_11target_archE906ELNS1_3gpuE6ELNS1_3repE0EEENS1_30default_config_static_selectorELNS0_4arch9wavefront6targetE1EEEvT1_, .Lfunc_end366-_ZN7rocprim17ROCPRIM_400000_NS6detail17trampoline_kernelINS0_14default_configENS1_25transform_config_selectorIN3c104HalfELb1EEEZNS1_14transform_implILb1ES3_S7_PS6_S9_NS0_8identityIS6_EEEE10hipError_tT2_T3_mT4_P12ihipStream_tbEUlT_E_NS1_11comp_targetILNS1_3genE2ELNS1_11target_archE906ELNS1_3gpuE6ELNS1_3repE0EEENS1_30default_config_static_selectorELNS0_4arch9wavefront6targetE1EEEvT1_
                                        ; -- End function
	.section	.AMDGPU.csdata,"",@progbits
; Kernel info:
; codeLenInByte = 0
; NumSgprs: 4
; NumVgprs: 0
; NumAgprs: 0
; TotalNumVgprs: 0
; ScratchSize: 0
; MemoryBound: 0
; FloatMode: 240
; IeeeMode: 1
; LDSByteSize: 0 bytes/workgroup (compile time only)
; SGPRBlocks: 0
; VGPRBlocks: 0
; NumSGPRsForWavesPerEU: 4
; NumVGPRsForWavesPerEU: 1
; AccumOffset: 4
; Occupancy: 8
; WaveLimiterHint : 0
; COMPUTE_PGM_RSRC2:SCRATCH_EN: 0
; COMPUTE_PGM_RSRC2:USER_SGPR: 6
; COMPUTE_PGM_RSRC2:TRAP_HANDLER: 0
; COMPUTE_PGM_RSRC2:TGID_X_EN: 1
; COMPUTE_PGM_RSRC2:TGID_Y_EN: 0
; COMPUTE_PGM_RSRC2:TGID_Z_EN: 0
; COMPUTE_PGM_RSRC2:TIDIG_COMP_CNT: 0
; COMPUTE_PGM_RSRC3_GFX90A:ACCUM_OFFSET: 0
; COMPUTE_PGM_RSRC3_GFX90A:TG_SPLIT: 0
	.section	.text._ZN7rocprim17ROCPRIM_400000_NS6detail17trampoline_kernelINS0_14default_configENS1_25transform_config_selectorIN3c104HalfELb1EEEZNS1_14transform_implILb1ES3_S7_PS6_S9_NS0_8identityIS6_EEEE10hipError_tT2_T3_mT4_P12ihipStream_tbEUlT_E_NS1_11comp_targetILNS1_3genE9ELNS1_11target_archE1100ELNS1_3gpuE3ELNS1_3repE0EEENS1_30default_config_static_selectorELNS0_4arch9wavefront6targetE1EEEvT1_,"axG",@progbits,_ZN7rocprim17ROCPRIM_400000_NS6detail17trampoline_kernelINS0_14default_configENS1_25transform_config_selectorIN3c104HalfELb1EEEZNS1_14transform_implILb1ES3_S7_PS6_S9_NS0_8identityIS6_EEEE10hipError_tT2_T3_mT4_P12ihipStream_tbEUlT_E_NS1_11comp_targetILNS1_3genE9ELNS1_11target_archE1100ELNS1_3gpuE3ELNS1_3repE0EEENS1_30default_config_static_selectorELNS0_4arch9wavefront6targetE1EEEvT1_,comdat
	.protected	_ZN7rocprim17ROCPRIM_400000_NS6detail17trampoline_kernelINS0_14default_configENS1_25transform_config_selectorIN3c104HalfELb1EEEZNS1_14transform_implILb1ES3_S7_PS6_S9_NS0_8identityIS6_EEEE10hipError_tT2_T3_mT4_P12ihipStream_tbEUlT_E_NS1_11comp_targetILNS1_3genE9ELNS1_11target_archE1100ELNS1_3gpuE3ELNS1_3repE0EEENS1_30default_config_static_selectorELNS0_4arch9wavefront6targetE1EEEvT1_ ; -- Begin function _ZN7rocprim17ROCPRIM_400000_NS6detail17trampoline_kernelINS0_14default_configENS1_25transform_config_selectorIN3c104HalfELb1EEEZNS1_14transform_implILb1ES3_S7_PS6_S9_NS0_8identityIS6_EEEE10hipError_tT2_T3_mT4_P12ihipStream_tbEUlT_E_NS1_11comp_targetILNS1_3genE9ELNS1_11target_archE1100ELNS1_3gpuE3ELNS1_3repE0EEENS1_30default_config_static_selectorELNS0_4arch9wavefront6targetE1EEEvT1_
	.globl	_ZN7rocprim17ROCPRIM_400000_NS6detail17trampoline_kernelINS0_14default_configENS1_25transform_config_selectorIN3c104HalfELb1EEEZNS1_14transform_implILb1ES3_S7_PS6_S9_NS0_8identityIS6_EEEE10hipError_tT2_T3_mT4_P12ihipStream_tbEUlT_E_NS1_11comp_targetILNS1_3genE9ELNS1_11target_archE1100ELNS1_3gpuE3ELNS1_3repE0EEENS1_30default_config_static_selectorELNS0_4arch9wavefront6targetE1EEEvT1_
	.p2align	8
	.type	_ZN7rocprim17ROCPRIM_400000_NS6detail17trampoline_kernelINS0_14default_configENS1_25transform_config_selectorIN3c104HalfELb1EEEZNS1_14transform_implILb1ES3_S7_PS6_S9_NS0_8identityIS6_EEEE10hipError_tT2_T3_mT4_P12ihipStream_tbEUlT_E_NS1_11comp_targetILNS1_3genE9ELNS1_11target_archE1100ELNS1_3gpuE3ELNS1_3repE0EEENS1_30default_config_static_selectorELNS0_4arch9wavefront6targetE1EEEvT1_,@function
_ZN7rocprim17ROCPRIM_400000_NS6detail17trampoline_kernelINS0_14default_configENS1_25transform_config_selectorIN3c104HalfELb1EEEZNS1_14transform_implILb1ES3_S7_PS6_S9_NS0_8identityIS6_EEEE10hipError_tT2_T3_mT4_P12ihipStream_tbEUlT_E_NS1_11comp_targetILNS1_3genE9ELNS1_11target_archE1100ELNS1_3gpuE3ELNS1_3repE0EEENS1_30default_config_static_selectorELNS0_4arch9wavefront6targetE1EEEvT1_: ; @_ZN7rocprim17ROCPRIM_400000_NS6detail17trampoline_kernelINS0_14default_configENS1_25transform_config_selectorIN3c104HalfELb1EEEZNS1_14transform_implILb1ES3_S7_PS6_S9_NS0_8identityIS6_EEEE10hipError_tT2_T3_mT4_P12ihipStream_tbEUlT_E_NS1_11comp_targetILNS1_3genE9ELNS1_11target_archE1100ELNS1_3gpuE3ELNS1_3repE0EEENS1_30default_config_static_selectorELNS0_4arch9wavefront6targetE1EEEvT1_
; %bb.0:
	.section	.rodata,"a",@progbits
	.p2align	6, 0x0
	.amdhsa_kernel _ZN7rocprim17ROCPRIM_400000_NS6detail17trampoline_kernelINS0_14default_configENS1_25transform_config_selectorIN3c104HalfELb1EEEZNS1_14transform_implILb1ES3_S7_PS6_S9_NS0_8identityIS6_EEEE10hipError_tT2_T3_mT4_P12ihipStream_tbEUlT_E_NS1_11comp_targetILNS1_3genE9ELNS1_11target_archE1100ELNS1_3gpuE3ELNS1_3repE0EEENS1_30default_config_static_selectorELNS0_4arch9wavefront6targetE1EEEvT1_
		.amdhsa_group_segment_fixed_size 0
		.amdhsa_private_segment_fixed_size 0
		.amdhsa_kernarg_size 40
		.amdhsa_user_sgpr_count 6
		.amdhsa_user_sgpr_private_segment_buffer 1
		.amdhsa_user_sgpr_dispatch_ptr 0
		.amdhsa_user_sgpr_queue_ptr 0
		.amdhsa_user_sgpr_kernarg_segment_ptr 1
		.amdhsa_user_sgpr_dispatch_id 0
		.amdhsa_user_sgpr_flat_scratch_init 0
		.amdhsa_user_sgpr_kernarg_preload_length 0
		.amdhsa_user_sgpr_kernarg_preload_offset 0
		.amdhsa_user_sgpr_private_segment_size 0
		.amdhsa_uses_dynamic_stack 0
		.amdhsa_system_sgpr_private_segment_wavefront_offset 0
		.amdhsa_system_sgpr_workgroup_id_x 1
		.amdhsa_system_sgpr_workgroup_id_y 0
		.amdhsa_system_sgpr_workgroup_id_z 0
		.amdhsa_system_sgpr_workgroup_info 0
		.amdhsa_system_vgpr_workitem_id 0
		.amdhsa_next_free_vgpr 1
		.amdhsa_next_free_sgpr 0
		.amdhsa_accum_offset 4
		.amdhsa_reserve_vcc 0
		.amdhsa_reserve_flat_scratch 0
		.amdhsa_float_round_mode_32 0
		.amdhsa_float_round_mode_16_64 0
		.amdhsa_float_denorm_mode_32 3
		.amdhsa_float_denorm_mode_16_64 3
		.amdhsa_dx10_clamp 1
		.amdhsa_ieee_mode 1
		.amdhsa_fp16_overflow 0
		.amdhsa_tg_split 0
		.amdhsa_exception_fp_ieee_invalid_op 0
		.amdhsa_exception_fp_denorm_src 0
		.amdhsa_exception_fp_ieee_div_zero 0
		.amdhsa_exception_fp_ieee_overflow 0
		.amdhsa_exception_fp_ieee_underflow 0
		.amdhsa_exception_fp_ieee_inexact 0
		.amdhsa_exception_int_div_zero 0
	.end_amdhsa_kernel
	.section	.text._ZN7rocprim17ROCPRIM_400000_NS6detail17trampoline_kernelINS0_14default_configENS1_25transform_config_selectorIN3c104HalfELb1EEEZNS1_14transform_implILb1ES3_S7_PS6_S9_NS0_8identityIS6_EEEE10hipError_tT2_T3_mT4_P12ihipStream_tbEUlT_E_NS1_11comp_targetILNS1_3genE9ELNS1_11target_archE1100ELNS1_3gpuE3ELNS1_3repE0EEENS1_30default_config_static_selectorELNS0_4arch9wavefront6targetE1EEEvT1_,"axG",@progbits,_ZN7rocprim17ROCPRIM_400000_NS6detail17trampoline_kernelINS0_14default_configENS1_25transform_config_selectorIN3c104HalfELb1EEEZNS1_14transform_implILb1ES3_S7_PS6_S9_NS0_8identityIS6_EEEE10hipError_tT2_T3_mT4_P12ihipStream_tbEUlT_E_NS1_11comp_targetILNS1_3genE9ELNS1_11target_archE1100ELNS1_3gpuE3ELNS1_3repE0EEENS1_30default_config_static_selectorELNS0_4arch9wavefront6targetE1EEEvT1_,comdat
.Lfunc_end367:
	.size	_ZN7rocprim17ROCPRIM_400000_NS6detail17trampoline_kernelINS0_14default_configENS1_25transform_config_selectorIN3c104HalfELb1EEEZNS1_14transform_implILb1ES3_S7_PS6_S9_NS0_8identityIS6_EEEE10hipError_tT2_T3_mT4_P12ihipStream_tbEUlT_E_NS1_11comp_targetILNS1_3genE9ELNS1_11target_archE1100ELNS1_3gpuE3ELNS1_3repE0EEENS1_30default_config_static_selectorELNS0_4arch9wavefront6targetE1EEEvT1_, .Lfunc_end367-_ZN7rocprim17ROCPRIM_400000_NS6detail17trampoline_kernelINS0_14default_configENS1_25transform_config_selectorIN3c104HalfELb1EEEZNS1_14transform_implILb1ES3_S7_PS6_S9_NS0_8identityIS6_EEEE10hipError_tT2_T3_mT4_P12ihipStream_tbEUlT_E_NS1_11comp_targetILNS1_3genE9ELNS1_11target_archE1100ELNS1_3gpuE3ELNS1_3repE0EEENS1_30default_config_static_selectorELNS0_4arch9wavefront6targetE1EEEvT1_
                                        ; -- End function
	.section	.AMDGPU.csdata,"",@progbits
; Kernel info:
; codeLenInByte = 0
; NumSgprs: 4
; NumVgprs: 0
; NumAgprs: 0
; TotalNumVgprs: 0
; ScratchSize: 0
; MemoryBound: 0
; FloatMode: 240
; IeeeMode: 1
; LDSByteSize: 0 bytes/workgroup (compile time only)
; SGPRBlocks: 0
; VGPRBlocks: 0
; NumSGPRsForWavesPerEU: 4
; NumVGPRsForWavesPerEU: 1
; AccumOffset: 4
; Occupancy: 8
; WaveLimiterHint : 0
; COMPUTE_PGM_RSRC2:SCRATCH_EN: 0
; COMPUTE_PGM_RSRC2:USER_SGPR: 6
; COMPUTE_PGM_RSRC2:TRAP_HANDLER: 0
; COMPUTE_PGM_RSRC2:TGID_X_EN: 1
; COMPUTE_PGM_RSRC2:TGID_Y_EN: 0
; COMPUTE_PGM_RSRC2:TGID_Z_EN: 0
; COMPUTE_PGM_RSRC2:TIDIG_COMP_CNT: 0
; COMPUTE_PGM_RSRC3_GFX90A:ACCUM_OFFSET: 0
; COMPUTE_PGM_RSRC3_GFX90A:TG_SPLIT: 0
	.section	.text._ZN7rocprim17ROCPRIM_400000_NS6detail17trampoline_kernelINS0_14default_configENS1_25transform_config_selectorIN3c104HalfELb1EEEZNS1_14transform_implILb1ES3_S7_PS6_S9_NS0_8identityIS6_EEEE10hipError_tT2_T3_mT4_P12ihipStream_tbEUlT_E_NS1_11comp_targetILNS1_3genE8ELNS1_11target_archE1030ELNS1_3gpuE2ELNS1_3repE0EEENS1_30default_config_static_selectorELNS0_4arch9wavefront6targetE1EEEvT1_,"axG",@progbits,_ZN7rocprim17ROCPRIM_400000_NS6detail17trampoline_kernelINS0_14default_configENS1_25transform_config_selectorIN3c104HalfELb1EEEZNS1_14transform_implILb1ES3_S7_PS6_S9_NS0_8identityIS6_EEEE10hipError_tT2_T3_mT4_P12ihipStream_tbEUlT_E_NS1_11comp_targetILNS1_3genE8ELNS1_11target_archE1030ELNS1_3gpuE2ELNS1_3repE0EEENS1_30default_config_static_selectorELNS0_4arch9wavefront6targetE1EEEvT1_,comdat
	.protected	_ZN7rocprim17ROCPRIM_400000_NS6detail17trampoline_kernelINS0_14default_configENS1_25transform_config_selectorIN3c104HalfELb1EEEZNS1_14transform_implILb1ES3_S7_PS6_S9_NS0_8identityIS6_EEEE10hipError_tT2_T3_mT4_P12ihipStream_tbEUlT_E_NS1_11comp_targetILNS1_3genE8ELNS1_11target_archE1030ELNS1_3gpuE2ELNS1_3repE0EEENS1_30default_config_static_selectorELNS0_4arch9wavefront6targetE1EEEvT1_ ; -- Begin function _ZN7rocprim17ROCPRIM_400000_NS6detail17trampoline_kernelINS0_14default_configENS1_25transform_config_selectorIN3c104HalfELb1EEEZNS1_14transform_implILb1ES3_S7_PS6_S9_NS0_8identityIS6_EEEE10hipError_tT2_T3_mT4_P12ihipStream_tbEUlT_E_NS1_11comp_targetILNS1_3genE8ELNS1_11target_archE1030ELNS1_3gpuE2ELNS1_3repE0EEENS1_30default_config_static_selectorELNS0_4arch9wavefront6targetE1EEEvT1_
	.globl	_ZN7rocprim17ROCPRIM_400000_NS6detail17trampoline_kernelINS0_14default_configENS1_25transform_config_selectorIN3c104HalfELb1EEEZNS1_14transform_implILb1ES3_S7_PS6_S9_NS0_8identityIS6_EEEE10hipError_tT2_T3_mT4_P12ihipStream_tbEUlT_E_NS1_11comp_targetILNS1_3genE8ELNS1_11target_archE1030ELNS1_3gpuE2ELNS1_3repE0EEENS1_30default_config_static_selectorELNS0_4arch9wavefront6targetE1EEEvT1_
	.p2align	8
	.type	_ZN7rocprim17ROCPRIM_400000_NS6detail17trampoline_kernelINS0_14default_configENS1_25transform_config_selectorIN3c104HalfELb1EEEZNS1_14transform_implILb1ES3_S7_PS6_S9_NS0_8identityIS6_EEEE10hipError_tT2_T3_mT4_P12ihipStream_tbEUlT_E_NS1_11comp_targetILNS1_3genE8ELNS1_11target_archE1030ELNS1_3gpuE2ELNS1_3repE0EEENS1_30default_config_static_selectorELNS0_4arch9wavefront6targetE1EEEvT1_,@function
_ZN7rocprim17ROCPRIM_400000_NS6detail17trampoline_kernelINS0_14default_configENS1_25transform_config_selectorIN3c104HalfELb1EEEZNS1_14transform_implILb1ES3_S7_PS6_S9_NS0_8identityIS6_EEEE10hipError_tT2_T3_mT4_P12ihipStream_tbEUlT_E_NS1_11comp_targetILNS1_3genE8ELNS1_11target_archE1030ELNS1_3gpuE2ELNS1_3repE0EEENS1_30default_config_static_selectorELNS0_4arch9wavefront6targetE1EEEvT1_: ; @_ZN7rocprim17ROCPRIM_400000_NS6detail17trampoline_kernelINS0_14default_configENS1_25transform_config_selectorIN3c104HalfELb1EEEZNS1_14transform_implILb1ES3_S7_PS6_S9_NS0_8identityIS6_EEEE10hipError_tT2_T3_mT4_P12ihipStream_tbEUlT_E_NS1_11comp_targetILNS1_3genE8ELNS1_11target_archE1030ELNS1_3gpuE2ELNS1_3repE0EEENS1_30default_config_static_selectorELNS0_4arch9wavefront6targetE1EEEvT1_
; %bb.0:
	.section	.rodata,"a",@progbits
	.p2align	6, 0x0
	.amdhsa_kernel _ZN7rocprim17ROCPRIM_400000_NS6detail17trampoline_kernelINS0_14default_configENS1_25transform_config_selectorIN3c104HalfELb1EEEZNS1_14transform_implILb1ES3_S7_PS6_S9_NS0_8identityIS6_EEEE10hipError_tT2_T3_mT4_P12ihipStream_tbEUlT_E_NS1_11comp_targetILNS1_3genE8ELNS1_11target_archE1030ELNS1_3gpuE2ELNS1_3repE0EEENS1_30default_config_static_selectorELNS0_4arch9wavefront6targetE1EEEvT1_
		.amdhsa_group_segment_fixed_size 0
		.amdhsa_private_segment_fixed_size 0
		.amdhsa_kernarg_size 40
		.amdhsa_user_sgpr_count 6
		.amdhsa_user_sgpr_private_segment_buffer 1
		.amdhsa_user_sgpr_dispatch_ptr 0
		.amdhsa_user_sgpr_queue_ptr 0
		.amdhsa_user_sgpr_kernarg_segment_ptr 1
		.amdhsa_user_sgpr_dispatch_id 0
		.amdhsa_user_sgpr_flat_scratch_init 0
		.amdhsa_user_sgpr_kernarg_preload_length 0
		.amdhsa_user_sgpr_kernarg_preload_offset 0
		.amdhsa_user_sgpr_private_segment_size 0
		.amdhsa_uses_dynamic_stack 0
		.amdhsa_system_sgpr_private_segment_wavefront_offset 0
		.amdhsa_system_sgpr_workgroup_id_x 1
		.amdhsa_system_sgpr_workgroup_id_y 0
		.amdhsa_system_sgpr_workgroup_id_z 0
		.amdhsa_system_sgpr_workgroup_info 0
		.amdhsa_system_vgpr_workitem_id 0
		.amdhsa_next_free_vgpr 1
		.amdhsa_next_free_sgpr 0
		.amdhsa_accum_offset 4
		.amdhsa_reserve_vcc 0
		.amdhsa_reserve_flat_scratch 0
		.amdhsa_float_round_mode_32 0
		.amdhsa_float_round_mode_16_64 0
		.amdhsa_float_denorm_mode_32 3
		.amdhsa_float_denorm_mode_16_64 3
		.amdhsa_dx10_clamp 1
		.amdhsa_ieee_mode 1
		.amdhsa_fp16_overflow 0
		.amdhsa_tg_split 0
		.amdhsa_exception_fp_ieee_invalid_op 0
		.amdhsa_exception_fp_denorm_src 0
		.amdhsa_exception_fp_ieee_div_zero 0
		.amdhsa_exception_fp_ieee_overflow 0
		.amdhsa_exception_fp_ieee_underflow 0
		.amdhsa_exception_fp_ieee_inexact 0
		.amdhsa_exception_int_div_zero 0
	.end_amdhsa_kernel
	.section	.text._ZN7rocprim17ROCPRIM_400000_NS6detail17trampoline_kernelINS0_14default_configENS1_25transform_config_selectorIN3c104HalfELb1EEEZNS1_14transform_implILb1ES3_S7_PS6_S9_NS0_8identityIS6_EEEE10hipError_tT2_T3_mT4_P12ihipStream_tbEUlT_E_NS1_11comp_targetILNS1_3genE8ELNS1_11target_archE1030ELNS1_3gpuE2ELNS1_3repE0EEENS1_30default_config_static_selectorELNS0_4arch9wavefront6targetE1EEEvT1_,"axG",@progbits,_ZN7rocprim17ROCPRIM_400000_NS6detail17trampoline_kernelINS0_14default_configENS1_25transform_config_selectorIN3c104HalfELb1EEEZNS1_14transform_implILb1ES3_S7_PS6_S9_NS0_8identityIS6_EEEE10hipError_tT2_T3_mT4_P12ihipStream_tbEUlT_E_NS1_11comp_targetILNS1_3genE8ELNS1_11target_archE1030ELNS1_3gpuE2ELNS1_3repE0EEENS1_30default_config_static_selectorELNS0_4arch9wavefront6targetE1EEEvT1_,comdat
.Lfunc_end368:
	.size	_ZN7rocprim17ROCPRIM_400000_NS6detail17trampoline_kernelINS0_14default_configENS1_25transform_config_selectorIN3c104HalfELb1EEEZNS1_14transform_implILb1ES3_S7_PS6_S9_NS0_8identityIS6_EEEE10hipError_tT2_T3_mT4_P12ihipStream_tbEUlT_E_NS1_11comp_targetILNS1_3genE8ELNS1_11target_archE1030ELNS1_3gpuE2ELNS1_3repE0EEENS1_30default_config_static_selectorELNS0_4arch9wavefront6targetE1EEEvT1_, .Lfunc_end368-_ZN7rocprim17ROCPRIM_400000_NS6detail17trampoline_kernelINS0_14default_configENS1_25transform_config_selectorIN3c104HalfELb1EEEZNS1_14transform_implILb1ES3_S7_PS6_S9_NS0_8identityIS6_EEEE10hipError_tT2_T3_mT4_P12ihipStream_tbEUlT_E_NS1_11comp_targetILNS1_3genE8ELNS1_11target_archE1030ELNS1_3gpuE2ELNS1_3repE0EEENS1_30default_config_static_selectorELNS0_4arch9wavefront6targetE1EEEvT1_
                                        ; -- End function
	.section	.AMDGPU.csdata,"",@progbits
; Kernel info:
; codeLenInByte = 0
; NumSgprs: 4
; NumVgprs: 0
; NumAgprs: 0
; TotalNumVgprs: 0
; ScratchSize: 0
; MemoryBound: 0
; FloatMode: 240
; IeeeMode: 1
; LDSByteSize: 0 bytes/workgroup (compile time only)
; SGPRBlocks: 0
; VGPRBlocks: 0
; NumSGPRsForWavesPerEU: 4
; NumVGPRsForWavesPerEU: 1
; AccumOffset: 4
; Occupancy: 8
; WaveLimiterHint : 0
; COMPUTE_PGM_RSRC2:SCRATCH_EN: 0
; COMPUTE_PGM_RSRC2:USER_SGPR: 6
; COMPUTE_PGM_RSRC2:TRAP_HANDLER: 0
; COMPUTE_PGM_RSRC2:TGID_X_EN: 1
; COMPUTE_PGM_RSRC2:TGID_Y_EN: 0
; COMPUTE_PGM_RSRC2:TGID_Z_EN: 0
; COMPUTE_PGM_RSRC2:TIDIG_COMP_CNT: 0
; COMPUTE_PGM_RSRC3_GFX90A:ACCUM_OFFSET: 0
; COMPUTE_PGM_RSRC3_GFX90A:TG_SPLIT: 0
	.section	.text._ZN7rocprim17ROCPRIM_400000_NS6detail17trampoline_kernelINS0_14default_configENS1_20scan_config_selectorIN3c104HalfEEEZZNS1_9scan_implILNS1_25lookback_scan_determinismE0ELb0ELb0ES3_PKS6_PS6_S6_ZZZN2at6native31launch_logcumsumexp_cuda_kernelERKNSD_10TensorBaseESH_lENKUlvE_clEvENKUlvE3_clEvEUlS6_S6_E_S6_EEDaPvRmT3_T4_T5_mT6_P12ihipStream_tbENKUlT_T0_E_clISt17integral_constantIbLb0EESY_EEDaST_SU_EUlST_E0_NS1_11comp_targetILNS1_3genE0ELNS1_11target_archE4294967295ELNS1_3gpuE0ELNS1_3repE0EEENS1_30default_config_static_selectorELNS0_4arch9wavefront6targetE1EEEvT1_,"axG",@progbits,_ZN7rocprim17ROCPRIM_400000_NS6detail17trampoline_kernelINS0_14default_configENS1_20scan_config_selectorIN3c104HalfEEEZZNS1_9scan_implILNS1_25lookback_scan_determinismE0ELb0ELb0ES3_PKS6_PS6_S6_ZZZN2at6native31launch_logcumsumexp_cuda_kernelERKNSD_10TensorBaseESH_lENKUlvE_clEvENKUlvE3_clEvEUlS6_S6_E_S6_EEDaPvRmT3_T4_T5_mT6_P12ihipStream_tbENKUlT_T0_E_clISt17integral_constantIbLb0EESY_EEDaST_SU_EUlST_E0_NS1_11comp_targetILNS1_3genE0ELNS1_11target_archE4294967295ELNS1_3gpuE0ELNS1_3repE0EEENS1_30default_config_static_selectorELNS0_4arch9wavefront6targetE1EEEvT1_,comdat
	.globl	_ZN7rocprim17ROCPRIM_400000_NS6detail17trampoline_kernelINS0_14default_configENS1_20scan_config_selectorIN3c104HalfEEEZZNS1_9scan_implILNS1_25lookback_scan_determinismE0ELb0ELb0ES3_PKS6_PS6_S6_ZZZN2at6native31launch_logcumsumexp_cuda_kernelERKNSD_10TensorBaseESH_lENKUlvE_clEvENKUlvE3_clEvEUlS6_S6_E_S6_EEDaPvRmT3_T4_T5_mT6_P12ihipStream_tbENKUlT_T0_E_clISt17integral_constantIbLb0EESY_EEDaST_SU_EUlST_E0_NS1_11comp_targetILNS1_3genE0ELNS1_11target_archE4294967295ELNS1_3gpuE0ELNS1_3repE0EEENS1_30default_config_static_selectorELNS0_4arch9wavefront6targetE1EEEvT1_ ; -- Begin function _ZN7rocprim17ROCPRIM_400000_NS6detail17trampoline_kernelINS0_14default_configENS1_20scan_config_selectorIN3c104HalfEEEZZNS1_9scan_implILNS1_25lookback_scan_determinismE0ELb0ELb0ES3_PKS6_PS6_S6_ZZZN2at6native31launch_logcumsumexp_cuda_kernelERKNSD_10TensorBaseESH_lENKUlvE_clEvENKUlvE3_clEvEUlS6_S6_E_S6_EEDaPvRmT3_T4_T5_mT6_P12ihipStream_tbENKUlT_T0_E_clISt17integral_constantIbLb0EESY_EEDaST_SU_EUlST_E0_NS1_11comp_targetILNS1_3genE0ELNS1_11target_archE4294967295ELNS1_3gpuE0ELNS1_3repE0EEENS1_30default_config_static_selectorELNS0_4arch9wavefront6targetE1EEEvT1_
	.p2align	8
	.type	_ZN7rocprim17ROCPRIM_400000_NS6detail17trampoline_kernelINS0_14default_configENS1_20scan_config_selectorIN3c104HalfEEEZZNS1_9scan_implILNS1_25lookback_scan_determinismE0ELb0ELb0ES3_PKS6_PS6_S6_ZZZN2at6native31launch_logcumsumexp_cuda_kernelERKNSD_10TensorBaseESH_lENKUlvE_clEvENKUlvE3_clEvEUlS6_S6_E_S6_EEDaPvRmT3_T4_T5_mT6_P12ihipStream_tbENKUlT_T0_E_clISt17integral_constantIbLb0EESY_EEDaST_SU_EUlST_E0_NS1_11comp_targetILNS1_3genE0ELNS1_11target_archE4294967295ELNS1_3gpuE0ELNS1_3repE0EEENS1_30default_config_static_selectorELNS0_4arch9wavefront6targetE1EEEvT1_,@function
_ZN7rocprim17ROCPRIM_400000_NS6detail17trampoline_kernelINS0_14default_configENS1_20scan_config_selectorIN3c104HalfEEEZZNS1_9scan_implILNS1_25lookback_scan_determinismE0ELb0ELb0ES3_PKS6_PS6_S6_ZZZN2at6native31launch_logcumsumexp_cuda_kernelERKNSD_10TensorBaseESH_lENKUlvE_clEvENKUlvE3_clEvEUlS6_S6_E_S6_EEDaPvRmT3_T4_T5_mT6_P12ihipStream_tbENKUlT_T0_E_clISt17integral_constantIbLb0EESY_EEDaST_SU_EUlST_E0_NS1_11comp_targetILNS1_3genE0ELNS1_11target_archE4294967295ELNS1_3gpuE0ELNS1_3repE0EEENS1_30default_config_static_selectorELNS0_4arch9wavefront6targetE1EEEvT1_: ; @_ZN7rocprim17ROCPRIM_400000_NS6detail17trampoline_kernelINS0_14default_configENS1_20scan_config_selectorIN3c104HalfEEEZZNS1_9scan_implILNS1_25lookback_scan_determinismE0ELb0ELb0ES3_PKS6_PS6_S6_ZZZN2at6native31launch_logcumsumexp_cuda_kernelERKNSD_10TensorBaseESH_lENKUlvE_clEvENKUlvE3_clEvEUlS6_S6_E_S6_EEDaPvRmT3_T4_T5_mT6_P12ihipStream_tbENKUlT_T0_E_clISt17integral_constantIbLb0EESY_EEDaST_SU_EUlST_E0_NS1_11comp_targetILNS1_3genE0ELNS1_11target_archE4294967295ELNS1_3gpuE0ELNS1_3repE0EEENS1_30default_config_static_selectorELNS0_4arch9wavefront6targetE1EEEvT1_
; %bb.0:
	.section	.rodata,"a",@progbits
	.p2align	6, 0x0
	.amdhsa_kernel _ZN7rocprim17ROCPRIM_400000_NS6detail17trampoline_kernelINS0_14default_configENS1_20scan_config_selectorIN3c104HalfEEEZZNS1_9scan_implILNS1_25lookback_scan_determinismE0ELb0ELb0ES3_PKS6_PS6_S6_ZZZN2at6native31launch_logcumsumexp_cuda_kernelERKNSD_10TensorBaseESH_lENKUlvE_clEvENKUlvE3_clEvEUlS6_S6_E_S6_EEDaPvRmT3_T4_T5_mT6_P12ihipStream_tbENKUlT_T0_E_clISt17integral_constantIbLb0EESY_EEDaST_SU_EUlST_E0_NS1_11comp_targetILNS1_3genE0ELNS1_11target_archE4294967295ELNS1_3gpuE0ELNS1_3repE0EEENS1_30default_config_static_selectorELNS0_4arch9wavefront6targetE1EEEvT1_
		.amdhsa_group_segment_fixed_size 0
		.amdhsa_private_segment_fixed_size 0
		.amdhsa_kernarg_size 32
		.amdhsa_user_sgpr_count 6
		.amdhsa_user_sgpr_private_segment_buffer 1
		.amdhsa_user_sgpr_dispatch_ptr 0
		.amdhsa_user_sgpr_queue_ptr 0
		.amdhsa_user_sgpr_kernarg_segment_ptr 1
		.amdhsa_user_sgpr_dispatch_id 0
		.amdhsa_user_sgpr_flat_scratch_init 0
		.amdhsa_user_sgpr_kernarg_preload_length 0
		.amdhsa_user_sgpr_kernarg_preload_offset 0
		.amdhsa_user_sgpr_private_segment_size 0
		.amdhsa_uses_dynamic_stack 0
		.amdhsa_system_sgpr_private_segment_wavefront_offset 0
		.amdhsa_system_sgpr_workgroup_id_x 1
		.amdhsa_system_sgpr_workgroup_id_y 0
		.amdhsa_system_sgpr_workgroup_id_z 0
		.amdhsa_system_sgpr_workgroup_info 0
		.amdhsa_system_vgpr_workitem_id 0
		.amdhsa_next_free_vgpr 1
		.amdhsa_next_free_sgpr 0
		.amdhsa_accum_offset 4
		.amdhsa_reserve_vcc 0
		.amdhsa_reserve_flat_scratch 0
		.amdhsa_float_round_mode_32 0
		.amdhsa_float_round_mode_16_64 0
		.amdhsa_float_denorm_mode_32 3
		.amdhsa_float_denorm_mode_16_64 3
		.amdhsa_dx10_clamp 1
		.amdhsa_ieee_mode 1
		.amdhsa_fp16_overflow 0
		.amdhsa_tg_split 0
		.amdhsa_exception_fp_ieee_invalid_op 0
		.amdhsa_exception_fp_denorm_src 0
		.amdhsa_exception_fp_ieee_div_zero 0
		.amdhsa_exception_fp_ieee_overflow 0
		.amdhsa_exception_fp_ieee_underflow 0
		.amdhsa_exception_fp_ieee_inexact 0
		.amdhsa_exception_int_div_zero 0
	.end_amdhsa_kernel
	.section	.text._ZN7rocprim17ROCPRIM_400000_NS6detail17trampoline_kernelINS0_14default_configENS1_20scan_config_selectorIN3c104HalfEEEZZNS1_9scan_implILNS1_25lookback_scan_determinismE0ELb0ELb0ES3_PKS6_PS6_S6_ZZZN2at6native31launch_logcumsumexp_cuda_kernelERKNSD_10TensorBaseESH_lENKUlvE_clEvENKUlvE3_clEvEUlS6_S6_E_S6_EEDaPvRmT3_T4_T5_mT6_P12ihipStream_tbENKUlT_T0_E_clISt17integral_constantIbLb0EESY_EEDaST_SU_EUlST_E0_NS1_11comp_targetILNS1_3genE0ELNS1_11target_archE4294967295ELNS1_3gpuE0ELNS1_3repE0EEENS1_30default_config_static_selectorELNS0_4arch9wavefront6targetE1EEEvT1_,"axG",@progbits,_ZN7rocprim17ROCPRIM_400000_NS6detail17trampoline_kernelINS0_14default_configENS1_20scan_config_selectorIN3c104HalfEEEZZNS1_9scan_implILNS1_25lookback_scan_determinismE0ELb0ELb0ES3_PKS6_PS6_S6_ZZZN2at6native31launch_logcumsumexp_cuda_kernelERKNSD_10TensorBaseESH_lENKUlvE_clEvENKUlvE3_clEvEUlS6_S6_E_S6_EEDaPvRmT3_T4_T5_mT6_P12ihipStream_tbENKUlT_T0_E_clISt17integral_constantIbLb0EESY_EEDaST_SU_EUlST_E0_NS1_11comp_targetILNS1_3genE0ELNS1_11target_archE4294967295ELNS1_3gpuE0ELNS1_3repE0EEENS1_30default_config_static_selectorELNS0_4arch9wavefront6targetE1EEEvT1_,comdat
.Lfunc_end369:
	.size	_ZN7rocprim17ROCPRIM_400000_NS6detail17trampoline_kernelINS0_14default_configENS1_20scan_config_selectorIN3c104HalfEEEZZNS1_9scan_implILNS1_25lookback_scan_determinismE0ELb0ELb0ES3_PKS6_PS6_S6_ZZZN2at6native31launch_logcumsumexp_cuda_kernelERKNSD_10TensorBaseESH_lENKUlvE_clEvENKUlvE3_clEvEUlS6_S6_E_S6_EEDaPvRmT3_T4_T5_mT6_P12ihipStream_tbENKUlT_T0_E_clISt17integral_constantIbLb0EESY_EEDaST_SU_EUlST_E0_NS1_11comp_targetILNS1_3genE0ELNS1_11target_archE4294967295ELNS1_3gpuE0ELNS1_3repE0EEENS1_30default_config_static_selectorELNS0_4arch9wavefront6targetE1EEEvT1_, .Lfunc_end369-_ZN7rocprim17ROCPRIM_400000_NS6detail17trampoline_kernelINS0_14default_configENS1_20scan_config_selectorIN3c104HalfEEEZZNS1_9scan_implILNS1_25lookback_scan_determinismE0ELb0ELb0ES3_PKS6_PS6_S6_ZZZN2at6native31launch_logcumsumexp_cuda_kernelERKNSD_10TensorBaseESH_lENKUlvE_clEvENKUlvE3_clEvEUlS6_S6_E_S6_EEDaPvRmT3_T4_T5_mT6_P12ihipStream_tbENKUlT_T0_E_clISt17integral_constantIbLb0EESY_EEDaST_SU_EUlST_E0_NS1_11comp_targetILNS1_3genE0ELNS1_11target_archE4294967295ELNS1_3gpuE0ELNS1_3repE0EEENS1_30default_config_static_selectorELNS0_4arch9wavefront6targetE1EEEvT1_
                                        ; -- End function
	.section	.AMDGPU.csdata,"",@progbits
; Kernel info:
; codeLenInByte = 0
; NumSgprs: 4
; NumVgprs: 0
; NumAgprs: 0
; TotalNumVgprs: 0
; ScratchSize: 0
; MemoryBound: 0
; FloatMode: 240
; IeeeMode: 1
; LDSByteSize: 0 bytes/workgroup (compile time only)
; SGPRBlocks: 0
; VGPRBlocks: 0
; NumSGPRsForWavesPerEU: 4
; NumVGPRsForWavesPerEU: 1
; AccumOffset: 4
; Occupancy: 8
; WaveLimiterHint : 0
; COMPUTE_PGM_RSRC2:SCRATCH_EN: 0
; COMPUTE_PGM_RSRC2:USER_SGPR: 6
; COMPUTE_PGM_RSRC2:TRAP_HANDLER: 0
; COMPUTE_PGM_RSRC2:TGID_X_EN: 1
; COMPUTE_PGM_RSRC2:TGID_Y_EN: 0
; COMPUTE_PGM_RSRC2:TGID_Z_EN: 0
; COMPUTE_PGM_RSRC2:TIDIG_COMP_CNT: 0
; COMPUTE_PGM_RSRC3_GFX90A:ACCUM_OFFSET: 0
; COMPUTE_PGM_RSRC3_GFX90A:TG_SPLIT: 0
	.section	.text._ZN7rocprim17ROCPRIM_400000_NS6detail17trampoline_kernelINS0_14default_configENS1_20scan_config_selectorIN3c104HalfEEEZZNS1_9scan_implILNS1_25lookback_scan_determinismE0ELb0ELb0ES3_PKS6_PS6_S6_ZZZN2at6native31launch_logcumsumexp_cuda_kernelERKNSD_10TensorBaseESH_lENKUlvE_clEvENKUlvE3_clEvEUlS6_S6_E_S6_EEDaPvRmT3_T4_T5_mT6_P12ihipStream_tbENKUlT_T0_E_clISt17integral_constantIbLb0EESY_EEDaST_SU_EUlST_E0_NS1_11comp_targetILNS1_3genE5ELNS1_11target_archE942ELNS1_3gpuE9ELNS1_3repE0EEENS1_30default_config_static_selectorELNS0_4arch9wavefront6targetE1EEEvT1_,"axG",@progbits,_ZN7rocprim17ROCPRIM_400000_NS6detail17trampoline_kernelINS0_14default_configENS1_20scan_config_selectorIN3c104HalfEEEZZNS1_9scan_implILNS1_25lookback_scan_determinismE0ELb0ELb0ES3_PKS6_PS6_S6_ZZZN2at6native31launch_logcumsumexp_cuda_kernelERKNSD_10TensorBaseESH_lENKUlvE_clEvENKUlvE3_clEvEUlS6_S6_E_S6_EEDaPvRmT3_T4_T5_mT6_P12ihipStream_tbENKUlT_T0_E_clISt17integral_constantIbLb0EESY_EEDaST_SU_EUlST_E0_NS1_11comp_targetILNS1_3genE5ELNS1_11target_archE942ELNS1_3gpuE9ELNS1_3repE0EEENS1_30default_config_static_selectorELNS0_4arch9wavefront6targetE1EEEvT1_,comdat
	.globl	_ZN7rocprim17ROCPRIM_400000_NS6detail17trampoline_kernelINS0_14default_configENS1_20scan_config_selectorIN3c104HalfEEEZZNS1_9scan_implILNS1_25lookback_scan_determinismE0ELb0ELb0ES3_PKS6_PS6_S6_ZZZN2at6native31launch_logcumsumexp_cuda_kernelERKNSD_10TensorBaseESH_lENKUlvE_clEvENKUlvE3_clEvEUlS6_S6_E_S6_EEDaPvRmT3_T4_T5_mT6_P12ihipStream_tbENKUlT_T0_E_clISt17integral_constantIbLb0EESY_EEDaST_SU_EUlST_E0_NS1_11comp_targetILNS1_3genE5ELNS1_11target_archE942ELNS1_3gpuE9ELNS1_3repE0EEENS1_30default_config_static_selectorELNS0_4arch9wavefront6targetE1EEEvT1_ ; -- Begin function _ZN7rocprim17ROCPRIM_400000_NS6detail17trampoline_kernelINS0_14default_configENS1_20scan_config_selectorIN3c104HalfEEEZZNS1_9scan_implILNS1_25lookback_scan_determinismE0ELb0ELb0ES3_PKS6_PS6_S6_ZZZN2at6native31launch_logcumsumexp_cuda_kernelERKNSD_10TensorBaseESH_lENKUlvE_clEvENKUlvE3_clEvEUlS6_S6_E_S6_EEDaPvRmT3_T4_T5_mT6_P12ihipStream_tbENKUlT_T0_E_clISt17integral_constantIbLb0EESY_EEDaST_SU_EUlST_E0_NS1_11comp_targetILNS1_3genE5ELNS1_11target_archE942ELNS1_3gpuE9ELNS1_3repE0EEENS1_30default_config_static_selectorELNS0_4arch9wavefront6targetE1EEEvT1_
	.p2align	8
	.type	_ZN7rocprim17ROCPRIM_400000_NS6detail17trampoline_kernelINS0_14default_configENS1_20scan_config_selectorIN3c104HalfEEEZZNS1_9scan_implILNS1_25lookback_scan_determinismE0ELb0ELb0ES3_PKS6_PS6_S6_ZZZN2at6native31launch_logcumsumexp_cuda_kernelERKNSD_10TensorBaseESH_lENKUlvE_clEvENKUlvE3_clEvEUlS6_S6_E_S6_EEDaPvRmT3_T4_T5_mT6_P12ihipStream_tbENKUlT_T0_E_clISt17integral_constantIbLb0EESY_EEDaST_SU_EUlST_E0_NS1_11comp_targetILNS1_3genE5ELNS1_11target_archE942ELNS1_3gpuE9ELNS1_3repE0EEENS1_30default_config_static_selectorELNS0_4arch9wavefront6targetE1EEEvT1_,@function
_ZN7rocprim17ROCPRIM_400000_NS6detail17trampoline_kernelINS0_14default_configENS1_20scan_config_selectorIN3c104HalfEEEZZNS1_9scan_implILNS1_25lookback_scan_determinismE0ELb0ELb0ES3_PKS6_PS6_S6_ZZZN2at6native31launch_logcumsumexp_cuda_kernelERKNSD_10TensorBaseESH_lENKUlvE_clEvENKUlvE3_clEvEUlS6_S6_E_S6_EEDaPvRmT3_T4_T5_mT6_P12ihipStream_tbENKUlT_T0_E_clISt17integral_constantIbLb0EESY_EEDaST_SU_EUlST_E0_NS1_11comp_targetILNS1_3genE5ELNS1_11target_archE942ELNS1_3gpuE9ELNS1_3repE0EEENS1_30default_config_static_selectorELNS0_4arch9wavefront6targetE1EEEvT1_: ; @_ZN7rocprim17ROCPRIM_400000_NS6detail17trampoline_kernelINS0_14default_configENS1_20scan_config_selectorIN3c104HalfEEEZZNS1_9scan_implILNS1_25lookback_scan_determinismE0ELb0ELb0ES3_PKS6_PS6_S6_ZZZN2at6native31launch_logcumsumexp_cuda_kernelERKNSD_10TensorBaseESH_lENKUlvE_clEvENKUlvE3_clEvEUlS6_S6_E_S6_EEDaPvRmT3_T4_T5_mT6_P12ihipStream_tbENKUlT_T0_E_clISt17integral_constantIbLb0EESY_EEDaST_SU_EUlST_E0_NS1_11comp_targetILNS1_3genE5ELNS1_11target_archE942ELNS1_3gpuE9ELNS1_3repE0EEENS1_30default_config_static_selectorELNS0_4arch9wavefront6targetE1EEEvT1_
; %bb.0:
	.section	.rodata,"a",@progbits
	.p2align	6, 0x0
	.amdhsa_kernel _ZN7rocprim17ROCPRIM_400000_NS6detail17trampoline_kernelINS0_14default_configENS1_20scan_config_selectorIN3c104HalfEEEZZNS1_9scan_implILNS1_25lookback_scan_determinismE0ELb0ELb0ES3_PKS6_PS6_S6_ZZZN2at6native31launch_logcumsumexp_cuda_kernelERKNSD_10TensorBaseESH_lENKUlvE_clEvENKUlvE3_clEvEUlS6_S6_E_S6_EEDaPvRmT3_T4_T5_mT6_P12ihipStream_tbENKUlT_T0_E_clISt17integral_constantIbLb0EESY_EEDaST_SU_EUlST_E0_NS1_11comp_targetILNS1_3genE5ELNS1_11target_archE942ELNS1_3gpuE9ELNS1_3repE0EEENS1_30default_config_static_selectorELNS0_4arch9wavefront6targetE1EEEvT1_
		.amdhsa_group_segment_fixed_size 0
		.amdhsa_private_segment_fixed_size 0
		.amdhsa_kernarg_size 32
		.amdhsa_user_sgpr_count 6
		.amdhsa_user_sgpr_private_segment_buffer 1
		.amdhsa_user_sgpr_dispatch_ptr 0
		.amdhsa_user_sgpr_queue_ptr 0
		.amdhsa_user_sgpr_kernarg_segment_ptr 1
		.amdhsa_user_sgpr_dispatch_id 0
		.amdhsa_user_sgpr_flat_scratch_init 0
		.amdhsa_user_sgpr_kernarg_preload_length 0
		.amdhsa_user_sgpr_kernarg_preload_offset 0
		.amdhsa_user_sgpr_private_segment_size 0
		.amdhsa_uses_dynamic_stack 0
		.amdhsa_system_sgpr_private_segment_wavefront_offset 0
		.amdhsa_system_sgpr_workgroup_id_x 1
		.amdhsa_system_sgpr_workgroup_id_y 0
		.amdhsa_system_sgpr_workgroup_id_z 0
		.amdhsa_system_sgpr_workgroup_info 0
		.amdhsa_system_vgpr_workitem_id 0
		.amdhsa_next_free_vgpr 1
		.amdhsa_next_free_sgpr 0
		.amdhsa_accum_offset 4
		.amdhsa_reserve_vcc 0
		.amdhsa_reserve_flat_scratch 0
		.amdhsa_float_round_mode_32 0
		.amdhsa_float_round_mode_16_64 0
		.amdhsa_float_denorm_mode_32 3
		.amdhsa_float_denorm_mode_16_64 3
		.amdhsa_dx10_clamp 1
		.amdhsa_ieee_mode 1
		.amdhsa_fp16_overflow 0
		.amdhsa_tg_split 0
		.amdhsa_exception_fp_ieee_invalid_op 0
		.amdhsa_exception_fp_denorm_src 0
		.amdhsa_exception_fp_ieee_div_zero 0
		.amdhsa_exception_fp_ieee_overflow 0
		.amdhsa_exception_fp_ieee_underflow 0
		.amdhsa_exception_fp_ieee_inexact 0
		.amdhsa_exception_int_div_zero 0
	.end_amdhsa_kernel
	.section	.text._ZN7rocprim17ROCPRIM_400000_NS6detail17trampoline_kernelINS0_14default_configENS1_20scan_config_selectorIN3c104HalfEEEZZNS1_9scan_implILNS1_25lookback_scan_determinismE0ELb0ELb0ES3_PKS6_PS6_S6_ZZZN2at6native31launch_logcumsumexp_cuda_kernelERKNSD_10TensorBaseESH_lENKUlvE_clEvENKUlvE3_clEvEUlS6_S6_E_S6_EEDaPvRmT3_T4_T5_mT6_P12ihipStream_tbENKUlT_T0_E_clISt17integral_constantIbLb0EESY_EEDaST_SU_EUlST_E0_NS1_11comp_targetILNS1_3genE5ELNS1_11target_archE942ELNS1_3gpuE9ELNS1_3repE0EEENS1_30default_config_static_selectorELNS0_4arch9wavefront6targetE1EEEvT1_,"axG",@progbits,_ZN7rocprim17ROCPRIM_400000_NS6detail17trampoline_kernelINS0_14default_configENS1_20scan_config_selectorIN3c104HalfEEEZZNS1_9scan_implILNS1_25lookback_scan_determinismE0ELb0ELb0ES3_PKS6_PS6_S6_ZZZN2at6native31launch_logcumsumexp_cuda_kernelERKNSD_10TensorBaseESH_lENKUlvE_clEvENKUlvE3_clEvEUlS6_S6_E_S6_EEDaPvRmT3_T4_T5_mT6_P12ihipStream_tbENKUlT_T0_E_clISt17integral_constantIbLb0EESY_EEDaST_SU_EUlST_E0_NS1_11comp_targetILNS1_3genE5ELNS1_11target_archE942ELNS1_3gpuE9ELNS1_3repE0EEENS1_30default_config_static_selectorELNS0_4arch9wavefront6targetE1EEEvT1_,comdat
.Lfunc_end370:
	.size	_ZN7rocprim17ROCPRIM_400000_NS6detail17trampoline_kernelINS0_14default_configENS1_20scan_config_selectorIN3c104HalfEEEZZNS1_9scan_implILNS1_25lookback_scan_determinismE0ELb0ELb0ES3_PKS6_PS6_S6_ZZZN2at6native31launch_logcumsumexp_cuda_kernelERKNSD_10TensorBaseESH_lENKUlvE_clEvENKUlvE3_clEvEUlS6_S6_E_S6_EEDaPvRmT3_T4_T5_mT6_P12ihipStream_tbENKUlT_T0_E_clISt17integral_constantIbLb0EESY_EEDaST_SU_EUlST_E0_NS1_11comp_targetILNS1_3genE5ELNS1_11target_archE942ELNS1_3gpuE9ELNS1_3repE0EEENS1_30default_config_static_selectorELNS0_4arch9wavefront6targetE1EEEvT1_, .Lfunc_end370-_ZN7rocprim17ROCPRIM_400000_NS6detail17trampoline_kernelINS0_14default_configENS1_20scan_config_selectorIN3c104HalfEEEZZNS1_9scan_implILNS1_25lookback_scan_determinismE0ELb0ELb0ES3_PKS6_PS6_S6_ZZZN2at6native31launch_logcumsumexp_cuda_kernelERKNSD_10TensorBaseESH_lENKUlvE_clEvENKUlvE3_clEvEUlS6_S6_E_S6_EEDaPvRmT3_T4_T5_mT6_P12ihipStream_tbENKUlT_T0_E_clISt17integral_constantIbLb0EESY_EEDaST_SU_EUlST_E0_NS1_11comp_targetILNS1_3genE5ELNS1_11target_archE942ELNS1_3gpuE9ELNS1_3repE0EEENS1_30default_config_static_selectorELNS0_4arch9wavefront6targetE1EEEvT1_
                                        ; -- End function
	.section	.AMDGPU.csdata,"",@progbits
; Kernel info:
; codeLenInByte = 0
; NumSgprs: 4
; NumVgprs: 0
; NumAgprs: 0
; TotalNumVgprs: 0
; ScratchSize: 0
; MemoryBound: 0
; FloatMode: 240
; IeeeMode: 1
; LDSByteSize: 0 bytes/workgroup (compile time only)
; SGPRBlocks: 0
; VGPRBlocks: 0
; NumSGPRsForWavesPerEU: 4
; NumVGPRsForWavesPerEU: 1
; AccumOffset: 4
; Occupancy: 8
; WaveLimiterHint : 0
; COMPUTE_PGM_RSRC2:SCRATCH_EN: 0
; COMPUTE_PGM_RSRC2:USER_SGPR: 6
; COMPUTE_PGM_RSRC2:TRAP_HANDLER: 0
; COMPUTE_PGM_RSRC2:TGID_X_EN: 1
; COMPUTE_PGM_RSRC2:TGID_Y_EN: 0
; COMPUTE_PGM_RSRC2:TGID_Z_EN: 0
; COMPUTE_PGM_RSRC2:TIDIG_COMP_CNT: 0
; COMPUTE_PGM_RSRC3_GFX90A:ACCUM_OFFSET: 0
; COMPUTE_PGM_RSRC3_GFX90A:TG_SPLIT: 0
	.section	.text._ZN7rocprim17ROCPRIM_400000_NS6detail17trampoline_kernelINS0_14default_configENS1_20scan_config_selectorIN3c104HalfEEEZZNS1_9scan_implILNS1_25lookback_scan_determinismE0ELb0ELb0ES3_PKS6_PS6_S6_ZZZN2at6native31launch_logcumsumexp_cuda_kernelERKNSD_10TensorBaseESH_lENKUlvE_clEvENKUlvE3_clEvEUlS6_S6_E_S6_EEDaPvRmT3_T4_T5_mT6_P12ihipStream_tbENKUlT_T0_E_clISt17integral_constantIbLb0EESY_EEDaST_SU_EUlST_E0_NS1_11comp_targetILNS1_3genE4ELNS1_11target_archE910ELNS1_3gpuE8ELNS1_3repE0EEENS1_30default_config_static_selectorELNS0_4arch9wavefront6targetE1EEEvT1_,"axG",@progbits,_ZN7rocprim17ROCPRIM_400000_NS6detail17trampoline_kernelINS0_14default_configENS1_20scan_config_selectorIN3c104HalfEEEZZNS1_9scan_implILNS1_25lookback_scan_determinismE0ELb0ELb0ES3_PKS6_PS6_S6_ZZZN2at6native31launch_logcumsumexp_cuda_kernelERKNSD_10TensorBaseESH_lENKUlvE_clEvENKUlvE3_clEvEUlS6_S6_E_S6_EEDaPvRmT3_T4_T5_mT6_P12ihipStream_tbENKUlT_T0_E_clISt17integral_constantIbLb0EESY_EEDaST_SU_EUlST_E0_NS1_11comp_targetILNS1_3genE4ELNS1_11target_archE910ELNS1_3gpuE8ELNS1_3repE0EEENS1_30default_config_static_selectorELNS0_4arch9wavefront6targetE1EEEvT1_,comdat
	.globl	_ZN7rocprim17ROCPRIM_400000_NS6detail17trampoline_kernelINS0_14default_configENS1_20scan_config_selectorIN3c104HalfEEEZZNS1_9scan_implILNS1_25lookback_scan_determinismE0ELb0ELb0ES3_PKS6_PS6_S6_ZZZN2at6native31launch_logcumsumexp_cuda_kernelERKNSD_10TensorBaseESH_lENKUlvE_clEvENKUlvE3_clEvEUlS6_S6_E_S6_EEDaPvRmT3_T4_T5_mT6_P12ihipStream_tbENKUlT_T0_E_clISt17integral_constantIbLb0EESY_EEDaST_SU_EUlST_E0_NS1_11comp_targetILNS1_3genE4ELNS1_11target_archE910ELNS1_3gpuE8ELNS1_3repE0EEENS1_30default_config_static_selectorELNS0_4arch9wavefront6targetE1EEEvT1_ ; -- Begin function _ZN7rocprim17ROCPRIM_400000_NS6detail17trampoline_kernelINS0_14default_configENS1_20scan_config_selectorIN3c104HalfEEEZZNS1_9scan_implILNS1_25lookback_scan_determinismE0ELb0ELb0ES3_PKS6_PS6_S6_ZZZN2at6native31launch_logcumsumexp_cuda_kernelERKNSD_10TensorBaseESH_lENKUlvE_clEvENKUlvE3_clEvEUlS6_S6_E_S6_EEDaPvRmT3_T4_T5_mT6_P12ihipStream_tbENKUlT_T0_E_clISt17integral_constantIbLb0EESY_EEDaST_SU_EUlST_E0_NS1_11comp_targetILNS1_3genE4ELNS1_11target_archE910ELNS1_3gpuE8ELNS1_3repE0EEENS1_30default_config_static_selectorELNS0_4arch9wavefront6targetE1EEEvT1_
	.p2align	8
	.type	_ZN7rocprim17ROCPRIM_400000_NS6detail17trampoline_kernelINS0_14default_configENS1_20scan_config_selectorIN3c104HalfEEEZZNS1_9scan_implILNS1_25lookback_scan_determinismE0ELb0ELb0ES3_PKS6_PS6_S6_ZZZN2at6native31launch_logcumsumexp_cuda_kernelERKNSD_10TensorBaseESH_lENKUlvE_clEvENKUlvE3_clEvEUlS6_S6_E_S6_EEDaPvRmT3_T4_T5_mT6_P12ihipStream_tbENKUlT_T0_E_clISt17integral_constantIbLb0EESY_EEDaST_SU_EUlST_E0_NS1_11comp_targetILNS1_3genE4ELNS1_11target_archE910ELNS1_3gpuE8ELNS1_3repE0EEENS1_30default_config_static_selectorELNS0_4arch9wavefront6targetE1EEEvT1_,@function
_ZN7rocprim17ROCPRIM_400000_NS6detail17trampoline_kernelINS0_14default_configENS1_20scan_config_selectorIN3c104HalfEEEZZNS1_9scan_implILNS1_25lookback_scan_determinismE0ELb0ELb0ES3_PKS6_PS6_S6_ZZZN2at6native31launch_logcumsumexp_cuda_kernelERKNSD_10TensorBaseESH_lENKUlvE_clEvENKUlvE3_clEvEUlS6_S6_E_S6_EEDaPvRmT3_T4_T5_mT6_P12ihipStream_tbENKUlT_T0_E_clISt17integral_constantIbLb0EESY_EEDaST_SU_EUlST_E0_NS1_11comp_targetILNS1_3genE4ELNS1_11target_archE910ELNS1_3gpuE8ELNS1_3repE0EEENS1_30default_config_static_selectorELNS0_4arch9wavefront6targetE1EEEvT1_: ; @_ZN7rocprim17ROCPRIM_400000_NS6detail17trampoline_kernelINS0_14default_configENS1_20scan_config_selectorIN3c104HalfEEEZZNS1_9scan_implILNS1_25lookback_scan_determinismE0ELb0ELb0ES3_PKS6_PS6_S6_ZZZN2at6native31launch_logcumsumexp_cuda_kernelERKNSD_10TensorBaseESH_lENKUlvE_clEvENKUlvE3_clEvEUlS6_S6_E_S6_EEDaPvRmT3_T4_T5_mT6_P12ihipStream_tbENKUlT_T0_E_clISt17integral_constantIbLb0EESY_EEDaST_SU_EUlST_E0_NS1_11comp_targetILNS1_3genE4ELNS1_11target_archE910ELNS1_3gpuE8ELNS1_3repE0EEENS1_30default_config_static_selectorELNS0_4arch9wavefront6targetE1EEEvT1_
; %bb.0:
	s_load_dwordx4 s[52:55], s[4:5], 0x0
	v_mov_b32_e32 v1, 0
	v_lshlrev_b32_e32 v14, 1, v0
	s_waitcnt lgkmcnt(0)
	global_load_ushort v2, v1, s[52:53]
	v_cmp_gt_u32_e64 s[2:3], s54, v0
	s_waitcnt vmcnt(0)
	v_mov_b32_e32 v3, v2
	s_mov_b64 s[0:1], exec
                                        ; implicit-def: $vgpr51 : SGPR spill to VGPR lane
	v_writelane_b32 v51, s2, 0
	v_writelane_b32 v51, s3, 1
	s_and_b64 s[2:3], s[0:1], s[2:3]
	s_mov_b64 exec, s[2:3]
	s_cbranch_execz .LBB371_2
; %bb.1:
	global_load_ushort v3, v14, s[52:53]
.LBB371_2:
	s_or_b64 exec, exec, s[0:1]
	v_or_b32_e32 v1, 64, v0
	v_mov_b32_e32 v4, v2
	v_cmp_gt_u32_e64 s[2:3], s54, v1
	s_mov_b64 s[0:1], exec
	v_writelane_b32 v51, s2, 2
	v_writelane_b32 v51, s3, 3
	s_and_b64 s[2:3], s[0:1], s[2:3]
	s_mov_b64 exec, s[2:3]
	s_cbranch_execz .LBB371_4
; %bb.3:
	global_load_ushort v4, v14, s[52:53] offset:128
.LBB371_4:
	s_or_b64 exec, exec, s[0:1]
	v_or_b32_e32 v1, 0x80, v0
	v_cmp_gt_u32_e64 s[2:3], s54, v1
	v_mov_b32_e32 v5, v2
	v_writelane_b32 v51, s2, 4
	v_writelane_b32 v51, s3, 5
	s_and_saveexec_b64 s[0:1], s[2:3]
	s_cbranch_execz .LBB371_6
; %bb.5:
	global_load_ushort v5, v14, s[52:53] offset:256
.LBB371_6:
	s_or_b64 exec, exec, s[0:1]
	v_or_b32_e32 v1, 0xc0, v0
	v_cmp_gt_u32_e64 s[46:47], s54, v1
	v_mov_b32_e32 v6, v2
	s_and_saveexec_b64 s[0:1], s[46:47]
	s_cbranch_execz .LBB371_8
; %bb.7:
	global_load_ushort v6, v14, s[52:53] offset:384
.LBB371_8:
	s_or_b64 exec, exec, s[0:1]
	v_or_b32_e32 v1, 0x100, v0
	v_cmp_gt_u32_e64 s[6:7], s54, v1
	v_mov_b32_e32 v7, v2
	s_and_saveexec_b64 s[0:1], s[6:7]
	s_cbranch_execz .LBB371_10
; %bb.9:
	global_load_ushort v7, v14, s[52:53] offset:512
.LBB371_10:
	s_or_b64 exec, exec, s[0:1]
	v_or_b32_e32 v1, 0x140, v0
	v_cmp_gt_u32_e64 s[8:9], s54, v1
	v_mov_b32_e32 v8, v2
	s_and_saveexec_b64 s[0:1], s[8:9]
	s_cbranch_execz .LBB371_12
; %bb.11:
	global_load_ushort v8, v14, s[52:53] offset:640
.LBB371_12:
	s_or_b64 exec, exec, s[0:1]
	v_or_b32_e32 v1, 0x180, v0
	v_cmp_gt_u32_e64 s[10:11], s54, v1
	v_mov_b32_e32 v9, v2
	s_and_saveexec_b64 s[0:1], s[10:11]
	s_cbranch_execz .LBB371_14
; %bb.13:
	global_load_ushort v9, v14, s[52:53] offset:768
.LBB371_14:
	s_or_b64 exec, exec, s[0:1]
	v_or_b32_e32 v1, 0x1c0, v0
	v_cmp_gt_u32_e64 s[12:13], s54, v1
	v_mov_b32_e32 v10, v2
	s_and_saveexec_b64 s[0:1], s[12:13]
	s_cbranch_execz .LBB371_16
; %bb.15:
	global_load_ushort v10, v14, s[52:53] offset:896
.LBB371_16:
	s_or_b64 exec, exec, s[0:1]
	v_or_b32_e32 v1, 0x200, v0
	v_cmp_gt_u32_e64 s[14:15], s54, v1
	v_mov_b32_e32 v11, v2
	s_and_saveexec_b64 s[0:1], s[14:15]
	s_cbranch_execz .LBB371_18
; %bb.17:
	global_load_ushort v11, v14, s[52:53] offset:1024
.LBB371_18:
	s_or_b64 exec, exec, s[0:1]
	v_or_b32_e32 v1, 0x240, v0
	v_cmp_gt_u32_e64 s[16:17], s54, v1
	v_mov_b32_e32 v12, v2
	s_and_saveexec_b64 s[0:1], s[16:17]
	s_cbranch_execz .LBB371_20
; %bb.19:
	global_load_ushort v12, v14, s[52:53] offset:1152
.LBB371_20:
	s_or_b64 exec, exec, s[0:1]
	v_or_b32_e32 v1, 0x280, v0
	v_cmp_gt_u32_e64 s[18:19], s54, v1
	v_mov_b32_e32 v13, v2
	s_and_saveexec_b64 s[0:1], s[18:19]
	s_cbranch_execz .LBB371_22
; %bb.21:
	global_load_ushort v13, v14, s[52:53] offset:1280
.LBB371_22:
	s_or_b64 exec, exec, s[0:1]
	v_or_b32_e32 v1, 0x2c0, v0
	v_cmp_gt_u32_e64 s[20:21], s54, v1
	v_mov_b32_e32 v15, v2
	s_and_saveexec_b64 s[0:1], s[20:21]
	s_cbranch_execz .LBB371_24
; %bb.23:
	global_load_ushort v15, v14, s[52:53] offset:1408
.LBB371_24:
	s_or_b64 exec, exec, s[0:1]
	v_or_b32_e32 v1, 0x300, v0
	v_cmp_gt_u32_e64 s[22:23], s54, v1
	v_mov_b32_e32 v16, v2
	s_and_saveexec_b64 s[0:1], s[22:23]
	s_cbranch_execz .LBB371_26
; %bb.25:
	global_load_ushort v16, v14, s[52:53] offset:1536
.LBB371_26:
	s_or_b64 exec, exec, s[0:1]
	v_or_b32_e32 v1, 0x340, v0
	v_cmp_gt_u32_e64 s[24:25], s54, v1
	v_mov_b32_e32 v17, v2
	s_and_saveexec_b64 s[0:1], s[24:25]
	s_cbranch_execz .LBB371_28
; %bb.27:
	global_load_ushort v17, v14, s[52:53] offset:1664
.LBB371_28:
	s_or_b64 exec, exec, s[0:1]
	v_or_b32_e32 v1, 0x380, v0
	v_cmp_gt_u32_e64 s[26:27], s54, v1
	v_mov_b32_e32 v18, v2
	s_and_saveexec_b64 s[0:1], s[26:27]
	s_cbranch_execz .LBB371_30
; %bb.29:
	global_load_ushort v18, v14, s[52:53] offset:1792
.LBB371_30:
	s_or_b64 exec, exec, s[0:1]
	v_or_b32_e32 v1, 0x3c0, v0
	v_cmp_gt_u32_e64 s[28:29], s54, v1
	v_mov_b32_e32 v19, v2
	s_and_saveexec_b64 s[0:1], s[28:29]
	s_cbranch_execz .LBB371_32
; %bb.31:
	global_load_ushort v19, v14, s[52:53] offset:1920
.LBB371_32:
	s_or_b64 exec, exec, s[0:1]
	v_or_b32_e32 v1, 0x400, v0
	v_cmp_gt_u32_e64 s[30:31], s54, v1
	v_mov_b32_e32 v20, v2
	s_and_saveexec_b64 s[0:1], s[30:31]
	s_cbranch_execz .LBB371_34
; %bb.33:
	global_load_ushort v20, v14, s[52:53] offset:2048
.LBB371_34:
	s_or_b64 exec, exec, s[0:1]
	v_or_b32_e32 v1, 0x440, v0
	v_cmp_gt_u32_e64 s[34:35], s54, v1
	v_mov_b32_e32 v21, v2
	s_and_saveexec_b64 s[0:1], s[34:35]
	s_cbranch_execz .LBB371_36
; %bb.35:
	global_load_ushort v21, v14, s[52:53] offset:2176
.LBB371_36:
	s_or_b64 exec, exec, s[0:1]
	v_or_b32_e32 v1, 0x480, v0
	v_cmp_gt_u32_e64 s[36:37], s54, v1
	v_mov_b32_e32 v22, v2
	s_and_saveexec_b64 s[0:1], s[36:37]
	s_cbranch_execz .LBB371_38
; %bb.37:
	global_load_ushort v22, v14, s[52:53] offset:2304
.LBB371_38:
	s_or_b64 exec, exec, s[0:1]
	v_or_b32_e32 v1, 0x4c0, v0
	v_cmp_gt_u32_e64 s[38:39], s54, v1
	v_mov_b32_e32 v23, v2
	s_and_saveexec_b64 s[0:1], s[38:39]
	s_cbranch_execz .LBB371_40
; %bb.39:
	global_load_ushort v23, v14, s[52:53] offset:2432
.LBB371_40:
	s_or_b64 exec, exec, s[0:1]
	v_or_b32_e32 v1, 0x500, v0
	v_cmp_gt_u32_e64 s[40:41], s54, v1
	v_mov_b32_e32 v24, v2
	s_and_saveexec_b64 s[0:1], s[40:41]
	s_cbranch_execz .LBB371_42
; %bb.41:
	global_load_ushort v24, v14, s[52:53] offset:2560
.LBB371_42:
	s_or_b64 exec, exec, s[0:1]
	v_or_b32_e32 v1, 0x540, v0
	v_cmp_gt_u32_e64 s[42:43], s54, v1
	v_mov_b32_e32 v25, v2
	s_and_saveexec_b64 s[0:1], s[42:43]
	s_cbranch_execz .LBB371_44
; %bb.43:
	global_load_ushort v25, v14, s[52:53] offset:2688
.LBB371_44:
	s_or_b64 exec, exec, s[0:1]
	v_or_b32_e32 v1, 0x580, v0
	v_cmp_gt_u32_e64 s[44:45], s54, v1
	v_mov_b32_e32 v26, v2
	s_and_saveexec_b64 s[0:1], s[44:45]
	s_cbranch_execz .LBB371_46
; %bb.45:
	global_load_ushort v26, v14, s[52:53] offset:2816
.LBB371_46:
	s_or_b64 exec, exec, s[0:1]
	v_or_b32_e32 v1, 0x5c0, v0
	v_cmp_gt_u32_e64 s[0:1], s54, v1
	v_writelane_b32 v51, s0, 6
	v_cmp_le_u32_e64 s[48:49], s54, v1
	v_writelane_b32 v51, s1, 7
	s_and_saveexec_b64 s[0:1], s[48:49]
	s_xor_b64 s[0:1], exec, s[0:1]
; %bb.47:
	v_mov_b32_e32 v1, 0
; %bb.48:
	s_andn2_saveexec_b64 s[0:1], s[0:1]
	s_cbranch_execz .LBB371_50
; %bb.49:
	global_load_ushort v2, v14, s[52:53] offset:2944
	v_mov_b32_e32 v1, 0
.LBB371_50:
	s_or_b64 exec, exec, s[0:1]
	s_waitcnt vmcnt(0)
	ds_write_b16 v14, v3
	ds_write_b16 v14, v4 offset:128
	ds_write_b16 v14, v5 offset:256
	;; [unrolled: 1-line block ×23, first 2 shown]
	v_mad_u32_u24 v6, v0, 46, v14
	s_waitcnt lgkmcnt(0)
	; wave barrier
	s_waitcnt lgkmcnt(0)
	ds_read_b128 v[2:5], v6
	ds_read_b128 v[10:13], v6 offset:16
	ds_read_b128 v[6:9], v6 offset:32
	s_movk_i32 s33, 0x1f8
	s_waitcnt lgkmcnt(0)
	v_cvt_f32_f16_e32 v15, v2
	v_cvt_f32_f16_sdwa v16, v2 dst_sel:DWORD dst_unused:UNUSED_PAD src0_sel:WORD_1
	v_cmp_u_f16_e64 s[94:95], v2, v2
	v_cmp_u_f16_sdwa s[48:49], v2, v2 src0_sel:WORD_1 src1_sel:WORD_1
	v_mov_b32_e32 v33, v15
	v_min_f32_e32 v29, v15, v16
	v_cndmask_b32_e64 v17, v29, v15, s[94:95]
	v_max_f32_e32 v30, v15, v16
	v_cndmask_b32_e64 v18, v17, v16, s[48:49]
	v_cndmask_b32_e64 v17, v30, v15, s[94:95]
	;; [unrolled: 1-line block ×3, first 2 shown]
	v_cmp_neq_f32_e64 s[50:51], v18, v17
	v_cmp_class_f32_e64 s[0:1], v18, s33
	s_or_b64 s[50:51], s[50:51], s[0:1]
	v_mov_b32_e32 v31, v2
	v_mov_b32_e32 v32, v2
	; wave barrier
	s_and_saveexec_b64 s[0:1], s[50:51]
	s_cbranch_execz .LBB371_52
; %bb.51:
	v_sub_f32_e32 v18, v18, v17
	s_mov_b32 s2, 0x3fb8aa3b
	v_mul_f32_e32 v19, 0x3fb8aa3b, v18
	v_fma_f32 v20, v18, s2, -v19
	v_rndne_f32_e32 v21, v19
	v_fmac_f32_e32 v20, 0x32a5705f, v18
	v_sub_f32_e32 v19, v19, v21
	v_add_f32_e32 v19, v19, v20
	v_exp_f32_e32 v19, v19
	v_cvt_i32_f32_e32 v20, v21
	s_mov_b32 s2, 0xc2ce8ed0
	v_cmp_ngt_f32_e64 s[50:51], s2, v18
	s_mov_b32 s2, 0x42b17218
	v_ldexp_f32 v19, v19, v20
	v_cndmask_b32_e64 v19, 0, v19, s[50:51]
	v_mov_b32_e32 v20, 0x7f800000
	v_cmp_nlt_f32_e64 s[50:51], s2, v18
	v_cndmask_b32_e64 v28, v20, v19, s[50:51]
	v_add_f32_e32 v20, 1.0, v28
	v_add_f32_e32 v18, -1.0, v20
	v_sub_f32_e32 v19, v18, v20
	v_add_f32_e32 v19, 1.0, v19
	v_sub_f32_e32 v18, v28, v18
	v_add_f32_e32 v21, v18, v19
	v_frexp_mant_f32_e32 v22, v20
	s_mov_b32 s2, 0x3f2aaaab
	v_cvt_f64_f32_e32 v[18:19], v20
	v_frexp_exp_i32_f64_e32 v18, v[18:19]
	v_cmp_gt_f32_e64 s[50:51], s2, v22
	v_subbrev_co_u32_e64 v26, s[50:51], 0, v18, s[50:51]
	v_sub_u32_e32 v18, 0, v26
	v_ldexp_f32 v19, v20, v18
	v_add_f32_e32 v20, -1.0, v19
	v_add_f32_e32 v22, 1.0, v19
	v_ldexp_f32 v18, v21, v18
	v_add_f32_e32 v21, 1.0, v20
	v_add_f32_e32 v23, -1.0, v22
	v_sub_f32_e32 v21, v19, v21
	v_sub_f32_e32 v19, v19, v23
	v_add_f32_e32 v21, v18, v21
	v_add_f32_e32 v18, v18, v19
	;; [unrolled: 1-line block ×3, first 2 shown]
	v_rcp_f32_e32 v32, v27
	v_sub_f32_e32 v19, v22, v27
	v_add_f32_e32 v31, v18, v19
	v_add_f32_e32 v19, v20, v21
	v_mul_f32_e32 v34, v19, v32
	v_sub_f32_e32 v18, v20, v19
	v_mul_f32_e32 v20, v27, v34
	v_fma_f32 v22, v34, v27, -v20
	v_fmac_f32_e32 v22, v34, v31
	v_add_f32_e32 v33, v21, v18
	v_add_f32_e32 v18, v20, v22
	v_sub_f32_e32 v21, v19, v18
	v_pk_add_f32 v[24:25], v[18:19], v[20:21] neg_lo:[0,1] neg_hi:[0,1]
	v_mov_b32_e32 v23, v18
	v_pk_add_f32 v[18:19], v[24:25], v[22:23] neg_lo:[0,1] neg_hi:[0,1]
	v_add_f32_e32 v19, v33, v19
	v_add_f32_e32 v18, v18, v19
	;; [unrolled: 1-line block ×3, first 2 shown]
	v_mul_f32_e32 v33, v32, v19
	v_mul_f32_e32 v20, v27, v33
	v_fma_f32 v22, v33, v27, -v20
	v_fmac_f32_e32 v22, v33, v31
	v_sub_f32_e32 v21, v21, v19
	v_add_f32_e32 v27, v18, v21
	v_add_f32_e32 v18, v20, v22
	v_sub_f32_e32 v21, v19, v18
	v_pk_add_f32 v[24:25], v[18:19], v[20:21] neg_lo:[0,1] neg_hi:[0,1]
	v_mov_b32_e32 v23, v18
	v_pk_add_f32 v[18:19], v[24:25], v[22:23] neg_lo:[0,1] neg_hi:[0,1]
	v_add_f32_e32 v19, v27, v19
	v_add_f32_e32 v18, v18, v19
	;; [unrolled: 1-line block ×4, first 2 shown]
	v_sub_f32_e32 v19, v21, v34
	v_mul_f32_e32 v18, v32, v18
	v_sub_f32_e32 v19, v33, v19
	v_add_f32_e32 v18, v19, v18
	v_add_f32_e32 v22, v21, v18
	v_mul_f32_e32 v24, v22, v22
	v_mov_b32_e32 v20, 0x3ecc95a3
	v_fmac_f32_e32 v20, 0x3e9b6dac, v24
	v_mov_b32_e32 v19, 0x3f2aaada
	v_fmac_f32_e32 v19, v24, v20
	v_cvt_f32_i32_e32 v20, v26
	v_sub_f32_e32 v21, v22, v21
	v_sub_f32_e32 v18, v18, v21
	v_ldexp_f32 v25, v18, 1
	v_mul_f32_e32 v21, v22, v24
	v_mov_b32_e32 v18, 0x3f317218
	s_mov_b32 s2, 0x3f317218
	v_pk_mul_f32 v[18:19], v[20:21], v[18:19]
	v_ldexp_f32 v23, v22, 1
	v_fma_f32 v22, v20, s2, -v18
	v_fmac_f32_e32 v22, 0xb102e308, v20
	v_pk_add_f32 v[20:21], v[18:19], v[22:23]
	v_sub_f32_e32 v23, v21, v23
	v_sub_f32_e32 v23, v19, v23
	v_add_f32_e32 v25, v25, v23
	v_mov_b32_e32 v24, v18
	v_pk_add_f32 v[18:19], v[20:21], v[18:19] neg_lo:[0,1] neg_hi:[0,1]
	v_pk_add_f32 v[26:27], v[20:21], v[24:25]
	v_mov_b32_e32 v19, v27
	v_mov_b32_e32 v23, v20
	v_pk_add_f32 v[32:33], v[22:23], v[18:19] neg_lo:[0,1] neg_hi:[0,1]
	v_pk_add_f32 v[18:19], v[22:23], v[18:19]
	v_mov_b32_e32 v22, v19
	v_pk_add_f32 v[34:35], v[22:23], v[20:21] neg_lo:[0,1] neg_hi:[0,1]
	v_mov_b32_e32 v23, v34
	v_pk_add_f32 v[36:37], v[26:27], v[22:23] neg_lo:[0,1] neg_hi:[0,1]
	v_mov_b32_e32 v18, v27
	v_mov_b32_e32 v26, v21
	;; [unrolled: 1-line block ×4, first 2 shown]
	v_pk_add_f32 v[18:19], v[18:19], v[26:27] neg_lo:[0,1] neg_hi:[0,1]
	v_mov_b32_e32 v24, v25
	v_mov_b32_e32 v25, v20
	v_pk_add_f32 v[18:19], v[24:25], v[18:19] neg_lo:[0,1] neg_hi:[0,1]
	v_mov_b32_e32 v36, v32
	v_pk_add_f32 v[20:21], v[36:37], v[18:19]
	v_mov_b32_e32 v24, v21
	v_pk_add_f32 v[24:25], v[20:21], v[24:25]
	v_pk_add_f32 v[22:23], v[22:23], v[24:25]
	v_mov_b32_e32 v21, v22
	v_pk_add_f32 v[26:27], v[20:21], v[32:33] neg_lo:[0,1] neg_hi:[0,1]
	v_mov_b32_e32 v19, v24
	v_sub_f32_e32 v20, v20, v26
	v_pk_add_f32 v[18:19], v[18:19], v[26:27] neg_lo:[0,1] neg_hi:[0,1]
	v_sub_f32_e32 v20, v32, v20
	s_mov_b32 s3, 0x7f800000
	v_add_f32_e32 v18, v18, v20
	s_mov_b32 s2, 0x33800000
	v_add_f32_e32 v18, v18, v19
	v_cmp_eq_f32_e64 s[50:51], s3, v28
	v_cmp_lt_f32_e64 s[52:53], |v28|, s2
	v_add_f32_e32 v18, v22, v18
	s_or_b64 s[50:51], s[50:51], s[52:53]
	v_cndmask_b32_e64 v18, v18, v28, s[50:51]
	v_add_f32_e32 v17, v17, v18
	v_cvt_f16_f32_e32 v31, v17
	v_cvt_f32_f16_e32 v33, v31
	v_mov_b32_e32 v32, v31
.LBB371_52:
	s_or_b64 exec, exec, s[0:1]
	v_cvt_f32_f16_e32 v17, v3
	v_max_f32_e32 v18, v33, v33
	v_cmp_u_f16_e64 s[52:53], v31, v31
	v_cmp_u_f16_e64 s[50:51], v3, v3
	v_min_f32_e32 v19, v18, v17
	v_max_f32_e32 v18, v18, v17
	v_cndmask_b32_e64 v19, v19, v33, s[52:53]
	v_cndmask_b32_e64 v18, v18, v33, s[52:53]
	;; [unrolled: 1-line block ×4, first 2 shown]
	v_cmp_neq_f32_e64 s[52:53], v19, v18
	v_cmp_class_f32_e64 s[0:1], v19, s33
	s_or_b64 s[52:53], s[52:53], s[0:1]
	s_and_saveexec_b64 s[0:1], s[52:53]
	s_cbranch_execz .LBB371_54
; %bb.53:
	v_sub_f32_e32 v19, v19, v18
	s_mov_b32 s2, 0x3fb8aa3b
	v_mul_f32_e32 v20, 0x3fb8aa3b, v19
	v_fma_f32 v21, v19, s2, -v20
	v_rndne_f32_e32 v22, v20
	v_fmac_f32_e32 v21, 0x32a5705f, v19
	v_sub_f32_e32 v20, v20, v22
	v_add_f32_e32 v20, v20, v21
	v_exp_f32_e32 v20, v20
	v_cvt_i32_f32_e32 v21, v22
	s_mov_b32 s2, 0xc2ce8ed0
	v_cmp_ngt_f32_e64 s[52:53], s2, v19
	s_mov_b32 s2, 0x42b17218
	v_ldexp_f32 v20, v20, v21
	v_cndmask_b32_e64 v20, 0, v20, s[52:53]
	v_mov_b32_e32 v21, 0x7f800000
	v_cmp_nlt_f32_e64 s[52:53], s2, v19
	v_cndmask_b32_e64 v28, v21, v20, s[52:53]
	v_add_f32_e32 v19, 1.0, v28
	v_add_f32_e32 v20, -1.0, v19
	v_sub_f32_e32 v21, v20, v19
	v_add_f32_e32 v21, 1.0, v21
	v_sub_f32_e32 v20, v28, v20
	v_add_f32_e32 v22, v20, v21
	v_frexp_mant_f32_e32 v23, v19
	s_mov_b32 s2, 0x3f2aaaab
	v_cvt_f64_f32_e32 v[20:21], v19
	v_frexp_exp_i32_f64_e32 v20, v[20:21]
	v_cmp_gt_f32_e64 s[52:53], s2, v23
	v_subbrev_co_u32_e64 v31, s[52:53], 0, v20, s[52:53]
	v_sub_u32_e32 v20, 0, v31
	v_ldexp_f32 v19, v19, v20
	v_ldexp_f32 v20, v22, v20
	v_add_f32_e32 v22, -1.0, v19
	v_add_f32_e32 v21, 1.0, v22
	v_sub_f32_e32 v21, v19, v21
	v_add_f32_e32 v23, v20, v21
	v_add_f32_e32 v21, 1.0, v19
	v_add_f32_e32 v24, -1.0, v21
	v_sub_f32_e32 v19, v19, v24
	v_add_f32_e32 v19, v20, v19
	v_add_f32_e32 v32, v21, v19
	v_rcp_f32_e32 v33, v32
	v_sub_f32_e32 v20, v21, v32
	v_add_f32_e32 v21, v22, v23
	v_add_f32_e32 v19, v19, v20
	v_mul_f32_e32 v35, v21, v33
	v_sub_f32_e32 v20, v22, v21
	v_mul_f32_e32 v22, v32, v35
	v_fma_f32 v24, v35, v32, -v22
	v_fmac_f32_e32 v24, v35, v19
	v_add_f32_e32 v34, v23, v20
	v_add_f32_e32 v20, v22, v24
	v_sub_f32_e32 v23, v21, v20
	v_pk_add_f32 v[26:27], v[20:21], v[22:23] neg_lo:[0,1] neg_hi:[0,1]
	v_mov_b32_e32 v25, v20
	v_pk_add_f32 v[20:21], v[26:27], v[24:25] neg_lo:[0,1] neg_hi:[0,1]
	v_add_f32_e32 v21, v34, v21
	v_add_f32_e32 v20, v20, v21
	v_add_f32_e32 v21, v23, v20
	v_mul_f32_e32 v34, v33, v21
	v_mul_f32_e32 v22, v32, v34
	v_fma_f32 v24, v34, v32, -v22
	v_fmac_f32_e32 v24, v34, v19
	v_sub_f32_e32 v19, v23, v21
	v_add_f32_e32 v19, v20, v19
	v_add_f32_e32 v20, v22, v24
	v_sub_f32_e32 v23, v21, v20
	v_pk_add_f32 v[26:27], v[20:21], v[22:23] neg_lo:[0,1] neg_hi:[0,1]
	v_mov_b32_e32 v25, v20
	v_pk_add_f32 v[20:21], v[26:27], v[24:25] neg_lo:[0,1] neg_hi:[0,1]
	v_add_f32_e32 v19, v19, v21
	v_add_f32_e32 v19, v20, v19
	;; [unrolled: 1-line block ×4, first 2 shown]
	v_sub_f32_e32 v21, v20, v35
	v_mul_f32_e32 v19, v33, v19
	v_sub_f32_e32 v21, v34, v21
	v_add_f32_e32 v19, v21, v19
	v_add_f32_e32 v23, v20, v19
	v_mul_f32_e32 v24, v23, v23
	v_mov_b32_e32 v22, 0x3ecc95a3
	v_fmac_f32_e32 v22, 0x3e9b6dac, v24
	v_mov_b32_e32 v21, 0x3f2aaada
	v_fmac_f32_e32 v21, v24, v22
	v_cvt_f32_i32_e32 v22, v31
	v_sub_f32_e32 v20, v23, v20
	v_sub_f32_e32 v19, v19, v20
	v_ldexp_f32 v25, v23, 1
	v_mul_f32_e32 v23, v23, v24
	v_mov_b32_e32 v20, 0x3f317218
	s_mov_b32 s2, 0x3f317218
	v_pk_mul_f32 v[20:21], v[22:23], v[20:21]
	v_fma_f32 v24, v22, s2, -v20
	v_fmac_f32_e32 v24, 0xb102e308, v22
	v_pk_add_f32 v[22:23], v[20:21], v[24:25]
	v_sub_f32_e32 v25, v23, v25
	v_ldexp_f32 v19, v19, 1
	v_sub_f32_e32 v25, v21, v25
	v_add_f32_e32 v27, v19, v25
	v_mov_b32_e32 v26, v20
	v_pk_add_f32 v[20:21], v[22:23], v[20:21] neg_lo:[0,1] neg_hi:[0,1]
	v_pk_add_f32 v[32:33], v[22:23], v[26:27]
	v_mov_b32_e32 v21, v33
	v_mov_b32_e32 v25, v22
	v_pk_add_f32 v[34:35], v[24:25], v[20:21] neg_lo:[0,1] neg_hi:[0,1]
	v_pk_add_f32 v[20:21], v[24:25], v[20:21]
	v_mov_b32_e32 v24, v21
	v_pk_add_f32 v[36:37], v[24:25], v[22:23] neg_lo:[0,1] neg_hi:[0,1]
	v_mov_b32_e32 v19, v36
	v_pk_add_f32 v[38:39], v[32:33], v[18:19] neg_lo:[0,1] neg_hi:[0,1]
	v_mov_b32_e32 v20, v33
	v_mov_b32_e32 v32, v23
	;; [unrolled: 1-line block ×4, first 2 shown]
	v_pk_add_f32 v[20:21], v[20:21], v[32:33] neg_lo:[0,1] neg_hi:[0,1]
	v_mov_b32_e32 v26, v27
	v_mov_b32_e32 v27, v22
	v_pk_add_f32 v[20:21], v[26:27], v[20:21] neg_lo:[0,1] neg_hi:[0,1]
	v_mov_b32_e32 v38, v34
	v_pk_add_f32 v[22:23], v[38:39], v[20:21]
	v_mov_b32_e32 v26, v23
	v_pk_add_f32 v[26:27], v[22:23], v[26:27]
	v_pk_add_f32 v[24:25], v[24:25], v[26:27]
	v_mov_b32_e32 v23, v24
	v_pk_add_f32 v[32:33], v[22:23], v[34:35] neg_lo:[0,1] neg_hi:[0,1]
	v_mov_b32_e32 v21, v26
	v_sub_f32_e32 v19, v22, v32
	v_pk_add_f32 v[20:21], v[20:21], v[32:33] neg_lo:[0,1] neg_hi:[0,1]
	v_sub_f32_e32 v19, v34, v19
	s_mov_b32 s3, 0x7f800000
	v_add_f32_e32 v19, v20, v19
	s_mov_b32 s2, 0x33800000
	v_add_f32_e32 v19, v19, v21
	v_cmp_eq_f32_e64 s[52:53], s3, v28
	v_cmp_lt_f32_e64 s[54:55], |v28|, s2
	v_add_f32_e32 v19, v24, v19
	s_or_b64 s[52:53], s[52:53], s[54:55]
	v_cndmask_b32_e64 v19, v19, v28, s[52:53]
	v_add_f32_e32 v18, v18, v19
	v_cvt_f16_f32_e32 v31, v18
	v_cvt_f32_f16_e32 v33, v31
	v_mov_b32_e32 v32, v31
.LBB371_54:
	s_or_b64 exec, exec, s[0:1]
	v_cvt_f32_f16_sdwa v18, v3 dst_sel:DWORD dst_unused:UNUSED_PAD src0_sel:WORD_1
	v_max_f32_e32 v20, v33, v33
	v_cmp_u_f16_e64 s[54:55], v31, v31
	v_cmp_u_f16_sdwa s[52:53], v3, v3 src0_sel:WORD_1 src1_sel:WORD_1
	v_min_f32_e32 v19, v20, v18
	v_max_f32_e32 v3, v20, v18
	v_cndmask_b32_e64 v19, v19, v33, s[54:55]
	v_cndmask_b32_e64 v3, v3, v33, s[54:55]
	;; [unrolled: 1-line block ×4, first 2 shown]
	v_cmp_neq_f32_e64 s[54:55], v19, v3
	v_cmp_class_f32_e64 s[0:1], v19, s33
	s_or_b64 s[54:55], s[54:55], s[0:1]
	s_and_saveexec_b64 s[0:1], s[54:55]
	s_cbranch_execz .LBB371_56
; %bb.55:
	v_sub_f32_e32 v19, v19, v3
	s_mov_b32 s2, 0x3fb8aa3b
	v_mul_f32_e32 v20, 0x3fb8aa3b, v19
	v_fma_f32 v21, v19, s2, -v20
	v_rndne_f32_e32 v22, v20
	v_fmac_f32_e32 v21, 0x32a5705f, v19
	v_sub_f32_e32 v20, v20, v22
	v_add_f32_e32 v20, v20, v21
	v_exp_f32_e32 v20, v20
	v_cvt_i32_f32_e32 v21, v22
	s_mov_b32 s2, 0xc2ce8ed0
	v_cmp_ngt_f32_e64 s[54:55], s2, v19
	s_mov_b32 s2, 0x42b17218
	v_ldexp_f32 v20, v20, v21
	v_cndmask_b32_e64 v20, 0, v20, s[54:55]
	v_mov_b32_e32 v21, 0x7f800000
	v_cmp_nlt_f32_e64 s[54:55], s2, v19
	v_cndmask_b32_e64 v28, v21, v20, s[54:55]
	v_add_f32_e32 v19, 1.0, v28
	v_add_f32_e32 v20, -1.0, v19
	v_sub_f32_e32 v21, v20, v19
	v_add_f32_e32 v21, 1.0, v21
	v_sub_f32_e32 v20, v28, v20
	v_add_f32_e32 v22, v20, v21
	v_frexp_mant_f32_e32 v23, v19
	s_mov_b32 s2, 0x3f2aaaab
	v_cvt_f64_f32_e32 v[20:21], v19
	v_frexp_exp_i32_f64_e32 v20, v[20:21]
	v_cmp_gt_f32_e64 s[54:55], s2, v23
	v_subbrev_co_u32_e64 v31, s[54:55], 0, v20, s[54:55]
	v_sub_u32_e32 v20, 0, v31
	v_ldexp_f32 v19, v19, v20
	v_ldexp_f32 v20, v22, v20
	v_add_f32_e32 v22, -1.0, v19
	v_add_f32_e32 v21, 1.0, v22
	v_sub_f32_e32 v21, v19, v21
	v_add_f32_e32 v23, v20, v21
	v_add_f32_e32 v21, 1.0, v19
	v_add_f32_e32 v24, -1.0, v21
	v_sub_f32_e32 v19, v19, v24
	v_add_f32_e32 v19, v20, v19
	v_add_f32_e32 v32, v21, v19
	v_rcp_f32_e32 v33, v32
	v_sub_f32_e32 v20, v21, v32
	v_add_f32_e32 v21, v22, v23
	v_add_f32_e32 v19, v19, v20
	v_mul_f32_e32 v35, v21, v33
	v_sub_f32_e32 v20, v22, v21
	v_mul_f32_e32 v22, v32, v35
	v_fma_f32 v24, v35, v32, -v22
	v_fmac_f32_e32 v24, v35, v19
	v_add_f32_e32 v34, v23, v20
	v_add_f32_e32 v20, v22, v24
	v_sub_f32_e32 v23, v21, v20
	v_pk_add_f32 v[26:27], v[20:21], v[22:23] neg_lo:[0,1] neg_hi:[0,1]
	v_mov_b32_e32 v25, v20
	v_pk_add_f32 v[20:21], v[26:27], v[24:25] neg_lo:[0,1] neg_hi:[0,1]
	v_add_f32_e32 v21, v34, v21
	v_add_f32_e32 v20, v20, v21
	v_add_f32_e32 v21, v23, v20
	v_mul_f32_e32 v34, v33, v21
	v_mul_f32_e32 v22, v32, v34
	v_fma_f32 v24, v34, v32, -v22
	v_fmac_f32_e32 v24, v34, v19
	v_sub_f32_e32 v19, v23, v21
	v_add_f32_e32 v19, v20, v19
	v_add_f32_e32 v20, v22, v24
	v_sub_f32_e32 v23, v21, v20
	v_pk_add_f32 v[26:27], v[20:21], v[22:23] neg_lo:[0,1] neg_hi:[0,1]
	v_mov_b32_e32 v25, v20
	v_pk_add_f32 v[20:21], v[26:27], v[24:25] neg_lo:[0,1] neg_hi:[0,1]
	v_add_f32_e32 v19, v19, v21
	v_add_f32_e32 v19, v20, v19
	;; [unrolled: 1-line block ×4, first 2 shown]
	v_sub_f32_e32 v21, v20, v35
	v_mul_f32_e32 v19, v33, v19
	v_sub_f32_e32 v21, v34, v21
	v_add_f32_e32 v19, v21, v19
	v_add_f32_e32 v23, v20, v19
	v_mul_f32_e32 v24, v23, v23
	v_mov_b32_e32 v22, 0x3ecc95a3
	v_fmac_f32_e32 v22, 0x3e9b6dac, v24
	v_mov_b32_e32 v21, 0x3f2aaada
	v_fmac_f32_e32 v21, v24, v22
	v_cvt_f32_i32_e32 v22, v31
	v_sub_f32_e32 v20, v23, v20
	v_sub_f32_e32 v19, v19, v20
	v_ldexp_f32 v25, v23, 1
	v_mul_f32_e32 v23, v23, v24
	v_mov_b32_e32 v20, 0x3f317218
	s_mov_b32 s2, 0x3f317218
	v_pk_mul_f32 v[20:21], v[22:23], v[20:21]
	v_fma_f32 v24, v22, s2, -v20
	v_fmac_f32_e32 v24, 0xb102e308, v22
	v_pk_add_f32 v[22:23], v[20:21], v[24:25]
	v_sub_f32_e32 v25, v23, v25
	v_ldexp_f32 v19, v19, 1
	v_sub_f32_e32 v25, v21, v25
	v_add_f32_e32 v27, v19, v25
	v_mov_b32_e32 v26, v20
	v_pk_add_f32 v[20:21], v[22:23], v[20:21] neg_lo:[0,1] neg_hi:[0,1]
	v_pk_add_f32 v[32:33], v[22:23], v[26:27]
	v_mov_b32_e32 v21, v33
	v_mov_b32_e32 v25, v22
	v_pk_add_f32 v[34:35], v[24:25], v[20:21] neg_lo:[0,1] neg_hi:[0,1]
	v_pk_add_f32 v[20:21], v[24:25], v[20:21]
	v_mov_b32_e32 v24, v21
	v_pk_add_f32 v[36:37], v[24:25], v[22:23] neg_lo:[0,1] neg_hi:[0,1]
	v_mov_b32_e32 v19, v36
	v_pk_add_f32 v[38:39], v[32:33], v[18:19] neg_lo:[0,1] neg_hi:[0,1]
	v_mov_b32_e32 v20, v33
	v_mov_b32_e32 v32, v23
	;; [unrolled: 1-line block ×4, first 2 shown]
	v_pk_add_f32 v[20:21], v[20:21], v[32:33] neg_lo:[0,1] neg_hi:[0,1]
	v_mov_b32_e32 v26, v27
	v_mov_b32_e32 v27, v22
	v_pk_add_f32 v[20:21], v[26:27], v[20:21] neg_lo:[0,1] neg_hi:[0,1]
	v_mov_b32_e32 v38, v34
	v_pk_add_f32 v[22:23], v[38:39], v[20:21]
	v_mov_b32_e32 v26, v23
	v_pk_add_f32 v[26:27], v[22:23], v[26:27]
	v_pk_add_f32 v[24:25], v[24:25], v[26:27]
	v_mov_b32_e32 v23, v24
	v_pk_add_f32 v[32:33], v[22:23], v[34:35] neg_lo:[0,1] neg_hi:[0,1]
	v_mov_b32_e32 v21, v26
	v_sub_f32_e32 v19, v22, v32
	v_pk_add_f32 v[20:21], v[20:21], v[32:33] neg_lo:[0,1] neg_hi:[0,1]
	v_sub_f32_e32 v19, v34, v19
	s_mov_b32 s3, 0x7f800000
	v_add_f32_e32 v19, v20, v19
	s_mov_b32 s2, 0x33800000
	v_add_f32_e32 v19, v19, v21
	v_cmp_eq_f32_e64 s[54:55], s3, v28
	v_cmp_lt_f32_e64 s[56:57], |v28|, s2
	v_add_f32_e32 v19, v24, v19
	s_or_b64 s[54:55], s[54:55], s[56:57]
	v_cndmask_b32_e64 v19, v19, v28, s[54:55]
	v_add_f32_e32 v3, v3, v19
	v_cvt_f16_f32_e32 v31, v3
	v_cvt_f32_f16_e32 v33, v31
	v_mov_b32_e32 v32, v31
.LBB371_56:
	s_or_b64 exec, exec, s[0:1]
	v_cvt_f32_f16_e32 v3, v4
	v_max_f32_e32 v19, v33, v33
	v_cmp_u_f16_e64 s[56:57], v31, v31
	v_cmp_u_f16_e64 s[54:55], v4, v4
	v_min_f32_e32 v20, v19, v3
	v_max_f32_e32 v19, v19, v3
	v_cndmask_b32_e64 v20, v20, v33, s[56:57]
	v_cndmask_b32_e64 v19, v19, v33, s[56:57]
	;; [unrolled: 1-line block ×4, first 2 shown]
	v_cmp_neq_f32_e64 s[56:57], v20, v19
	v_cmp_class_f32_e64 s[0:1], v20, s33
	s_or_b64 s[56:57], s[56:57], s[0:1]
	s_and_saveexec_b64 s[0:1], s[56:57]
	s_cbranch_execz .LBB371_58
; %bb.57:
	v_sub_f32_e32 v20, v20, v19
	s_mov_b32 s2, 0x3fb8aa3b
	v_mul_f32_e32 v21, 0x3fb8aa3b, v20
	v_fma_f32 v22, v20, s2, -v21
	v_rndne_f32_e32 v23, v21
	v_fmac_f32_e32 v22, 0x32a5705f, v20
	v_sub_f32_e32 v21, v21, v23
	v_add_f32_e32 v21, v21, v22
	v_exp_f32_e32 v21, v21
	v_cvt_i32_f32_e32 v22, v23
	s_mov_b32 s2, 0xc2ce8ed0
	v_cmp_ngt_f32_e64 s[56:57], s2, v20
	s_mov_b32 s2, 0x42b17218
	v_ldexp_f32 v21, v21, v22
	v_cndmask_b32_e64 v21, 0, v21, s[56:57]
	v_mov_b32_e32 v22, 0x7f800000
	v_cmp_nlt_f32_e64 s[56:57], s2, v20
	v_cndmask_b32_e64 v28, v22, v21, s[56:57]
	v_add_f32_e32 v22, 1.0, v28
	v_add_f32_e32 v20, -1.0, v22
	v_sub_f32_e32 v21, v20, v22
	v_add_f32_e32 v21, 1.0, v21
	v_sub_f32_e32 v20, v28, v20
	v_add_f32_e32 v23, v20, v21
	v_frexp_mant_f32_e32 v24, v22
	s_mov_b32 s2, 0x3f2aaaab
	v_cvt_f64_f32_e32 v[20:21], v22
	v_frexp_exp_i32_f64_e32 v20, v[20:21]
	v_cmp_gt_f32_e64 s[56:57], s2, v24
	v_subbrev_co_u32_e64 v31, s[56:57], 0, v20, s[56:57]
	v_sub_u32_e32 v20, 0, v31
	v_ldexp_f32 v21, v22, v20
	v_add_f32_e32 v22, -1.0, v21
	v_add_f32_e32 v24, 1.0, v21
	v_ldexp_f32 v20, v23, v20
	v_add_f32_e32 v23, 1.0, v22
	v_add_f32_e32 v25, -1.0, v24
	v_sub_f32_e32 v23, v21, v23
	v_sub_f32_e32 v21, v21, v25
	v_add_f32_e32 v23, v20, v23
	v_add_f32_e32 v20, v20, v21
	;; [unrolled: 1-line block ×3, first 2 shown]
	v_rcp_f32_e32 v34, v32
	v_sub_f32_e32 v21, v24, v32
	v_add_f32_e32 v33, v20, v21
	v_add_f32_e32 v21, v22, v23
	v_mul_f32_e32 v36, v21, v34
	v_sub_f32_e32 v20, v22, v21
	v_mul_f32_e32 v22, v32, v36
	v_fma_f32 v24, v36, v32, -v22
	v_fmac_f32_e32 v24, v36, v33
	v_add_f32_e32 v35, v23, v20
	v_add_f32_e32 v20, v22, v24
	v_sub_f32_e32 v23, v21, v20
	v_pk_add_f32 v[26:27], v[20:21], v[22:23] neg_lo:[0,1] neg_hi:[0,1]
	v_mov_b32_e32 v25, v20
	v_pk_add_f32 v[20:21], v[26:27], v[24:25] neg_lo:[0,1] neg_hi:[0,1]
	v_add_f32_e32 v21, v35, v21
	v_add_f32_e32 v20, v20, v21
	;; [unrolled: 1-line block ×3, first 2 shown]
	v_mul_f32_e32 v35, v34, v21
	v_mul_f32_e32 v22, v32, v35
	v_fma_f32 v24, v35, v32, -v22
	v_fmac_f32_e32 v24, v35, v33
	v_sub_f32_e32 v23, v23, v21
	v_add_f32_e32 v32, v20, v23
	v_add_f32_e32 v20, v22, v24
	v_sub_f32_e32 v23, v21, v20
	v_pk_add_f32 v[26:27], v[20:21], v[22:23] neg_lo:[0,1] neg_hi:[0,1]
	v_mov_b32_e32 v25, v20
	v_pk_add_f32 v[20:21], v[26:27], v[24:25] neg_lo:[0,1] neg_hi:[0,1]
	v_add_f32_e32 v21, v32, v21
	v_add_f32_e32 v20, v20, v21
	;; [unrolled: 1-line block ×4, first 2 shown]
	v_sub_f32_e32 v21, v23, v36
	v_mul_f32_e32 v20, v34, v20
	v_sub_f32_e32 v21, v35, v21
	v_add_f32_e32 v20, v21, v20
	v_add_f32_e32 v24, v23, v20
	v_mul_f32_e32 v26, v24, v24
	v_mov_b32_e32 v22, 0x3ecc95a3
	v_fmac_f32_e32 v22, 0x3e9b6dac, v26
	v_mov_b32_e32 v21, 0x3f2aaada
	v_fmac_f32_e32 v21, v26, v22
	v_cvt_f32_i32_e32 v22, v31
	v_sub_f32_e32 v23, v24, v23
	v_sub_f32_e32 v20, v20, v23
	v_ldexp_f32 v27, v20, 1
	v_mul_f32_e32 v23, v24, v26
	v_mov_b32_e32 v20, 0x3f317218
	s_mov_b32 s2, 0x3f317218
	v_pk_mul_f32 v[20:21], v[22:23], v[20:21]
	v_ldexp_f32 v25, v24, 1
	v_fma_f32 v24, v22, s2, -v20
	v_fmac_f32_e32 v24, 0xb102e308, v22
	v_pk_add_f32 v[22:23], v[20:21], v[24:25]
	v_sub_f32_e32 v25, v23, v25
	v_sub_f32_e32 v25, v21, v25
	v_add_f32_e32 v27, v27, v25
	v_mov_b32_e32 v26, v20
	v_pk_add_f32 v[20:21], v[22:23], v[20:21] neg_lo:[0,1] neg_hi:[0,1]
	v_pk_add_f32 v[32:33], v[22:23], v[26:27]
	v_mov_b32_e32 v21, v33
	v_mov_b32_e32 v25, v22
	v_pk_add_f32 v[34:35], v[24:25], v[20:21] neg_lo:[0,1] neg_hi:[0,1]
	v_pk_add_f32 v[20:21], v[24:25], v[20:21]
	v_mov_b32_e32 v24, v21
	v_pk_add_f32 v[36:37], v[24:25], v[22:23] neg_lo:[0,1] neg_hi:[0,1]
	v_mov_b32_e32 v25, v36
	v_pk_add_f32 v[38:39], v[32:33], v[24:25] neg_lo:[0,1] neg_hi:[0,1]
	v_mov_b32_e32 v20, v33
	v_mov_b32_e32 v32, v23
	;; [unrolled: 1-line block ×4, first 2 shown]
	v_pk_add_f32 v[20:21], v[20:21], v[32:33] neg_lo:[0,1] neg_hi:[0,1]
	v_mov_b32_e32 v26, v27
	v_mov_b32_e32 v27, v22
	v_pk_add_f32 v[20:21], v[26:27], v[20:21] neg_lo:[0,1] neg_hi:[0,1]
	v_mov_b32_e32 v38, v34
	v_pk_add_f32 v[22:23], v[38:39], v[20:21]
	v_mov_b32_e32 v26, v23
	v_pk_add_f32 v[26:27], v[22:23], v[26:27]
	v_pk_add_f32 v[24:25], v[24:25], v[26:27]
	v_mov_b32_e32 v23, v24
	v_pk_add_f32 v[32:33], v[22:23], v[34:35] neg_lo:[0,1] neg_hi:[0,1]
	v_mov_b32_e32 v21, v26
	v_sub_f32_e32 v22, v22, v32
	v_pk_add_f32 v[20:21], v[20:21], v[32:33] neg_lo:[0,1] neg_hi:[0,1]
	v_sub_f32_e32 v22, v34, v22
	s_mov_b32 s3, 0x7f800000
	v_add_f32_e32 v20, v20, v22
	s_mov_b32 s2, 0x33800000
	v_add_f32_e32 v20, v20, v21
	v_cmp_eq_f32_e64 s[56:57], s3, v28
	v_cmp_lt_f32_e64 s[58:59], |v28|, s2
	v_add_f32_e32 v20, v24, v20
	s_or_b64 s[56:57], s[56:57], s[58:59]
	v_cndmask_b32_e64 v20, v20, v28, s[56:57]
	v_add_f32_e32 v19, v19, v20
	v_cvt_f16_f32_e32 v31, v19
	v_cvt_f32_f16_e32 v33, v31
	v_mov_b32_e32 v32, v31
.LBB371_58:
	s_or_b64 exec, exec, s[0:1]
	v_cvt_f32_f16_sdwa v19, v4 dst_sel:DWORD dst_unused:UNUSED_PAD src0_sel:WORD_1
	v_max_f32_e32 v21, v33, v33
	v_cmp_u_f16_e64 s[58:59], v31, v31
	v_cmp_u_f16_sdwa s[56:57], v4, v4 src0_sel:WORD_1 src1_sel:WORD_1
	v_min_f32_e32 v20, v21, v19
	v_max_f32_e32 v4, v21, v19
	v_cndmask_b32_e64 v20, v20, v33, s[58:59]
	v_cndmask_b32_e64 v4, v4, v33, s[58:59]
	;; [unrolled: 1-line block ×4, first 2 shown]
	v_cmp_neq_f32_e64 s[58:59], v20, v4
	v_cmp_class_f32_e64 s[0:1], v20, s33
	s_or_b64 s[58:59], s[58:59], s[0:1]
	s_and_saveexec_b64 s[0:1], s[58:59]
	s_cbranch_execz .LBB371_60
; %bb.59:
	v_sub_f32_e32 v20, v20, v4
	s_mov_b32 s2, 0x3fb8aa3b
	v_mul_f32_e32 v21, 0x3fb8aa3b, v20
	v_fma_f32 v22, v20, s2, -v21
	v_rndne_f32_e32 v23, v21
	v_fmac_f32_e32 v22, 0x32a5705f, v20
	v_sub_f32_e32 v21, v21, v23
	v_add_f32_e32 v21, v21, v22
	v_exp_f32_e32 v21, v21
	v_cvt_i32_f32_e32 v22, v23
	s_mov_b32 s2, 0xc2ce8ed0
	v_cmp_ngt_f32_e64 s[58:59], s2, v20
	s_mov_b32 s2, 0x42b17218
	v_ldexp_f32 v21, v21, v22
	v_cndmask_b32_e64 v21, 0, v21, s[58:59]
	v_mov_b32_e32 v22, 0x7f800000
	v_cmp_nlt_f32_e64 s[58:59], s2, v20
	v_cndmask_b32_e64 v28, v22, v21, s[58:59]
	v_add_f32_e32 v22, 1.0, v28
	v_add_f32_e32 v20, -1.0, v22
	v_sub_f32_e32 v21, v20, v22
	v_add_f32_e32 v21, 1.0, v21
	v_sub_f32_e32 v20, v28, v20
	v_add_f32_e32 v23, v20, v21
	v_frexp_mant_f32_e32 v24, v22
	s_mov_b32 s2, 0x3f2aaaab
	v_cvt_f64_f32_e32 v[20:21], v22
	v_frexp_exp_i32_f64_e32 v20, v[20:21]
	v_cmp_gt_f32_e64 s[58:59], s2, v24
	v_subbrev_co_u32_e64 v31, s[58:59], 0, v20, s[58:59]
	v_sub_u32_e32 v20, 0, v31
	v_ldexp_f32 v21, v22, v20
	v_add_f32_e32 v22, -1.0, v21
	v_add_f32_e32 v24, 1.0, v21
	v_ldexp_f32 v20, v23, v20
	v_add_f32_e32 v23, 1.0, v22
	v_add_f32_e32 v25, -1.0, v24
	v_sub_f32_e32 v23, v21, v23
	v_sub_f32_e32 v21, v21, v25
	v_add_f32_e32 v23, v20, v23
	v_add_f32_e32 v20, v20, v21
	;; [unrolled: 1-line block ×3, first 2 shown]
	v_rcp_f32_e32 v34, v32
	v_sub_f32_e32 v21, v24, v32
	v_add_f32_e32 v33, v20, v21
	v_add_f32_e32 v21, v22, v23
	v_mul_f32_e32 v36, v21, v34
	v_sub_f32_e32 v20, v22, v21
	v_mul_f32_e32 v22, v32, v36
	v_fma_f32 v24, v36, v32, -v22
	v_fmac_f32_e32 v24, v36, v33
	v_add_f32_e32 v35, v23, v20
	v_add_f32_e32 v20, v22, v24
	v_sub_f32_e32 v23, v21, v20
	v_pk_add_f32 v[26:27], v[20:21], v[22:23] neg_lo:[0,1] neg_hi:[0,1]
	v_mov_b32_e32 v25, v20
	v_pk_add_f32 v[20:21], v[26:27], v[24:25] neg_lo:[0,1] neg_hi:[0,1]
	v_add_f32_e32 v21, v35, v21
	v_add_f32_e32 v20, v20, v21
	;; [unrolled: 1-line block ×3, first 2 shown]
	v_mul_f32_e32 v35, v34, v21
	v_mul_f32_e32 v22, v32, v35
	v_fma_f32 v24, v35, v32, -v22
	v_fmac_f32_e32 v24, v35, v33
	v_sub_f32_e32 v23, v23, v21
	v_add_f32_e32 v32, v20, v23
	v_add_f32_e32 v20, v22, v24
	v_sub_f32_e32 v23, v21, v20
	v_pk_add_f32 v[26:27], v[20:21], v[22:23] neg_lo:[0,1] neg_hi:[0,1]
	v_mov_b32_e32 v25, v20
	v_pk_add_f32 v[20:21], v[26:27], v[24:25] neg_lo:[0,1] neg_hi:[0,1]
	v_add_f32_e32 v21, v32, v21
	v_add_f32_e32 v20, v20, v21
	;; [unrolled: 1-line block ×4, first 2 shown]
	v_sub_f32_e32 v21, v23, v36
	v_mul_f32_e32 v20, v34, v20
	v_sub_f32_e32 v21, v35, v21
	v_add_f32_e32 v20, v21, v20
	v_add_f32_e32 v24, v23, v20
	v_mul_f32_e32 v26, v24, v24
	v_mov_b32_e32 v22, 0x3ecc95a3
	v_fmac_f32_e32 v22, 0x3e9b6dac, v26
	v_mov_b32_e32 v21, 0x3f2aaada
	v_fmac_f32_e32 v21, v26, v22
	v_cvt_f32_i32_e32 v22, v31
	v_sub_f32_e32 v23, v24, v23
	v_sub_f32_e32 v20, v20, v23
	v_ldexp_f32 v27, v20, 1
	v_mul_f32_e32 v23, v24, v26
	v_mov_b32_e32 v20, 0x3f317218
	s_mov_b32 s2, 0x3f317218
	v_pk_mul_f32 v[20:21], v[22:23], v[20:21]
	v_ldexp_f32 v25, v24, 1
	v_fma_f32 v24, v22, s2, -v20
	v_fmac_f32_e32 v24, 0xb102e308, v22
	v_pk_add_f32 v[22:23], v[20:21], v[24:25]
	v_sub_f32_e32 v25, v23, v25
	v_sub_f32_e32 v25, v21, v25
	v_add_f32_e32 v27, v27, v25
	v_mov_b32_e32 v26, v20
	v_pk_add_f32 v[20:21], v[22:23], v[20:21] neg_lo:[0,1] neg_hi:[0,1]
	v_pk_add_f32 v[32:33], v[22:23], v[26:27]
	v_mov_b32_e32 v21, v33
	v_mov_b32_e32 v25, v22
	v_pk_add_f32 v[34:35], v[24:25], v[20:21] neg_lo:[0,1] neg_hi:[0,1]
	v_pk_add_f32 v[20:21], v[24:25], v[20:21]
	v_mov_b32_e32 v24, v21
	v_pk_add_f32 v[36:37], v[24:25], v[22:23] neg_lo:[0,1] neg_hi:[0,1]
	v_mov_b32_e32 v25, v36
	v_pk_add_f32 v[38:39], v[32:33], v[24:25] neg_lo:[0,1] neg_hi:[0,1]
	v_mov_b32_e32 v20, v33
	v_mov_b32_e32 v32, v23
	v_mov_b32_e32 v33, v36
	v_mov_b32_e32 v35, v21
	v_pk_add_f32 v[20:21], v[20:21], v[32:33] neg_lo:[0,1] neg_hi:[0,1]
	v_mov_b32_e32 v26, v27
	v_mov_b32_e32 v27, v22
	v_pk_add_f32 v[20:21], v[26:27], v[20:21] neg_lo:[0,1] neg_hi:[0,1]
	v_mov_b32_e32 v38, v34
	v_pk_add_f32 v[22:23], v[38:39], v[20:21]
	v_mov_b32_e32 v26, v23
	v_pk_add_f32 v[26:27], v[22:23], v[26:27]
	v_pk_add_f32 v[24:25], v[24:25], v[26:27]
	v_mov_b32_e32 v23, v24
	v_pk_add_f32 v[32:33], v[22:23], v[34:35] neg_lo:[0,1] neg_hi:[0,1]
	v_mov_b32_e32 v21, v26
	v_sub_f32_e32 v22, v22, v32
	v_pk_add_f32 v[20:21], v[20:21], v[32:33] neg_lo:[0,1] neg_hi:[0,1]
	v_sub_f32_e32 v22, v34, v22
	s_mov_b32 s3, 0x7f800000
	v_add_f32_e32 v20, v20, v22
	s_mov_b32 s2, 0x33800000
	v_add_f32_e32 v20, v20, v21
	v_cmp_eq_f32_e64 s[58:59], s3, v28
	v_cmp_lt_f32_e64 s[60:61], |v28|, s2
	v_add_f32_e32 v20, v24, v20
	s_or_b64 s[58:59], s[58:59], s[60:61]
	v_cndmask_b32_e64 v20, v20, v28, s[58:59]
	v_add_f32_e32 v4, v4, v20
	v_cvt_f16_f32_e32 v31, v4
	v_cvt_f32_f16_e32 v33, v31
	v_mov_b32_e32 v32, v31
.LBB371_60:
	s_or_b64 exec, exec, s[0:1]
	v_cvt_f32_f16_e32 v4, v5
	v_max_f32_e32 v20, v33, v33
	v_cmp_u_f16_e64 s[60:61], v31, v31
	v_cmp_u_f16_e64 s[58:59], v5, v5
	v_min_f32_e32 v21, v20, v4
	v_max_f32_e32 v20, v20, v4
	v_cndmask_b32_e64 v21, v21, v33, s[60:61]
	v_cndmask_b32_e64 v20, v20, v33, s[60:61]
	;; [unrolled: 1-line block ×4, first 2 shown]
	v_cmp_neq_f32_e64 s[60:61], v21, v20
	v_cmp_class_f32_e64 s[0:1], v21, s33
	s_or_b64 s[60:61], s[60:61], s[0:1]
	s_and_saveexec_b64 s[0:1], s[60:61]
	s_cbranch_execz .LBB371_62
; %bb.61:
	v_sub_f32_e32 v21, v21, v20
	s_mov_b32 s2, 0x3fb8aa3b
	v_mul_f32_e32 v22, 0x3fb8aa3b, v21
	v_fma_f32 v23, v21, s2, -v22
	v_rndne_f32_e32 v24, v22
	v_fmac_f32_e32 v23, 0x32a5705f, v21
	v_sub_f32_e32 v22, v22, v24
	v_add_f32_e32 v22, v22, v23
	v_exp_f32_e32 v22, v22
	v_cvt_i32_f32_e32 v23, v24
	s_mov_b32 s2, 0xc2ce8ed0
	v_cmp_ngt_f32_e64 s[60:61], s2, v21
	s_mov_b32 s2, 0x42b17218
	v_ldexp_f32 v22, v22, v23
	v_cndmask_b32_e64 v22, 0, v22, s[60:61]
	v_mov_b32_e32 v23, 0x7f800000
	v_cmp_nlt_f32_e64 s[60:61], s2, v21
	v_cndmask_b32_e64 v31, v23, v22, s[60:61]
	v_add_f32_e32 v21, 1.0, v31
	v_add_f32_e32 v22, -1.0, v21
	v_sub_f32_e32 v23, v22, v21
	v_add_f32_e32 v23, 1.0, v23
	v_sub_f32_e32 v22, v31, v22
	v_add_f32_e32 v24, v22, v23
	v_frexp_mant_f32_e32 v25, v21
	s_mov_b32 s2, 0x3f2aaaab
	v_cvt_f64_f32_e32 v[22:23], v21
	v_frexp_exp_i32_f64_e32 v22, v[22:23]
	v_cmp_gt_f32_e64 s[60:61], s2, v25
	v_subbrev_co_u32_e64 v28, s[60:61], 0, v22, s[60:61]
	v_sub_u32_e32 v22, 0, v28
	v_ldexp_f32 v21, v21, v22
	v_ldexp_f32 v22, v24, v22
	v_add_f32_e32 v24, -1.0, v21
	v_add_f32_e32 v23, 1.0, v24
	v_sub_f32_e32 v23, v21, v23
	v_add_f32_e32 v25, v22, v23
	v_add_f32_e32 v23, 1.0, v21
	v_add_f32_e32 v26, -1.0, v23
	v_sub_f32_e32 v21, v21, v26
	v_add_f32_e32 v21, v22, v21
	v_add_f32_e32 v34, v23, v21
	v_rcp_f32_e32 v35, v34
	v_sub_f32_e32 v22, v23, v34
	v_add_f32_e32 v23, v24, v25
	v_add_f32_e32 v21, v21, v22
	v_mul_f32_e32 v37, v23, v35
	v_sub_f32_e32 v22, v24, v23
	v_mul_f32_e32 v24, v34, v37
	v_fma_f32 v26, v37, v34, -v24
	v_fmac_f32_e32 v26, v37, v21
	v_add_f32_e32 v36, v25, v22
	v_add_f32_e32 v22, v24, v26
	v_sub_f32_e32 v25, v23, v22
	v_pk_add_f32 v[32:33], v[22:23], v[24:25] neg_lo:[0,1] neg_hi:[0,1]
	v_mov_b32_e32 v27, v22
	v_pk_add_f32 v[22:23], v[32:33], v[26:27] neg_lo:[0,1] neg_hi:[0,1]
	v_add_f32_e32 v23, v36, v23
	v_add_f32_e32 v22, v22, v23
	;; [unrolled: 1-line block ×3, first 2 shown]
	v_mul_f32_e32 v36, v35, v23
	v_mul_f32_e32 v24, v34, v36
	v_fma_f32 v26, v36, v34, -v24
	v_fmac_f32_e32 v26, v36, v21
	v_sub_f32_e32 v21, v25, v23
	v_add_f32_e32 v21, v22, v21
	v_add_f32_e32 v22, v24, v26
	v_sub_f32_e32 v25, v23, v22
	v_pk_add_f32 v[32:33], v[22:23], v[24:25] neg_lo:[0,1] neg_hi:[0,1]
	v_mov_b32_e32 v27, v22
	v_pk_add_f32 v[22:23], v[32:33], v[26:27] neg_lo:[0,1] neg_hi:[0,1]
	v_add_f32_e32 v21, v21, v23
	v_add_f32_e32 v21, v22, v21
	;; [unrolled: 1-line block ×4, first 2 shown]
	v_sub_f32_e32 v23, v22, v37
	v_mul_f32_e32 v21, v35, v21
	v_sub_f32_e32 v23, v36, v23
	v_add_f32_e32 v21, v23, v21
	v_add_f32_e32 v25, v22, v21
	v_mul_f32_e32 v26, v25, v25
	v_mov_b32_e32 v24, 0x3ecc95a3
	v_fmac_f32_e32 v24, 0x3e9b6dac, v26
	v_mov_b32_e32 v23, 0x3f2aaada
	v_fmac_f32_e32 v23, v26, v24
	v_cvt_f32_i32_e32 v24, v28
	v_sub_f32_e32 v22, v25, v22
	v_sub_f32_e32 v21, v21, v22
	v_ldexp_f32 v27, v25, 1
	v_mul_f32_e32 v25, v25, v26
	v_mov_b32_e32 v22, 0x3f317218
	s_mov_b32 s2, 0x3f317218
	v_pk_mul_f32 v[22:23], v[24:25], v[22:23]
	v_fma_f32 v26, v24, s2, -v22
	v_fmac_f32_e32 v26, 0xb102e308, v24
	v_pk_add_f32 v[24:25], v[22:23], v[26:27]
	v_sub_f32_e32 v27, v25, v27
	v_ldexp_f32 v21, v21, 1
	v_sub_f32_e32 v27, v23, v27
	v_add_f32_e32 v33, v21, v27
	v_mov_b32_e32 v32, v22
	v_pk_add_f32 v[22:23], v[24:25], v[22:23] neg_lo:[0,1] neg_hi:[0,1]
	v_pk_add_f32 v[34:35], v[24:25], v[32:33]
	v_mov_b32_e32 v23, v35
	v_mov_b32_e32 v27, v24
	v_pk_add_f32 v[36:37], v[26:27], v[22:23] neg_lo:[0,1] neg_hi:[0,1]
	v_pk_add_f32 v[22:23], v[26:27], v[22:23]
	v_mov_b32_e32 v26, v23
	v_pk_add_f32 v[38:39], v[26:27], v[24:25] neg_lo:[0,1] neg_hi:[0,1]
	v_mov_b32_e32 v21, v38
	v_pk_add_f32 v[40:41], v[34:35], v[20:21] neg_lo:[0,1] neg_hi:[0,1]
	v_mov_b32_e32 v22, v35
	v_mov_b32_e32 v34, v25
	;; [unrolled: 1-line block ×4, first 2 shown]
	v_pk_add_f32 v[22:23], v[22:23], v[34:35] neg_lo:[0,1] neg_hi:[0,1]
	v_mov_b32_e32 v32, v33
	v_mov_b32_e32 v33, v24
	v_pk_add_f32 v[22:23], v[32:33], v[22:23] neg_lo:[0,1] neg_hi:[0,1]
	v_mov_b32_e32 v40, v36
	v_pk_add_f32 v[24:25], v[40:41], v[22:23]
	v_mov_b32_e32 v28, v25
	v_pk_add_f32 v[32:33], v[24:25], v[28:29]
	v_pk_add_f32 v[26:27], v[26:27], v[32:33]
	v_mov_b32_e32 v25, v26
	v_pk_add_f32 v[34:35], v[24:25], v[36:37] neg_lo:[0,1] neg_hi:[0,1]
	v_mov_b32_e32 v23, v32
	v_sub_f32_e32 v21, v24, v34
	v_pk_add_f32 v[22:23], v[22:23], v[34:35] neg_lo:[0,1] neg_hi:[0,1]
	v_sub_f32_e32 v21, v36, v21
	s_mov_b32 s3, 0x7f800000
	v_add_f32_e32 v21, v22, v21
	s_mov_b32 s2, 0x33800000
	v_add_f32_e32 v21, v21, v23
	v_cmp_eq_f32_e64 s[60:61], s3, v31
	v_cmp_lt_f32_e64 s[62:63], |v31|, s2
	v_add_f32_e32 v21, v26, v21
	s_or_b64 s[60:61], s[60:61], s[62:63]
	v_cndmask_b32_e64 v21, v21, v31, s[60:61]
	v_add_f32_e32 v20, v20, v21
	v_cvt_f16_f32_e32 v31, v20
	v_cvt_f32_f16_e32 v33, v31
	v_mov_b32_e32 v32, v31
.LBB371_62:
	s_or_b64 exec, exec, s[0:1]
	v_cvt_f32_f16_sdwa v20, v5 dst_sel:DWORD dst_unused:UNUSED_PAD src0_sel:WORD_1
	v_max_f32_e32 v22, v33, v33
	v_cmp_u_f16_e64 s[62:63], v31, v31
	v_cmp_u_f16_sdwa s[60:61], v5, v5 src0_sel:WORD_1 src1_sel:WORD_1
	v_min_f32_e32 v21, v22, v20
	v_max_f32_e32 v5, v22, v20
	v_cndmask_b32_e64 v21, v21, v33, s[62:63]
	v_cndmask_b32_e64 v5, v5, v33, s[62:63]
	;; [unrolled: 1-line block ×4, first 2 shown]
	v_cmp_neq_f32_e64 s[62:63], v21, v5
	v_cmp_class_f32_e64 s[0:1], v21, s33
	s_or_b64 s[62:63], s[62:63], s[0:1]
	s_and_saveexec_b64 s[0:1], s[62:63]
	s_cbranch_execz .LBB371_64
; %bb.63:
	v_sub_f32_e32 v21, v21, v5
	s_mov_b32 s2, 0x3fb8aa3b
	v_mul_f32_e32 v22, 0x3fb8aa3b, v21
	v_fma_f32 v23, v21, s2, -v22
	v_rndne_f32_e32 v24, v22
	v_fmac_f32_e32 v23, 0x32a5705f, v21
	v_sub_f32_e32 v22, v22, v24
	v_add_f32_e32 v22, v22, v23
	v_exp_f32_e32 v22, v22
	v_cvt_i32_f32_e32 v23, v24
	s_mov_b32 s2, 0xc2ce8ed0
	v_cmp_ngt_f32_e64 s[62:63], s2, v21
	s_mov_b32 s2, 0x42b17218
	v_ldexp_f32 v22, v22, v23
	v_cndmask_b32_e64 v22, 0, v22, s[62:63]
	v_mov_b32_e32 v23, 0x7f800000
	v_cmp_nlt_f32_e64 s[62:63], s2, v21
	v_cndmask_b32_e64 v31, v23, v22, s[62:63]
	v_add_f32_e32 v21, 1.0, v31
	v_add_f32_e32 v22, -1.0, v21
	v_sub_f32_e32 v23, v22, v21
	v_add_f32_e32 v23, 1.0, v23
	v_sub_f32_e32 v22, v31, v22
	v_add_f32_e32 v24, v22, v23
	v_frexp_mant_f32_e32 v25, v21
	s_mov_b32 s2, 0x3f2aaaab
	v_cvt_f64_f32_e32 v[22:23], v21
	v_frexp_exp_i32_f64_e32 v22, v[22:23]
	v_cmp_gt_f32_e64 s[62:63], s2, v25
	v_subbrev_co_u32_e64 v28, s[62:63], 0, v22, s[62:63]
	v_sub_u32_e32 v22, 0, v28
	v_ldexp_f32 v21, v21, v22
	v_ldexp_f32 v22, v24, v22
	v_add_f32_e32 v24, -1.0, v21
	v_add_f32_e32 v23, 1.0, v24
	v_sub_f32_e32 v23, v21, v23
	v_add_f32_e32 v25, v22, v23
	v_add_f32_e32 v23, 1.0, v21
	v_add_f32_e32 v26, -1.0, v23
	v_sub_f32_e32 v21, v21, v26
	v_add_f32_e32 v21, v22, v21
	v_add_f32_e32 v34, v23, v21
	v_rcp_f32_e32 v35, v34
	v_sub_f32_e32 v22, v23, v34
	v_add_f32_e32 v23, v24, v25
	v_add_f32_e32 v21, v21, v22
	v_mul_f32_e32 v37, v23, v35
	v_sub_f32_e32 v22, v24, v23
	v_mul_f32_e32 v24, v34, v37
	v_fma_f32 v26, v37, v34, -v24
	v_fmac_f32_e32 v26, v37, v21
	v_add_f32_e32 v36, v25, v22
	v_add_f32_e32 v22, v24, v26
	v_sub_f32_e32 v25, v23, v22
	v_pk_add_f32 v[32:33], v[22:23], v[24:25] neg_lo:[0,1] neg_hi:[0,1]
	v_mov_b32_e32 v27, v22
	v_pk_add_f32 v[22:23], v[32:33], v[26:27] neg_lo:[0,1] neg_hi:[0,1]
	v_add_f32_e32 v23, v36, v23
	v_add_f32_e32 v22, v22, v23
	;; [unrolled: 1-line block ×3, first 2 shown]
	v_mul_f32_e32 v36, v35, v23
	v_mul_f32_e32 v24, v34, v36
	v_fma_f32 v26, v36, v34, -v24
	v_fmac_f32_e32 v26, v36, v21
	v_sub_f32_e32 v21, v25, v23
	v_add_f32_e32 v21, v22, v21
	v_add_f32_e32 v22, v24, v26
	v_sub_f32_e32 v25, v23, v22
	v_pk_add_f32 v[32:33], v[22:23], v[24:25] neg_lo:[0,1] neg_hi:[0,1]
	v_mov_b32_e32 v27, v22
	v_pk_add_f32 v[22:23], v[32:33], v[26:27] neg_lo:[0,1] neg_hi:[0,1]
	v_add_f32_e32 v21, v21, v23
	v_add_f32_e32 v21, v22, v21
	;; [unrolled: 1-line block ×4, first 2 shown]
	v_sub_f32_e32 v23, v22, v37
	v_mul_f32_e32 v21, v35, v21
	v_sub_f32_e32 v23, v36, v23
	v_add_f32_e32 v21, v23, v21
	v_add_f32_e32 v25, v22, v21
	v_mul_f32_e32 v26, v25, v25
	v_mov_b32_e32 v24, 0x3ecc95a3
	v_fmac_f32_e32 v24, 0x3e9b6dac, v26
	v_mov_b32_e32 v23, 0x3f2aaada
	v_fmac_f32_e32 v23, v26, v24
	v_cvt_f32_i32_e32 v24, v28
	v_sub_f32_e32 v22, v25, v22
	v_sub_f32_e32 v21, v21, v22
	v_ldexp_f32 v27, v25, 1
	v_mul_f32_e32 v25, v25, v26
	v_mov_b32_e32 v22, 0x3f317218
	s_mov_b32 s2, 0x3f317218
	v_pk_mul_f32 v[22:23], v[24:25], v[22:23]
	v_fma_f32 v26, v24, s2, -v22
	v_fmac_f32_e32 v26, 0xb102e308, v24
	v_pk_add_f32 v[24:25], v[22:23], v[26:27]
	v_sub_f32_e32 v27, v25, v27
	v_ldexp_f32 v21, v21, 1
	v_sub_f32_e32 v27, v23, v27
	v_add_f32_e32 v33, v21, v27
	v_mov_b32_e32 v32, v22
	v_pk_add_f32 v[22:23], v[24:25], v[22:23] neg_lo:[0,1] neg_hi:[0,1]
	v_pk_add_f32 v[34:35], v[24:25], v[32:33]
	v_mov_b32_e32 v23, v35
	v_mov_b32_e32 v27, v24
	v_pk_add_f32 v[36:37], v[26:27], v[22:23] neg_lo:[0,1] neg_hi:[0,1]
	v_pk_add_f32 v[22:23], v[26:27], v[22:23]
	v_mov_b32_e32 v26, v23
	v_pk_add_f32 v[38:39], v[26:27], v[24:25] neg_lo:[0,1] neg_hi:[0,1]
	v_mov_b32_e32 v21, v38
	v_pk_add_f32 v[40:41], v[34:35], v[20:21] neg_lo:[0,1] neg_hi:[0,1]
	v_mov_b32_e32 v22, v35
	v_mov_b32_e32 v34, v25
	;; [unrolled: 1-line block ×4, first 2 shown]
	v_pk_add_f32 v[22:23], v[22:23], v[34:35] neg_lo:[0,1] neg_hi:[0,1]
	v_mov_b32_e32 v32, v33
	v_mov_b32_e32 v33, v24
	v_pk_add_f32 v[22:23], v[32:33], v[22:23] neg_lo:[0,1] neg_hi:[0,1]
	v_mov_b32_e32 v40, v36
	v_pk_add_f32 v[24:25], v[40:41], v[22:23]
	v_mov_b32_e32 v28, v25
	v_pk_add_f32 v[32:33], v[24:25], v[28:29]
	v_pk_add_f32 v[26:27], v[26:27], v[32:33]
	v_mov_b32_e32 v25, v26
	v_pk_add_f32 v[34:35], v[24:25], v[36:37] neg_lo:[0,1] neg_hi:[0,1]
	v_mov_b32_e32 v23, v32
	v_sub_f32_e32 v21, v24, v34
	v_pk_add_f32 v[22:23], v[22:23], v[34:35] neg_lo:[0,1] neg_hi:[0,1]
	v_sub_f32_e32 v21, v36, v21
	s_mov_b32 s3, 0x7f800000
	v_add_f32_e32 v21, v22, v21
	s_mov_b32 s2, 0x33800000
	v_add_f32_e32 v21, v21, v23
	v_cmp_eq_f32_e64 s[62:63], s3, v31
	v_cmp_lt_f32_e64 s[64:65], |v31|, s2
	v_add_f32_e32 v21, v26, v21
	s_or_b64 s[62:63], s[62:63], s[64:65]
	v_cndmask_b32_e64 v21, v21, v31, s[62:63]
	v_add_f32_e32 v5, v5, v21
	v_cvt_f16_f32_e32 v31, v5
	v_cvt_f32_f16_e32 v33, v31
	v_mov_b32_e32 v32, v31
.LBB371_64:
	s_or_b64 exec, exec, s[0:1]
	v_cvt_f32_f16_e32 v5, v10
	v_max_f32_e32 v21, v33, v33
	v_cmp_u_f16_e64 s[64:65], v31, v31
	v_cmp_u_f16_e64 s[62:63], v10, v10
	v_min_f32_e32 v22, v21, v5
	v_max_f32_e32 v21, v21, v5
	v_cndmask_b32_e64 v22, v22, v33, s[64:65]
	v_cndmask_b32_e64 v21, v21, v33, s[64:65]
	;; [unrolled: 1-line block ×4, first 2 shown]
	v_cmp_neq_f32_e64 s[64:65], v22, v21
	v_cmp_class_f32_e64 s[0:1], v22, s33
	s_or_b64 s[64:65], s[64:65], s[0:1]
	s_and_saveexec_b64 s[0:1], s[64:65]
	s_cbranch_execz .LBB371_66
; %bb.65:
	v_sub_f32_e32 v22, v22, v21
	s_mov_b32 s2, 0x3fb8aa3b
	v_mul_f32_e32 v23, 0x3fb8aa3b, v22
	v_fma_f32 v24, v22, s2, -v23
	v_rndne_f32_e32 v25, v23
	v_fmac_f32_e32 v24, 0x32a5705f, v22
	v_sub_f32_e32 v23, v23, v25
	v_add_f32_e32 v23, v23, v24
	v_exp_f32_e32 v23, v23
	v_cvt_i32_f32_e32 v24, v25
	s_mov_b32 s2, 0xc2ce8ed0
	v_cmp_ngt_f32_e64 s[64:65], s2, v22
	s_mov_b32 s2, 0x42b17218
	v_ldexp_f32 v23, v23, v24
	v_cndmask_b32_e64 v23, 0, v23, s[64:65]
	v_mov_b32_e32 v24, 0x7f800000
	v_cmp_nlt_f32_e64 s[64:65], s2, v22
	v_cndmask_b32_e64 v31, v24, v23, s[64:65]
	v_add_f32_e32 v24, 1.0, v31
	v_add_f32_e32 v22, -1.0, v24
	v_sub_f32_e32 v23, v22, v24
	v_add_f32_e32 v23, 1.0, v23
	v_sub_f32_e32 v22, v31, v22
	v_add_f32_e32 v25, v22, v23
	v_frexp_mant_f32_e32 v26, v24
	s_mov_b32 s2, 0x3f2aaaab
	v_cvt_f64_f32_e32 v[22:23], v24
	v_frexp_exp_i32_f64_e32 v22, v[22:23]
	v_cmp_gt_f32_e64 s[64:65], s2, v26
	v_subbrev_co_u32_e64 v28, s[64:65], 0, v22, s[64:65]
	v_sub_u32_e32 v22, 0, v28
	v_ldexp_f32 v23, v24, v22
	v_add_f32_e32 v24, -1.0, v23
	v_add_f32_e32 v26, 1.0, v23
	v_ldexp_f32 v22, v25, v22
	v_add_f32_e32 v25, 1.0, v24
	v_add_f32_e32 v27, -1.0, v26
	v_sub_f32_e32 v25, v23, v25
	v_sub_f32_e32 v23, v23, v27
	v_add_f32_e32 v25, v22, v25
	v_add_f32_e32 v22, v22, v23
	;; [unrolled: 1-line block ×3, first 2 shown]
	v_rcp_f32_e32 v36, v34
	v_sub_f32_e32 v23, v26, v34
	v_add_f32_e32 v35, v22, v23
	v_add_f32_e32 v23, v24, v25
	v_mul_f32_e32 v38, v23, v36
	v_sub_f32_e32 v22, v24, v23
	v_mul_f32_e32 v24, v34, v38
	v_fma_f32 v26, v38, v34, -v24
	v_fmac_f32_e32 v26, v38, v35
	v_add_f32_e32 v37, v25, v22
	v_add_f32_e32 v22, v24, v26
	v_sub_f32_e32 v25, v23, v22
	v_pk_add_f32 v[32:33], v[22:23], v[24:25] neg_lo:[0,1] neg_hi:[0,1]
	v_mov_b32_e32 v27, v22
	v_pk_add_f32 v[22:23], v[32:33], v[26:27] neg_lo:[0,1] neg_hi:[0,1]
	v_add_f32_e32 v23, v37, v23
	v_add_f32_e32 v22, v22, v23
	;; [unrolled: 1-line block ×3, first 2 shown]
	v_mul_f32_e32 v37, v36, v23
	v_mul_f32_e32 v24, v34, v37
	v_fma_f32 v26, v37, v34, -v24
	v_fmac_f32_e32 v26, v37, v35
	v_sub_f32_e32 v25, v25, v23
	v_add_f32_e32 v34, v22, v25
	v_add_f32_e32 v22, v24, v26
	v_sub_f32_e32 v25, v23, v22
	v_pk_add_f32 v[32:33], v[22:23], v[24:25] neg_lo:[0,1] neg_hi:[0,1]
	v_mov_b32_e32 v27, v22
	v_pk_add_f32 v[22:23], v[32:33], v[26:27] neg_lo:[0,1] neg_hi:[0,1]
	v_add_f32_e32 v23, v34, v23
	v_add_f32_e32 v22, v22, v23
	;; [unrolled: 1-line block ×4, first 2 shown]
	v_sub_f32_e32 v23, v25, v38
	v_mul_f32_e32 v22, v36, v22
	v_sub_f32_e32 v23, v37, v23
	v_add_f32_e32 v22, v23, v22
	v_add_f32_e32 v26, v25, v22
	v_mul_f32_e32 v32, v26, v26
	v_mov_b32_e32 v24, 0x3ecc95a3
	v_fmac_f32_e32 v24, 0x3e9b6dac, v32
	v_mov_b32_e32 v23, 0x3f2aaada
	v_fmac_f32_e32 v23, v32, v24
	v_cvt_f32_i32_e32 v24, v28
	v_sub_f32_e32 v25, v26, v25
	v_sub_f32_e32 v22, v22, v25
	v_ldexp_f32 v28, v22, 1
	v_mul_f32_e32 v25, v26, v32
	v_mov_b32_e32 v22, 0x3f317218
	s_mov_b32 s2, 0x3f317218
	v_pk_mul_f32 v[22:23], v[24:25], v[22:23]
	v_ldexp_f32 v27, v26, 1
	v_fma_f32 v26, v24, s2, -v22
	v_fmac_f32_e32 v26, 0xb102e308, v24
	v_pk_add_f32 v[24:25], v[22:23], v[26:27]
	v_sub_f32_e32 v27, v25, v27
	v_sub_f32_e32 v27, v23, v27
	v_add_f32_e32 v33, v28, v27
	v_mov_b32_e32 v32, v22
	v_pk_add_f32 v[22:23], v[24:25], v[22:23] neg_lo:[0,1] neg_hi:[0,1]
	v_pk_add_f32 v[34:35], v[24:25], v[32:33]
	v_mov_b32_e32 v23, v35
	v_mov_b32_e32 v27, v24
	v_pk_add_f32 v[36:37], v[26:27], v[22:23] neg_lo:[0,1] neg_hi:[0,1]
	v_pk_add_f32 v[22:23], v[26:27], v[22:23]
	v_mov_b32_e32 v26, v23
	v_pk_add_f32 v[38:39], v[26:27], v[24:25] neg_lo:[0,1] neg_hi:[0,1]
	v_mov_b32_e32 v27, v38
	v_pk_add_f32 v[40:41], v[34:35], v[26:27] neg_lo:[0,1] neg_hi:[0,1]
	v_mov_b32_e32 v22, v35
	v_mov_b32_e32 v34, v25
	;; [unrolled: 1-line block ×4, first 2 shown]
	v_pk_add_f32 v[22:23], v[22:23], v[34:35] neg_lo:[0,1] neg_hi:[0,1]
	v_mov_b32_e32 v32, v33
	v_mov_b32_e32 v33, v24
	v_pk_add_f32 v[22:23], v[32:33], v[22:23] neg_lo:[0,1] neg_hi:[0,1]
	v_mov_b32_e32 v40, v36
	v_pk_add_f32 v[24:25], v[40:41], v[22:23]
	v_mov_b32_e32 v28, v25
	v_pk_add_f32 v[32:33], v[24:25], v[28:29]
	v_pk_add_f32 v[26:27], v[26:27], v[32:33]
	v_mov_b32_e32 v25, v26
	v_pk_add_f32 v[34:35], v[24:25], v[36:37] neg_lo:[0,1] neg_hi:[0,1]
	v_mov_b32_e32 v23, v32
	v_sub_f32_e32 v24, v24, v34
	v_pk_add_f32 v[22:23], v[22:23], v[34:35] neg_lo:[0,1] neg_hi:[0,1]
	v_sub_f32_e32 v24, v36, v24
	s_mov_b32 s3, 0x7f800000
	v_add_f32_e32 v22, v22, v24
	s_mov_b32 s2, 0x33800000
	v_add_f32_e32 v22, v22, v23
	v_cmp_eq_f32_e64 s[64:65], s3, v31
	v_cmp_lt_f32_e64 s[66:67], |v31|, s2
	v_add_f32_e32 v22, v26, v22
	s_or_b64 s[64:65], s[64:65], s[66:67]
	v_cndmask_b32_e64 v22, v22, v31, s[64:65]
	v_add_f32_e32 v21, v21, v22
	v_cvt_f16_f32_e32 v31, v21
	v_cvt_f32_f16_e32 v33, v31
	v_mov_b32_e32 v32, v31
.LBB371_66:
	s_or_b64 exec, exec, s[0:1]
	v_cvt_f32_f16_sdwa v21, v10 dst_sel:DWORD dst_unused:UNUSED_PAD src0_sel:WORD_1
	v_max_f32_e32 v23, v33, v33
	v_cmp_u_f16_e64 s[66:67], v31, v31
	v_cmp_u_f16_sdwa s[64:65], v10, v10 src0_sel:WORD_1 src1_sel:WORD_1
	v_min_f32_e32 v22, v23, v21
	v_max_f32_e32 v10, v23, v21
	v_cndmask_b32_e64 v22, v22, v33, s[66:67]
	v_cndmask_b32_e64 v10, v10, v33, s[66:67]
	;; [unrolled: 1-line block ×4, first 2 shown]
	v_cmp_neq_f32_e64 s[66:67], v22, v10
	v_cmp_class_f32_e64 s[0:1], v22, s33
	s_or_b64 s[66:67], s[66:67], s[0:1]
	s_and_saveexec_b64 s[0:1], s[66:67]
	s_cbranch_execz .LBB371_68
; %bb.67:
	v_sub_f32_e32 v22, v22, v10
	s_mov_b32 s2, 0x3fb8aa3b
	v_mul_f32_e32 v23, 0x3fb8aa3b, v22
	v_fma_f32 v24, v22, s2, -v23
	v_rndne_f32_e32 v25, v23
	v_fmac_f32_e32 v24, 0x32a5705f, v22
	v_sub_f32_e32 v23, v23, v25
	v_add_f32_e32 v23, v23, v24
	v_exp_f32_e32 v23, v23
	v_cvt_i32_f32_e32 v24, v25
	s_mov_b32 s2, 0xc2ce8ed0
	v_cmp_ngt_f32_e64 s[66:67], s2, v22
	s_mov_b32 s2, 0x42b17218
	v_ldexp_f32 v23, v23, v24
	v_cndmask_b32_e64 v23, 0, v23, s[66:67]
	v_mov_b32_e32 v24, 0x7f800000
	v_cmp_nlt_f32_e64 s[66:67], s2, v22
	v_cndmask_b32_e64 v31, v24, v23, s[66:67]
	v_add_f32_e32 v24, 1.0, v31
	v_add_f32_e32 v22, -1.0, v24
	v_sub_f32_e32 v23, v22, v24
	v_add_f32_e32 v23, 1.0, v23
	v_sub_f32_e32 v22, v31, v22
	v_add_f32_e32 v25, v22, v23
	v_frexp_mant_f32_e32 v26, v24
	s_mov_b32 s2, 0x3f2aaaab
	v_cvt_f64_f32_e32 v[22:23], v24
	v_frexp_exp_i32_f64_e32 v22, v[22:23]
	v_cmp_gt_f32_e64 s[66:67], s2, v26
	v_subbrev_co_u32_e64 v28, s[66:67], 0, v22, s[66:67]
	v_sub_u32_e32 v22, 0, v28
	v_ldexp_f32 v23, v24, v22
	v_add_f32_e32 v24, -1.0, v23
	v_add_f32_e32 v26, 1.0, v23
	v_ldexp_f32 v22, v25, v22
	v_add_f32_e32 v25, 1.0, v24
	v_add_f32_e32 v27, -1.0, v26
	v_sub_f32_e32 v25, v23, v25
	v_sub_f32_e32 v23, v23, v27
	v_add_f32_e32 v25, v22, v25
	v_add_f32_e32 v22, v22, v23
	;; [unrolled: 1-line block ×3, first 2 shown]
	v_rcp_f32_e32 v36, v34
	v_sub_f32_e32 v23, v26, v34
	v_add_f32_e32 v35, v22, v23
	v_add_f32_e32 v23, v24, v25
	v_mul_f32_e32 v38, v23, v36
	v_sub_f32_e32 v22, v24, v23
	v_mul_f32_e32 v24, v34, v38
	v_fma_f32 v26, v38, v34, -v24
	v_fmac_f32_e32 v26, v38, v35
	v_add_f32_e32 v37, v25, v22
	v_add_f32_e32 v22, v24, v26
	v_sub_f32_e32 v25, v23, v22
	v_pk_add_f32 v[32:33], v[22:23], v[24:25] neg_lo:[0,1] neg_hi:[0,1]
	v_mov_b32_e32 v27, v22
	v_pk_add_f32 v[22:23], v[32:33], v[26:27] neg_lo:[0,1] neg_hi:[0,1]
	v_add_f32_e32 v23, v37, v23
	v_add_f32_e32 v22, v22, v23
	;; [unrolled: 1-line block ×3, first 2 shown]
	v_mul_f32_e32 v37, v36, v23
	v_mul_f32_e32 v24, v34, v37
	v_fma_f32 v26, v37, v34, -v24
	v_fmac_f32_e32 v26, v37, v35
	v_sub_f32_e32 v25, v25, v23
	v_add_f32_e32 v34, v22, v25
	v_add_f32_e32 v22, v24, v26
	v_sub_f32_e32 v25, v23, v22
	v_pk_add_f32 v[32:33], v[22:23], v[24:25] neg_lo:[0,1] neg_hi:[0,1]
	v_mov_b32_e32 v27, v22
	v_pk_add_f32 v[22:23], v[32:33], v[26:27] neg_lo:[0,1] neg_hi:[0,1]
	v_add_f32_e32 v23, v34, v23
	v_add_f32_e32 v22, v22, v23
	;; [unrolled: 1-line block ×4, first 2 shown]
	v_sub_f32_e32 v23, v25, v38
	v_mul_f32_e32 v22, v36, v22
	v_sub_f32_e32 v23, v37, v23
	v_add_f32_e32 v22, v23, v22
	v_add_f32_e32 v26, v25, v22
	v_mul_f32_e32 v32, v26, v26
	v_mov_b32_e32 v24, 0x3ecc95a3
	v_fmac_f32_e32 v24, 0x3e9b6dac, v32
	v_mov_b32_e32 v23, 0x3f2aaada
	v_fmac_f32_e32 v23, v32, v24
	v_cvt_f32_i32_e32 v24, v28
	v_sub_f32_e32 v25, v26, v25
	v_sub_f32_e32 v22, v22, v25
	v_ldexp_f32 v28, v22, 1
	v_mul_f32_e32 v25, v26, v32
	v_mov_b32_e32 v22, 0x3f317218
	s_mov_b32 s2, 0x3f317218
	v_pk_mul_f32 v[22:23], v[24:25], v[22:23]
	v_ldexp_f32 v27, v26, 1
	v_fma_f32 v26, v24, s2, -v22
	v_fmac_f32_e32 v26, 0xb102e308, v24
	v_pk_add_f32 v[24:25], v[22:23], v[26:27]
	v_sub_f32_e32 v27, v25, v27
	v_sub_f32_e32 v27, v23, v27
	v_add_f32_e32 v33, v28, v27
	v_mov_b32_e32 v32, v22
	v_pk_add_f32 v[22:23], v[24:25], v[22:23] neg_lo:[0,1] neg_hi:[0,1]
	v_pk_add_f32 v[34:35], v[24:25], v[32:33]
	v_mov_b32_e32 v23, v35
	v_mov_b32_e32 v27, v24
	v_pk_add_f32 v[36:37], v[26:27], v[22:23] neg_lo:[0,1] neg_hi:[0,1]
	v_pk_add_f32 v[22:23], v[26:27], v[22:23]
	v_mov_b32_e32 v26, v23
	v_pk_add_f32 v[38:39], v[26:27], v[24:25] neg_lo:[0,1] neg_hi:[0,1]
	v_mov_b32_e32 v27, v38
	v_pk_add_f32 v[40:41], v[34:35], v[26:27] neg_lo:[0,1] neg_hi:[0,1]
	v_mov_b32_e32 v22, v35
	v_mov_b32_e32 v34, v25
	;; [unrolled: 1-line block ×4, first 2 shown]
	v_pk_add_f32 v[22:23], v[22:23], v[34:35] neg_lo:[0,1] neg_hi:[0,1]
	v_mov_b32_e32 v32, v33
	v_mov_b32_e32 v33, v24
	v_pk_add_f32 v[22:23], v[32:33], v[22:23] neg_lo:[0,1] neg_hi:[0,1]
	v_mov_b32_e32 v40, v36
	v_pk_add_f32 v[24:25], v[40:41], v[22:23]
	v_mov_b32_e32 v28, v25
	v_pk_add_f32 v[32:33], v[24:25], v[28:29]
	v_pk_add_f32 v[26:27], v[26:27], v[32:33]
	v_mov_b32_e32 v25, v26
	v_pk_add_f32 v[34:35], v[24:25], v[36:37] neg_lo:[0,1] neg_hi:[0,1]
	v_mov_b32_e32 v23, v32
	v_sub_f32_e32 v24, v24, v34
	v_pk_add_f32 v[22:23], v[22:23], v[34:35] neg_lo:[0,1] neg_hi:[0,1]
	v_sub_f32_e32 v24, v36, v24
	s_mov_b32 s3, 0x7f800000
	v_add_f32_e32 v22, v22, v24
	s_mov_b32 s2, 0x33800000
	v_add_f32_e32 v22, v22, v23
	v_cmp_eq_f32_e64 s[66:67], s3, v31
	v_cmp_lt_f32_e64 s[68:69], |v31|, s2
	v_add_f32_e32 v22, v26, v22
	s_or_b64 s[66:67], s[66:67], s[68:69]
	v_cndmask_b32_e64 v22, v22, v31, s[66:67]
	v_add_f32_e32 v10, v10, v22
	v_cvt_f16_f32_e32 v31, v10
	v_cvt_f32_f16_e32 v33, v31
	v_mov_b32_e32 v32, v31
.LBB371_68:
	s_or_b64 exec, exec, s[0:1]
	v_cvt_f32_f16_e32 v10, v11
	v_max_f32_e32 v22, v33, v33
	v_cmp_u_f16_e64 s[68:69], v31, v31
	v_cmp_u_f16_e64 s[66:67], v11, v11
	v_min_f32_e32 v23, v22, v10
	v_max_f32_e32 v22, v22, v10
	v_cndmask_b32_e64 v23, v23, v33, s[68:69]
	v_cndmask_b32_e64 v22, v22, v33, s[68:69]
	;; [unrolled: 1-line block ×4, first 2 shown]
	v_cmp_neq_f32_e64 s[68:69], v23, v22
	v_cmp_class_f32_e64 s[0:1], v23, s33
	s_or_b64 s[68:69], s[68:69], s[0:1]
	s_and_saveexec_b64 s[0:1], s[68:69]
	s_cbranch_execz .LBB371_70
; %bb.69:
	v_sub_f32_e32 v23, v23, v22
	s_mov_b32 s2, 0x3fb8aa3b
	v_mul_f32_e32 v24, 0x3fb8aa3b, v23
	v_fma_f32 v25, v23, s2, -v24
	v_rndne_f32_e32 v26, v24
	v_fmac_f32_e32 v25, 0x32a5705f, v23
	v_sub_f32_e32 v24, v24, v26
	v_add_f32_e32 v24, v24, v25
	v_exp_f32_e32 v24, v24
	v_cvt_i32_f32_e32 v25, v26
	s_mov_b32 s2, 0xc2ce8ed0
	v_cmp_ngt_f32_e64 s[68:69], s2, v23
	s_mov_b32 s2, 0x42b17218
	v_ldexp_f32 v24, v24, v25
	v_cndmask_b32_e64 v24, 0, v24, s[68:69]
	v_mov_b32_e32 v25, 0x7f800000
	v_cmp_nlt_f32_e64 s[68:69], s2, v23
	v_cndmask_b32_e64 v31, v25, v24, s[68:69]
	v_add_f32_e32 v23, 1.0, v31
	v_add_f32_e32 v24, -1.0, v23
	v_sub_f32_e32 v25, v24, v23
	v_add_f32_e32 v25, 1.0, v25
	v_sub_f32_e32 v24, v31, v24
	v_add_f32_e32 v26, v24, v25
	v_frexp_mant_f32_e32 v27, v23
	s_mov_b32 s2, 0x3f2aaaab
	v_cvt_f64_f32_e32 v[24:25], v23
	v_frexp_exp_i32_f64_e32 v24, v[24:25]
	v_cmp_gt_f32_e64 s[68:69], s2, v27
	v_subbrev_co_u32_e64 v28, s[68:69], 0, v24, s[68:69]
	v_sub_u32_e32 v24, 0, v28
	v_ldexp_f32 v23, v23, v24
	v_ldexp_f32 v24, v26, v24
	v_add_f32_e32 v26, -1.0, v23
	v_add_f32_e32 v25, 1.0, v26
	v_sub_f32_e32 v25, v23, v25
	v_add_f32_e32 v27, v24, v25
	v_add_f32_e32 v25, 1.0, v23
	v_add_f32_e32 v32, -1.0, v25
	v_sub_f32_e32 v23, v23, v32
	v_add_f32_e32 v23, v24, v23
	v_add_f32_e32 v36, v25, v23
	v_rcp_f32_e32 v37, v36
	v_sub_f32_e32 v24, v25, v36
	v_add_f32_e32 v25, v26, v27
	v_add_f32_e32 v23, v23, v24
	v_mul_f32_e32 v39, v25, v37
	v_sub_f32_e32 v24, v26, v25
	v_mul_f32_e32 v26, v36, v39
	v_fma_f32 v32, v39, v36, -v26
	v_fmac_f32_e32 v32, v39, v23
	v_add_f32_e32 v38, v27, v24
	v_add_f32_e32 v24, v26, v32
	v_sub_f32_e32 v27, v25, v24
	v_pk_add_f32 v[34:35], v[24:25], v[26:27] neg_lo:[0,1] neg_hi:[0,1]
	v_mov_b32_e32 v33, v24
	v_pk_add_f32 v[24:25], v[34:35], v[32:33] neg_lo:[0,1] neg_hi:[0,1]
	v_add_f32_e32 v25, v38, v25
	v_add_f32_e32 v24, v24, v25
	;; [unrolled: 1-line block ×3, first 2 shown]
	v_mul_f32_e32 v38, v37, v25
	v_mul_f32_e32 v26, v36, v38
	v_fma_f32 v32, v38, v36, -v26
	v_fmac_f32_e32 v32, v38, v23
	v_sub_f32_e32 v23, v27, v25
	v_add_f32_e32 v23, v24, v23
	v_add_f32_e32 v24, v26, v32
	v_sub_f32_e32 v27, v25, v24
	v_pk_add_f32 v[34:35], v[24:25], v[26:27] neg_lo:[0,1] neg_hi:[0,1]
	v_mov_b32_e32 v33, v24
	v_pk_add_f32 v[24:25], v[34:35], v[32:33] neg_lo:[0,1] neg_hi:[0,1]
	v_add_f32_e32 v23, v23, v25
	v_add_f32_e32 v23, v24, v23
	;; [unrolled: 1-line block ×4, first 2 shown]
	v_sub_f32_e32 v25, v24, v39
	v_mul_f32_e32 v23, v37, v23
	v_sub_f32_e32 v25, v38, v25
	v_add_f32_e32 v23, v25, v23
	v_add_f32_e32 v27, v24, v23
	v_mul_f32_e32 v32, v27, v27
	v_mov_b32_e32 v26, 0x3ecc95a3
	v_fmac_f32_e32 v26, 0x3e9b6dac, v32
	v_mov_b32_e32 v25, 0x3f2aaada
	v_fmac_f32_e32 v25, v32, v26
	v_cvt_f32_i32_e32 v26, v28
	v_sub_f32_e32 v24, v27, v24
	v_sub_f32_e32 v23, v23, v24
	v_ldexp_f32 v33, v27, 1
	v_mul_f32_e32 v27, v27, v32
	v_mov_b32_e32 v24, 0x3f317218
	s_mov_b32 s2, 0x3f317218
	v_pk_mul_f32 v[24:25], v[26:27], v[24:25]
	v_fma_f32 v32, v26, s2, -v24
	v_fmac_f32_e32 v32, 0xb102e308, v26
	v_pk_add_f32 v[26:27], v[24:25], v[32:33]
	v_sub_f32_e32 v28, v27, v33
	v_ldexp_f32 v23, v23, 1
	v_sub_f32_e32 v28, v25, v28
	v_add_f32_e32 v35, v23, v28
	v_mov_b32_e32 v34, v24
	v_pk_add_f32 v[24:25], v[26:27], v[24:25] neg_lo:[0,1] neg_hi:[0,1]
	v_pk_add_f32 v[36:37], v[26:27], v[34:35]
	v_mov_b32_e32 v25, v37
	v_mov_b32_e32 v33, v26
	v_pk_add_f32 v[38:39], v[32:33], v[24:25] neg_lo:[0,1] neg_hi:[0,1]
	v_pk_add_f32 v[24:25], v[32:33], v[24:25]
	v_mov_b32_e32 v28, v25
	v_pk_add_f32 v[32:33], v[28:29], v[26:27] neg_lo:[0,1] neg_hi:[0,1]
	v_mov_b32_e32 v23, v32
	v_pk_add_f32 v[40:41], v[36:37], v[22:23] neg_lo:[0,1] neg_hi:[0,1]
	v_mov_b32_e32 v24, v37
	v_mov_b32_e32 v36, v27
	;; [unrolled: 1-line block ×4, first 2 shown]
	v_pk_add_f32 v[24:25], v[24:25], v[36:37] neg_lo:[0,1] neg_hi:[0,1]
	v_mov_b32_e32 v32, v35
	v_mov_b32_e32 v33, v26
	v_pk_add_f32 v[24:25], v[32:33], v[24:25] neg_lo:[0,1] neg_hi:[0,1]
	v_mov_b32_e32 v40, v38
	v_pk_add_f32 v[26:27], v[40:41], v[24:25]
	v_mov_b32_e32 v32, v27
	v_pk_add_f32 v[32:33], v[26:27], v[32:33]
	v_pk_add_f32 v[34:35], v[28:29], v[32:33]
	v_mov_b32_e32 v27, v34
	v_pk_add_f32 v[36:37], v[26:27], v[38:39] neg_lo:[0,1] neg_hi:[0,1]
	v_mov_b32_e32 v25, v32
	v_sub_f32_e32 v23, v26, v36
	v_pk_add_f32 v[24:25], v[24:25], v[36:37] neg_lo:[0,1] neg_hi:[0,1]
	v_sub_f32_e32 v23, v38, v23
	s_mov_b32 s3, 0x7f800000
	v_add_f32_e32 v23, v24, v23
	s_mov_b32 s2, 0x33800000
	v_add_f32_e32 v23, v23, v25
	v_cmp_eq_f32_e64 s[68:69], s3, v31
	v_cmp_lt_f32_e64 s[70:71], |v31|, s2
	v_add_f32_e32 v23, v34, v23
	s_or_b64 s[68:69], s[68:69], s[70:71]
	v_cndmask_b32_e64 v23, v23, v31, s[68:69]
	v_add_f32_e32 v22, v22, v23
	v_cvt_f16_f32_e32 v31, v22
	v_cvt_f32_f16_e32 v33, v31
	v_mov_b32_e32 v32, v31
.LBB371_70:
	s_or_b64 exec, exec, s[0:1]
	v_cvt_f32_f16_sdwa v22, v11 dst_sel:DWORD dst_unused:UNUSED_PAD src0_sel:WORD_1
	v_max_f32_e32 v24, v33, v33
	v_cmp_u_f16_e64 s[70:71], v31, v31
	v_cmp_u_f16_sdwa s[68:69], v11, v11 src0_sel:WORD_1 src1_sel:WORD_1
	v_min_f32_e32 v23, v24, v22
	v_max_f32_e32 v11, v24, v22
	v_cndmask_b32_e64 v23, v23, v33, s[70:71]
	v_cndmask_b32_e64 v11, v11, v33, s[70:71]
	;; [unrolled: 1-line block ×4, first 2 shown]
	v_cmp_neq_f32_e64 s[70:71], v23, v11
	v_cmp_class_f32_e64 s[0:1], v23, s33
	s_or_b64 s[70:71], s[70:71], s[0:1]
	s_and_saveexec_b64 s[0:1], s[70:71]
	s_cbranch_execz .LBB371_72
; %bb.71:
	v_sub_f32_e32 v23, v23, v11
	s_mov_b32 s2, 0x3fb8aa3b
	v_mul_f32_e32 v24, 0x3fb8aa3b, v23
	v_fma_f32 v25, v23, s2, -v24
	v_rndne_f32_e32 v26, v24
	v_fmac_f32_e32 v25, 0x32a5705f, v23
	v_sub_f32_e32 v24, v24, v26
	v_add_f32_e32 v24, v24, v25
	v_exp_f32_e32 v24, v24
	v_cvt_i32_f32_e32 v25, v26
	s_mov_b32 s2, 0xc2ce8ed0
	v_cmp_ngt_f32_e64 s[70:71], s2, v23
	s_mov_b32 s2, 0x42b17218
	v_ldexp_f32 v24, v24, v25
	v_cndmask_b32_e64 v24, 0, v24, s[70:71]
	v_mov_b32_e32 v25, 0x7f800000
	v_cmp_nlt_f32_e64 s[70:71], s2, v23
	v_cndmask_b32_e64 v31, v25, v24, s[70:71]
	v_add_f32_e32 v23, 1.0, v31
	v_add_f32_e32 v24, -1.0, v23
	v_sub_f32_e32 v25, v24, v23
	v_add_f32_e32 v25, 1.0, v25
	v_sub_f32_e32 v24, v31, v24
	v_add_f32_e32 v26, v24, v25
	v_frexp_mant_f32_e32 v27, v23
	s_mov_b32 s2, 0x3f2aaaab
	v_cvt_f64_f32_e32 v[24:25], v23
	v_frexp_exp_i32_f64_e32 v24, v[24:25]
	v_cmp_gt_f32_e64 s[70:71], s2, v27
	v_subbrev_co_u32_e64 v28, s[70:71], 0, v24, s[70:71]
	v_sub_u32_e32 v24, 0, v28
	v_ldexp_f32 v23, v23, v24
	v_ldexp_f32 v24, v26, v24
	v_add_f32_e32 v26, -1.0, v23
	v_add_f32_e32 v25, 1.0, v26
	v_sub_f32_e32 v25, v23, v25
	v_add_f32_e32 v27, v24, v25
	v_add_f32_e32 v25, 1.0, v23
	v_add_f32_e32 v32, -1.0, v25
	v_sub_f32_e32 v23, v23, v32
	v_add_f32_e32 v23, v24, v23
	v_add_f32_e32 v36, v25, v23
	v_rcp_f32_e32 v37, v36
	v_sub_f32_e32 v24, v25, v36
	v_add_f32_e32 v25, v26, v27
	v_add_f32_e32 v23, v23, v24
	v_mul_f32_e32 v39, v25, v37
	v_sub_f32_e32 v24, v26, v25
	v_mul_f32_e32 v26, v36, v39
	v_fma_f32 v32, v39, v36, -v26
	v_fmac_f32_e32 v32, v39, v23
	v_add_f32_e32 v38, v27, v24
	v_add_f32_e32 v24, v26, v32
	v_sub_f32_e32 v27, v25, v24
	v_pk_add_f32 v[34:35], v[24:25], v[26:27] neg_lo:[0,1] neg_hi:[0,1]
	v_mov_b32_e32 v33, v24
	v_pk_add_f32 v[24:25], v[34:35], v[32:33] neg_lo:[0,1] neg_hi:[0,1]
	v_add_f32_e32 v25, v38, v25
	v_add_f32_e32 v24, v24, v25
	;; [unrolled: 1-line block ×3, first 2 shown]
	v_mul_f32_e32 v38, v37, v25
	v_mul_f32_e32 v26, v36, v38
	v_fma_f32 v32, v38, v36, -v26
	v_fmac_f32_e32 v32, v38, v23
	v_sub_f32_e32 v23, v27, v25
	v_add_f32_e32 v23, v24, v23
	v_add_f32_e32 v24, v26, v32
	v_sub_f32_e32 v27, v25, v24
	v_pk_add_f32 v[34:35], v[24:25], v[26:27] neg_lo:[0,1] neg_hi:[0,1]
	v_mov_b32_e32 v33, v24
	v_pk_add_f32 v[24:25], v[34:35], v[32:33] neg_lo:[0,1] neg_hi:[0,1]
	v_add_f32_e32 v23, v23, v25
	v_add_f32_e32 v23, v24, v23
	;; [unrolled: 1-line block ×4, first 2 shown]
	v_sub_f32_e32 v25, v24, v39
	v_mul_f32_e32 v23, v37, v23
	v_sub_f32_e32 v25, v38, v25
	v_add_f32_e32 v23, v25, v23
	v_add_f32_e32 v27, v24, v23
	v_mul_f32_e32 v32, v27, v27
	v_mov_b32_e32 v26, 0x3ecc95a3
	v_fmac_f32_e32 v26, 0x3e9b6dac, v32
	v_mov_b32_e32 v25, 0x3f2aaada
	v_fmac_f32_e32 v25, v32, v26
	v_cvt_f32_i32_e32 v26, v28
	v_sub_f32_e32 v24, v27, v24
	v_sub_f32_e32 v23, v23, v24
	v_ldexp_f32 v33, v27, 1
	v_mul_f32_e32 v27, v27, v32
	v_mov_b32_e32 v24, 0x3f317218
	s_mov_b32 s2, 0x3f317218
	v_pk_mul_f32 v[24:25], v[26:27], v[24:25]
	v_fma_f32 v32, v26, s2, -v24
	v_fmac_f32_e32 v32, 0xb102e308, v26
	v_pk_add_f32 v[26:27], v[24:25], v[32:33]
	v_sub_f32_e32 v28, v27, v33
	v_ldexp_f32 v23, v23, 1
	v_sub_f32_e32 v28, v25, v28
	v_add_f32_e32 v35, v23, v28
	v_mov_b32_e32 v34, v24
	v_pk_add_f32 v[24:25], v[26:27], v[24:25] neg_lo:[0,1] neg_hi:[0,1]
	v_pk_add_f32 v[36:37], v[26:27], v[34:35]
	v_mov_b32_e32 v25, v37
	v_mov_b32_e32 v33, v26
	v_pk_add_f32 v[38:39], v[32:33], v[24:25] neg_lo:[0,1] neg_hi:[0,1]
	v_pk_add_f32 v[24:25], v[32:33], v[24:25]
	v_mov_b32_e32 v28, v25
	v_pk_add_f32 v[32:33], v[28:29], v[26:27] neg_lo:[0,1] neg_hi:[0,1]
	v_mov_b32_e32 v23, v32
	v_pk_add_f32 v[40:41], v[36:37], v[22:23] neg_lo:[0,1] neg_hi:[0,1]
	v_mov_b32_e32 v24, v37
	v_mov_b32_e32 v36, v27
	;; [unrolled: 1-line block ×4, first 2 shown]
	v_pk_add_f32 v[24:25], v[24:25], v[36:37] neg_lo:[0,1] neg_hi:[0,1]
	v_mov_b32_e32 v32, v35
	v_mov_b32_e32 v33, v26
	v_pk_add_f32 v[24:25], v[32:33], v[24:25] neg_lo:[0,1] neg_hi:[0,1]
	v_mov_b32_e32 v40, v38
	v_pk_add_f32 v[26:27], v[40:41], v[24:25]
	v_mov_b32_e32 v32, v27
	v_pk_add_f32 v[32:33], v[26:27], v[32:33]
	v_pk_add_f32 v[34:35], v[28:29], v[32:33]
	v_mov_b32_e32 v27, v34
	v_pk_add_f32 v[36:37], v[26:27], v[38:39] neg_lo:[0,1] neg_hi:[0,1]
	v_mov_b32_e32 v25, v32
	v_sub_f32_e32 v23, v26, v36
	v_pk_add_f32 v[24:25], v[24:25], v[36:37] neg_lo:[0,1] neg_hi:[0,1]
	v_sub_f32_e32 v23, v38, v23
	s_mov_b32 s3, 0x7f800000
	v_add_f32_e32 v23, v24, v23
	s_mov_b32 s2, 0x33800000
	v_add_f32_e32 v23, v23, v25
	v_cmp_eq_f32_e64 s[70:71], s3, v31
	v_cmp_lt_f32_e64 s[72:73], |v31|, s2
	v_add_f32_e32 v23, v34, v23
	s_or_b64 s[70:71], s[70:71], s[72:73]
	v_cndmask_b32_e64 v23, v23, v31, s[70:71]
	v_add_f32_e32 v11, v11, v23
	v_cvt_f16_f32_e32 v31, v11
	v_cvt_f32_f16_e32 v33, v31
	v_mov_b32_e32 v32, v31
.LBB371_72:
	s_or_b64 exec, exec, s[0:1]
	v_cvt_f32_f16_e32 v11, v12
	v_max_f32_e32 v23, v33, v33
	v_cmp_u_f16_e64 s[72:73], v31, v31
	v_cmp_u_f16_e64 s[70:71], v12, v12
	v_min_f32_e32 v24, v23, v11
	v_max_f32_e32 v23, v23, v11
	v_cndmask_b32_e64 v24, v24, v33, s[72:73]
	v_cndmask_b32_e64 v23, v23, v33, s[72:73]
	;; [unrolled: 1-line block ×4, first 2 shown]
	v_cmp_neq_f32_e64 s[72:73], v24, v23
	v_cmp_class_f32_e64 s[0:1], v24, s33
	s_or_b64 s[72:73], s[72:73], s[0:1]
	s_and_saveexec_b64 s[0:1], s[72:73]
	s_cbranch_execz .LBB371_74
; %bb.73:
	v_sub_f32_e32 v24, v24, v23
	s_mov_b32 s2, 0x3fb8aa3b
	v_mul_f32_e32 v25, 0x3fb8aa3b, v24
	v_fma_f32 v26, v24, s2, -v25
	v_rndne_f32_e32 v27, v25
	v_fmac_f32_e32 v26, 0x32a5705f, v24
	v_sub_f32_e32 v25, v25, v27
	v_add_f32_e32 v25, v25, v26
	v_exp_f32_e32 v25, v25
	v_cvt_i32_f32_e32 v26, v27
	s_mov_b32 s2, 0xc2ce8ed0
	v_cmp_ngt_f32_e64 s[72:73], s2, v24
	s_mov_b32 s2, 0x42b17218
	v_ldexp_f32 v25, v25, v26
	v_cndmask_b32_e64 v25, 0, v25, s[72:73]
	v_mov_b32_e32 v26, 0x7f800000
	v_cmp_nlt_f32_e64 s[72:73], s2, v24
	v_cndmask_b32_e64 v42, v26, v25, s[72:73]
	v_add_f32_e32 v26, 1.0, v42
	v_add_f32_e32 v24, -1.0, v26
	v_sub_f32_e32 v25, v24, v26
	v_add_f32_e32 v25, 1.0, v25
	v_sub_f32_e32 v24, v42, v24
	v_add_f32_e32 v27, v24, v25
	v_frexp_mant_f32_e32 v28, v26
	s_mov_b32 s2, 0x3f2aaaab
	v_cvt_f64_f32_e32 v[24:25], v26
	v_frexp_exp_i32_f64_e32 v24, v[24:25]
	v_cmp_gt_f32_e64 s[72:73], s2, v28
	v_subbrev_co_u32_e64 v28, s[72:73], 0, v24, s[72:73]
	v_sub_u32_e32 v24, 0, v28
	v_ldexp_f32 v25, v26, v24
	v_add_f32_e32 v26, -1.0, v25
	v_add_f32_e32 v31, 1.0, v25
	v_ldexp_f32 v24, v27, v24
	v_add_f32_e32 v27, 1.0, v26
	v_add_f32_e32 v32, -1.0, v31
	v_sub_f32_e32 v27, v25, v27
	v_sub_f32_e32 v25, v25, v32
	v_add_f32_e32 v27, v24, v27
	v_add_f32_e32 v24, v24, v25
	;; [unrolled: 1-line block ×3, first 2 shown]
	v_rcp_f32_e32 v37, v36
	v_sub_f32_e32 v25, v31, v36
	v_add_f32_e32 v31, v24, v25
	v_add_f32_e32 v25, v26, v27
	v_mul_f32_e32 v39, v25, v37
	v_sub_f32_e32 v24, v26, v25
	v_mul_f32_e32 v26, v36, v39
	v_fma_f32 v32, v39, v36, -v26
	v_fmac_f32_e32 v32, v39, v31
	v_add_f32_e32 v38, v27, v24
	v_add_f32_e32 v24, v26, v32
	v_sub_f32_e32 v27, v25, v24
	v_pk_add_f32 v[34:35], v[24:25], v[26:27] neg_lo:[0,1] neg_hi:[0,1]
	v_mov_b32_e32 v33, v24
	v_pk_add_f32 v[24:25], v[34:35], v[32:33] neg_lo:[0,1] neg_hi:[0,1]
	v_add_f32_e32 v25, v38, v25
	v_add_f32_e32 v24, v24, v25
	;; [unrolled: 1-line block ×3, first 2 shown]
	v_mul_f32_e32 v38, v37, v25
	v_mul_f32_e32 v26, v36, v38
	v_fma_f32 v32, v38, v36, -v26
	v_fmac_f32_e32 v32, v38, v31
	v_sub_f32_e32 v27, v27, v25
	v_add_f32_e32 v31, v24, v27
	v_add_f32_e32 v24, v26, v32
	v_sub_f32_e32 v27, v25, v24
	v_pk_add_f32 v[34:35], v[24:25], v[26:27] neg_lo:[0,1] neg_hi:[0,1]
	v_mov_b32_e32 v33, v24
	v_pk_add_f32 v[24:25], v[34:35], v[32:33] neg_lo:[0,1] neg_hi:[0,1]
	v_add_f32_e32 v25, v31, v25
	v_add_f32_e32 v24, v24, v25
	;; [unrolled: 1-line block ×4, first 2 shown]
	v_sub_f32_e32 v25, v27, v39
	v_mul_f32_e32 v24, v37, v24
	v_sub_f32_e32 v25, v38, v25
	v_add_f32_e32 v24, v25, v24
	v_add_f32_e32 v31, v27, v24
	v_mul_f32_e32 v32, v31, v31
	v_mov_b32_e32 v26, 0x3ecc95a3
	v_fmac_f32_e32 v26, 0x3e9b6dac, v32
	v_mov_b32_e32 v25, 0x3f2aaada
	v_fmac_f32_e32 v25, v32, v26
	v_cvt_f32_i32_e32 v26, v28
	v_sub_f32_e32 v27, v31, v27
	v_sub_f32_e32 v24, v24, v27
	v_ldexp_f32 v28, v24, 1
	v_mul_f32_e32 v27, v31, v32
	v_mov_b32_e32 v24, 0x3f317218
	s_mov_b32 s2, 0x3f317218
	v_pk_mul_f32 v[24:25], v[26:27], v[24:25]
	v_fma_f32 v32, v26, s2, -v24
	v_ldexp_f32 v33, v31, 1
	v_fmac_f32_e32 v32, 0xb102e308, v26
	v_pk_add_f32 v[26:27], v[24:25], v[32:33]
	v_sub_f32_e32 v31, v27, v33
	v_sub_f32_e32 v31, v25, v31
	v_add_f32_e32 v35, v28, v31
	v_mov_b32_e32 v34, v24
	v_pk_add_f32 v[24:25], v[26:27], v[24:25] neg_lo:[0,1] neg_hi:[0,1]
	v_pk_add_f32 v[36:37], v[26:27], v[34:35]
	v_mov_b32_e32 v25, v37
	v_mov_b32_e32 v33, v26
	v_pk_add_f32 v[38:39], v[32:33], v[24:25] neg_lo:[0,1] neg_hi:[0,1]
	v_pk_add_f32 v[24:25], v[32:33], v[24:25]
	v_mov_b32_e32 v28, v25
	v_pk_add_f32 v[32:33], v[28:29], v[26:27] neg_lo:[0,1] neg_hi:[0,1]
	v_mov_b32_e32 v31, v32
	v_pk_add_f32 v[40:41], v[36:37], v[30:31] neg_lo:[0,1] neg_hi:[0,1]
	v_mov_b32_e32 v24, v37
	v_mov_b32_e32 v36, v27
	;; [unrolled: 1-line block ×4, first 2 shown]
	v_pk_add_f32 v[24:25], v[24:25], v[36:37] neg_lo:[0,1] neg_hi:[0,1]
	v_mov_b32_e32 v32, v35
	v_mov_b32_e32 v33, v26
	v_pk_add_f32 v[24:25], v[32:33], v[24:25] neg_lo:[0,1] neg_hi:[0,1]
	v_mov_b32_e32 v40, v38
	v_pk_add_f32 v[26:27], v[40:41], v[24:25]
	v_mov_b32_e32 v32, v27
	v_pk_add_f32 v[32:33], v[26:27], v[32:33]
	v_pk_add_f32 v[34:35], v[28:29], v[32:33]
	v_mov_b32_e32 v27, v34
	v_pk_add_f32 v[36:37], v[26:27], v[38:39] neg_lo:[0,1] neg_hi:[0,1]
	v_mov_b32_e32 v25, v32
	v_sub_f32_e32 v26, v26, v36
	v_pk_add_f32 v[24:25], v[24:25], v[36:37] neg_lo:[0,1] neg_hi:[0,1]
	v_sub_f32_e32 v26, v38, v26
	s_mov_b32 s3, 0x7f800000
	v_add_f32_e32 v24, v24, v26
	s_mov_b32 s2, 0x33800000
	v_add_f32_e32 v24, v24, v25
	v_cmp_eq_f32_e64 s[72:73], s3, v42
	v_cmp_lt_f32_e64 s[74:75], |v42|, s2
	v_add_f32_e32 v24, v34, v24
	s_or_b64 s[72:73], s[72:73], s[74:75]
	v_cndmask_b32_e64 v24, v24, v42, s[72:73]
	v_add_f32_e32 v23, v23, v24
	v_cvt_f16_f32_e32 v31, v23
	v_cvt_f32_f16_e32 v33, v31
	v_mov_b32_e32 v32, v31
.LBB371_74:
	s_or_b64 exec, exec, s[0:1]
	v_cvt_f32_f16_sdwa v23, v12 dst_sel:DWORD dst_unused:UNUSED_PAD src0_sel:WORD_1
	v_max_f32_e32 v25, v33, v33
	v_cmp_u_f16_e64 s[74:75], v31, v31
	v_cmp_u_f16_sdwa s[72:73], v12, v12 src0_sel:WORD_1 src1_sel:WORD_1
	v_min_f32_e32 v24, v25, v23
	v_max_f32_e32 v12, v25, v23
	v_cndmask_b32_e64 v24, v24, v33, s[74:75]
	v_cndmask_b32_e64 v12, v12, v33, s[74:75]
	;; [unrolled: 1-line block ×4, first 2 shown]
	v_cmp_neq_f32_e64 s[74:75], v24, v12
	v_cmp_class_f32_e64 s[0:1], v24, s33
	s_or_b64 s[74:75], s[74:75], s[0:1]
	s_and_saveexec_b64 s[0:1], s[74:75]
	s_cbranch_execz .LBB371_76
; %bb.75:
	v_sub_f32_e32 v24, v24, v12
	s_mov_b32 s2, 0x3fb8aa3b
	v_mul_f32_e32 v25, 0x3fb8aa3b, v24
	v_fma_f32 v26, v24, s2, -v25
	v_rndne_f32_e32 v27, v25
	v_fmac_f32_e32 v26, 0x32a5705f, v24
	v_sub_f32_e32 v25, v25, v27
	v_add_f32_e32 v25, v25, v26
	v_exp_f32_e32 v25, v25
	v_cvt_i32_f32_e32 v26, v27
	s_mov_b32 s2, 0xc2ce8ed0
	v_cmp_ngt_f32_e64 s[74:75], s2, v24
	s_mov_b32 s2, 0x42b17218
	v_ldexp_f32 v25, v25, v26
	v_cndmask_b32_e64 v25, 0, v25, s[74:75]
	v_mov_b32_e32 v26, 0x7f800000
	v_cmp_nlt_f32_e64 s[74:75], s2, v24
	v_cndmask_b32_e64 v42, v26, v25, s[74:75]
	v_add_f32_e32 v26, 1.0, v42
	v_add_f32_e32 v24, -1.0, v26
	v_sub_f32_e32 v25, v24, v26
	v_add_f32_e32 v25, 1.0, v25
	v_sub_f32_e32 v24, v42, v24
	v_add_f32_e32 v27, v24, v25
	v_frexp_mant_f32_e32 v28, v26
	s_mov_b32 s2, 0x3f2aaaab
	v_cvt_f64_f32_e32 v[24:25], v26
	v_frexp_exp_i32_f64_e32 v24, v[24:25]
	v_cmp_gt_f32_e64 s[74:75], s2, v28
	v_subbrev_co_u32_e64 v28, s[74:75], 0, v24, s[74:75]
	v_sub_u32_e32 v24, 0, v28
	v_ldexp_f32 v25, v26, v24
	v_add_f32_e32 v26, -1.0, v25
	v_add_f32_e32 v31, 1.0, v25
	v_ldexp_f32 v24, v27, v24
	v_add_f32_e32 v27, 1.0, v26
	v_add_f32_e32 v32, -1.0, v31
	v_sub_f32_e32 v27, v25, v27
	v_sub_f32_e32 v25, v25, v32
	v_add_f32_e32 v27, v24, v27
	v_add_f32_e32 v24, v24, v25
	;; [unrolled: 1-line block ×3, first 2 shown]
	v_rcp_f32_e32 v37, v36
	v_sub_f32_e32 v25, v31, v36
	v_add_f32_e32 v31, v24, v25
	v_add_f32_e32 v25, v26, v27
	v_mul_f32_e32 v39, v25, v37
	v_sub_f32_e32 v24, v26, v25
	v_mul_f32_e32 v26, v36, v39
	v_fma_f32 v32, v39, v36, -v26
	v_fmac_f32_e32 v32, v39, v31
	v_add_f32_e32 v38, v27, v24
	v_add_f32_e32 v24, v26, v32
	v_sub_f32_e32 v27, v25, v24
	v_pk_add_f32 v[34:35], v[24:25], v[26:27] neg_lo:[0,1] neg_hi:[0,1]
	v_mov_b32_e32 v33, v24
	v_pk_add_f32 v[24:25], v[34:35], v[32:33] neg_lo:[0,1] neg_hi:[0,1]
	v_add_f32_e32 v25, v38, v25
	v_add_f32_e32 v24, v24, v25
	;; [unrolled: 1-line block ×3, first 2 shown]
	v_mul_f32_e32 v38, v37, v25
	v_mul_f32_e32 v26, v36, v38
	v_fma_f32 v32, v38, v36, -v26
	v_fmac_f32_e32 v32, v38, v31
	v_sub_f32_e32 v27, v27, v25
	v_add_f32_e32 v31, v24, v27
	v_add_f32_e32 v24, v26, v32
	v_sub_f32_e32 v27, v25, v24
	v_pk_add_f32 v[34:35], v[24:25], v[26:27] neg_lo:[0,1] neg_hi:[0,1]
	v_mov_b32_e32 v33, v24
	v_pk_add_f32 v[24:25], v[34:35], v[32:33] neg_lo:[0,1] neg_hi:[0,1]
	v_add_f32_e32 v25, v31, v25
	v_add_f32_e32 v24, v24, v25
	;; [unrolled: 1-line block ×4, first 2 shown]
	v_sub_f32_e32 v25, v27, v39
	v_mul_f32_e32 v24, v37, v24
	v_sub_f32_e32 v25, v38, v25
	v_add_f32_e32 v24, v25, v24
	v_add_f32_e32 v31, v27, v24
	v_mul_f32_e32 v32, v31, v31
	v_mov_b32_e32 v26, 0x3ecc95a3
	v_fmac_f32_e32 v26, 0x3e9b6dac, v32
	v_mov_b32_e32 v25, 0x3f2aaada
	v_fmac_f32_e32 v25, v32, v26
	v_cvt_f32_i32_e32 v26, v28
	v_sub_f32_e32 v27, v31, v27
	v_sub_f32_e32 v24, v24, v27
	v_ldexp_f32 v28, v24, 1
	v_mul_f32_e32 v27, v31, v32
	v_mov_b32_e32 v24, 0x3f317218
	s_mov_b32 s2, 0x3f317218
	v_pk_mul_f32 v[24:25], v[26:27], v[24:25]
	v_fma_f32 v32, v26, s2, -v24
	v_ldexp_f32 v33, v31, 1
	v_fmac_f32_e32 v32, 0xb102e308, v26
	v_pk_add_f32 v[26:27], v[24:25], v[32:33]
	v_sub_f32_e32 v31, v27, v33
	v_sub_f32_e32 v31, v25, v31
	v_add_f32_e32 v35, v28, v31
	v_mov_b32_e32 v34, v24
	v_pk_add_f32 v[24:25], v[26:27], v[24:25] neg_lo:[0,1] neg_hi:[0,1]
	v_pk_add_f32 v[36:37], v[26:27], v[34:35]
	v_mov_b32_e32 v25, v37
	v_mov_b32_e32 v33, v26
	v_pk_add_f32 v[38:39], v[32:33], v[24:25] neg_lo:[0,1] neg_hi:[0,1]
	v_pk_add_f32 v[24:25], v[32:33], v[24:25]
	v_mov_b32_e32 v28, v25
	v_pk_add_f32 v[32:33], v[28:29], v[26:27] neg_lo:[0,1] neg_hi:[0,1]
	v_mov_b32_e32 v31, v32
	v_pk_add_f32 v[40:41], v[36:37], v[30:31] neg_lo:[0,1] neg_hi:[0,1]
	v_mov_b32_e32 v24, v37
	v_mov_b32_e32 v36, v27
	;; [unrolled: 1-line block ×4, first 2 shown]
	v_pk_add_f32 v[24:25], v[24:25], v[36:37] neg_lo:[0,1] neg_hi:[0,1]
	v_mov_b32_e32 v32, v35
	v_mov_b32_e32 v33, v26
	v_pk_add_f32 v[24:25], v[32:33], v[24:25] neg_lo:[0,1] neg_hi:[0,1]
	v_mov_b32_e32 v40, v38
	v_pk_add_f32 v[26:27], v[40:41], v[24:25]
	v_mov_b32_e32 v32, v27
	v_pk_add_f32 v[32:33], v[26:27], v[32:33]
	v_pk_add_f32 v[34:35], v[28:29], v[32:33]
	v_mov_b32_e32 v27, v34
	v_pk_add_f32 v[36:37], v[26:27], v[38:39] neg_lo:[0,1] neg_hi:[0,1]
	v_mov_b32_e32 v25, v32
	v_sub_f32_e32 v26, v26, v36
	v_pk_add_f32 v[24:25], v[24:25], v[36:37] neg_lo:[0,1] neg_hi:[0,1]
	v_sub_f32_e32 v26, v38, v26
	s_mov_b32 s3, 0x7f800000
	v_add_f32_e32 v24, v24, v26
	s_mov_b32 s2, 0x33800000
	v_add_f32_e32 v24, v24, v25
	v_cmp_eq_f32_e64 s[74:75], s3, v42
	v_cmp_lt_f32_e64 s[76:77], |v42|, s2
	v_add_f32_e32 v24, v34, v24
	s_or_b64 s[74:75], s[74:75], s[76:77]
	v_cndmask_b32_e64 v24, v24, v42, s[74:75]
	v_add_f32_e32 v12, v12, v24
	v_cvt_f16_f32_e32 v31, v12
	v_cvt_f32_f16_e32 v33, v31
	v_mov_b32_e32 v32, v31
.LBB371_76:
	s_or_b64 exec, exec, s[0:1]
	v_cvt_f32_f16_e32 v12, v13
	v_max_f32_e32 v24, v33, v33
	v_cmp_u_f16_e64 s[76:77], v31, v31
	v_cmp_u_f16_e64 s[74:75], v13, v13
	v_min_f32_e32 v25, v24, v12
	v_max_f32_e32 v24, v24, v12
	v_cndmask_b32_e64 v25, v25, v33, s[76:77]
	v_cndmask_b32_e64 v24, v24, v33, s[76:77]
	;; [unrolled: 1-line block ×4, first 2 shown]
	v_cmp_neq_f32_e64 s[76:77], v25, v24
	v_cmp_class_f32_e64 s[0:1], v25, s33
	s_or_b64 s[76:77], s[76:77], s[0:1]
	s_and_saveexec_b64 s[0:1], s[76:77]
	s_cbranch_execz .LBB371_78
; %bb.77:
	v_sub_f32_e32 v25, v25, v24
	s_mov_b32 s2, 0x3fb8aa3b
	v_mul_f32_e32 v26, 0x3fb8aa3b, v25
	v_fma_f32 v27, v25, s2, -v26
	v_rndne_f32_e32 v28, v26
	v_fmac_f32_e32 v27, 0x32a5705f, v25
	v_sub_f32_e32 v26, v26, v28
	v_add_f32_e32 v26, v26, v27
	v_exp_f32_e32 v26, v26
	v_cvt_i32_f32_e32 v27, v28
	s_mov_b32 s2, 0xc2ce8ed0
	v_cmp_ngt_f32_e64 s[76:77], s2, v25
	s_mov_b32 s2, 0x42b17218
	v_ldexp_f32 v26, v26, v27
	v_cndmask_b32_e64 v26, 0, v26, s[76:77]
	v_mov_b32_e32 v27, 0x7f800000
	v_cmp_nlt_f32_e64 s[76:77], s2, v25
	v_cndmask_b32_e64 v31, v27, v26, s[76:77]
	v_add_f32_e32 v25, 1.0, v31
	v_add_f32_e32 v26, -1.0, v25
	v_sub_f32_e32 v27, v26, v25
	v_add_f32_e32 v27, 1.0, v27
	v_sub_f32_e32 v26, v31, v26
	v_add_f32_e32 v28, v26, v27
	v_frexp_mant_f32_e32 v32, v25
	s_mov_b32 s2, 0x3f2aaaab
	v_cvt_f64_f32_e32 v[26:27], v25
	v_frexp_exp_i32_f64_e32 v26, v[26:27]
	v_cmp_gt_f32_e64 s[76:77], s2, v32
	v_subbrev_co_u32_e64 v38, s[76:77], 0, v26, s[76:77]
	v_sub_u32_e32 v26, 0, v38
	v_ldexp_f32 v25, v25, v26
	v_ldexp_f32 v26, v28, v26
	v_add_f32_e32 v28, -1.0, v25
	v_add_f32_e32 v27, 1.0, v28
	v_sub_f32_e32 v27, v25, v27
	v_add_f32_e32 v32, v26, v27
	v_add_f32_e32 v27, 1.0, v25
	v_add_f32_e32 v33, -1.0, v27
	v_sub_f32_e32 v25, v25, v33
	v_add_f32_e32 v25, v26, v25
	v_add_f32_e32 v39, v27, v25
	v_rcp_f32_e32 v40, v39
	v_sub_f32_e32 v26, v27, v39
	v_add_f32_e32 v27, v28, v32
	v_add_f32_e32 v25, v25, v26
	v_sub_f32_e32 v26, v28, v27
	v_mul_f32_e32 v41, v27, v40
	v_add_f32_e32 v28, v32, v26
	v_mul_f32_e32 v32, v39, v41
	v_fma_f32 v34, v41, v39, -v32
	v_fmac_f32_e32 v34, v41, v25
	v_add_f32_e32 v26, v32, v34
	v_sub_f32_e32 v33, v27, v26
	v_pk_add_f32 v[36:37], v[26:27], v[32:33] neg_lo:[0,1] neg_hi:[0,1]
	v_mov_b32_e32 v35, v26
	v_pk_add_f32 v[26:27], v[36:37], v[34:35] neg_lo:[0,1] neg_hi:[0,1]
	v_add_f32_e32 v27, v28, v27
	v_add_f32_e32 v26, v26, v27
	;; [unrolled: 1-line block ×3, first 2 shown]
	v_mul_f32_e32 v28, v40, v27
	v_mul_f32_e32 v32, v39, v28
	v_fma_f32 v34, v28, v39, -v32
	v_fmac_f32_e32 v34, v28, v25
	v_sub_f32_e32 v25, v33, v27
	v_add_f32_e32 v25, v26, v25
	v_add_f32_e32 v26, v32, v34
	v_sub_f32_e32 v33, v27, v26
	v_pk_add_f32 v[36:37], v[26:27], v[32:33] neg_lo:[0,1] neg_hi:[0,1]
	v_mov_b32_e32 v35, v26
	v_pk_add_f32 v[26:27], v[36:37], v[34:35] neg_lo:[0,1] neg_hi:[0,1]
	v_add_f32_e32 v25, v25, v27
	v_add_f32_e32 v25, v26, v25
	;; [unrolled: 1-line block ×4, first 2 shown]
	v_sub_f32_e32 v27, v26, v41
	v_mul_f32_e32 v25, v40, v25
	v_sub_f32_e32 v27, v28, v27
	v_add_f32_e32 v25, v27, v25
	v_add_f32_e32 v28, v26, v25
	v_mul_f32_e32 v33, v28, v28
	v_mov_b32_e32 v32, 0x3ecc95a3
	v_fmac_f32_e32 v32, 0x3e9b6dac, v33
	v_mov_b32_e32 v27, 0x3f2aaada
	v_fmac_f32_e32 v27, v33, v32
	v_cvt_f32_i32_e32 v32, v38
	v_sub_f32_e32 v26, v28, v26
	v_sub_f32_e32 v25, v25, v26
	v_mul_f32_e32 v33, v28, v33
	v_mov_b32_e32 v26, 0x3f317218
	s_mov_b32 s2, 0x3f317218
	v_pk_mul_f32 v[26:27], v[32:33], v[26:27]
	v_fma_f32 v34, v32, s2, -v26
	v_ldexp_f32 v35, v28, 1
	v_fmac_f32_e32 v34, 0xb102e308, v32
	v_pk_add_f32 v[32:33], v[26:27], v[34:35]
	v_sub_f32_e32 v28, v33, v35
	v_ldexp_f32 v25, v25, 1
	v_sub_f32_e32 v28, v27, v28
	v_add_f32_e32 v37, v25, v28
	v_mov_b32_e32 v36, v26
	v_pk_add_f32 v[26:27], v[32:33], v[26:27] neg_lo:[0,1] neg_hi:[0,1]
	v_pk_add_f32 v[38:39], v[32:33], v[36:37]
	v_mov_b32_e32 v27, v39
	v_mov_b32_e32 v35, v32
	v_pk_add_f32 v[40:41], v[34:35], v[26:27] neg_lo:[0,1] neg_hi:[0,1]
	v_pk_add_f32 v[26:27], v[34:35], v[26:27]
	v_mov_b32_e32 v28, v27
	v_pk_add_f32 v[34:35], v[28:29], v[32:33] neg_lo:[0,1] neg_hi:[0,1]
	v_mov_b32_e32 v25, v34
	v_pk_add_f32 v[42:43], v[38:39], v[24:25] neg_lo:[0,1] neg_hi:[0,1]
	v_mov_b32_e32 v26, v39
	v_mov_b32_e32 v38, v33
	;; [unrolled: 1-line block ×4, first 2 shown]
	v_pk_add_f32 v[26:27], v[26:27], v[38:39] neg_lo:[0,1] neg_hi:[0,1]
	v_mov_b32_e32 v34, v37
	v_mov_b32_e32 v35, v32
	v_pk_add_f32 v[26:27], v[34:35], v[26:27] neg_lo:[0,1] neg_hi:[0,1]
	v_mov_b32_e32 v42, v40
	v_pk_add_f32 v[32:33], v[42:43], v[26:27]
	v_mov_b32_e32 v34, v33
	v_pk_add_f32 v[34:35], v[32:33], v[34:35]
	v_pk_add_f32 v[36:37], v[28:29], v[34:35]
	v_mov_b32_e32 v33, v36
	v_pk_add_f32 v[38:39], v[32:33], v[40:41] neg_lo:[0,1] neg_hi:[0,1]
	v_mov_b32_e32 v27, v34
	v_sub_f32_e32 v25, v32, v38
	v_pk_add_f32 v[26:27], v[26:27], v[38:39] neg_lo:[0,1] neg_hi:[0,1]
	v_sub_f32_e32 v25, v40, v25
	s_mov_b32 s3, 0x7f800000
	v_add_f32_e32 v25, v26, v25
	s_mov_b32 s2, 0x33800000
	v_add_f32_e32 v25, v25, v27
	v_cmp_eq_f32_e64 s[76:77], s3, v31
	v_cmp_lt_f32_e64 s[78:79], |v31|, s2
	v_add_f32_e32 v25, v36, v25
	s_or_b64 s[76:77], s[76:77], s[78:79]
	v_cndmask_b32_e64 v25, v25, v31, s[76:77]
	v_add_f32_e32 v24, v24, v25
	v_cvt_f16_f32_e32 v31, v24
	v_cvt_f32_f16_e32 v33, v31
	v_mov_b32_e32 v32, v31
.LBB371_78:
	s_or_b64 exec, exec, s[0:1]
	v_cvt_f32_f16_sdwa v24, v13 dst_sel:DWORD dst_unused:UNUSED_PAD src0_sel:WORD_1
	v_max_f32_e32 v26, v33, v33
	v_cmp_u_f16_e64 s[78:79], v31, v31
	v_cmp_u_f16_sdwa s[76:77], v13, v13 src0_sel:WORD_1 src1_sel:WORD_1
	v_min_f32_e32 v25, v26, v24
	v_max_f32_e32 v13, v26, v24
	v_cndmask_b32_e64 v25, v25, v33, s[78:79]
	v_cndmask_b32_e64 v13, v13, v33, s[78:79]
	;; [unrolled: 1-line block ×4, first 2 shown]
	v_cmp_neq_f32_e64 s[78:79], v25, v13
	v_cmp_class_f32_e64 s[0:1], v25, s33
	s_or_b64 s[78:79], s[78:79], s[0:1]
	s_and_saveexec_b64 s[0:1], s[78:79]
	s_cbranch_execz .LBB371_80
; %bb.79:
	v_sub_f32_e32 v25, v25, v13
	s_mov_b32 s2, 0x3fb8aa3b
	v_mul_f32_e32 v26, 0x3fb8aa3b, v25
	v_fma_f32 v27, v25, s2, -v26
	v_rndne_f32_e32 v28, v26
	v_fmac_f32_e32 v27, 0x32a5705f, v25
	v_sub_f32_e32 v26, v26, v28
	v_add_f32_e32 v26, v26, v27
	v_exp_f32_e32 v26, v26
	v_cvt_i32_f32_e32 v27, v28
	s_mov_b32 s2, 0xc2ce8ed0
	v_cmp_ngt_f32_e64 s[78:79], s2, v25
	s_mov_b32 s2, 0x42b17218
	v_ldexp_f32 v26, v26, v27
	v_cndmask_b32_e64 v26, 0, v26, s[78:79]
	v_mov_b32_e32 v27, 0x7f800000
	v_cmp_nlt_f32_e64 s[78:79], s2, v25
	v_cndmask_b32_e64 v31, v27, v26, s[78:79]
	v_add_f32_e32 v25, 1.0, v31
	v_add_f32_e32 v26, -1.0, v25
	v_sub_f32_e32 v27, v26, v25
	v_add_f32_e32 v27, 1.0, v27
	v_sub_f32_e32 v26, v31, v26
	v_add_f32_e32 v28, v26, v27
	v_frexp_mant_f32_e32 v32, v25
	s_mov_b32 s2, 0x3f2aaaab
	v_cvt_f64_f32_e32 v[26:27], v25
	v_frexp_exp_i32_f64_e32 v26, v[26:27]
	v_cmp_gt_f32_e64 s[78:79], s2, v32
	v_subbrev_co_u32_e64 v38, s[78:79], 0, v26, s[78:79]
	v_sub_u32_e32 v26, 0, v38
	v_ldexp_f32 v25, v25, v26
	v_ldexp_f32 v26, v28, v26
	v_add_f32_e32 v28, -1.0, v25
	v_add_f32_e32 v27, 1.0, v28
	v_sub_f32_e32 v27, v25, v27
	v_add_f32_e32 v32, v26, v27
	v_add_f32_e32 v27, 1.0, v25
	v_add_f32_e32 v33, -1.0, v27
	v_sub_f32_e32 v25, v25, v33
	v_add_f32_e32 v25, v26, v25
	v_add_f32_e32 v39, v27, v25
	v_rcp_f32_e32 v40, v39
	v_sub_f32_e32 v26, v27, v39
	v_add_f32_e32 v27, v28, v32
	v_add_f32_e32 v25, v25, v26
	v_sub_f32_e32 v26, v28, v27
	v_mul_f32_e32 v41, v27, v40
	v_add_f32_e32 v28, v32, v26
	v_mul_f32_e32 v32, v39, v41
	v_fma_f32 v34, v41, v39, -v32
	v_fmac_f32_e32 v34, v41, v25
	v_add_f32_e32 v26, v32, v34
	v_sub_f32_e32 v33, v27, v26
	v_pk_add_f32 v[36:37], v[26:27], v[32:33] neg_lo:[0,1] neg_hi:[0,1]
	v_mov_b32_e32 v35, v26
	v_pk_add_f32 v[26:27], v[36:37], v[34:35] neg_lo:[0,1] neg_hi:[0,1]
	v_add_f32_e32 v27, v28, v27
	v_add_f32_e32 v26, v26, v27
	;; [unrolled: 1-line block ×3, first 2 shown]
	v_mul_f32_e32 v28, v40, v27
	v_mul_f32_e32 v32, v39, v28
	v_fma_f32 v34, v28, v39, -v32
	v_fmac_f32_e32 v34, v28, v25
	v_sub_f32_e32 v25, v33, v27
	v_add_f32_e32 v25, v26, v25
	v_add_f32_e32 v26, v32, v34
	v_sub_f32_e32 v33, v27, v26
	v_pk_add_f32 v[36:37], v[26:27], v[32:33] neg_lo:[0,1] neg_hi:[0,1]
	v_mov_b32_e32 v35, v26
	v_pk_add_f32 v[26:27], v[36:37], v[34:35] neg_lo:[0,1] neg_hi:[0,1]
	v_add_f32_e32 v25, v25, v27
	v_add_f32_e32 v25, v26, v25
	;; [unrolled: 1-line block ×4, first 2 shown]
	v_sub_f32_e32 v27, v26, v41
	v_mul_f32_e32 v25, v40, v25
	v_sub_f32_e32 v27, v28, v27
	v_add_f32_e32 v25, v27, v25
	v_add_f32_e32 v28, v26, v25
	v_mul_f32_e32 v33, v28, v28
	v_mov_b32_e32 v32, 0x3ecc95a3
	v_fmac_f32_e32 v32, 0x3e9b6dac, v33
	v_mov_b32_e32 v27, 0x3f2aaada
	v_fmac_f32_e32 v27, v33, v32
	v_cvt_f32_i32_e32 v32, v38
	v_sub_f32_e32 v26, v28, v26
	v_sub_f32_e32 v25, v25, v26
	v_mul_f32_e32 v33, v28, v33
	v_mov_b32_e32 v26, 0x3f317218
	s_mov_b32 s2, 0x3f317218
	v_pk_mul_f32 v[26:27], v[32:33], v[26:27]
	v_fma_f32 v34, v32, s2, -v26
	v_ldexp_f32 v35, v28, 1
	v_fmac_f32_e32 v34, 0xb102e308, v32
	v_pk_add_f32 v[32:33], v[26:27], v[34:35]
	v_sub_f32_e32 v28, v33, v35
	v_ldexp_f32 v25, v25, 1
	v_sub_f32_e32 v28, v27, v28
	v_add_f32_e32 v37, v25, v28
	v_mov_b32_e32 v36, v26
	v_pk_add_f32 v[26:27], v[32:33], v[26:27] neg_lo:[0,1] neg_hi:[0,1]
	v_pk_add_f32 v[38:39], v[32:33], v[36:37]
	v_mov_b32_e32 v27, v39
	v_mov_b32_e32 v35, v32
	v_pk_add_f32 v[40:41], v[34:35], v[26:27] neg_lo:[0,1] neg_hi:[0,1]
	v_pk_add_f32 v[26:27], v[34:35], v[26:27]
	v_mov_b32_e32 v28, v27
	v_pk_add_f32 v[34:35], v[28:29], v[32:33] neg_lo:[0,1] neg_hi:[0,1]
	v_mov_b32_e32 v25, v34
	v_pk_add_f32 v[42:43], v[38:39], v[24:25] neg_lo:[0,1] neg_hi:[0,1]
	v_mov_b32_e32 v26, v39
	v_mov_b32_e32 v38, v33
	;; [unrolled: 1-line block ×4, first 2 shown]
	v_pk_add_f32 v[26:27], v[26:27], v[38:39] neg_lo:[0,1] neg_hi:[0,1]
	v_mov_b32_e32 v34, v37
	v_mov_b32_e32 v35, v32
	v_pk_add_f32 v[26:27], v[34:35], v[26:27] neg_lo:[0,1] neg_hi:[0,1]
	v_mov_b32_e32 v42, v40
	v_pk_add_f32 v[32:33], v[42:43], v[26:27]
	v_mov_b32_e32 v34, v33
	v_pk_add_f32 v[34:35], v[32:33], v[34:35]
	v_pk_add_f32 v[36:37], v[28:29], v[34:35]
	v_mov_b32_e32 v33, v36
	v_pk_add_f32 v[38:39], v[32:33], v[40:41] neg_lo:[0,1] neg_hi:[0,1]
	v_mov_b32_e32 v27, v34
	v_sub_f32_e32 v25, v32, v38
	v_pk_add_f32 v[26:27], v[26:27], v[38:39] neg_lo:[0,1] neg_hi:[0,1]
	v_sub_f32_e32 v25, v40, v25
	s_mov_b32 s3, 0x7f800000
	v_add_f32_e32 v25, v26, v25
	s_mov_b32 s2, 0x33800000
	v_add_f32_e32 v25, v25, v27
	v_cmp_eq_f32_e64 s[78:79], s3, v31
	v_cmp_lt_f32_e64 s[80:81], |v31|, s2
	v_add_f32_e32 v25, v36, v25
	s_or_b64 s[78:79], s[78:79], s[80:81]
	v_cndmask_b32_e64 v25, v25, v31, s[78:79]
	v_add_f32_e32 v13, v13, v25
	v_cvt_f16_f32_e32 v31, v13
	v_cvt_f32_f16_e32 v33, v31
	v_mov_b32_e32 v32, v31
.LBB371_80:
	s_or_b64 exec, exec, s[0:1]
	v_cvt_f32_f16_e32 v13, v6
	v_max_f32_e32 v25, v33, v33
	v_cmp_u_f16_e64 s[80:81], v31, v31
	v_cmp_u_f16_e64 s[78:79], v6, v6
	v_min_f32_e32 v26, v25, v13
	v_max_f32_e32 v25, v25, v13
	v_cndmask_b32_e64 v26, v26, v33, s[80:81]
	v_cndmask_b32_e64 v25, v25, v33, s[80:81]
	;; [unrolled: 1-line block ×4, first 2 shown]
	v_cmp_neq_f32_e64 s[80:81], v26, v25
	v_cmp_class_f32_e64 s[0:1], v26, s33
	s_or_b64 s[80:81], s[80:81], s[0:1]
	s_and_saveexec_b64 s[0:1], s[80:81]
	s_cbranch_execz .LBB371_82
; %bb.81:
	v_sub_f32_e32 v26, v26, v25
	s_mov_b32 s2, 0x3fb8aa3b
	v_mul_f32_e32 v27, 0x3fb8aa3b, v26
	v_fma_f32 v28, v26, s2, -v27
	v_rndne_f32_e32 v31, v27
	v_fmac_f32_e32 v28, 0x32a5705f, v26
	v_sub_f32_e32 v27, v27, v31
	v_add_f32_e32 v27, v27, v28
	v_exp_f32_e32 v27, v27
	v_cvt_i32_f32_e32 v28, v31
	s_mov_b32 s2, 0xc2ce8ed0
	v_cmp_ngt_f32_e64 s[80:81], s2, v26
	s_mov_b32 s2, 0x42b17218
	v_ldexp_f32 v27, v27, v28
	v_cndmask_b32_e64 v27, 0, v27, s[80:81]
	v_mov_b32_e32 v28, 0x7f800000
	v_cmp_nlt_f32_e64 s[80:81], s2, v26
	v_cndmask_b32_e64 v44, v28, v27, s[80:81]
	v_add_f32_e32 v28, 1.0, v44
	v_add_f32_e32 v26, -1.0, v28
	v_sub_f32_e32 v27, v26, v28
	v_add_f32_e32 v27, 1.0, v27
	v_sub_f32_e32 v26, v44, v26
	v_add_f32_e32 v31, v26, v27
	v_frexp_mant_f32_e32 v32, v28
	s_mov_b32 s2, 0x3f2aaaab
	v_cvt_f64_f32_e32 v[26:27], v28
	v_frexp_exp_i32_f64_e32 v26, v[26:27]
	v_cmp_gt_f32_e64 s[80:81], s2, v32
	v_subbrev_co_u32_e64 v38, s[80:81], 0, v26, s[80:81]
	v_sub_u32_e32 v26, 0, v38
	v_ldexp_f32 v27, v28, v26
	v_add_f32_e32 v28, -1.0, v27
	v_add_f32_e32 v32, 1.0, v27
	v_ldexp_f32 v26, v31, v26
	v_add_f32_e32 v31, 1.0, v28
	v_add_f32_e32 v33, -1.0, v32
	v_sub_f32_e32 v31, v27, v31
	v_sub_f32_e32 v27, v27, v33
	v_add_f32_e32 v31, v26, v31
	v_add_f32_e32 v26, v26, v27
	;; [unrolled: 1-line block ×3, first 2 shown]
	v_rcp_f32_e32 v41, v39
	v_sub_f32_e32 v27, v32, v39
	v_add_f32_e32 v40, v26, v27
	v_add_f32_e32 v27, v28, v31
	v_sub_f32_e32 v26, v28, v27
	v_add_f32_e32 v28, v31, v26
	v_mul_f32_e32 v31, v27, v41
	v_mul_f32_e32 v32, v39, v31
	v_fma_f32 v34, v31, v39, -v32
	v_fmac_f32_e32 v34, v31, v40
	v_add_f32_e32 v26, v32, v34
	v_sub_f32_e32 v33, v27, v26
	v_pk_add_f32 v[36:37], v[26:27], v[32:33] neg_lo:[0,1] neg_hi:[0,1]
	v_mov_b32_e32 v35, v26
	v_pk_add_f32 v[26:27], v[36:37], v[34:35] neg_lo:[0,1] neg_hi:[0,1]
	v_add_f32_e32 v27, v28, v27
	v_add_f32_e32 v26, v26, v27
	;; [unrolled: 1-line block ×3, first 2 shown]
	v_mul_f32_e32 v28, v41, v27
	v_mul_f32_e32 v32, v39, v28
	v_fma_f32 v34, v28, v39, -v32
	v_fmac_f32_e32 v34, v28, v40
	v_sub_f32_e32 v33, v33, v27
	v_add_f32_e32 v39, v26, v33
	v_add_f32_e32 v26, v32, v34
	v_sub_f32_e32 v33, v27, v26
	v_pk_add_f32 v[36:37], v[26:27], v[32:33] neg_lo:[0,1] neg_hi:[0,1]
	v_mov_b32_e32 v35, v26
	v_pk_add_f32 v[26:27], v[36:37], v[34:35] neg_lo:[0,1] neg_hi:[0,1]
	v_add_f32_e32 v27, v39, v27
	v_add_f32_e32 v26, v26, v27
	;; [unrolled: 1-line block ×4, first 2 shown]
	v_sub_f32_e32 v27, v33, v31
	v_mul_f32_e32 v26, v41, v26
	v_sub_f32_e32 v27, v28, v27
	v_add_f32_e32 v26, v27, v26
	v_add_f32_e32 v28, v33, v26
	v_mul_f32_e32 v31, v28, v28
	v_mov_b32_e32 v32, 0x3ecc95a3
	v_fmac_f32_e32 v32, 0x3e9b6dac, v31
	v_mov_b32_e32 v27, 0x3f2aaada
	v_fmac_f32_e32 v27, v31, v32
	v_cvt_f32_i32_e32 v32, v38
	v_sub_f32_e32 v33, v28, v33
	v_sub_f32_e32 v26, v26, v33
	v_ldexp_f32 v36, v26, 1
	v_mul_f32_e32 v33, v28, v31
	v_mov_b32_e32 v26, 0x3f317218
	s_mov_b32 s2, 0x3f317218
	v_pk_mul_f32 v[26:27], v[32:33], v[26:27]
	v_fma_f32 v34, v32, s2, -v26
	v_ldexp_f32 v35, v28, 1
	v_fmac_f32_e32 v34, 0xb102e308, v32
	v_pk_add_f32 v[32:33], v[26:27], v[34:35]
	v_sub_f32_e32 v28, v33, v35
	v_sub_f32_e32 v28, v27, v28
	v_add_f32_e32 v37, v36, v28
	v_mov_b32_e32 v36, v26
	v_pk_add_f32 v[26:27], v[32:33], v[26:27] neg_lo:[0,1] neg_hi:[0,1]
	v_pk_add_f32 v[38:39], v[32:33], v[36:37]
	v_mov_b32_e32 v27, v39
	v_mov_b32_e32 v35, v32
	v_pk_add_f32 v[40:41], v[34:35], v[26:27] neg_lo:[0,1] neg_hi:[0,1]
	v_pk_add_f32 v[26:27], v[34:35], v[26:27]
	v_mov_b32_e32 v28, v27
	v_pk_add_f32 v[34:35], v[28:29], v[32:33] neg_lo:[0,1] neg_hi:[0,1]
	v_mov_b32_e32 v31, v34
	v_pk_add_f32 v[42:43], v[38:39], v[30:31] neg_lo:[0,1] neg_hi:[0,1]
	v_mov_b32_e32 v26, v39
	v_mov_b32_e32 v38, v33
	;; [unrolled: 1-line block ×4, first 2 shown]
	v_pk_add_f32 v[26:27], v[26:27], v[38:39] neg_lo:[0,1] neg_hi:[0,1]
	v_mov_b32_e32 v34, v37
	v_mov_b32_e32 v35, v32
	v_pk_add_f32 v[26:27], v[34:35], v[26:27] neg_lo:[0,1] neg_hi:[0,1]
	v_mov_b32_e32 v42, v40
	v_pk_add_f32 v[32:33], v[42:43], v[26:27]
	v_mov_b32_e32 v34, v33
	v_pk_add_f32 v[34:35], v[32:33], v[34:35]
	v_pk_add_f32 v[36:37], v[28:29], v[34:35]
	v_mov_b32_e32 v33, v36
	v_pk_add_f32 v[38:39], v[32:33], v[40:41] neg_lo:[0,1] neg_hi:[0,1]
	v_mov_b32_e32 v27, v34
	v_sub_f32_e32 v28, v32, v38
	v_pk_add_f32 v[26:27], v[26:27], v[38:39] neg_lo:[0,1] neg_hi:[0,1]
	v_sub_f32_e32 v28, v40, v28
	s_mov_b32 s3, 0x7f800000
	v_add_f32_e32 v26, v26, v28
	s_mov_b32 s2, 0x33800000
	v_add_f32_e32 v26, v26, v27
	v_cmp_eq_f32_e64 s[80:81], s3, v44
	v_cmp_lt_f32_e64 s[82:83], |v44|, s2
	v_add_f32_e32 v26, v36, v26
	s_or_b64 s[80:81], s[80:81], s[82:83]
	v_cndmask_b32_e64 v26, v26, v44, s[80:81]
	v_add_f32_e32 v25, v25, v26
	v_cvt_f16_f32_e32 v31, v25
	v_cvt_f32_f16_e32 v33, v31
	v_mov_b32_e32 v32, v31
.LBB371_82:
	s_or_b64 exec, exec, s[0:1]
	v_cvt_f32_f16_sdwa v25, v6 dst_sel:DWORD dst_unused:UNUSED_PAD src0_sel:WORD_1
	v_max_f32_e32 v27, v33, v33
	v_cmp_u_f16_e64 s[82:83], v31, v31
	v_cmp_u_f16_sdwa s[80:81], v6, v6 src0_sel:WORD_1 src1_sel:WORD_1
	v_min_f32_e32 v26, v27, v25
	v_max_f32_e32 v6, v27, v25
	v_cndmask_b32_e64 v26, v26, v33, s[82:83]
	v_cndmask_b32_e64 v6, v6, v33, s[82:83]
	;; [unrolled: 1-line block ×4, first 2 shown]
	v_cmp_neq_f32_e64 s[82:83], v26, v6
	v_cmp_class_f32_e64 s[0:1], v26, s33
	s_or_b64 s[82:83], s[82:83], s[0:1]
	s_and_saveexec_b64 s[0:1], s[82:83]
	s_cbranch_execz .LBB371_84
; %bb.83:
	v_sub_f32_e32 v26, v26, v6
	s_mov_b32 s2, 0x3fb8aa3b
	v_mul_f32_e32 v27, 0x3fb8aa3b, v26
	v_fma_f32 v28, v26, s2, -v27
	v_rndne_f32_e32 v31, v27
	v_fmac_f32_e32 v28, 0x32a5705f, v26
	v_sub_f32_e32 v27, v27, v31
	v_add_f32_e32 v27, v27, v28
	v_exp_f32_e32 v27, v27
	v_cvt_i32_f32_e32 v28, v31
	s_mov_b32 s2, 0xc2ce8ed0
	v_cmp_ngt_f32_e64 s[82:83], s2, v26
	s_mov_b32 s2, 0x42b17218
	v_ldexp_f32 v27, v27, v28
	v_cndmask_b32_e64 v27, 0, v27, s[82:83]
	v_mov_b32_e32 v28, 0x7f800000
	v_cmp_nlt_f32_e64 s[82:83], s2, v26
	v_cndmask_b32_e64 v44, v28, v27, s[82:83]
	v_add_f32_e32 v28, 1.0, v44
	v_add_f32_e32 v26, -1.0, v28
	v_sub_f32_e32 v27, v26, v28
	v_add_f32_e32 v27, 1.0, v27
	v_sub_f32_e32 v26, v44, v26
	v_add_f32_e32 v31, v26, v27
	v_frexp_mant_f32_e32 v32, v28
	s_mov_b32 s2, 0x3f2aaaab
	v_cvt_f64_f32_e32 v[26:27], v28
	v_frexp_exp_i32_f64_e32 v26, v[26:27]
	v_cmp_gt_f32_e64 s[82:83], s2, v32
	v_subbrev_co_u32_e64 v38, s[82:83], 0, v26, s[82:83]
	v_sub_u32_e32 v26, 0, v38
	v_ldexp_f32 v27, v28, v26
	v_add_f32_e32 v28, -1.0, v27
	v_add_f32_e32 v32, 1.0, v27
	v_ldexp_f32 v26, v31, v26
	v_add_f32_e32 v31, 1.0, v28
	v_add_f32_e32 v33, -1.0, v32
	v_sub_f32_e32 v31, v27, v31
	v_sub_f32_e32 v27, v27, v33
	v_add_f32_e32 v31, v26, v31
	v_add_f32_e32 v26, v26, v27
	;; [unrolled: 1-line block ×3, first 2 shown]
	v_rcp_f32_e32 v41, v39
	v_sub_f32_e32 v27, v32, v39
	v_add_f32_e32 v40, v26, v27
	v_add_f32_e32 v27, v28, v31
	v_sub_f32_e32 v26, v28, v27
	v_add_f32_e32 v28, v31, v26
	v_mul_f32_e32 v31, v27, v41
	v_mul_f32_e32 v32, v39, v31
	v_fma_f32 v34, v31, v39, -v32
	v_fmac_f32_e32 v34, v31, v40
	v_add_f32_e32 v26, v32, v34
	v_sub_f32_e32 v33, v27, v26
	v_pk_add_f32 v[36:37], v[26:27], v[32:33] neg_lo:[0,1] neg_hi:[0,1]
	v_mov_b32_e32 v35, v26
	v_pk_add_f32 v[26:27], v[36:37], v[34:35] neg_lo:[0,1] neg_hi:[0,1]
	v_add_f32_e32 v27, v28, v27
	v_add_f32_e32 v26, v26, v27
	;; [unrolled: 1-line block ×3, first 2 shown]
	v_mul_f32_e32 v28, v41, v27
	v_mul_f32_e32 v32, v39, v28
	v_fma_f32 v34, v28, v39, -v32
	v_fmac_f32_e32 v34, v28, v40
	v_sub_f32_e32 v33, v33, v27
	v_add_f32_e32 v39, v26, v33
	v_add_f32_e32 v26, v32, v34
	v_sub_f32_e32 v33, v27, v26
	v_pk_add_f32 v[36:37], v[26:27], v[32:33] neg_lo:[0,1] neg_hi:[0,1]
	v_mov_b32_e32 v35, v26
	v_pk_add_f32 v[26:27], v[36:37], v[34:35] neg_lo:[0,1] neg_hi:[0,1]
	v_add_f32_e32 v27, v39, v27
	v_add_f32_e32 v26, v26, v27
	;; [unrolled: 1-line block ×4, first 2 shown]
	v_sub_f32_e32 v27, v33, v31
	v_mul_f32_e32 v26, v41, v26
	v_sub_f32_e32 v27, v28, v27
	v_add_f32_e32 v26, v27, v26
	v_add_f32_e32 v28, v33, v26
	v_mul_f32_e32 v31, v28, v28
	v_mov_b32_e32 v32, 0x3ecc95a3
	v_fmac_f32_e32 v32, 0x3e9b6dac, v31
	v_mov_b32_e32 v27, 0x3f2aaada
	v_fmac_f32_e32 v27, v31, v32
	v_cvt_f32_i32_e32 v32, v38
	v_sub_f32_e32 v33, v28, v33
	v_sub_f32_e32 v26, v26, v33
	v_ldexp_f32 v36, v26, 1
	v_mul_f32_e32 v33, v28, v31
	v_mov_b32_e32 v26, 0x3f317218
	s_mov_b32 s2, 0x3f317218
	v_pk_mul_f32 v[26:27], v[32:33], v[26:27]
	v_fma_f32 v34, v32, s2, -v26
	v_ldexp_f32 v35, v28, 1
	v_fmac_f32_e32 v34, 0xb102e308, v32
	v_pk_add_f32 v[32:33], v[26:27], v[34:35]
	v_sub_f32_e32 v28, v33, v35
	v_sub_f32_e32 v28, v27, v28
	v_add_f32_e32 v37, v36, v28
	v_mov_b32_e32 v36, v26
	v_pk_add_f32 v[26:27], v[32:33], v[26:27] neg_lo:[0,1] neg_hi:[0,1]
	v_pk_add_f32 v[38:39], v[32:33], v[36:37]
	v_mov_b32_e32 v27, v39
	v_mov_b32_e32 v35, v32
	v_pk_add_f32 v[40:41], v[34:35], v[26:27] neg_lo:[0,1] neg_hi:[0,1]
	v_pk_add_f32 v[26:27], v[34:35], v[26:27]
	v_mov_b32_e32 v28, v27
	v_pk_add_f32 v[34:35], v[28:29], v[32:33] neg_lo:[0,1] neg_hi:[0,1]
	v_mov_b32_e32 v31, v34
	v_pk_add_f32 v[42:43], v[38:39], v[30:31] neg_lo:[0,1] neg_hi:[0,1]
	v_mov_b32_e32 v26, v39
	v_mov_b32_e32 v38, v33
	;; [unrolled: 1-line block ×4, first 2 shown]
	v_pk_add_f32 v[26:27], v[26:27], v[38:39] neg_lo:[0,1] neg_hi:[0,1]
	v_mov_b32_e32 v34, v37
	v_mov_b32_e32 v35, v32
	v_pk_add_f32 v[26:27], v[34:35], v[26:27] neg_lo:[0,1] neg_hi:[0,1]
	v_mov_b32_e32 v42, v40
	v_pk_add_f32 v[32:33], v[42:43], v[26:27]
	v_mov_b32_e32 v34, v33
	v_pk_add_f32 v[34:35], v[32:33], v[34:35]
	v_pk_add_f32 v[36:37], v[28:29], v[34:35]
	v_mov_b32_e32 v33, v36
	v_pk_add_f32 v[38:39], v[32:33], v[40:41] neg_lo:[0,1] neg_hi:[0,1]
	v_mov_b32_e32 v27, v34
	v_sub_f32_e32 v28, v32, v38
	v_pk_add_f32 v[26:27], v[26:27], v[38:39] neg_lo:[0,1] neg_hi:[0,1]
	v_sub_f32_e32 v28, v40, v28
	s_mov_b32 s3, 0x7f800000
	v_add_f32_e32 v26, v26, v28
	s_mov_b32 s2, 0x33800000
	v_add_f32_e32 v26, v26, v27
	v_cmp_eq_f32_e64 s[82:83], s3, v44
	v_cmp_lt_f32_e64 s[84:85], |v44|, s2
	v_add_f32_e32 v26, v36, v26
	s_or_b64 s[82:83], s[82:83], s[84:85]
	v_cndmask_b32_e64 v26, v26, v44, s[82:83]
	v_add_f32_e32 v6, v6, v26
	v_cvt_f16_f32_e32 v31, v6
	v_cvt_f32_f16_e32 v33, v31
	v_mov_b32_e32 v32, v31
.LBB371_84:
	s_or_b64 exec, exec, s[0:1]
	v_cvt_f32_f16_e32 v6, v7
	v_max_f32_e32 v26, v33, v33
	v_cmp_u_f16_e64 s[84:85], v31, v31
	v_cmp_u_f16_e64 s[82:83], v7, v7
	v_min_f32_e32 v27, v26, v6
	v_max_f32_e32 v26, v26, v6
	v_cndmask_b32_e64 v27, v27, v33, s[84:85]
	v_cndmask_b32_e64 v26, v26, v33, s[84:85]
	;; [unrolled: 1-line block ×4, first 2 shown]
	v_cmp_neq_f32_e64 s[84:85], v27, v26
	v_cmp_class_f32_e64 s[0:1], v27, s33
	s_or_b64 s[84:85], s[84:85], s[0:1]
	s_and_saveexec_b64 s[0:1], s[84:85]
	s_cbranch_execz .LBB371_86
; %bb.85:
	v_sub_f32_e32 v27, v27, v26
	s_mov_b32 s2, 0x3fb8aa3b
	v_mul_f32_e32 v28, 0x3fb8aa3b, v27
	v_fma_f32 v31, v27, s2, -v28
	v_rndne_f32_e32 v32, v28
	v_fmac_f32_e32 v31, 0x32a5705f, v27
	v_sub_f32_e32 v28, v28, v32
	v_add_f32_e32 v28, v28, v31
	v_exp_f32_e32 v28, v28
	v_cvt_i32_f32_e32 v31, v32
	s_mov_b32 s2, 0xc2ce8ed0
	v_cmp_ngt_f32_e64 s[84:85], s2, v27
	s_mov_b32 s2, 0x42b17218
	v_ldexp_f32 v28, v28, v31
	v_cndmask_b32_e64 v28, 0, v28, s[84:85]
	v_mov_b32_e32 v31, 0x7f800000
	v_cmp_nlt_f32_e64 s[84:85], s2, v27
	v_cndmask_b32_e64 v31, v31, v28, s[84:85]
	v_add_f32_e32 v27, 1.0, v31
	v_add_f32_e32 v28, -1.0, v27
	v_sub_f32_e32 v32, v28, v27
	v_add_f32_e32 v32, 1.0, v32
	v_sub_f32_e32 v28, v31, v28
	v_add_f32_e32 v28, v28, v32
	v_frexp_mant_f32_e32 v34, v27
	s_mov_b32 s2, 0x3f2aaaab
	v_cvt_f64_f32_e32 v[32:33], v27
	v_frexp_exp_i32_f64_e32 v32, v[32:33]
	v_cmp_gt_f32_e64 s[84:85], s2, v34
	v_subbrev_co_u32_e64 v40, s[84:85], 0, v32, s[84:85]
	v_sub_u32_e32 v32, 0, v40
	v_ldexp_f32 v27, v27, v32
	v_ldexp_f32 v28, v28, v32
	v_add_f32_e32 v32, -1.0, v27
	v_add_f32_e32 v33, 1.0, v32
	v_sub_f32_e32 v33, v27, v33
	v_add_f32_e32 v34, v28, v33
	v_add_f32_e32 v33, 1.0, v27
	v_add_f32_e32 v35, -1.0, v33
	v_sub_f32_e32 v27, v27, v35
	v_add_f32_e32 v27, v28, v27
	v_add_f32_e32 v28, v33, v27
	v_rcp_f32_e32 v41, v28
	v_sub_f32_e32 v33, v33, v28
	v_add_f32_e32 v27, v27, v33
	v_add_f32_e32 v33, v32, v34
	v_sub_f32_e32 v32, v32, v33
	v_mul_f32_e32 v43, v33, v41
	v_add_f32_e32 v42, v34, v32
	v_mul_f32_e32 v34, v28, v43
	v_fma_f32 v36, v43, v28, -v34
	v_fmac_f32_e32 v36, v43, v27
	v_add_f32_e32 v32, v34, v36
	v_sub_f32_e32 v35, v33, v32
	v_pk_add_f32 v[38:39], v[32:33], v[34:35] neg_lo:[0,1] neg_hi:[0,1]
	v_mov_b32_e32 v37, v32
	v_pk_add_f32 v[32:33], v[38:39], v[36:37] neg_lo:[0,1] neg_hi:[0,1]
	v_add_f32_e32 v33, v42, v33
	v_add_f32_e32 v32, v32, v33
	;; [unrolled: 1-line block ×3, first 2 shown]
	v_mul_f32_e32 v42, v41, v33
	v_mul_f32_e32 v34, v28, v42
	v_fma_f32 v36, v42, v28, -v34
	v_fmac_f32_e32 v36, v42, v27
	v_sub_f32_e32 v27, v35, v33
	v_add_f32_e32 v27, v32, v27
	v_add_f32_e32 v32, v34, v36
	v_sub_f32_e32 v35, v33, v32
	v_pk_add_f32 v[38:39], v[32:33], v[34:35] neg_lo:[0,1] neg_hi:[0,1]
	v_mov_b32_e32 v37, v32
	v_pk_add_f32 v[32:33], v[38:39], v[36:37] neg_lo:[0,1] neg_hi:[0,1]
	v_add_f32_e32 v27, v27, v33
	v_add_f32_e32 v27, v32, v27
	;; [unrolled: 1-line block ×4, first 2 shown]
	v_sub_f32_e32 v32, v28, v43
	v_mul_f32_e32 v27, v41, v27
	v_sub_f32_e32 v32, v42, v32
	v_add_f32_e32 v27, v32, v27
	v_add_f32_e32 v32, v28, v27
	v_mul_f32_e32 v35, v32, v32
	v_mov_b32_e32 v34, 0x3ecc95a3
	v_fmac_f32_e32 v34, 0x3e9b6dac, v35
	v_mov_b32_e32 v33, 0x3f2aaada
	v_fmac_f32_e32 v33, v35, v34
	v_cvt_f32_i32_e32 v34, v40
	v_sub_f32_e32 v28, v32, v28
	v_ldexp_f32 v37, v32, 1
	v_mul_f32_e32 v35, v32, v35
	v_mov_b32_e32 v32, 0x3f317218
	s_mov_b32 s2, 0x3f317218
	v_pk_mul_f32 v[32:33], v[34:35], v[32:33]
	v_fma_f32 v36, v34, s2, -v32
	v_fmac_f32_e32 v36, 0xb102e308, v34
	v_pk_add_f32 v[34:35], v[32:33], v[36:37]
	v_sub_f32_e32 v27, v27, v28
	v_sub_f32_e32 v28, v35, v37
	v_ldexp_f32 v27, v27, 1
	v_sub_f32_e32 v28, v33, v28
	v_add_f32_e32 v39, v27, v28
	v_mov_b32_e32 v38, v32
	v_pk_add_f32 v[32:33], v[34:35], v[32:33] neg_lo:[0,1] neg_hi:[0,1]
	v_pk_add_f32 v[40:41], v[34:35], v[38:39]
	v_mov_b32_e32 v33, v41
	v_mov_b32_e32 v37, v34
	v_pk_add_f32 v[42:43], v[36:37], v[32:33] neg_lo:[0,1] neg_hi:[0,1]
	v_pk_add_f32 v[32:33], v[36:37], v[32:33]
	v_mov_b32_e32 v28, v33
	v_pk_add_f32 v[36:37], v[28:29], v[34:35] neg_lo:[0,1] neg_hi:[0,1]
	v_mov_b32_e32 v27, v36
	v_pk_add_f32 v[44:45], v[40:41], v[26:27] neg_lo:[0,1] neg_hi:[0,1]
	v_mov_b32_e32 v32, v41
	v_mov_b32_e32 v40, v35
	;; [unrolled: 1-line block ×4, first 2 shown]
	v_pk_add_f32 v[32:33], v[32:33], v[40:41] neg_lo:[0,1] neg_hi:[0,1]
	v_mov_b32_e32 v36, v39
	v_mov_b32_e32 v37, v34
	v_pk_add_f32 v[32:33], v[36:37], v[32:33] neg_lo:[0,1] neg_hi:[0,1]
	v_mov_b32_e32 v44, v42
	v_pk_add_f32 v[34:35], v[44:45], v[32:33]
	v_mov_b32_e32 v36, v35
	v_pk_add_f32 v[36:37], v[34:35], v[36:37]
	v_pk_add_f32 v[38:39], v[28:29], v[36:37]
	v_mov_b32_e32 v35, v38
	v_pk_add_f32 v[40:41], v[34:35], v[42:43] neg_lo:[0,1] neg_hi:[0,1]
	v_mov_b32_e32 v33, v36
	v_sub_f32_e32 v27, v34, v40
	v_pk_add_f32 v[32:33], v[32:33], v[40:41] neg_lo:[0,1] neg_hi:[0,1]
	v_sub_f32_e32 v27, v42, v27
	s_mov_b32 s3, 0x7f800000
	v_add_f32_e32 v27, v32, v27
	s_mov_b32 s2, 0x33800000
	v_add_f32_e32 v27, v27, v33
	v_cmp_eq_f32_e64 s[84:85], s3, v31
	v_cmp_lt_f32_e64 s[86:87], |v31|, s2
	v_add_f32_e32 v27, v38, v27
	s_or_b64 s[84:85], s[84:85], s[86:87]
	v_cndmask_b32_e64 v27, v27, v31, s[84:85]
	v_add_f32_e32 v26, v26, v27
	v_cvt_f16_f32_e32 v31, v26
	v_cvt_f32_f16_e32 v33, v31
	v_mov_b32_e32 v32, v31
.LBB371_86:
	s_or_b64 exec, exec, s[0:1]
	v_cvt_f32_f16_sdwa v26, v7 dst_sel:DWORD dst_unused:UNUSED_PAD src0_sel:WORD_1
	v_max_f32_e32 v28, v33, v33
	v_cmp_u_f16_e64 s[86:87], v31, v31
	v_cmp_u_f16_sdwa s[84:85], v7, v7 src0_sel:WORD_1 src1_sel:WORD_1
	v_min_f32_e32 v27, v28, v26
	v_max_f32_e32 v7, v28, v26
	v_cndmask_b32_e64 v27, v27, v33, s[86:87]
	v_cndmask_b32_e64 v7, v7, v33, s[86:87]
	;; [unrolled: 1-line block ×4, first 2 shown]
	v_cmp_neq_f32_e64 s[86:87], v27, v7
	v_cmp_class_f32_e64 s[0:1], v27, s33
	s_or_b64 s[86:87], s[86:87], s[0:1]
	s_and_saveexec_b64 s[0:1], s[86:87]
	s_cbranch_execz .LBB371_88
; %bb.87:
	v_sub_f32_e32 v27, v27, v7
	s_mov_b32 s2, 0x3fb8aa3b
	v_mul_f32_e32 v28, 0x3fb8aa3b, v27
	v_fma_f32 v31, v27, s2, -v28
	v_rndne_f32_e32 v32, v28
	v_fmac_f32_e32 v31, 0x32a5705f, v27
	v_sub_f32_e32 v28, v28, v32
	v_add_f32_e32 v28, v28, v31
	v_exp_f32_e32 v28, v28
	v_cvt_i32_f32_e32 v31, v32
	s_mov_b32 s2, 0xc2ce8ed0
	v_cmp_ngt_f32_e64 s[86:87], s2, v27
	s_mov_b32 s2, 0x42b17218
	v_ldexp_f32 v28, v28, v31
	v_cndmask_b32_e64 v28, 0, v28, s[86:87]
	v_mov_b32_e32 v31, 0x7f800000
	v_cmp_nlt_f32_e64 s[86:87], s2, v27
	v_cndmask_b32_e64 v31, v31, v28, s[86:87]
	v_add_f32_e32 v27, 1.0, v31
	v_add_f32_e32 v28, -1.0, v27
	v_sub_f32_e32 v32, v28, v27
	v_add_f32_e32 v32, 1.0, v32
	v_sub_f32_e32 v28, v31, v28
	v_add_f32_e32 v28, v28, v32
	v_frexp_mant_f32_e32 v34, v27
	s_mov_b32 s2, 0x3f2aaaab
	v_cvt_f64_f32_e32 v[32:33], v27
	v_frexp_exp_i32_f64_e32 v32, v[32:33]
	v_cmp_gt_f32_e64 s[86:87], s2, v34
	v_subbrev_co_u32_e64 v40, s[86:87], 0, v32, s[86:87]
	v_sub_u32_e32 v32, 0, v40
	v_ldexp_f32 v27, v27, v32
	v_ldexp_f32 v28, v28, v32
	v_add_f32_e32 v32, -1.0, v27
	v_add_f32_e32 v33, 1.0, v32
	v_sub_f32_e32 v33, v27, v33
	v_add_f32_e32 v34, v28, v33
	v_add_f32_e32 v33, 1.0, v27
	v_add_f32_e32 v35, -1.0, v33
	v_sub_f32_e32 v27, v27, v35
	v_add_f32_e32 v27, v28, v27
	v_add_f32_e32 v28, v33, v27
	v_rcp_f32_e32 v41, v28
	v_sub_f32_e32 v33, v33, v28
	v_add_f32_e32 v27, v27, v33
	v_add_f32_e32 v33, v32, v34
	v_sub_f32_e32 v32, v32, v33
	v_mul_f32_e32 v43, v33, v41
	v_add_f32_e32 v42, v34, v32
	v_mul_f32_e32 v34, v28, v43
	v_fma_f32 v36, v43, v28, -v34
	v_fmac_f32_e32 v36, v43, v27
	v_add_f32_e32 v32, v34, v36
	v_sub_f32_e32 v35, v33, v32
	v_pk_add_f32 v[38:39], v[32:33], v[34:35] neg_lo:[0,1] neg_hi:[0,1]
	v_mov_b32_e32 v37, v32
	v_pk_add_f32 v[32:33], v[38:39], v[36:37] neg_lo:[0,1] neg_hi:[0,1]
	v_add_f32_e32 v33, v42, v33
	v_add_f32_e32 v32, v32, v33
	;; [unrolled: 1-line block ×3, first 2 shown]
	v_mul_f32_e32 v42, v41, v33
	v_mul_f32_e32 v34, v28, v42
	v_fma_f32 v36, v42, v28, -v34
	v_fmac_f32_e32 v36, v42, v27
	v_sub_f32_e32 v27, v35, v33
	v_add_f32_e32 v27, v32, v27
	v_add_f32_e32 v32, v34, v36
	v_sub_f32_e32 v35, v33, v32
	v_pk_add_f32 v[38:39], v[32:33], v[34:35] neg_lo:[0,1] neg_hi:[0,1]
	v_mov_b32_e32 v37, v32
	v_pk_add_f32 v[32:33], v[38:39], v[36:37] neg_lo:[0,1] neg_hi:[0,1]
	v_add_f32_e32 v27, v27, v33
	v_add_f32_e32 v27, v32, v27
	;; [unrolled: 1-line block ×4, first 2 shown]
	v_sub_f32_e32 v32, v28, v43
	v_mul_f32_e32 v27, v41, v27
	v_sub_f32_e32 v32, v42, v32
	v_add_f32_e32 v27, v32, v27
	v_add_f32_e32 v32, v28, v27
	v_mul_f32_e32 v35, v32, v32
	v_mov_b32_e32 v34, 0x3ecc95a3
	v_fmac_f32_e32 v34, 0x3e9b6dac, v35
	v_mov_b32_e32 v33, 0x3f2aaada
	v_fmac_f32_e32 v33, v35, v34
	v_cvt_f32_i32_e32 v34, v40
	v_sub_f32_e32 v28, v32, v28
	v_ldexp_f32 v37, v32, 1
	v_mul_f32_e32 v35, v32, v35
	v_mov_b32_e32 v32, 0x3f317218
	s_mov_b32 s2, 0x3f317218
	v_pk_mul_f32 v[32:33], v[34:35], v[32:33]
	v_fma_f32 v36, v34, s2, -v32
	v_fmac_f32_e32 v36, 0xb102e308, v34
	v_pk_add_f32 v[34:35], v[32:33], v[36:37]
	v_sub_f32_e32 v27, v27, v28
	v_sub_f32_e32 v28, v35, v37
	v_ldexp_f32 v27, v27, 1
	v_sub_f32_e32 v28, v33, v28
	v_add_f32_e32 v39, v27, v28
	v_mov_b32_e32 v38, v32
	v_pk_add_f32 v[32:33], v[34:35], v[32:33] neg_lo:[0,1] neg_hi:[0,1]
	v_pk_add_f32 v[40:41], v[34:35], v[38:39]
	v_mov_b32_e32 v33, v41
	v_mov_b32_e32 v37, v34
	v_pk_add_f32 v[42:43], v[36:37], v[32:33] neg_lo:[0,1] neg_hi:[0,1]
	v_pk_add_f32 v[32:33], v[36:37], v[32:33]
	v_mov_b32_e32 v28, v33
	v_pk_add_f32 v[36:37], v[28:29], v[34:35] neg_lo:[0,1] neg_hi:[0,1]
	v_mov_b32_e32 v27, v36
	v_pk_add_f32 v[44:45], v[40:41], v[26:27] neg_lo:[0,1] neg_hi:[0,1]
	v_mov_b32_e32 v32, v41
	v_mov_b32_e32 v40, v35
	;; [unrolled: 1-line block ×4, first 2 shown]
	v_pk_add_f32 v[32:33], v[32:33], v[40:41] neg_lo:[0,1] neg_hi:[0,1]
	v_mov_b32_e32 v36, v39
	v_mov_b32_e32 v37, v34
	v_pk_add_f32 v[32:33], v[36:37], v[32:33] neg_lo:[0,1] neg_hi:[0,1]
	v_mov_b32_e32 v44, v42
	v_pk_add_f32 v[34:35], v[44:45], v[32:33]
	v_mov_b32_e32 v36, v35
	v_pk_add_f32 v[36:37], v[34:35], v[36:37]
	v_pk_add_f32 v[38:39], v[28:29], v[36:37]
	v_mov_b32_e32 v35, v38
	v_pk_add_f32 v[40:41], v[34:35], v[42:43] neg_lo:[0,1] neg_hi:[0,1]
	v_mov_b32_e32 v33, v36
	v_sub_f32_e32 v27, v34, v40
	v_pk_add_f32 v[32:33], v[32:33], v[40:41] neg_lo:[0,1] neg_hi:[0,1]
	v_sub_f32_e32 v27, v42, v27
	s_mov_b32 s3, 0x7f800000
	v_add_f32_e32 v27, v32, v27
	s_mov_b32 s2, 0x33800000
	v_add_f32_e32 v27, v27, v33
	v_cmp_eq_f32_e64 s[86:87], s3, v31
	v_cmp_lt_f32_e64 s[88:89], |v31|, s2
	v_add_f32_e32 v27, v38, v27
	s_or_b64 s[86:87], s[86:87], s[88:89]
	v_cndmask_b32_e64 v27, v27, v31, s[86:87]
	v_add_f32_e32 v7, v7, v27
	v_cvt_f16_f32_e32 v31, v7
	v_cvt_f32_f16_e32 v33, v31
	v_mov_b32_e32 v32, v31
.LBB371_88:
	s_or_b64 exec, exec, s[0:1]
	v_cvt_f32_f16_e32 v7, v8
	v_max_f32_e32 v27, v33, v33
	v_cmp_u_f16_e64 s[88:89], v31, v31
	v_cmp_u_f16_e64 s[86:87], v8, v8
	v_min_f32_e32 v28, v27, v7
	v_max_f32_e32 v27, v27, v7
	v_cndmask_b32_e64 v28, v28, v33, s[88:89]
	v_cndmask_b32_e64 v27, v27, v33, s[88:89]
	;; [unrolled: 1-line block ×4, first 2 shown]
	v_cmp_neq_f32_e64 s[88:89], v28, v27
	v_cmp_class_f32_e64 s[0:1], v28, s33
	s_or_b64 s[88:89], s[88:89], s[0:1]
	s_and_saveexec_b64 s[0:1], s[88:89]
	s_cbranch_execz .LBB371_90
; %bb.89:
	v_sub_f32_e32 v28, v28, v27
	s_mov_b32 s2, 0x3fb8aa3b
	v_mul_f32_e32 v31, 0x3fb8aa3b, v28
	v_fma_f32 v32, v28, s2, -v31
	v_rndne_f32_e32 v33, v31
	v_fmac_f32_e32 v32, 0x32a5705f, v28
	v_sub_f32_e32 v31, v31, v33
	v_add_f32_e32 v31, v31, v32
	v_exp_f32_e32 v31, v31
	v_cvt_i32_f32_e32 v32, v33
	s_mov_b32 s2, 0xc2ce8ed0
	v_cmp_ngt_f32_e64 s[88:89], s2, v28
	s_mov_b32 s2, 0x42b17218
	v_ldexp_f32 v31, v31, v32
	v_cndmask_b32_e64 v31, 0, v31, s[88:89]
	v_mov_b32_e32 v32, 0x7f800000
	v_cmp_nlt_f32_e64 s[88:89], s2, v28
	v_cndmask_b32_e64 v46, v32, v31, s[88:89]
	v_add_f32_e32 v28, 1.0, v46
	v_add_f32_e32 v31, -1.0, v28
	v_sub_f32_e32 v32, v31, v28
	v_add_f32_e32 v32, 1.0, v32
	v_sub_f32_e32 v31, v46, v31
	v_add_f32_e32 v31, v31, v32
	v_frexp_mant_f32_e32 v34, v28
	s_mov_b32 s2, 0x3f2aaaab
	v_cvt_f64_f32_e32 v[32:33], v28
	v_frexp_exp_i32_f64_e32 v32, v[32:33]
	v_cmp_gt_f32_e64 s[88:89], s2, v34
	v_subbrev_co_u32_e64 v40, s[88:89], 0, v32, s[88:89]
	v_sub_u32_e32 v32, 0, v40
	v_ldexp_f32 v28, v28, v32
	v_ldexp_f32 v31, v31, v32
	v_add_f32_e32 v32, -1.0, v28
	v_add_f32_e32 v33, 1.0, v32
	v_sub_f32_e32 v33, v28, v33
	v_add_f32_e32 v34, v31, v33
	v_add_f32_e32 v33, 1.0, v28
	v_add_f32_e32 v35, -1.0, v33
	v_sub_f32_e32 v28, v28, v35
	v_add_f32_e32 v28, v31, v28
	v_add_f32_e32 v31, v33, v28
	v_rcp_f32_e32 v41, v31
	v_sub_f32_e32 v33, v33, v31
	v_add_f32_e32 v28, v28, v33
	v_add_f32_e32 v33, v32, v34
	v_sub_f32_e32 v32, v32, v33
	v_mul_f32_e32 v43, v33, v41
	v_add_f32_e32 v42, v34, v32
	v_mul_f32_e32 v34, v31, v43
	v_fma_f32 v36, v43, v31, -v34
	v_fmac_f32_e32 v36, v43, v28
	v_add_f32_e32 v32, v34, v36
	v_sub_f32_e32 v35, v33, v32
	v_pk_add_f32 v[38:39], v[32:33], v[34:35] neg_lo:[0,1] neg_hi:[0,1]
	v_mov_b32_e32 v37, v32
	v_pk_add_f32 v[32:33], v[38:39], v[36:37] neg_lo:[0,1] neg_hi:[0,1]
	v_add_f32_e32 v33, v42, v33
	v_add_f32_e32 v32, v32, v33
	v_add_f32_e32 v33, v35, v32
	v_mul_f32_e32 v42, v41, v33
	v_mul_f32_e32 v34, v31, v42
	v_fma_f32 v36, v42, v31, -v34
	v_fmac_f32_e32 v36, v42, v28
	v_sub_f32_e32 v28, v35, v33
	v_add_f32_e32 v28, v32, v28
	v_add_f32_e32 v32, v34, v36
	v_sub_f32_e32 v35, v33, v32
	v_pk_add_f32 v[38:39], v[32:33], v[34:35] neg_lo:[0,1] neg_hi:[0,1]
	v_mov_b32_e32 v37, v32
	v_pk_add_f32 v[32:33], v[38:39], v[36:37] neg_lo:[0,1] neg_hi:[0,1]
	v_add_f32_e32 v28, v28, v33
	v_add_f32_e32 v28, v32, v28
	;; [unrolled: 1-line block ×4, first 2 shown]
	v_sub_f32_e32 v32, v31, v43
	v_mul_f32_e32 v28, v41, v28
	v_sub_f32_e32 v32, v42, v32
	v_add_f32_e32 v28, v32, v28
	v_add_f32_e32 v32, v31, v28
	v_mul_f32_e32 v35, v32, v32
	v_mov_b32_e32 v34, 0x3ecc95a3
	v_fmac_f32_e32 v34, 0x3e9b6dac, v35
	v_mov_b32_e32 v33, 0x3f2aaada
	v_fmac_f32_e32 v33, v35, v34
	v_cvt_f32_i32_e32 v34, v40
	v_sub_f32_e32 v31, v32, v31
	v_ldexp_f32 v37, v32, 1
	v_mul_f32_e32 v35, v32, v35
	v_mov_b32_e32 v32, 0x3f317218
	s_mov_b32 s2, 0x3f317218
	v_pk_mul_f32 v[32:33], v[34:35], v[32:33]
	v_fma_f32 v36, v34, s2, -v32
	v_fmac_f32_e32 v36, 0xb102e308, v34
	v_pk_add_f32 v[34:35], v[32:33], v[36:37]
	v_sub_f32_e32 v28, v28, v31
	v_sub_f32_e32 v31, v35, v37
	v_ldexp_f32 v28, v28, 1
	v_sub_f32_e32 v31, v33, v31
	v_add_f32_e32 v39, v28, v31
	v_mov_b32_e32 v38, v32
	v_pk_add_f32 v[32:33], v[34:35], v[32:33] neg_lo:[0,1] neg_hi:[0,1]
	v_pk_add_f32 v[40:41], v[34:35], v[38:39]
	v_mov_b32_e32 v33, v41
	v_mov_b32_e32 v37, v34
	v_pk_add_f32 v[42:43], v[36:37], v[32:33] neg_lo:[0,1] neg_hi:[0,1]
	v_pk_add_f32 v[32:33], v[36:37], v[32:33]
	v_mov_b32_e32 v28, v33
	v_pk_add_f32 v[36:37], v[28:29], v[34:35] neg_lo:[0,1] neg_hi:[0,1]
	v_mov_b32_e32 v31, v36
	v_pk_add_f32 v[44:45], v[40:41], v[30:31] neg_lo:[0,1] neg_hi:[0,1]
	v_mov_b32_e32 v32, v41
	v_mov_b32_e32 v40, v35
	;; [unrolled: 1-line block ×4, first 2 shown]
	v_pk_add_f32 v[32:33], v[32:33], v[40:41] neg_lo:[0,1] neg_hi:[0,1]
	v_mov_b32_e32 v36, v39
	v_mov_b32_e32 v37, v34
	v_pk_add_f32 v[32:33], v[36:37], v[32:33] neg_lo:[0,1] neg_hi:[0,1]
	v_mov_b32_e32 v44, v42
	v_pk_add_f32 v[34:35], v[44:45], v[32:33]
	v_mov_b32_e32 v36, v35
	v_pk_add_f32 v[36:37], v[34:35], v[36:37]
	v_pk_add_f32 v[38:39], v[28:29], v[36:37]
	v_mov_b32_e32 v35, v38
	v_pk_add_f32 v[40:41], v[34:35], v[42:43] neg_lo:[0,1] neg_hi:[0,1]
	v_mov_b32_e32 v33, v36
	v_sub_f32_e32 v28, v34, v40
	v_pk_add_f32 v[32:33], v[32:33], v[40:41] neg_lo:[0,1] neg_hi:[0,1]
	v_sub_f32_e32 v28, v42, v28
	s_mov_b32 s3, 0x7f800000
	v_add_f32_e32 v28, v32, v28
	s_mov_b32 s2, 0x33800000
	v_add_f32_e32 v28, v28, v33
	v_cmp_eq_f32_e64 s[88:89], s3, v46
	v_cmp_lt_f32_e64 s[90:91], |v46|, s2
	v_add_f32_e32 v28, v38, v28
	s_or_b64 s[88:89], s[88:89], s[90:91]
	v_cndmask_b32_e64 v28, v28, v46, s[88:89]
	v_add_f32_e32 v27, v27, v28
	v_cvt_f16_f32_e32 v31, v27
	v_cvt_f32_f16_e32 v33, v31
	v_mov_b32_e32 v32, v31
.LBB371_90:
	s_or_b64 exec, exec, s[0:1]
	v_cvt_f32_f16_sdwa v27, v8 dst_sel:DWORD dst_unused:UNUSED_PAD src0_sel:WORD_1
	v_max_f32_e32 v34, v33, v33
	v_cmp_u_f16_e64 s[90:91], v31, v31
	v_cmp_u_f16_sdwa s[88:89], v8, v8 src0_sel:WORD_1 src1_sel:WORD_1
	v_min_f32_e32 v28, v34, v27
	v_max_f32_e32 v8, v34, v27
	v_cndmask_b32_e64 v28, v28, v33, s[90:91]
	v_cndmask_b32_e64 v8, v8, v33, s[90:91]
	;; [unrolled: 1-line block ×4, first 2 shown]
	v_cmp_neq_f32_e64 s[90:91], v28, v8
	v_cmp_class_f32_e64 s[0:1], v28, s33
	s_or_b64 s[90:91], s[90:91], s[0:1]
	s_and_saveexec_b64 s[0:1], s[90:91]
	s_cbranch_execz .LBB371_92
; %bb.91:
	v_sub_f32_e32 v28, v28, v8
	s_mov_b32 s2, 0x3fb8aa3b
	v_mul_f32_e32 v31, 0x3fb8aa3b, v28
	v_fma_f32 v32, v28, s2, -v31
	v_rndne_f32_e32 v33, v31
	v_fmac_f32_e32 v32, 0x32a5705f, v28
	v_sub_f32_e32 v31, v31, v33
	v_add_f32_e32 v31, v31, v32
	v_exp_f32_e32 v31, v31
	v_cvt_i32_f32_e32 v32, v33
	s_mov_b32 s2, 0xc2ce8ed0
	v_cmp_ngt_f32_e64 s[90:91], s2, v28
	s_mov_b32 s2, 0x42b17218
	v_ldexp_f32 v31, v31, v32
	v_cndmask_b32_e64 v31, 0, v31, s[90:91]
	v_mov_b32_e32 v32, 0x7f800000
	v_cmp_nlt_f32_e64 s[90:91], s2, v28
	v_cndmask_b32_e64 v46, v32, v31, s[90:91]
	v_add_f32_e32 v28, 1.0, v46
	v_add_f32_e32 v31, -1.0, v28
	v_sub_f32_e32 v32, v31, v28
	v_add_f32_e32 v32, 1.0, v32
	v_sub_f32_e32 v31, v46, v31
	v_add_f32_e32 v31, v31, v32
	v_frexp_mant_f32_e32 v34, v28
	s_mov_b32 s2, 0x3f2aaaab
	v_cvt_f64_f32_e32 v[32:33], v28
	v_frexp_exp_i32_f64_e32 v32, v[32:33]
	v_cmp_gt_f32_e64 s[90:91], s2, v34
	v_subbrev_co_u32_e64 v40, s[90:91], 0, v32, s[90:91]
	v_sub_u32_e32 v32, 0, v40
	v_ldexp_f32 v28, v28, v32
	v_ldexp_f32 v31, v31, v32
	v_add_f32_e32 v32, -1.0, v28
	v_add_f32_e32 v33, 1.0, v32
	v_sub_f32_e32 v33, v28, v33
	v_add_f32_e32 v34, v31, v33
	v_add_f32_e32 v33, 1.0, v28
	v_add_f32_e32 v35, -1.0, v33
	v_sub_f32_e32 v28, v28, v35
	v_add_f32_e32 v28, v31, v28
	v_add_f32_e32 v31, v33, v28
	v_rcp_f32_e32 v41, v31
	v_sub_f32_e32 v33, v33, v31
	v_add_f32_e32 v28, v28, v33
	v_add_f32_e32 v33, v32, v34
	v_sub_f32_e32 v32, v32, v33
	v_mul_f32_e32 v43, v33, v41
	v_add_f32_e32 v42, v34, v32
	v_mul_f32_e32 v34, v31, v43
	v_fma_f32 v36, v43, v31, -v34
	v_fmac_f32_e32 v36, v43, v28
	v_add_f32_e32 v32, v34, v36
	v_sub_f32_e32 v35, v33, v32
	v_pk_add_f32 v[38:39], v[32:33], v[34:35] neg_lo:[0,1] neg_hi:[0,1]
	v_mov_b32_e32 v37, v32
	v_pk_add_f32 v[32:33], v[38:39], v[36:37] neg_lo:[0,1] neg_hi:[0,1]
	v_add_f32_e32 v33, v42, v33
	v_add_f32_e32 v32, v32, v33
	;; [unrolled: 1-line block ×3, first 2 shown]
	v_mul_f32_e32 v42, v41, v33
	v_mul_f32_e32 v34, v31, v42
	v_fma_f32 v36, v42, v31, -v34
	v_fmac_f32_e32 v36, v42, v28
	v_sub_f32_e32 v28, v35, v33
	v_add_f32_e32 v28, v32, v28
	v_add_f32_e32 v32, v34, v36
	v_sub_f32_e32 v35, v33, v32
	v_pk_add_f32 v[38:39], v[32:33], v[34:35] neg_lo:[0,1] neg_hi:[0,1]
	v_mov_b32_e32 v37, v32
	v_pk_add_f32 v[32:33], v[38:39], v[36:37] neg_lo:[0,1] neg_hi:[0,1]
	v_add_f32_e32 v28, v28, v33
	v_add_f32_e32 v28, v32, v28
	;; [unrolled: 1-line block ×4, first 2 shown]
	v_sub_f32_e32 v32, v31, v43
	v_mul_f32_e32 v28, v41, v28
	v_sub_f32_e32 v32, v42, v32
	v_add_f32_e32 v28, v32, v28
	v_add_f32_e32 v32, v31, v28
	v_mul_f32_e32 v35, v32, v32
	v_mov_b32_e32 v34, 0x3ecc95a3
	v_fmac_f32_e32 v34, 0x3e9b6dac, v35
	v_mov_b32_e32 v33, 0x3f2aaada
	v_fmac_f32_e32 v33, v35, v34
	v_cvt_f32_i32_e32 v34, v40
	v_sub_f32_e32 v31, v32, v31
	v_ldexp_f32 v37, v32, 1
	v_mul_f32_e32 v35, v32, v35
	v_mov_b32_e32 v32, 0x3f317218
	s_mov_b32 s2, 0x3f317218
	v_pk_mul_f32 v[32:33], v[34:35], v[32:33]
	v_fma_f32 v36, v34, s2, -v32
	v_fmac_f32_e32 v36, 0xb102e308, v34
	v_pk_add_f32 v[34:35], v[32:33], v[36:37]
	v_sub_f32_e32 v28, v28, v31
	v_sub_f32_e32 v31, v35, v37
	v_ldexp_f32 v28, v28, 1
	v_sub_f32_e32 v31, v33, v31
	v_add_f32_e32 v39, v28, v31
	v_mov_b32_e32 v38, v32
	v_pk_add_f32 v[32:33], v[34:35], v[32:33] neg_lo:[0,1] neg_hi:[0,1]
	v_pk_add_f32 v[40:41], v[34:35], v[38:39]
	v_mov_b32_e32 v33, v41
	v_mov_b32_e32 v37, v34
	v_pk_add_f32 v[42:43], v[36:37], v[32:33] neg_lo:[0,1] neg_hi:[0,1]
	v_pk_add_f32 v[32:33], v[36:37], v[32:33]
	v_mov_b32_e32 v28, v33
	v_pk_add_f32 v[36:37], v[28:29], v[34:35] neg_lo:[0,1] neg_hi:[0,1]
	v_mov_b32_e32 v31, v36
	v_pk_add_f32 v[44:45], v[40:41], v[30:31] neg_lo:[0,1] neg_hi:[0,1]
	v_mov_b32_e32 v32, v41
	v_mov_b32_e32 v40, v35
	;; [unrolled: 1-line block ×4, first 2 shown]
	v_pk_add_f32 v[32:33], v[32:33], v[40:41] neg_lo:[0,1] neg_hi:[0,1]
	v_mov_b32_e32 v36, v39
	v_mov_b32_e32 v37, v34
	v_pk_add_f32 v[32:33], v[36:37], v[32:33] neg_lo:[0,1] neg_hi:[0,1]
	v_mov_b32_e32 v44, v42
	v_pk_add_f32 v[34:35], v[44:45], v[32:33]
	v_mov_b32_e32 v36, v35
	v_pk_add_f32 v[36:37], v[34:35], v[36:37]
	v_pk_add_f32 v[38:39], v[28:29], v[36:37]
	v_mov_b32_e32 v35, v38
	v_pk_add_f32 v[40:41], v[34:35], v[42:43] neg_lo:[0,1] neg_hi:[0,1]
	v_mov_b32_e32 v33, v36
	v_sub_f32_e32 v28, v34, v40
	v_pk_add_f32 v[32:33], v[32:33], v[40:41] neg_lo:[0,1] neg_hi:[0,1]
	v_sub_f32_e32 v28, v42, v28
	s_mov_b32 s3, 0x7f800000
	v_add_f32_e32 v28, v32, v28
	s_mov_b32 s2, 0x33800000
	v_add_f32_e32 v28, v28, v33
	v_cmp_eq_f32_e64 s[90:91], s3, v46
	v_cmp_lt_f32_e64 s[92:93], |v46|, s2
	v_add_f32_e32 v28, v38, v28
	s_or_b64 s[90:91], s[90:91], s[92:93]
	v_cndmask_b32_e64 v28, v28, v46, s[90:91]
	v_add_f32_e32 v8, v8, v28
	v_cvt_f16_f32_e32 v31, v8
	v_cvt_f32_f16_e32 v33, v31
	v_mov_b32_e32 v32, v31
.LBB371_92:
	s_or_b64 exec, exec, s[0:1]
	v_cvt_f32_f16_e32 v8, v9
	v_max_f32_e32 v28, v33, v33
	v_cmp_u_f16_e64 s[92:93], v31, v31
	v_cmp_u_f16_e64 s[90:91], v9, v9
	v_min_f32_e32 v34, v28, v8
	v_max_f32_e32 v28, v28, v8
	v_cndmask_b32_e64 v34, v34, v33, s[92:93]
	v_cndmask_b32_e64 v28, v28, v33, s[92:93]
	;; [unrolled: 1-line block ×4, first 2 shown]
	v_cmp_neq_f32_e64 s[92:93], v34, v28
	v_cmp_class_f32_e64 s[0:1], v34, s33
	s_or_b64 s[92:93], s[92:93], s[0:1]
	s_and_saveexec_b64 s[0:1], s[92:93]
	s_cbranch_execz .LBB371_94
; %bb.93:
	v_sub_f32_e32 v31, v34, v28
	s_mov_b32 s2, 0x3fb8aa3b
	v_mul_f32_e32 v32, 0x3fb8aa3b, v31
	v_fma_f32 v33, v31, s2, -v32
	v_rndne_f32_e32 v34, v32
	v_fmac_f32_e32 v33, 0x32a5705f, v31
	v_sub_f32_e32 v32, v32, v34
	v_add_f32_e32 v32, v32, v33
	v_exp_f32_e32 v32, v32
	v_cvt_i32_f32_e32 v33, v34
	s_mov_b32 s2, 0xc2ce8ed0
	v_cmp_ngt_f32_e64 s[92:93], s2, v31
	s_mov_b32 s2, 0x42b17218
	v_ldexp_f32 v32, v32, v33
	v_cndmask_b32_e64 v32, 0, v32, s[92:93]
	v_mov_b32_e32 v33, 0x7f800000
	v_cmp_nlt_f32_e64 s[92:93], s2, v31
	v_cndmask_b32_e64 v48, v33, v32, s[92:93]
	v_add_f32_e32 v31, 1.0, v48
	v_add_f32_e32 v32, -1.0, v31
	v_sub_f32_e32 v33, v32, v31
	v_add_f32_e32 v33, 1.0, v33
	v_sub_f32_e32 v32, v48, v32
	v_add_f32_e32 v34, v32, v33
	v_frexp_mant_f32_e32 v35, v31
	s_mov_b32 s2, 0x3f2aaaab
	v_cvt_f64_f32_e32 v[32:33], v31
	v_frexp_exp_i32_f64_e32 v32, v[32:33]
	v_cmp_gt_f32_e64 s[92:93], s2, v35
	v_subbrev_co_u32_e64 v40, s[92:93], 0, v32, s[92:93]
	v_sub_u32_e32 v32, 0, v40
	v_ldexp_f32 v31, v31, v32
	v_ldexp_f32 v32, v34, v32
	v_add_f32_e32 v34, -1.0, v31
	v_add_f32_e32 v33, 1.0, v34
	v_sub_f32_e32 v33, v31, v33
	v_add_f32_e32 v35, v32, v33
	v_add_f32_e32 v33, 1.0, v31
	v_add_f32_e32 v36, -1.0, v33
	v_sub_f32_e32 v31, v31, v36
	v_add_f32_e32 v31, v32, v31
	v_add_f32_e32 v41, v33, v31
	v_rcp_f32_e32 v42, v41
	v_sub_f32_e32 v32, v33, v41
	v_add_f32_e32 v33, v34, v35
	v_add_f32_e32 v31, v31, v32
	v_mul_f32_e32 v44, v33, v42
	v_sub_f32_e32 v32, v34, v33
	v_mul_f32_e32 v34, v41, v44
	v_fma_f32 v36, v44, v41, -v34
	v_fmac_f32_e32 v36, v44, v31
	v_add_f32_e32 v43, v35, v32
	v_add_f32_e32 v32, v34, v36
	v_sub_f32_e32 v35, v33, v32
	v_pk_add_f32 v[38:39], v[32:33], v[34:35] neg_lo:[0,1] neg_hi:[0,1]
	v_mov_b32_e32 v37, v32
	v_pk_add_f32 v[32:33], v[38:39], v[36:37] neg_lo:[0,1] neg_hi:[0,1]
	v_add_f32_e32 v33, v43, v33
	v_add_f32_e32 v32, v32, v33
	;; [unrolled: 1-line block ×3, first 2 shown]
	v_mul_f32_e32 v43, v42, v33
	v_mul_f32_e32 v34, v41, v43
	v_fma_f32 v36, v43, v41, -v34
	v_fmac_f32_e32 v36, v43, v31
	v_sub_f32_e32 v31, v35, v33
	v_add_f32_e32 v31, v32, v31
	v_add_f32_e32 v32, v34, v36
	v_sub_f32_e32 v35, v33, v32
	v_pk_add_f32 v[38:39], v[32:33], v[34:35] neg_lo:[0,1] neg_hi:[0,1]
	v_mov_b32_e32 v37, v32
	v_pk_add_f32 v[32:33], v[38:39], v[36:37] neg_lo:[0,1] neg_hi:[0,1]
	v_add_f32_e32 v31, v31, v33
	v_add_f32_e32 v31, v32, v31
	v_add_f32_e32 v32, v44, v43
	v_add_f32_e32 v31, v35, v31
	v_sub_f32_e32 v33, v32, v44
	v_mul_f32_e32 v31, v42, v31
	v_sub_f32_e32 v33, v43, v33
	v_add_f32_e32 v31, v33, v31
	v_add_f32_e32 v35, v32, v31
	v_mul_f32_e32 v36, v35, v35
	v_mov_b32_e32 v34, 0x3ecc95a3
	v_fmac_f32_e32 v34, 0x3e9b6dac, v36
	v_mov_b32_e32 v33, 0x3f2aaada
	v_fmac_f32_e32 v33, v36, v34
	v_cvt_f32_i32_e32 v34, v40
	v_sub_f32_e32 v32, v35, v32
	v_sub_f32_e32 v31, v31, v32
	v_ldexp_f32 v37, v35, 1
	v_mul_f32_e32 v35, v35, v36
	v_mov_b32_e32 v32, 0x3f317218
	s_mov_b32 s2, 0x3f317218
	v_pk_mul_f32 v[32:33], v[34:35], v[32:33]
	v_fma_f32 v36, v34, s2, -v32
	v_fmac_f32_e32 v36, 0xb102e308, v34
	v_pk_add_f32 v[34:35], v[32:33], v[36:37]
	v_sub_f32_e32 v37, v35, v37
	v_ldexp_f32 v31, v31, 1
	v_sub_f32_e32 v37, v33, v37
	v_add_f32_e32 v39, v31, v37
	v_mov_b32_e32 v38, v32
	v_pk_add_f32 v[32:33], v[34:35], v[32:33] neg_lo:[0,1] neg_hi:[0,1]
	v_pk_add_f32 v[40:41], v[34:35], v[38:39]
	v_mov_b32_e32 v33, v41
	v_mov_b32_e32 v37, v34
	v_pk_add_f32 v[42:43], v[36:37], v[32:33] neg_lo:[0,1] neg_hi:[0,1]
	v_pk_add_f32 v[32:33], v[36:37], v[32:33]
	v_mov_b32_e32 v36, v33
	v_pk_add_f32 v[44:45], v[36:37], v[34:35] neg_lo:[0,1] neg_hi:[0,1]
	v_mov_b32_e32 v31, v44
	v_pk_add_f32 v[46:47], v[40:41], v[30:31] neg_lo:[0,1] neg_hi:[0,1]
	v_mov_b32_e32 v32, v41
	v_mov_b32_e32 v40, v35
	;; [unrolled: 1-line block ×4, first 2 shown]
	v_pk_add_f32 v[32:33], v[32:33], v[40:41] neg_lo:[0,1] neg_hi:[0,1]
	v_mov_b32_e32 v38, v39
	v_mov_b32_e32 v39, v34
	v_pk_add_f32 v[32:33], v[38:39], v[32:33] neg_lo:[0,1] neg_hi:[0,1]
	v_mov_b32_e32 v46, v42
	v_pk_add_f32 v[34:35], v[46:47], v[32:33]
	v_mov_b32_e32 v38, v35
	v_pk_add_f32 v[38:39], v[34:35], v[38:39]
	v_pk_add_f32 v[36:37], v[36:37], v[38:39]
	v_mov_b32_e32 v35, v36
	v_pk_add_f32 v[40:41], v[34:35], v[42:43] neg_lo:[0,1] neg_hi:[0,1]
	v_mov_b32_e32 v33, v38
	v_sub_f32_e32 v31, v34, v40
	v_pk_add_f32 v[32:33], v[32:33], v[40:41] neg_lo:[0,1] neg_hi:[0,1]
	v_sub_f32_e32 v31, v42, v31
	s_mov_b32 s3, 0x7f800000
	v_add_f32_e32 v31, v32, v31
	s_mov_b32 s2, 0x33800000
	v_add_f32_e32 v31, v31, v33
	v_cmp_eq_f32_e64 s[92:93], s3, v48
	v_cmp_lt_f32_e64 vcc, |v48|, s2
	v_add_f32_e32 v31, v36, v31
	s_or_b64 s[92:93], s[92:93], vcc
	v_cndmask_b32_e64 v31, v31, v48, s[92:93]
	v_add_f32_e32 v28, v28, v31
	v_cvt_f16_f32_e32 v31, v28
	v_cvt_f32_f16_e32 v33, v31
	v_mov_b32_e32 v32, v31
.LBB371_94:
	s_or_b64 exec, exec, s[0:1]
	v_cvt_f32_f16_sdwa v28, v9 dst_sel:DWORD dst_unused:UNUSED_PAD src0_sel:WORD_1
	v_max_f32_e32 v34, v33, v33
	v_cmp_u_f16_e32 vcc, v31, v31
	v_cmp_u_f16_sdwa s[92:93], v9, v9 src0_sel:WORD_1 src1_sel:WORD_1
	v_min_f32_e32 v9, v34, v28
	v_cndmask_b32_e32 v9, v9, v33, vcc
	v_cndmask_b32_e64 v31, v9, v28, s[92:93]
	v_max_f32_e32 v9, v34, v28
	v_cndmask_b32_e32 v9, v9, v33, vcc
	v_cndmask_b32_e64 v9, v9, v28, s[92:93]
	s_movk_i32 s0, 0x1f8
	v_cmp_neq_f32_e32 vcc, v31, v9
	v_cmp_class_f32_e64 s[0:1], v31, s0
	s_or_b64 vcc, vcc, s[0:1]
	s_and_saveexec_b64 s[0:1], vcc
	s_cbranch_execz .LBB371_96
; %bb.95:
	v_sub_f32_e32 v31, v31, v9
	s_mov_b32 s2, 0x3fb8aa3b
	v_mul_f32_e32 v32, 0x3fb8aa3b, v31
	v_fma_f32 v33, v31, s2, -v32
	v_rndne_f32_e32 v34, v32
	v_fmac_f32_e32 v33, 0x32a5705f, v31
	v_sub_f32_e32 v32, v32, v34
	v_add_f32_e32 v32, v32, v33
	v_exp_f32_e32 v32, v32
	v_cvt_i32_f32_e32 v33, v34
	s_mov_b32 s2, 0xc2ce8ed0
	v_cmp_ngt_f32_e32 vcc, s2, v31
	s_mov_b32 s2, 0x42b17218
	v_ldexp_f32 v32, v32, v33
	v_cndmask_b32_e32 v32, 0, v32, vcc
	v_mov_b32_e32 v33, 0x7f800000
	v_cmp_nlt_f32_e32 vcc, s2, v31
	v_cndmask_b32_e32 v48, v33, v32, vcc
	v_add_f32_e32 v31, 1.0, v48
	v_add_f32_e32 v32, -1.0, v31
	v_sub_f32_e32 v33, v32, v31
	v_add_f32_e32 v33, 1.0, v33
	v_sub_f32_e32 v32, v48, v32
	v_add_f32_e32 v34, v32, v33
	v_frexp_mant_f32_e32 v35, v31
	s_mov_b32 s2, 0x3f2aaaab
	v_cvt_f64_f32_e32 v[32:33], v31
	v_frexp_exp_i32_f64_e32 v32, v[32:33]
	v_cmp_gt_f32_e32 vcc, s2, v35
	v_subbrev_co_u32_e32 v40, vcc, 0, v32, vcc
	v_sub_u32_e32 v32, 0, v40
	v_ldexp_f32 v31, v31, v32
	v_ldexp_f32 v32, v34, v32
	v_add_f32_e32 v34, -1.0, v31
	v_add_f32_e32 v33, 1.0, v34
	v_sub_f32_e32 v33, v31, v33
	v_add_f32_e32 v35, v32, v33
	v_add_f32_e32 v33, 1.0, v31
	v_add_f32_e32 v36, -1.0, v33
	v_sub_f32_e32 v31, v31, v36
	v_add_f32_e32 v31, v32, v31
	v_add_f32_e32 v41, v33, v31
	v_rcp_f32_e32 v42, v41
	v_sub_f32_e32 v32, v33, v41
	v_add_f32_e32 v33, v34, v35
	v_add_f32_e32 v31, v31, v32
	v_mul_f32_e32 v44, v33, v42
	v_sub_f32_e32 v32, v34, v33
	v_mul_f32_e32 v34, v41, v44
	v_fma_f32 v36, v44, v41, -v34
	v_fmac_f32_e32 v36, v44, v31
	v_add_f32_e32 v43, v35, v32
	v_add_f32_e32 v32, v34, v36
	v_sub_f32_e32 v35, v33, v32
	v_pk_add_f32 v[38:39], v[32:33], v[34:35] neg_lo:[0,1] neg_hi:[0,1]
	v_mov_b32_e32 v37, v32
	v_pk_add_f32 v[32:33], v[38:39], v[36:37] neg_lo:[0,1] neg_hi:[0,1]
	v_add_f32_e32 v33, v43, v33
	v_add_f32_e32 v32, v32, v33
	;; [unrolled: 1-line block ×3, first 2 shown]
	v_mul_f32_e32 v43, v42, v33
	v_mul_f32_e32 v34, v41, v43
	v_fma_f32 v36, v43, v41, -v34
	v_fmac_f32_e32 v36, v43, v31
	v_sub_f32_e32 v31, v35, v33
	v_add_f32_e32 v31, v32, v31
	v_add_f32_e32 v32, v34, v36
	v_sub_f32_e32 v35, v33, v32
	v_pk_add_f32 v[38:39], v[32:33], v[34:35] neg_lo:[0,1] neg_hi:[0,1]
	v_mov_b32_e32 v37, v32
	v_pk_add_f32 v[32:33], v[38:39], v[36:37] neg_lo:[0,1] neg_hi:[0,1]
	v_add_f32_e32 v31, v31, v33
	v_add_f32_e32 v31, v32, v31
	;; [unrolled: 1-line block ×4, first 2 shown]
	v_sub_f32_e32 v33, v32, v44
	v_mul_f32_e32 v31, v42, v31
	v_sub_f32_e32 v33, v43, v33
	v_add_f32_e32 v31, v33, v31
	v_add_f32_e32 v35, v32, v31
	v_mul_f32_e32 v36, v35, v35
	v_mov_b32_e32 v34, 0x3ecc95a3
	v_fmac_f32_e32 v34, 0x3e9b6dac, v36
	v_mov_b32_e32 v33, 0x3f2aaada
	v_fmac_f32_e32 v33, v36, v34
	v_cvt_f32_i32_e32 v34, v40
	v_sub_f32_e32 v32, v35, v32
	v_sub_f32_e32 v31, v31, v32
	v_ldexp_f32 v37, v35, 1
	v_mul_f32_e32 v35, v35, v36
	v_mov_b32_e32 v32, 0x3f317218
	s_mov_b32 s2, 0x3f317218
	v_pk_mul_f32 v[32:33], v[34:35], v[32:33]
	v_fma_f32 v36, v34, s2, -v32
	v_fmac_f32_e32 v36, 0xb102e308, v34
	v_pk_add_f32 v[34:35], v[32:33], v[36:37]
	v_sub_f32_e32 v37, v35, v37
	v_ldexp_f32 v31, v31, 1
	v_sub_f32_e32 v37, v33, v37
	v_add_f32_e32 v39, v31, v37
	v_mov_b32_e32 v38, v32
	v_pk_add_f32 v[32:33], v[34:35], v[32:33] neg_lo:[0,1] neg_hi:[0,1]
	v_pk_add_f32 v[40:41], v[34:35], v[38:39]
	v_mov_b32_e32 v33, v41
	v_mov_b32_e32 v37, v34
	v_pk_add_f32 v[42:43], v[36:37], v[32:33] neg_lo:[0,1] neg_hi:[0,1]
	v_pk_add_f32 v[32:33], v[36:37], v[32:33]
	v_mov_b32_e32 v36, v33
	v_pk_add_f32 v[44:45], v[36:37], v[34:35] neg_lo:[0,1] neg_hi:[0,1]
	v_mov_b32_e32 v31, v44
	v_pk_add_f32 v[46:47], v[40:41], v[30:31] neg_lo:[0,1] neg_hi:[0,1]
	v_mov_b32_e32 v32, v41
	v_mov_b32_e32 v40, v35
	;; [unrolled: 1-line block ×4, first 2 shown]
	v_pk_add_f32 v[32:33], v[32:33], v[40:41] neg_lo:[0,1] neg_hi:[0,1]
	v_mov_b32_e32 v38, v39
	v_mov_b32_e32 v39, v34
	v_pk_add_f32 v[32:33], v[38:39], v[32:33] neg_lo:[0,1] neg_hi:[0,1]
	v_mov_b32_e32 v46, v42
	v_pk_add_f32 v[34:35], v[46:47], v[32:33]
	v_mov_b32_e32 v38, v35
	v_pk_add_f32 v[38:39], v[34:35], v[38:39]
	v_pk_add_f32 v[36:37], v[36:37], v[38:39]
	v_mov_b32_e32 v35, v36
	v_pk_add_f32 v[40:41], v[34:35], v[42:43] neg_lo:[0,1] neg_hi:[0,1]
	v_mov_b32_e32 v33, v38
	v_sub_f32_e32 v31, v34, v40
	v_pk_add_f32 v[32:33], v[32:33], v[40:41] neg_lo:[0,1] neg_hi:[0,1]
	v_sub_f32_e32 v31, v42, v31
	s_mov_b32 s3, 0x7f800000
	v_add_f32_e32 v31, v32, v31
	s_mov_b32 s2, 0x33800000
	v_add_f32_e32 v31, v31, v33
	v_cmp_eq_f32_e32 vcc, s3, v48
	v_cmp_lt_f32_e64 s[2:3], |v48|, s2
	v_add_f32_e32 v31, v36, v31
	s_or_b64 vcc, vcc, s[2:3]
	v_cndmask_b32_e32 v31, v31, v48, vcc
	v_add_f32_e32 v9, v9, v31
	v_cvt_f16_f32_e32 v32, v9
.LBB371_96:
	s_or_b64 exec, exec, s[0:1]
	s_load_dwordx2 s[0:1], s[4:5], 0x18
	v_mbcnt_lo_u32_b32 v9, -1, 0
	v_mbcnt_hi_u32_b32 v31, -1, v9
	v_and_b32_e32 v33, 15, v31
	v_and_b32_e32 v34, 0xffff, v32
	s_waitcnt lgkmcnt(0)
	v_writelane_b32 v51, s0, 8
	v_cmp_ne_u32_e32 vcc, 0, v33
	v_mov_b32_dpp v35, v34 row_shr:1 row_mask:0xf bank_mask:0xf
	v_writelane_b32 v51, s1, 9
	s_and_saveexec_b64 s[0:1], vcc
	s_cbranch_execz .LBB371_100
; %bb.97:
	v_cvt_f32_f16_e32 v9, v35
	v_cvt_f32_f16_e32 v34, v32
	v_cmp_u_f16_e32 vcc, v35, v35
	v_cmp_u_f16_e64 s[4:5], v32, v32
	s_movk_i32 s2, 0x1f8
	v_min_f32_e32 v32, v9, v34
	v_max_f32_e32 v36, v9, v34
	v_cndmask_b32_e32 v32, v32, v9, vcc
	v_cndmask_b32_e32 v9, v36, v9, vcc
	v_cndmask_b32_e64 v32, v32, v34, s[4:5]
	v_cndmask_b32_e64 v9, v9, v34, s[4:5]
	v_cmp_neq_f32_e32 vcc, v32, v9
	v_cmp_class_f32_e64 s[2:3], v32, s2
	s_or_b64 s[2:3], vcc, s[2:3]
	s_and_saveexec_b64 s[4:5], s[2:3]
	s_cbranch_execz .LBB371_99
; %bb.98:
	v_sub_f32_e32 v32, v32, v9
	s_mov_b32 s2, 0x3fb8aa3b
	v_mul_f32_e32 v34, 0x3fb8aa3b, v32
	v_fma_f32 v35, v32, s2, -v34
	v_rndne_f32_e32 v36, v34
	v_fmac_f32_e32 v35, 0x32a5705f, v32
	v_sub_f32_e32 v34, v34, v36
	v_add_f32_e32 v34, v34, v35
	v_exp_f32_e32 v34, v34
	v_cvt_i32_f32_e32 v35, v36
	s_mov_b32 s2, 0xc2ce8ed0
	v_cmp_ngt_f32_e32 vcc, s2, v32
	s_mov_b32 s2, 0x42b17218
	v_ldexp_f32 v34, v34, v35
	v_cndmask_b32_e32 v34, 0, v34, vcc
	v_mov_b32_e32 v35, 0x7f800000
	v_cmp_nlt_f32_e32 vcc, s2, v32
	v_cndmask_b32_e32 v48, v35, v34, vcc
	v_add_f32_e32 v32, 1.0, v48
	v_add_f32_e32 v34, -1.0, v32
	v_sub_f32_e32 v35, v34, v32
	v_add_f32_e32 v35, 1.0, v35
	v_sub_f32_e32 v34, v48, v34
	v_add_f32_e32 v36, v34, v35
	v_frexp_mant_f32_e32 v37, v32
	s_mov_b32 s2, 0x3f2aaaab
	v_cvt_f64_f32_e32 v[34:35], v32
	v_frexp_exp_i32_f64_e32 v34, v[34:35]
	v_cmp_gt_f32_e32 vcc, s2, v37
	v_subbrev_co_u32_e32 v42, vcc, 0, v34, vcc
	v_sub_u32_e32 v34, 0, v42
	v_ldexp_f32 v32, v32, v34
	v_ldexp_f32 v34, v36, v34
	v_add_f32_e32 v36, -1.0, v32
	v_add_f32_e32 v35, 1.0, v36
	v_sub_f32_e32 v35, v32, v35
	v_add_f32_e32 v37, v34, v35
	v_add_f32_e32 v35, 1.0, v32
	v_add_f32_e32 v38, -1.0, v35
	v_sub_f32_e32 v32, v32, v38
	v_add_f32_e32 v32, v34, v32
	v_add_f32_e32 v43, v35, v32
	v_rcp_f32_e32 v44, v43
	v_sub_f32_e32 v34, v35, v43
	v_add_f32_e32 v35, v36, v37
	v_add_f32_e32 v32, v32, v34
	v_mul_f32_e32 v46, v35, v44
	v_sub_f32_e32 v34, v36, v35
	v_mul_f32_e32 v36, v43, v46
	v_fma_f32 v38, v46, v43, -v36
	v_fmac_f32_e32 v38, v46, v32
	v_add_f32_e32 v45, v37, v34
	v_add_f32_e32 v34, v36, v38
	v_sub_f32_e32 v37, v35, v34
	v_pk_add_f32 v[40:41], v[34:35], v[36:37] neg_lo:[0,1] neg_hi:[0,1]
	v_mov_b32_e32 v39, v34
	v_pk_add_f32 v[34:35], v[40:41], v[38:39] neg_lo:[0,1] neg_hi:[0,1]
	v_add_f32_e32 v35, v45, v35
	v_add_f32_e32 v34, v34, v35
	v_add_f32_e32 v35, v37, v34
	v_mul_f32_e32 v45, v44, v35
	v_mul_f32_e32 v36, v43, v45
	v_fma_f32 v38, v45, v43, -v36
	v_fmac_f32_e32 v38, v45, v32
	v_sub_f32_e32 v32, v37, v35
	v_add_f32_e32 v32, v34, v32
	v_add_f32_e32 v34, v36, v38
	v_sub_f32_e32 v37, v35, v34
	v_pk_add_f32 v[40:41], v[34:35], v[36:37] neg_lo:[0,1] neg_hi:[0,1]
	v_mov_b32_e32 v39, v34
	v_pk_add_f32 v[34:35], v[40:41], v[38:39] neg_lo:[0,1] neg_hi:[0,1]
	v_add_f32_e32 v32, v32, v35
	v_add_f32_e32 v32, v34, v32
	;; [unrolled: 1-line block ×4, first 2 shown]
	v_sub_f32_e32 v35, v34, v46
	v_mul_f32_e32 v32, v44, v32
	v_sub_f32_e32 v35, v45, v35
	v_add_f32_e32 v32, v35, v32
	v_add_f32_e32 v37, v34, v32
	v_mul_f32_e32 v38, v37, v37
	v_mov_b32_e32 v36, 0x3ecc95a3
	v_fmac_f32_e32 v36, 0x3e9b6dac, v38
	v_mov_b32_e32 v35, 0x3f2aaada
	v_fmac_f32_e32 v35, v38, v36
	v_cvt_f32_i32_e32 v36, v42
	v_sub_f32_e32 v34, v37, v34
	v_sub_f32_e32 v32, v32, v34
	v_ldexp_f32 v39, v37, 1
	v_mul_f32_e32 v37, v37, v38
	v_mov_b32_e32 v34, 0x3f317218
	s_mov_b32 s2, 0x3f317218
	v_pk_mul_f32 v[34:35], v[36:37], v[34:35]
	v_fma_f32 v38, v36, s2, -v34
	v_fmac_f32_e32 v38, 0xb102e308, v36
	v_pk_add_f32 v[36:37], v[34:35], v[38:39]
	v_sub_f32_e32 v39, v37, v39
	v_ldexp_f32 v32, v32, 1
	v_sub_f32_e32 v39, v35, v39
	v_add_f32_e32 v41, v32, v39
	v_mov_b32_e32 v40, v34
	v_pk_add_f32 v[34:35], v[36:37], v[34:35] neg_lo:[0,1] neg_hi:[0,1]
	v_pk_add_f32 v[42:43], v[36:37], v[40:41]
	v_mov_b32_e32 v35, v43
	v_mov_b32_e32 v39, v36
	v_pk_add_f32 v[44:45], v[38:39], v[34:35] neg_lo:[0,1] neg_hi:[0,1]
	v_pk_add_f32 v[34:35], v[38:39], v[34:35]
	v_mov_b32_e32 v32, v35
	v_pk_add_f32 v[38:39], v[32:33], v[36:37] neg_lo:[0,1] neg_hi:[0,1]
	v_mov_b32_e32 v39, v38
	v_pk_add_f32 v[46:47], v[42:43], v[38:39] neg_lo:[0,1] neg_hi:[0,1]
	v_mov_b32_e32 v34, v43
	v_mov_b32_e32 v42, v37
	;; [unrolled: 1-line block ×4, first 2 shown]
	v_pk_add_f32 v[34:35], v[34:35], v[42:43] neg_lo:[0,1] neg_hi:[0,1]
	v_mov_b32_e32 v38, v41
	v_mov_b32_e32 v39, v36
	v_pk_add_f32 v[34:35], v[38:39], v[34:35] neg_lo:[0,1] neg_hi:[0,1]
	v_mov_b32_e32 v46, v44
	v_pk_add_f32 v[36:37], v[46:47], v[34:35]
	v_mov_b32_e32 v38, v37
	v_pk_add_f32 v[38:39], v[36:37], v[38:39]
	v_pk_add_f32 v[40:41], v[32:33], v[38:39]
	v_mov_b32_e32 v37, v40
	v_pk_add_f32 v[42:43], v[36:37], v[44:45] neg_lo:[0,1] neg_hi:[0,1]
	v_mov_b32_e32 v35, v38
	v_sub_f32_e32 v32, v36, v42
	v_pk_add_f32 v[34:35], v[34:35], v[42:43] neg_lo:[0,1] neg_hi:[0,1]
	v_sub_f32_e32 v32, v44, v32
	s_mov_b32 s3, 0x7f800000
	v_add_f32_e32 v32, v34, v32
	s_mov_b32 s2, 0x33800000
	v_add_f32_e32 v32, v32, v35
	v_cmp_eq_f32_e32 vcc, s3, v48
	v_cmp_lt_f32_e64 s[2:3], |v48|, s2
	v_add_f32_e32 v32, v40, v32
	s_or_b64 vcc, vcc, s[2:3]
	v_cndmask_b32_e32 v32, v32, v48, vcc
	v_add_f32_e32 v9, v9, v32
	v_cvt_f16_f32_e32 v35, v9
.LBB371_99:
	s_or_b64 exec, exec, s[4:5]
	v_and_b32_e32 v34, 0xffff, v35
	v_mov_b32_e32 v32, v35
.LBB371_100:
	s_or_b64 exec, exec, s[0:1]
	v_mul_u32_u24_e32 v9, 46, v0
	v_mov_b32_dpp v35, v34 row_shr:2 row_mask:0xf bank_mask:0xf
	v_cmp_lt_u32_e32 vcc, 1, v33
	s_and_saveexec_b64 s[0:1], vcc
	s_cbranch_execz .LBB371_104
; %bb.101:
	v_cvt_f32_f16_e32 v36, v35
	v_cvt_f32_f16_e32 v37, v32
	v_cmp_u_f16_e32 vcc, v35, v35
	v_cmp_u_f16_e64 s[4:5], v32, v32
	s_movk_i32 s2, 0x1f8
	v_min_f32_e32 v32, v36, v37
	v_cndmask_b32_e32 v32, v32, v36, vcc
	v_cndmask_b32_e64 v34, v32, v37, s[4:5]
	v_max_f32_e32 v32, v36, v37
	v_cndmask_b32_e32 v32, v32, v36, vcc
	v_cndmask_b32_e64 v32, v32, v37, s[4:5]
	v_cmp_neq_f32_e32 vcc, v34, v32
	v_cmp_class_f32_e64 s[2:3], v34, s2
	s_or_b64 s[2:3], vcc, s[2:3]
	s_and_saveexec_b64 s[4:5], s[2:3]
	s_cbranch_execz .LBB371_103
; %bb.102:
	v_sub_f32_e32 v34, v34, v32
	s_mov_b32 s2, 0x3fb8aa3b
	v_mul_f32_e32 v35, 0x3fb8aa3b, v34
	v_fma_f32 v36, v34, s2, -v35
	v_rndne_f32_e32 v37, v35
	v_fmac_f32_e32 v36, 0x32a5705f, v34
	v_sub_f32_e32 v35, v35, v37
	v_add_f32_e32 v35, v35, v36
	v_exp_f32_e32 v35, v35
	v_cvt_i32_f32_e32 v36, v37
	s_mov_b32 s2, 0xc2ce8ed0
	v_cmp_ngt_f32_e32 vcc, s2, v34
	s_mov_b32 s2, 0x42b17218
	v_ldexp_f32 v35, v35, v36
	v_cndmask_b32_e32 v35, 0, v35, vcc
	v_mov_b32_e32 v36, 0x7f800000
	v_cmp_nlt_f32_e32 vcc, s2, v34
	v_cndmask_b32_e32 v50, v36, v35, vcc
	v_add_f32_e32 v36, 1.0, v50
	v_add_f32_e32 v34, -1.0, v36
	v_sub_f32_e32 v35, v34, v36
	v_add_f32_e32 v35, 1.0, v35
	v_sub_f32_e32 v34, v50, v34
	v_add_f32_e32 v37, v34, v35
	v_frexp_mant_f32_e32 v38, v36
	s_mov_b32 s2, 0x3f2aaaab
	v_cvt_f64_f32_e32 v[34:35], v36
	v_frexp_exp_i32_f64_e32 v34, v[34:35]
	v_cmp_gt_f32_e32 vcc, s2, v38
	v_subbrev_co_u32_e32 v42, vcc, 0, v34, vcc
	v_sub_u32_e32 v34, 0, v42
	v_ldexp_f32 v35, v36, v34
	v_add_f32_e32 v36, -1.0, v35
	v_add_f32_e32 v38, 1.0, v35
	v_ldexp_f32 v34, v37, v34
	v_add_f32_e32 v37, 1.0, v36
	v_add_f32_e32 v39, -1.0, v38
	v_sub_f32_e32 v37, v35, v37
	v_sub_f32_e32 v35, v35, v39
	v_add_f32_e32 v37, v34, v37
	v_add_f32_e32 v34, v34, v35
	;; [unrolled: 1-line block ×3, first 2 shown]
	v_rcp_f32_e32 v45, v43
	v_sub_f32_e32 v35, v38, v43
	v_add_f32_e32 v44, v34, v35
	v_add_f32_e32 v35, v36, v37
	v_mul_f32_e32 v47, v35, v45
	v_sub_f32_e32 v34, v36, v35
	v_mul_f32_e32 v36, v43, v47
	v_fma_f32 v38, v47, v43, -v36
	v_fmac_f32_e32 v38, v47, v44
	v_add_f32_e32 v46, v37, v34
	v_add_f32_e32 v34, v36, v38
	v_sub_f32_e32 v37, v35, v34
	v_pk_add_f32 v[40:41], v[34:35], v[36:37] neg_lo:[0,1] neg_hi:[0,1]
	v_mov_b32_e32 v39, v34
	v_pk_add_f32 v[34:35], v[40:41], v[38:39] neg_lo:[0,1] neg_hi:[0,1]
	v_add_f32_e32 v35, v46, v35
	v_add_f32_e32 v34, v34, v35
	v_add_f32_e32 v35, v37, v34
	v_mul_f32_e32 v46, v45, v35
	v_mul_f32_e32 v36, v43, v46
	v_fma_f32 v38, v46, v43, -v36
	v_fmac_f32_e32 v38, v46, v44
	v_sub_f32_e32 v37, v37, v35
	v_add_f32_e32 v43, v34, v37
	v_add_f32_e32 v34, v36, v38
	v_sub_f32_e32 v37, v35, v34
	v_pk_add_f32 v[40:41], v[34:35], v[36:37] neg_lo:[0,1] neg_hi:[0,1]
	v_mov_b32_e32 v39, v34
	v_pk_add_f32 v[34:35], v[40:41], v[38:39] neg_lo:[0,1] neg_hi:[0,1]
	v_add_f32_e32 v35, v43, v35
	v_add_f32_e32 v34, v34, v35
	;; [unrolled: 1-line block ×4, first 2 shown]
	v_sub_f32_e32 v35, v37, v47
	v_mul_f32_e32 v34, v45, v34
	v_sub_f32_e32 v35, v46, v35
	v_add_f32_e32 v34, v35, v34
	v_add_f32_e32 v38, v37, v34
	v_mul_f32_e32 v40, v38, v38
	v_mov_b32_e32 v36, 0x3ecc95a3
	v_fmac_f32_e32 v36, 0x3e9b6dac, v40
	v_mov_b32_e32 v35, 0x3f2aaada
	v_fmac_f32_e32 v35, v40, v36
	v_cvt_f32_i32_e32 v36, v42
	v_sub_f32_e32 v37, v38, v37
	v_sub_f32_e32 v34, v34, v37
	v_ldexp_f32 v41, v34, 1
	v_mul_f32_e32 v37, v38, v40
	v_mov_b32_e32 v34, 0x3f317218
	s_mov_b32 s2, 0x3f317218
	v_pk_mul_f32 v[34:35], v[36:37], v[34:35]
	v_ldexp_f32 v39, v38, 1
	v_fma_f32 v38, v36, s2, -v34
	v_fmac_f32_e32 v38, 0xb102e308, v36
	v_pk_add_f32 v[36:37], v[34:35], v[38:39]
	v_sub_f32_e32 v39, v37, v39
	v_sub_f32_e32 v39, v35, v39
	v_add_f32_e32 v41, v41, v39
	v_mov_b32_e32 v40, v34
	v_pk_add_f32 v[34:35], v[36:37], v[34:35] neg_lo:[0,1] neg_hi:[0,1]
	v_pk_add_f32 v[42:43], v[36:37], v[40:41]
	v_mov_b32_e32 v35, v43
	v_mov_b32_e32 v39, v36
	v_pk_add_f32 v[44:45], v[38:39], v[34:35] neg_lo:[0,1] neg_hi:[0,1]
	v_pk_add_f32 v[34:35], v[38:39], v[34:35]
	v_mov_b32_e32 v38, v35
	v_pk_add_f32 v[46:47], v[38:39], v[36:37] neg_lo:[0,1] neg_hi:[0,1]
	v_mov_b32_e32 v39, v46
	v_pk_add_f32 v[48:49], v[42:43], v[38:39] neg_lo:[0,1] neg_hi:[0,1]
	v_mov_b32_e32 v34, v43
	v_mov_b32_e32 v42, v37
	;; [unrolled: 1-line block ×4, first 2 shown]
	v_pk_add_f32 v[34:35], v[34:35], v[42:43] neg_lo:[0,1] neg_hi:[0,1]
	v_mov_b32_e32 v40, v41
	v_mov_b32_e32 v41, v36
	v_pk_add_f32 v[34:35], v[40:41], v[34:35] neg_lo:[0,1] neg_hi:[0,1]
	v_mov_b32_e32 v48, v44
	v_pk_add_f32 v[36:37], v[48:49], v[34:35]
	v_mov_b32_e32 v40, v37
	v_pk_add_f32 v[40:41], v[36:37], v[40:41]
	v_pk_add_f32 v[38:39], v[38:39], v[40:41]
	v_mov_b32_e32 v37, v38
	v_pk_add_f32 v[42:43], v[36:37], v[44:45] neg_lo:[0,1] neg_hi:[0,1]
	v_mov_b32_e32 v35, v40
	v_sub_f32_e32 v36, v36, v42
	v_pk_add_f32 v[34:35], v[34:35], v[42:43] neg_lo:[0,1] neg_hi:[0,1]
	v_sub_f32_e32 v36, v44, v36
	s_mov_b32 s3, 0x7f800000
	v_add_f32_e32 v34, v34, v36
	s_mov_b32 s2, 0x33800000
	v_add_f32_e32 v34, v34, v35
	v_cmp_eq_f32_e32 vcc, s3, v50
	v_cmp_lt_f32_e64 s[2:3], |v50|, s2
	v_add_f32_e32 v34, v38, v34
	s_or_b64 vcc, vcc, s[2:3]
	v_cndmask_b32_e32 v34, v34, v50, vcc
	v_add_f32_e32 v32, v32, v34
	v_cvt_f16_f32_e32 v35, v32
.LBB371_103:
	s_or_b64 exec, exec, s[4:5]
	v_and_b32_e32 v34, 0xffff, v35
	v_mov_b32_e32 v32, v35
.LBB371_104:
	s_or_b64 exec, exec, s[0:1]
	v_mov_b32_dpp v35, v34 row_shr:4 row_mask:0xf bank_mask:0xf
	v_cmp_lt_u32_e32 vcc, 3, v33
	s_and_saveexec_b64 s[0:1], vcc
	s_cbranch_execz .LBB371_108
; %bb.105:
	v_cvt_f32_f16_e32 v36, v35
	v_cvt_f32_f16_e32 v37, v32
	v_cmp_u_f16_e32 vcc, v35, v35
	v_cmp_u_f16_e64 s[4:5], v32, v32
	s_movk_i32 s2, 0x1f8
	v_min_f32_e32 v32, v36, v37
	v_cndmask_b32_e32 v32, v32, v36, vcc
	v_cndmask_b32_e64 v34, v32, v37, s[4:5]
	v_max_f32_e32 v32, v36, v37
	v_cndmask_b32_e32 v32, v32, v36, vcc
	v_cndmask_b32_e64 v32, v32, v37, s[4:5]
	v_cmp_neq_f32_e32 vcc, v34, v32
	v_cmp_class_f32_e64 s[2:3], v34, s2
	s_or_b64 s[2:3], vcc, s[2:3]
	s_and_saveexec_b64 s[4:5], s[2:3]
	s_cbranch_execz .LBB371_107
; %bb.106:
	v_sub_f32_e32 v34, v34, v32
	s_mov_b32 s2, 0x3fb8aa3b
	v_mul_f32_e32 v35, 0x3fb8aa3b, v34
	v_fma_f32 v36, v34, s2, -v35
	v_rndne_f32_e32 v37, v35
	v_fmac_f32_e32 v36, 0x32a5705f, v34
	v_sub_f32_e32 v35, v35, v37
	v_add_f32_e32 v35, v35, v36
	v_exp_f32_e32 v35, v35
	v_cvt_i32_f32_e32 v36, v37
	s_mov_b32 s2, 0xc2ce8ed0
	v_cmp_ngt_f32_e32 vcc, s2, v34
	s_mov_b32 s2, 0x42b17218
	v_ldexp_f32 v35, v35, v36
	v_cndmask_b32_e32 v35, 0, v35, vcc
	v_mov_b32_e32 v36, 0x7f800000
	v_cmp_nlt_f32_e32 vcc, s2, v34
	v_cndmask_b32_e32 v50, v36, v35, vcc
	v_add_f32_e32 v36, 1.0, v50
	v_add_f32_e32 v34, -1.0, v36
	v_sub_f32_e32 v35, v34, v36
	v_add_f32_e32 v35, 1.0, v35
	v_sub_f32_e32 v34, v50, v34
	v_add_f32_e32 v37, v34, v35
	v_frexp_mant_f32_e32 v38, v36
	s_mov_b32 s2, 0x3f2aaaab
	v_cvt_f64_f32_e32 v[34:35], v36
	v_frexp_exp_i32_f64_e32 v34, v[34:35]
	v_cmp_gt_f32_e32 vcc, s2, v38
	v_subbrev_co_u32_e32 v42, vcc, 0, v34, vcc
	v_sub_u32_e32 v34, 0, v42
	v_ldexp_f32 v35, v36, v34
	v_add_f32_e32 v36, -1.0, v35
	v_add_f32_e32 v38, 1.0, v35
	v_ldexp_f32 v34, v37, v34
	v_add_f32_e32 v37, 1.0, v36
	v_add_f32_e32 v39, -1.0, v38
	v_sub_f32_e32 v37, v35, v37
	v_sub_f32_e32 v35, v35, v39
	v_add_f32_e32 v37, v34, v37
	v_add_f32_e32 v34, v34, v35
	;; [unrolled: 1-line block ×3, first 2 shown]
	v_rcp_f32_e32 v45, v43
	v_sub_f32_e32 v35, v38, v43
	v_add_f32_e32 v44, v34, v35
	v_add_f32_e32 v35, v36, v37
	v_mul_f32_e32 v47, v35, v45
	v_sub_f32_e32 v34, v36, v35
	v_mul_f32_e32 v36, v43, v47
	v_fma_f32 v38, v47, v43, -v36
	v_fmac_f32_e32 v38, v47, v44
	v_add_f32_e32 v46, v37, v34
	v_add_f32_e32 v34, v36, v38
	v_sub_f32_e32 v37, v35, v34
	v_pk_add_f32 v[40:41], v[34:35], v[36:37] neg_lo:[0,1] neg_hi:[0,1]
	v_mov_b32_e32 v39, v34
	v_pk_add_f32 v[34:35], v[40:41], v[38:39] neg_lo:[0,1] neg_hi:[0,1]
	v_add_f32_e32 v35, v46, v35
	v_add_f32_e32 v34, v34, v35
	;; [unrolled: 1-line block ×3, first 2 shown]
	v_mul_f32_e32 v46, v45, v35
	v_mul_f32_e32 v36, v43, v46
	v_fma_f32 v38, v46, v43, -v36
	v_fmac_f32_e32 v38, v46, v44
	v_sub_f32_e32 v37, v37, v35
	v_add_f32_e32 v43, v34, v37
	v_add_f32_e32 v34, v36, v38
	v_sub_f32_e32 v37, v35, v34
	v_pk_add_f32 v[40:41], v[34:35], v[36:37] neg_lo:[0,1] neg_hi:[0,1]
	v_mov_b32_e32 v39, v34
	v_pk_add_f32 v[34:35], v[40:41], v[38:39] neg_lo:[0,1] neg_hi:[0,1]
	v_add_f32_e32 v35, v43, v35
	v_add_f32_e32 v34, v34, v35
	v_add_f32_e32 v34, v37, v34
	v_add_f32_e32 v37, v47, v46
	v_sub_f32_e32 v35, v37, v47
	v_mul_f32_e32 v34, v45, v34
	v_sub_f32_e32 v35, v46, v35
	v_add_f32_e32 v34, v35, v34
	v_add_f32_e32 v38, v37, v34
	v_mul_f32_e32 v40, v38, v38
	v_mov_b32_e32 v36, 0x3ecc95a3
	v_fmac_f32_e32 v36, 0x3e9b6dac, v40
	v_mov_b32_e32 v35, 0x3f2aaada
	v_fmac_f32_e32 v35, v40, v36
	v_cvt_f32_i32_e32 v36, v42
	v_sub_f32_e32 v37, v38, v37
	v_sub_f32_e32 v34, v34, v37
	v_ldexp_f32 v41, v34, 1
	v_mul_f32_e32 v37, v38, v40
	v_mov_b32_e32 v34, 0x3f317218
	s_mov_b32 s2, 0x3f317218
	v_pk_mul_f32 v[34:35], v[36:37], v[34:35]
	v_ldexp_f32 v39, v38, 1
	v_fma_f32 v38, v36, s2, -v34
	v_fmac_f32_e32 v38, 0xb102e308, v36
	v_pk_add_f32 v[36:37], v[34:35], v[38:39]
	v_sub_f32_e32 v39, v37, v39
	v_sub_f32_e32 v39, v35, v39
	v_add_f32_e32 v41, v41, v39
	v_mov_b32_e32 v40, v34
	v_pk_add_f32 v[34:35], v[36:37], v[34:35] neg_lo:[0,1] neg_hi:[0,1]
	v_pk_add_f32 v[42:43], v[36:37], v[40:41]
	v_mov_b32_e32 v35, v43
	v_mov_b32_e32 v39, v36
	v_pk_add_f32 v[44:45], v[38:39], v[34:35] neg_lo:[0,1] neg_hi:[0,1]
	v_pk_add_f32 v[34:35], v[38:39], v[34:35]
	v_mov_b32_e32 v38, v35
	v_pk_add_f32 v[46:47], v[38:39], v[36:37] neg_lo:[0,1] neg_hi:[0,1]
	v_mov_b32_e32 v39, v46
	v_pk_add_f32 v[48:49], v[42:43], v[38:39] neg_lo:[0,1] neg_hi:[0,1]
	v_mov_b32_e32 v34, v43
	v_mov_b32_e32 v42, v37
	;; [unrolled: 1-line block ×4, first 2 shown]
	v_pk_add_f32 v[34:35], v[34:35], v[42:43] neg_lo:[0,1] neg_hi:[0,1]
	v_mov_b32_e32 v40, v41
	v_mov_b32_e32 v41, v36
	v_pk_add_f32 v[34:35], v[40:41], v[34:35] neg_lo:[0,1] neg_hi:[0,1]
	v_mov_b32_e32 v48, v44
	v_pk_add_f32 v[36:37], v[48:49], v[34:35]
	v_mov_b32_e32 v40, v37
	v_pk_add_f32 v[40:41], v[36:37], v[40:41]
	v_pk_add_f32 v[38:39], v[38:39], v[40:41]
	v_mov_b32_e32 v37, v38
	v_pk_add_f32 v[42:43], v[36:37], v[44:45] neg_lo:[0,1] neg_hi:[0,1]
	v_mov_b32_e32 v35, v40
	v_sub_f32_e32 v36, v36, v42
	v_pk_add_f32 v[34:35], v[34:35], v[42:43] neg_lo:[0,1] neg_hi:[0,1]
	v_sub_f32_e32 v36, v44, v36
	s_mov_b32 s3, 0x7f800000
	v_add_f32_e32 v34, v34, v36
	s_mov_b32 s2, 0x33800000
	v_add_f32_e32 v34, v34, v35
	v_cmp_eq_f32_e32 vcc, s3, v50
	v_cmp_lt_f32_e64 s[2:3], |v50|, s2
	v_add_f32_e32 v34, v38, v34
	s_or_b64 vcc, vcc, s[2:3]
	v_cndmask_b32_e32 v34, v34, v50, vcc
	v_add_f32_e32 v32, v32, v34
	v_cvt_f16_f32_e32 v35, v32
.LBB371_107:
	s_or_b64 exec, exec, s[4:5]
	v_and_b32_e32 v34, 0xffff, v35
	v_mov_b32_e32 v32, v35
.LBB371_108:
	s_or_b64 exec, exec, s[0:1]
	v_mov_b32_dpp v35, v34 row_shr:8 row_mask:0xf bank_mask:0xf
	v_cmp_lt_u32_e32 vcc, 7, v33
	s_and_saveexec_b64 s[0:1], vcc
	s_cbranch_execz .LBB371_112
; %bb.109:
	v_cvt_f32_f16_e32 v34, v35
	v_cvt_f32_f16_e32 v36, v32
	v_cmp_u_f16_e32 vcc, v35, v35
	v_cmp_u_f16_e64 s[4:5], v32, v32
	s_movk_i32 s2, 0x1f8
	v_min_f32_e32 v32, v34, v36
	v_cndmask_b32_e32 v32, v32, v34, vcc
	v_cndmask_b32_e64 v33, v32, v36, s[4:5]
	v_max_f32_e32 v32, v34, v36
	v_cndmask_b32_e32 v32, v32, v34, vcc
	v_cndmask_b32_e64 v32, v32, v36, s[4:5]
	v_cmp_neq_f32_e32 vcc, v33, v32
	v_cmp_class_f32_e64 s[2:3], v33, s2
	s_or_b64 s[2:3], vcc, s[2:3]
	s_and_saveexec_b64 s[4:5], s[2:3]
	s_cbranch_execz .LBB371_111
; %bb.110:
	v_sub_f32_e32 v33, v33, v32
	s_mov_b32 s2, 0x3fb8aa3b
	v_mul_f32_e32 v34, 0x3fb8aa3b, v33
	v_fma_f32 v35, v33, s2, -v34
	v_rndne_f32_e32 v36, v34
	v_fmac_f32_e32 v35, 0x32a5705f, v33
	v_sub_f32_e32 v34, v34, v36
	v_add_f32_e32 v34, v34, v35
	v_exp_f32_e32 v34, v34
	v_cvt_i32_f32_e32 v35, v36
	s_mov_b32 s2, 0xc2ce8ed0
	v_cmp_ngt_f32_e32 vcc, s2, v33
	s_mov_b32 s2, 0x42b17218
	v_ldexp_f32 v34, v34, v35
	v_cndmask_b32_e32 v34, 0, v34, vcc
	v_mov_b32_e32 v35, 0x7f800000
	v_cmp_nlt_f32_e32 vcc, s2, v33
	v_cndmask_b32_e32 v50, v35, v34, vcc
	v_add_f32_e32 v33, 1.0, v50
	v_add_f32_e32 v34, -1.0, v33
	v_sub_f32_e32 v35, v34, v33
	v_add_f32_e32 v35, 1.0, v35
	v_sub_f32_e32 v34, v50, v34
	v_add_f32_e32 v36, v34, v35
	v_frexp_mant_f32_e32 v37, v33
	s_mov_b32 s2, 0x3f2aaaab
	v_cvt_f64_f32_e32 v[34:35], v33
	v_frexp_exp_i32_f64_e32 v34, v[34:35]
	v_cmp_gt_f32_e32 vcc, s2, v37
	v_subbrev_co_u32_e32 v42, vcc, 0, v34, vcc
	v_sub_u32_e32 v34, 0, v42
	v_ldexp_f32 v33, v33, v34
	v_ldexp_f32 v34, v36, v34
	v_add_f32_e32 v36, -1.0, v33
	v_add_f32_e32 v35, 1.0, v36
	v_sub_f32_e32 v35, v33, v35
	v_add_f32_e32 v37, v34, v35
	v_add_f32_e32 v35, 1.0, v33
	v_add_f32_e32 v38, -1.0, v35
	v_sub_f32_e32 v33, v33, v38
	v_add_f32_e32 v33, v34, v33
	v_add_f32_e32 v43, v35, v33
	v_rcp_f32_e32 v44, v43
	v_sub_f32_e32 v34, v35, v43
	v_add_f32_e32 v35, v36, v37
	v_add_f32_e32 v33, v33, v34
	v_mul_f32_e32 v46, v35, v44
	v_sub_f32_e32 v34, v36, v35
	v_mul_f32_e32 v36, v43, v46
	v_fma_f32 v38, v46, v43, -v36
	v_fmac_f32_e32 v38, v46, v33
	v_add_f32_e32 v45, v37, v34
	v_add_f32_e32 v34, v36, v38
	v_sub_f32_e32 v37, v35, v34
	v_pk_add_f32 v[40:41], v[34:35], v[36:37] neg_lo:[0,1] neg_hi:[0,1]
	v_mov_b32_e32 v39, v34
	v_pk_add_f32 v[34:35], v[40:41], v[38:39] neg_lo:[0,1] neg_hi:[0,1]
	v_add_f32_e32 v35, v45, v35
	v_add_f32_e32 v34, v34, v35
	;; [unrolled: 1-line block ×3, first 2 shown]
	v_mul_f32_e32 v45, v44, v35
	v_mul_f32_e32 v36, v43, v45
	v_fma_f32 v38, v45, v43, -v36
	v_fmac_f32_e32 v38, v45, v33
	v_sub_f32_e32 v33, v37, v35
	v_add_f32_e32 v33, v34, v33
	v_add_f32_e32 v34, v36, v38
	v_sub_f32_e32 v37, v35, v34
	v_pk_add_f32 v[40:41], v[34:35], v[36:37] neg_lo:[0,1] neg_hi:[0,1]
	v_mov_b32_e32 v39, v34
	v_pk_add_f32 v[34:35], v[40:41], v[38:39] neg_lo:[0,1] neg_hi:[0,1]
	v_add_f32_e32 v33, v33, v35
	v_add_f32_e32 v33, v34, v33
	;; [unrolled: 1-line block ×4, first 2 shown]
	v_sub_f32_e32 v35, v34, v46
	v_mul_f32_e32 v33, v44, v33
	v_sub_f32_e32 v35, v45, v35
	v_add_f32_e32 v33, v35, v33
	v_add_f32_e32 v37, v34, v33
	v_mul_f32_e32 v38, v37, v37
	v_mov_b32_e32 v36, 0x3ecc95a3
	v_fmac_f32_e32 v36, 0x3e9b6dac, v38
	v_mov_b32_e32 v35, 0x3f2aaada
	v_fmac_f32_e32 v35, v38, v36
	v_cvt_f32_i32_e32 v36, v42
	v_sub_f32_e32 v34, v37, v34
	v_sub_f32_e32 v33, v33, v34
	v_ldexp_f32 v39, v37, 1
	v_mul_f32_e32 v37, v37, v38
	v_mov_b32_e32 v34, 0x3f317218
	s_mov_b32 s2, 0x3f317218
	v_pk_mul_f32 v[34:35], v[36:37], v[34:35]
	v_fma_f32 v38, v36, s2, -v34
	v_fmac_f32_e32 v38, 0xb102e308, v36
	v_pk_add_f32 v[36:37], v[34:35], v[38:39]
	v_sub_f32_e32 v39, v37, v39
	v_ldexp_f32 v33, v33, 1
	v_sub_f32_e32 v39, v35, v39
	v_add_f32_e32 v41, v33, v39
	v_mov_b32_e32 v40, v34
	v_pk_add_f32 v[34:35], v[36:37], v[34:35] neg_lo:[0,1] neg_hi:[0,1]
	v_pk_add_f32 v[42:43], v[36:37], v[40:41]
	v_mov_b32_e32 v35, v43
	v_mov_b32_e32 v39, v36
	v_pk_add_f32 v[44:45], v[38:39], v[34:35] neg_lo:[0,1] neg_hi:[0,1]
	v_pk_add_f32 v[34:35], v[38:39], v[34:35]
	v_mov_b32_e32 v38, v35
	v_pk_add_f32 v[46:47], v[38:39], v[36:37] neg_lo:[0,1] neg_hi:[0,1]
	v_mov_b32_e32 v33, v46
	v_pk_add_f32 v[48:49], v[42:43], v[32:33] neg_lo:[0,1] neg_hi:[0,1]
	v_mov_b32_e32 v34, v43
	v_mov_b32_e32 v42, v37
	;; [unrolled: 1-line block ×4, first 2 shown]
	v_pk_add_f32 v[34:35], v[34:35], v[42:43] neg_lo:[0,1] neg_hi:[0,1]
	v_mov_b32_e32 v40, v41
	v_mov_b32_e32 v41, v36
	v_pk_add_f32 v[34:35], v[40:41], v[34:35] neg_lo:[0,1] neg_hi:[0,1]
	v_mov_b32_e32 v48, v44
	v_pk_add_f32 v[36:37], v[48:49], v[34:35]
	v_mov_b32_e32 v40, v37
	v_pk_add_f32 v[40:41], v[36:37], v[40:41]
	v_pk_add_f32 v[38:39], v[38:39], v[40:41]
	v_mov_b32_e32 v37, v38
	v_pk_add_f32 v[42:43], v[36:37], v[44:45] neg_lo:[0,1] neg_hi:[0,1]
	v_mov_b32_e32 v35, v40
	v_sub_f32_e32 v33, v36, v42
	v_pk_add_f32 v[34:35], v[34:35], v[42:43] neg_lo:[0,1] neg_hi:[0,1]
	v_sub_f32_e32 v33, v44, v33
	s_mov_b32 s3, 0x7f800000
	v_add_f32_e32 v33, v34, v33
	s_mov_b32 s2, 0x33800000
	v_add_f32_e32 v33, v33, v35
	v_cmp_eq_f32_e32 vcc, s3, v50
	v_cmp_lt_f32_e64 s[2:3], |v50|, s2
	v_add_f32_e32 v33, v38, v33
	s_or_b64 vcc, vcc, s[2:3]
	v_cndmask_b32_e32 v33, v33, v50, vcc
	v_add_f32_e32 v32, v32, v33
	v_cvt_f16_f32_e32 v35, v32
.LBB371_111:
	s_or_b64 exec, exec, s[4:5]
	v_and_b32_e32 v34, 0xffff, v35
	v_mov_b32_e32 v32, v35
.LBB371_112:
	s_or_b64 exec, exec, s[0:1]
	v_and_b32_e32 v35, 16, v31
	v_mov_b32_dpp v33, v34 row_bcast:15 row_mask:0xf bank_mask:0xf
	v_cmp_ne_u32_e32 vcc, 0, v35
	s_and_saveexec_b64 s[0:1], vcc
	s_cbranch_execz .LBB371_116
; %bb.113:
	v_cvt_f32_f16_e32 v35, v33
	v_cvt_f32_f16_e32 v36, v32
	v_cmp_u_f16_e32 vcc, v33, v33
	v_cmp_u_f16_e64 s[4:5], v32, v32
	s_movk_i32 s2, 0x1f8
	v_min_f32_e32 v32, v35, v36
	v_cndmask_b32_e32 v32, v32, v35, vcc
	v_cndmask_b32_e64 v34, v32, v36, s[4:5]
	v_max_f32_e32 v32, v35, v36
	v_cndmask_b32_e32 v32, v32, v35, vcc
	v_cndmask_b32_e64 v32, v32, v36, s[4:5]
	v_cmp_neq_f32_e32 vcc, v34, v32
	v_cmp_class_f32_e64 s[2:3], v34, s2
	s_or_b64 s[2:3], vcc, s[2:3]
	s_and_saveexec_b64 s[4:5], s[2:3]
	s_cbranch_execz .LBB371_115
; %bb.114:
	v_sub_f32_e32 v33, v34, v32
	s_mov_b32 s2, 0x3fb8aa3b
	v_mul_f32_e32 v34, 0x3fb8aa3b, v33
	v_fma_f32 v35, v33, s2, -v34
	v_rndne_f32_e32 v36, v34
	v_fmac_f32_e32 v35, 0x32a5705f, v33
	v_sub_f32_e32 v34, v34, v36
	v_add_f32_e32 v34, v34, v35
	v_exp_f32_e32 v34, v34
	v_cvt_i32_f32_e32 v35, v36
	s_mov_b32 s2, 0xc2ce8ed0
	v_cmp_ngt_f32_e32 vcc, s2, v33
	s_mov_b32 s2, 0x42b17218
	v_ldexp_f32 v34, v34, v35
	v_cndmask_b32_e32 v34, 0, v34, vcc
	v_mov_b32_e32 v35, 0x7f800000
	v_cmp_nlt_f32_e32 vcc, s2, v33
	v_cndmask_b32_e32 v50, v35, v34, vcc
	v_add_f32_e32 v33, 1.0, v50
	v_add_f32_e32 v34, -1.0, v33
	v_sub_f32_e32 v35, v34, v33
	v_add_f32_e32 v35, 1.0, v35
	v_sub_f32_e32 v34, v50, v34
	v_add_f32_e32 v36, v34, v35
	v_frexp_mant_f32_e32 v37, v33
	s_mov_b32 s2, 0x3f2aaaab
	v_cvt_f64_f32_e32 v[34:35], v33
	v_frexp_exp_i32_f64_e32 v34, v[34:35]
	v_cmp_gt_f32_e32 vcc, s2, v37
	v_subbrev_co_u32_e32 v42, vcc, 0, v34, vcc
	v_sub_u32_e32 v34, 0, v42
	v_ldexp_f32 v33, v33, v34
	v_ldexp_f32 v34, v36, v34
	v_add_f32_e32 v36, -1.0, v33
	v_add_f32_e32 v35, 1.0, v36
	v_sub_f32_e32 v35, v33, v35
	v_add_f32_e32 v37, v34, v35
	v_add_f32_e32 v35, 1.0, v33
	v_add_f32_e32 v38, -1.0, v35
	v_sub_f32_e32 v33, v33, v38
	v_add_f32_e32 v33, v34, v33
	v_add_f32_e32 v43, v35, v33
	v_rcp_f32_e32 v44, v43
	v_sub_f32_e32 v34, v35, v43
	v_add_f32_e32 v35, v36, v37
	v_add_f32_e32 v33, v33, v34
	v_mul_f32_e32 v46, v35, v44
	v_sub_f32_e32 v34, v36, v35
	v_mul_f32_e32 v36, v43, v46
	v_fma_f32 v38, v46, v43, -v36
	v_fmac_f32_e32 v38, v46, v33
	v_add_f32_e32 v45, v37, v34
	v_add_f32_e32 v34, v36, v38
	v_sub_f32_e32 v37, v35, v34
	v_pk_add_f32 v[40:41], v[34:35], v[36:37] neg_lo:[0,1] neg_hi:[0,1]
	v_mov_b32_e32 v39, v34
	v_pk_add_f32 v[34:35], v[40:41], v[38:39] neg_lo:[0,1] neg_hi:[0,1]
	v_add_f32_e32 v35, v45, v35
	v_add_f32_e32 v34, v34, v35
	;; [unrolled: 1-line block ×3, first 2 shown]
	v_mul_f32_e32 v45, v44, v35
	v_mul_f32_e32 v36, v43, v45
	v_fma_f32 v38, v45, v43, -v36
	v_fmac_f32_e32 v38, v45, v33
	v_sub_f32_e32 v33, v37, v35
	v_add_f32_e32 v33, v34, v33
	v_add_f32_e32 v34, v36, v38
	v_sub_f32_e32 v37, v35, v34
	v_pk_add_f32 v[40:41], v[34:35], v[36:37] neg_lo:[0,1] neg_hi:[0,1]
	v_mov_b32_e32 v39, v34
	v_pk_add_f32 v[34:35], v[40:41], v[38:39] neg_lo:[0,1] neg_hi:[0,1]
	v_add_f32_e32 v33, v33, v35
	v_add_f32_e32 v33, v34, v33
	;; [unrolled: 1-line block ×4, first 2 shown]
	v_sub_f32_e32 v35, v34, v46
	v_mul_f32_e32 v33, v44, v33
	v_sub_f32_e32 v35, v45, v35
	v_add_f32_e32 v33, v35, v33
	v_add_f32_e32 v37, v34, v33
	v_mul_f32_e32 v38, v37, v37
	v_mov_b32_e32 v36, 0x3ecc95a3
	v_fmac_f32_e32 v36, 0x3e9b6dac, v38
	v_mov_b32_e32 v35, 0x3f2aaada
	v_fmac_f32_e32 v35, v38, v36
	v_cvt_f32_i32_e32 v36, v42
	v_sub_f32_e32 v34, v37, v34
	v_sub_f32_e32 v33, v33, v34
	v_ldexp_f32 v39, v37, 1
	v_mul_f32_e32 v37, v37, v38
	v_mov_b32_e32 v34, 0x3f317218
	s_mov_b32 s2, 0x3f317218
	v_pk_mul_f32 v[34:35], v[36:37], v[34:35]
	v_fma_f32 v38, v36, s2, -v34
	v_fmac_f32_e32 v38, 0xb102e308, v36
	v_pk_add_f32 v[36:37], v[34:35], v[38:39]
	v_sub_f32_e32 v39, v37, v39
	v_ldexp_f32 v33, v33, 1
	v_sub_f32_e32 v39, v35, v39
	v_add_f32_e32 v41, v33, v39
	v_mov_b32_e32 v40, v34
	v_pk_add_f32 v[34:35], v[36:37], v[34:35] neg_lo:[0,1] neg_hi:[0,1]
	v_pk_add_f32 v[42:43], v[36:37], v[40:41]
	v_mov_b32_e32 v35, v43
	v_mov_b32_e32 v39, v36
	v_pk_add_f32 v[44:45], v[38:39], v[34:35] neg_lo:[0,1] neg_hi:[0,1]
	v_pk_add_f32 v[34:35], v[38:39], v[34:35]
	v_mov_b32_e32 v38, v35
	v_pk_add_f32 v[46:47], v[38:39], v[36:37] neg_lo:[0,1] neg_hi:[0,1]
	v_mov_b32_e32 v33, v46
	v_pk_add_f32 v[48:49], v[42:43], v[32:33] neg_lo:[0,1] neg_hi:[0,1]
	v_mov_b32_e32 v34, v43
	v_mov_b32_e32 v42, v37
	;; [unrolled: 1-line block ×4, first 2 shown]
	v_pk_add_f32 v[34:35], v[34:35], v[42:43] neg_lo:[0,1] neg_hi:[0,1]
	v_mov_b32_e32 v40, v41
	v_mov_b32_e32 v41, v36
	v_pk_add_f32 v[34:35], v[40:41], v[34:35] neg_lo:[0,1] neg_hi:[0,1]
	v_mov_b32_e32 v48, v44
	v_pk_add_f32 v[36:37], v[48:49], v[34:35]
	v_mov_b32_e32 v40, v37
	v_pk_add_f32 v[40:41], v[36:37], v[40:41]
	v_pk_add_f32 v[38:39], v[38:39], v[40:41]
	v_mov_b32_e32 v37, v38
	v_pk_add_f32 v[42:43], v[36:37], v[44:45] neg_lo:[0,1] neg_hi:[0,1]
	v_mov_b32_e32 v35, v40
	v_sub_f32_e32 v33, v36, v42
	v_pk_add_f32 v[34:35], v[34:35], v[42:43] neg_lo:[0,1] neg_hi:[0,1]
	v_sub_f32_e32 v33, v44, v33
	s_mov_b32 s3, 0x7f800000
	v_add_f32_e32 v33, v34, v33
	s_mov_b32 s2, 0x33800000
	v_add_f32_e32 v33, v33, v35
	v_cmp_eq_f32_e32 vcc, s3, v50
	v_cmp_lt_f32_e64 s[2:3], |v50|, s2
	v_add_f32_e32 v33, v38, v33
	s_or_b64 vcc, vcc, s[2:3]
	v_cndmask_b32_e32 v33, v33, v50, vcc
	v_add_f32_e32 v32, v32, v33
	v_cvt_f16_f32_e32 v33, v32
.LBB371_115:
	s_or_b64 exec, exec, s[4:5]
	v_and_b32_e32 v34, 0xffff, v33
	v_mov_b32_e32 v32, v33
.LBB371_116:
	s_or_b64 exec, exec, s[0:1]
	v_mov_b32_dpp v33, v34 row_bcast:31 row_mask:0xf bank_mask:0xf
	v_cmp_lt_u32_e32 vcc, 31, v31
	s_and_saveexec_b64 s[0:1], vcc
	s_cbranch_execz .LBB371_120
; %bb.117:
	v_cvt_f32_f16_e32 v35, v33
	v_cvt_f32_f16_e32 v36, v32
	v_cmp_u_f16_e32 vcc, v33, v33
	v_cmp_u_f16_e64 s[4:5], v32, v32
	s_movk_i32 s2, 0x1f8
	v_min_f32_e32 v32, v35, v36
	v_cndmask_b32_e32 v32, v32, v35, vcc
	v_cndmask_b32_e64 v34, v32, v36, s[4:5]
	v_max_f32_e32 v32, v35, v36
	v_cndmask_b32_e32 v32, v32, v35, vcc
	v_cndmask_b32_e64 v32, v32, v36, s[4:5]
	v_cmp_neq_f32_e32 vcc, v34, v32
	v_cmp_class_f32_e64 s[2:3], v34, s2
	s_or_b64 s[2:3], vcc, s[2:3]
	s_and_saveexec_b64 s[4:5], s[2:3]
	s_cbranch_execz .LBB371_119
; %bb.118:
	v_sub_f32_e32 v33, v34, v32
	s_mov_b32 s2, 0x3fb8aa3b
	v_mul_f32_e32 v34, 0x3fb8aa3b, v33
	v_fma_f32 v35, v33, s2, -v34
	v_rndne_f32_e32 v36, v34
	v_fmac_f32_e32 v35, 0x32a5705f, v33
	v_sub_f32_e32 v34, v34, v36
	v_add_f32_e32 v34, v34, v35
	v_exp_f32_e32 v34, v34
	v_cvt_i32_f32_e32 v35, v36
	s_mov_b32 s2, 0xc2ce8ed0
	v_cmp_ngt_f32_e32 vcc, s2, v33
	s_mov_b32 s2, 0x42b17218
	v_ldexp_f32 v34, v34, v35
	v_cndmask_b32_e32 v34, 0, v34, vcc
	v_mov_b32_e32 v35, 0x7f800000
	v_cmp_nlt_f32_e32 vcc, s2, v33
	v_cndmask_b32_e32 v50, v35, v34, vcc
	v_add_f32_e32 v33, 1.0, v50
	v_add_f32_e32 v34, -1.0, v33
	v_sub_f32_e32 v35, v34, v33
	v_add_f32_e32 v35, 1.0, v35
	v_sub_f32_e32 v34, v50, v34
	v_add_f32_e32 v36, v34, v35
	v_frexp_mant_f32_e32 v37, v33
	s_mov_b32 s2, 0x3f2aaaab
	v_cvt_f64_f32_e32 v[34:35], v33
	v_frexp_exp_i32_f64_e32 v34, v[34:35]
	v_cmp_gt_f32_e32 vcc, s2, v37
	v_subbrev_co_u32_e32 v42, vcc, 0, v34, vcc
	v_sub_u32_e32 v34, 0, v42
	v_ldexp_f32 v33, v33, v34
	v_ldexp_f32 v34, v36, v34
	v_add_f32_e32 v36, -1.0, v33
	v_add_f32_e32 v35, 1.0, v36
	v_sub_f32_e32 v35, v33, v35
	v_add_f32_e32 v37, v34, v35
	v_add_f32_e32 v35, 1.0, v33
	v_add_f32_e32 v38, -1.0, v35
	v_sub_f32_e32 v33, v33, v38
	v_add_f32_e32 v33, v34, v33
	v_add_f32_e32 v43, v35, v33
	v_rcp_f32_e32 v44, v43
	v_sub_f32_e32 v34, v35, v43
	v_add_f32_e32 v35, v36, v37
	v_add_f32_e32 v33, v33, v34
	v_mul_f32_e32 v46, v35, v44
	v_sub_f32_e32 v34, v36, v35
	v_mul_f32_e32 v36, v43, v46
	v_fma_f32 v38, v46, v43, -v36
	v_fmac_f32_e32 v38, v46, v33
	v_add_f32_e32 v45, v37, v34
	v_add_f32_e32 v34, v36, v38
	v_sub_f32_e32 v37, v35, v34
	v_pk_add_f32 v[40:41], v[34:35], v[36:37] neg_lo:[0,1] neg_hi:[0,1]
	v_mov_b32_e32 v39, v34
	v_pk_add_f32 v[34:35], v[40:41], v[38:39] neg_lo:[0,1] neg_hi:[0,1]
	v_add_f32_e32 v35, v45, v35
	v_add_f32_e32 v34, v34, v35
	;; [unrolled: 1-line block ×3, first 2 shown]
	v_mul_f32_e32 v45, v44, v35
	v_mul_f32_e32 v36, v43, v45
	v_fma_f32 v38, v45, v43, -v36
	v_fmac_f32_e32 v38, v45, v33
	v_sub_f32_e32 v33, v37, v35
	v_add_f32_e32 v33, v34, v33
	v_add_f32_e32 v34, v36, v38
	v_sub_f32_e32 v37, v35, v34
	v_pk_add_f32 v[40:41], v[34:35], v[36:37] neg_lo:[0,1] neg_hi:[0,1]
	v_mov_b32_e32 v39, v34
	v_pk_add_f32 v[34:35], v[40:41], v[38:39] neg_lo:[0,1] neg_hi:[0,1]
	v_add_f32_e32 v33, v33, v35
	v_add_f32_e32 v33, v34, v33
	;; [unrolled: 1-line block ×4, first 2 shown]
	v_sub_f32_e32 v35, v34, v46
	v_mul_f32_e32 v33, v44, v33
	v_sub_f32_e32 v35, v45, v35
	v_add_f32_e32 v33, v35, v33
	v_add_f32_e32 v37, v34, v33
	v_mul_f32_e32 v38, v37, v37
	v_mov_b32_e32 v36, 0x3ecc95a3
	v_fmac_f32_e32 v36, 0x3e9b6dac, v38
	v_mov_b32_e32 v35, 0x3f2aaada
	v_fmac_f32_e32 v35, v38, v36
	v_cvt_f32_i32_e32 v36, v42
	v_sub_f32_e32 v34, v37, v34
	v_sub_f32_e32 v33, v33, v34
	v_ldexp_f32 v39, v37, 1
	v_mul_f32_e32 v37, v37, v38
	v_mov_b32_e32 v34, 0x3f317218
	s_mov_b32 s2, 0x3f317218
	v_pk_mul_f32 v[34:35], v[36:37], v[34:35]
	v_fma_f32 v38, v36, s2, -v34
	v_fmac_f32_e32 v38, 0xb102e308, v36
	v_pk_add_f32 v[36:37], v[34:35], v[38:39]
	v_sub_f32_e32 v39, v37, v39
	v_ldexp_f32 v33, v33, 1
	v_sub_f32_e32 v39, v35, v39
	v_add_f32_e32 v41, v33, v39
	v_mov_b32_e32 v40, v34
	v_pk_add_f32 v[34:35], v[36:37], v[34:35] neg_lo:[0,1] neg_hi:[0,1]
	v_pk_add_f32 v[42:43], v[36:37], v[40:41]
	v_mov_b32_e32 v35, v43
	v_mov_b32_e32 v39, v36
	v_pk_add_f32 v[44:45], v[38:39], v[34:35] neg_lo:[0,1] neg_hi:[0,1]
	v_pk_add_f32 v[34:35], v[38:39], v[34:35]
	v_mov_b32_e32 v38, v35
	v_pk_add_f32 v[46:47], v[38:39], v[36:37] neg_lo:[0,1] neg_hi:[0,1]
	v_mov_b32_e32 v33, v46
	v_pk_add_f32 v[48:49], v[42:43], v[32:33] neg_lo:[0,1] neg_hi:[0,1]
	v_mov_b32_e32 v34, v43
	v_mov_b32_e32 v42, v37
	;; [unrolled: 1-line block ×4, first 2 shown]
	v_pk_add_f32 v[34:35], v[34:35], v[42:43] neg_lo:[0,1] neg_hi:[0,1]
	v_mov_b32_e32 v40, v41
	v_mov_b32_e32 v41, v36
	v_pk_add_f32 v[34:35], v[40:41], v[34:35] neg_lo:[0,1] neg_hi:[0,1]
	v_mov_b32_e32 v48, v44
	v_pk_add_f32 v[36:37], v[48:49], v[34:35]
	v_mov_b32_e32 v40, v37
	v_pk_add_f32 v[40:41], v[36:37], v[40:41]
	v_pk_add_f32 v[38:39], v[38:39], v[40:41]
	v_mov_b32_e32 v37, v38
	v_pk_add_f32 v[42:43], v[36:37], v[44:45] neg_lo:[0,1] neg_hi:[0,1]
	v_mov_b32_e32 v35, v40
	v_sub_f32_e32 v33, v36, v42
	v_pk_add_f32 v[34:35], v[34:35], v[42:43] neg_lo:[0,1] neg_hi:[0,1]
	v_sub_f32_e32 v33, v44, v33
	s_mov_b32 s3, 0x7f800000
	v_add_f32_e32 v33, v34, v33
	s_mov_b32 s2, 0x33800000
	v_add_f32_e32 v33, v33, v35
	v_cmp_eq_f32_e32 vcc, s3, v50
	v_cmp_lt_f32_e64 s[2:3], |v50|, s2
	v_add_f32_e32 v33, v38, v33
	s_or_b64 vcc, vcc, s[2:3]
	v_cndmask_b32_e32 v33, v33, v50, vcc
	v_add_f32_e32 v32, v32, v33
	v_cvt_f16_f32_e32 v33, v32
.LBB371_119:
	s_or_b64 exec, exec, s[4:5]
	v_mov_b32_e32 v32, v33
.LBB371_120:
	s_or_b64 exec, exec, s[0:1]
	v_cmp_eq_u32_e32 vcc, 63, v0
	s_and_saveexec_b64 s[0:1], vcc
	s_cbranch_execz .LBB371_122
; %bb.121:
	v_mov_b32_e32 v33, 0
	ds_write_b16 v33, v32
.LBB371_122:
	s_or_b64 exec, exec, s[0:1]
	v_add_u32_e32 v33, -1, v31
	v_and_b32_e32 v34, 64, v31
	v_cmp_lt_i32_e32 vcc, v33, v34
	v_cndmask_b32_e32 v31, v33, v31, vcc
	v_and_b32_e32 v32, 0xffff, v32
	v_lshlrev_b32_e32 v31, 2, v31
	ds_bpermute_b32 v32, v31, v32
	v_cmp_ne_u32_e32 vcc, 0, v0
	v_mov_b32_e32 v31, v2
	s_waitcnt lgkmcnt(0)
	; wave barrier
	s_waitcnt lgkmcnt(0)
	s_and_saveexec_b64 s[4:5], vcc
	s_cbranch_execz .LBB371_126
; %bb.123:
	v_cvt_f32_f16_e32 v33, v32
	v_max_f32_e32 v2, v15, v15
	v_cmp_u_f16_e32 vcc, v32, v32
	s_movk_i32 s0, 0x1f8
	v_min_f32_e32 v29, v33, v2
	v_max_f32_e32 v2, v33, v2
	v_cndmask_b32_e32 v29, v29, v33, vcc
	v_cndmask_b32_e32 v2, v2, v33, vcc
	v_cndmask_b32_e64 v29, v29, v15, s[94:95]
	v_cndmask_b32_e64 v2, v2, v15, s[94:95]
	v_cmp_neq_f32_e32 vcc, v29, v2
	v_cmp_class_f32_e64 s[0:1], v29, s0
	s_or_b64 s[2:3], vcc, s[0:1]
	s_and_saveexec_b64 s[0:1], s[2:3]
	s_cbranch_execz .LBB371_125
; %bb.124:
	v_sub_f32_e32 v15, v29, v2
	s_mov_b32 s2, 0x3fb8aa3b
	v_mul_f32_e32 v29, 0x3fb8aa3b, v15
	v_fma_f32 v30, v15, s2, -v29
	v_rndne_f32_e32 v31, v29
	v_fmac_f32_e32 v30, 0x32a5705f, v15
	v_sub_f32_e32 v29, v29, v31
	v_add_f32_e32 v29, v29, v30
	v_exp_f32_e32 v29, v29
	v_cvt_i32_f32_e32 v30, v31
	s_mov_b32 s2, 0xc2ce8ed0
	v_cmp_ngt_f32_e32 vcc, s2, v15
	s_mov_b32 s2, 0x42b17218
	v_ldexp_f32 v29, v29, v30
	v_cndmask_b32_e32 v29, 0, v29, vcc
	v_mov_b32_e32 v30, 0x7f800000
	v_cmp_nlt_f32_e32 vcc, s2, v15
	v_cndmask_b32_e32 v29, v30, v29, vcc
	v_add_f32_e32 v15, 1.0, v29
	v_add_f32_e32 v30, -1.0, v15
	v_sub_f32_e32 v31, v30, v15
	v_add_f32_e32 v31, 1.0, v31
	v_sub_f32_e32 v30, v29, v30
	v_add_f32_e32 v32, v30, v31
	v_frexp_mant_f32_e32 v33, v15
	s_mov_b32 s2, 0x3f2aaaab
	v_cvt_f64_f32_e32 v[30:31], v15
	v_frexp_exp_i32_f64_e32 v30, v[30:31]
	v_cmp_gt_f32_e32 vcc, s2, v33
	v_subbrev_co_u32_e32 v38, vcc, 0, v30, vcc
	v_sub_u32_e32 v30, 0, v38
	v_ldexp_f32 v15, v15, v30
	v_ldexp_f32 v30, v32, v30
	v_add_f32_e32 v32, -1.0, v15
	v_add_f32_e32 v31, 1.0, v32
	v_sub_f32_e32 v31, v15, v31
	v_add_f32_e32 v33, v30, v31
	v_add_f32_e32 v31, 1.0, v15
	v_add_f32_e32 v34, -1.0, v31
	v_sub_f32_e32 v15, v15, v34
	v_add_f32_e32 v15, v30, v15
	v_add_f32_e32 v39, v31, v15
	v_rcp_f32_e32 v40, v39
	v_sub_f32_e32 v30, v31, v39
	v_add_f32_e32 v31, v32, v33
	v_add_f32_e32 v15, v15, v30
	v_mul_f32_e32 v42, v31, v40
	v_sub_f32_e32 v30, v32, v31
	v_mul_f32_e32 v32, v39, v42
	v_fma_f32 v34, v42, v39, -v32
	v_fmac_f32_e32 v34, v42, v15
	v_add_f32_e32 v41, v33, v30
	v_add_f32_e32 v30, v32, v34
	v_sub_f32_e32 v33, v31, v30
	v_pk_add_f32 v[36:37], v[30:31], v[32:33] neg_lo:[0,1] neg_hi:[0,1]
	v_mov_b32_e32 v35, v30
	v_pk_add_f32 v[30:31], v[36:37], v[34:35] neg_lo:[0,1] neg_hi:[0,1]
	v_add_f32_e32 v31, v41, v31
	v_add_f32_e32 v30, v30, v31
	;; [unrolled: 1-line block ×3, first 2 shown]
	v_mul_f32_e32 v41, v40, v31
	v_mul_f32_e32 v32, v39, v41
	v_fma_f32 v34, v41, v39, -v32
	v_fmac_f32_e32 v34, v41, v15
	v_sub_f32_e32 v15, v33, v31
	v_add_f32_e32 v15, v30, v15
	v_add_f32_e32 v30, v32, v34
	v_sub_f32_e32 v33, v31, v30
	v_pk_add_f32 v[36:37], v[30:31], v[32:33] neg_lo:[0,1] neg_hi:[0,1]
	v_mov_b32_e32 v35, v30
	v_pk_add_f32 v[30:31], v[36:37], v[34:35] neg_lo:[0,1] neg_hi:[0,1]
	v_add_f32_e32 v15, v15, v31
	v_add_f32_e32 v15, v30, v15
	;; [unrolled: 1-line block ×4, first 2 shown]
	v_sub_f32_e32 v31, v30, v42
	v_mul_f32_e32 v15, v40, v15
	v_sub_f32_e32 v31, v41, v31
	v_add_f32_e32 v15, v31, v15
	v_add_f32_e32 v33, v30, v15
	v_mul_f32_e32 v34, v33, v33
	v_mov_b32_e32 v32, 0x3ecc95a3
	v_fmac_f32_e32 v32, 0x3e9b6dac, v34
	v_mov_b32_e32 v31, 0x3f2aaada
	v_fmac_f32_e32 v31, v34, v32
	v_cvt_f32_i32_e32 v32, v38
	v_sub_f32_e32 v30, v33, v30
	v_sub_f32_e32 v15, v15, v30
	v_ldexp_f32 v35, v33, 1
	v_mul_f32_e32 v33, v33, v34
	v_mov_b32_e32 v30, 0x3f317218
	s_mov_b32 s2, 0x3f317218
	v_pk_mul_f32 v[30:31], v[32:33], v[30:31]
	v_fma_f32 v34, v32, s2, -v30
	v_fmac_f32_e32 v34, 0xb102e308, v32
	v_pk_add_f32 v[32:33], v[30:31], v[34:35]
	v_sub_f32_e32 v35, v33, v35
	v_ldexp_f32 v15, v15, 1
	v_sub_f32_e32 v35, v31, v35
	v_add_f32_e32 v37, v15, v35
	v_mov_b32_e32 v36, v30
	v_pk_add_f32 v[30:31], v[32:33], v[30:31] neg_lo:[0,1] neg_hi:[0,1]
	v_pk_add_f32 v[38:39], v[32:33], v[36:37]
	v_mov_b32_e32 v31, v39
	v_mov_b32_e32 v35, v32
	v_pk_add_f32 v[40:41], v[34:35], v[30:31] neg_lo:[0,1] neg_hi:[0,1]
	v_pk_add_f32 v[30:31], v[34:35], v[30:31]
	v_mov_b32_e32 v34, v31
	v_pk_add_f32 v[42:43], v[34:35], v[32:33] neg_lo:[0,1] neg_hi:[0,1]
	v_mov_b32_e32 v15, v42
	v_pk_add_f32 v[44:45], v[38:39], v[14:15] neg_lo:[0,1] neg_hi:[0,1]
	v_mov_b32_e32 v30, v39
	v_mov_b32_e32 v38, v33
	;; [unrolled: 1-line block ×4, first 2 shown]
	v_pk_add_f32 v[30:31], v[30:31], v[38:39] neg_lo:[0,1] neg_hi:[0,1]
	v_mov_b32_e32 v36, v37
	v_mov_b32_e32 v37, v32
	v_pk_add_f32 v[30:31], v[36:37], v[30:31] neg_lo:[0,1] neg_hi:[0,1]
	v_mov_b32_e32 v44, v40
	v_pk_add_f32 v[32:33], v[44:45], v[30:31]
	v_mov_b32_e32 v36, v33
	v_pk_add_f32 v[36:37], v[32:33], v[36:37]
	v_pk_add_f32 v[34:35], v[34:35], v[36:37]
	v_mov_b32_e32 v33, v34
	v_pk_add_f32 v[38:39], v[32:33], v[40:41] neg_lo:[0,1] neg_hi:[0,1]
	v_mov_b32_e32 v31, v36
	v_sub_f32_e32 v15, v32, v38
	v_pk_add_f32 v[30:31], v[30:31], v[38:39] neg_lo:[0,1] neg_hi:[0,1]
	v_sub_f32_e32 v15, v40, v15
	s_mov_b32 s3, 0x7f800000
	v_add_f32_e32 v15, v30, v15
	s_mov_b32 s2, 0x33800000
	v_add_f32_e32 v15, v15, v31
	v_cmp_eq_f32_e32 vcc, s3, v29
	v_cmp_lt_f32_e64 s[2:3], |v29|, s2
	v_add_f32_e32 v15, v34, v15
	s_or_b64 vcc, vcc, s[2:3]
	v_cndmask_b32_e32 v15, v15, v29, vcc
	v_add_f32_e32 v2, v2, v15
	v_cvt_f16_f32_e32 v32, v2
	v_cvt_f32_f16_e32 v33, v32
.LBB371_125:
	s_or_b64 exec, exec, s[0:1]
	v_max_f32_e32 v2, v16, v16
	v_max_f32_e32 v15, v33, v33
	v_min_f32_e32 v29, v15, v2
	v_max_f32_e32 v30, v15, v2
	v_mov_b32_e32 v2, v32
	v_mov_b32_e32 v31, v32
	;; [unrolled: 1-line block ×3, first 2 shown]
	;;#ASMSTART
	;;#ASMEND
.LBB371_126:
	s_or_b64 exec, exec, s[4:5]
	v_cmp_u_f16_e32 vcc, v31, v31
	v_cndmask_b32_e32 v29, v29, v15, vcc
	v_cndmask_b32_e64 v32, v29, v16, s[48:49]
	v_cndmask_b32_e32 v29, v30, v15, vcc
	v_cndmask_b32_e64 v29, v29, v16, s[48:49]
	s_movk_i32 s4, 0x1f8
	v_cmp_neq_f32_e32 vcc, v32, v29
	v_cmp_class_f32_e64 s[0:1], v32, s4
	s_or_b64 s[2:3], vcc, s[0:1]
	v_mov_b32_e32 v16, v2
	s_and_saveexec_b64 s[0:1], s[2:3]
	s_cbranch_execz .LBB371_128
; %bb.127:
	v_sub_f32_e32 v15, v32, v29
	s_mov_b32 s2, 0x3fb8aa3b
	v_mul_f32_e32 v16, 0x3fb8aa3b, v15
	v_fma_f32 v30, v15, s2, -v16
	v_rndne_f32_e32 v31, v16
	v_fmac_f32_e32 v30, 0x32a5705f, v15
	v_sub_f32_e32 v16, v16, v31
	v_add_f32_e32 v16, v16, v30
	v_exp_f32_e32 v16, v16
	v_cvt_i32_f32_e32 v30, v31
	s_mov_b32 s2, 0xc2ce8ed0
	v_cmp_ngt_f32_e32 vcc, s2, v15
	s_mov_b32 s2, 0x42b17218
	v_ldexp_f32 v16, v16, v30
	v_cndmask_b32_e32 v16, 0, v16, vcc
	v_mov_b32_e32 v30, 0x7f800000
	v_cmp_nlt_f32_e32 vcc, s2, v15
	v_cndmask_b32_e32 v44, v30, v16, vcc
	v_add_f32_e32 v15, 1.0, v44
	v_add_f32_e32 v16, -1.0, v15
	v_sub_f32_e32 v30, v16, v15
	v_add_f32_e32 v30, 1.0, v30
	v_sub_f32_e32 v16, v44, v16
	v_add_f32_e32 v16, v16, v30
	v_frexp_mant_f32_e32 v32, v15
	s_mov_b32 s2, 0x3f2aaaab
	v_cvt_f64_f32_e32 v[30:31], v15
	v_frexp_exp_i32_f64_e32 v30, v[30:31]
	v_cmp_gt_f32_e32 vcc, s2, v32
	v_subbrev_co_u32_e32 v38, vcc, 0, v30, vcc
	v_sub_u32_e32 v30, 0, v38
	v_ldexp_f32 v15, v15, v30
	v_ldexp_f32 v16, v16, v30
	v_add_f32_e32 v30, -1.0, v15
	v_add_f32_e32 v31, 1.0, v30
	v_sub_f32_e32 v31, v15, v31
	v_add_f32_e32 v32, v16, v31
	v_add_f32_e32 v31, 1.0, v15
	v_add_f32_e32 v33, -1.0, v31
	v_sub_f32_e32 v15, v15, v33
	v_add_f32_e32 v15, v16, v15
	v_add_f32_e32 v16, v31, v15
	v_rcp_f32_e32 v39, v16
	v_sub_f32_e32 v31, v31, v16
	v_add_f32_e32 v15, v15, v31
	v_add_f32_e32 v31, v30, v32
	v_sub_f32_e32 v30, v30, v31
	v_mul_f32_e32 v41, v31, v39
	v_add_f32_e32 v40, v32, v30
	v_mul_f32_e32 v32, v16, v41
	v_fma_f32 v34, v41, v16, -v32
	v_fmac_f32_e32 v34, v41, v15
	v_add_f32_e32 v30, v32, v34
	v_sub_f32_e32 v33, v31, v30
	v_pk_add_f32 v[36:37], v[30:31], v[32:33] neg_lo:[0,1] neg_hi:[0,1]
	v_mov_b32_e32 v35, v30
	v_pk_add_f32 v[30:31], v[36:37], v[34:35] neg_lo:[0,1] neg_hi:[0,1]
	v_add_f32_e32 v31, v40, v31
	v_add_f32_e32 v30, v30, v31
	;; [unrolled: 1-line block ×3, first 2 shown]
	v_mul_f32_e32 v40, v39, v31
	v_mul_f32_e32 v32, v16, v40
	v_fma_f32 v34, v40, v16, -v32
	v_fmac_f32_e32 v34, v40, v15
	v_sub_f32_e32 v15, v33, v31
	v_add_f32_e32 v15, v30, v15
	v_add_f32_e32 v30, v32, v34
	v_sub_f32_e32 v33, v31, v30
	v_pk_add_f32 v[36:37], v[30:31], v[32:33] neg_lo:[0,1] neg_hi:[0,1]
	v_mov_b32_e32 v35, v30
	v_pk_add_f32 v[30:31], v[36:37], v[34:35] neg_lo:[0,1] neg_hi:[0,1]
	v_add_f32_e32 v15, v15, v31
	v_add_f32_e32 v15, v30, v15
	;; [unrolled: 1-line block ×4, first 2 shown]
	v_sub_f32_e32 v30, v16, v41
	v_mul_f32_e32 v15, v39, v15
	v_sub_f32_e32 v30, v40, v30
	v_add_f32_e32 v15, v30, v15
	v_add_f32_e32 v30, v16, v15
	v_mul_f32_e32 v33, v30, v30
	v_mov_b32_e32 v32, 0x3ecc95a3
	v_fmac_f32_e32 v32, 0x3e9b6dac, v33
	v_mov_b32_e32 v31, 0x3f2aaada
	v_fmac_f32_e32 v31, v33, v32
	v_cvt_f32_i32_e32 v32, v38
	v_sub_f32_e32 v16, v30, v16
	v_ldexp_f32 v35, v30, 1
	v_mul_f32_e32 v33, v30, v33
	v_mov_b32_e32 v30, 0x3f317218
	s_mov_b32 s2, 0x3f317218
	v_pk_mul_f32 v[30:31], v[32:33], v[30:31]
	v_fma_f32 v34, v32, s2, -v30
	v_fmac_f32_e32 v34, 0xb102e308, v32
	v_pk_add_f32 v[32:33], v[30:31], v[34:35]
	v_sub_f32_e32 v15, v15, v16
	v_sub_f32_e32 v16, v33, v35
	v_ldexp_f32 v15, v15, 1
	v_sub_f32_e32 v16, v31, v16
	v_add_f32_e32 v37, v15, v16
	v_mov_b32_e32 v36, v30
	v_pk_add_f32 v[30:31], v[32:33], v[30:31] neg_lo:[0,1] neg_hi:[0,1]
	v_pk_add_f32 v[38:39], v[32:33], v[36:37]
	v_mov_b32_e32 v31, v39
	v_mov_b32_e32 v35, v32
	v_pk_add_f32 v[40:41], v[34:35], v[30:31] neg_lo:[0,1] neg_hi:[0,1]
	v_pk_add_f32 v[30:31], v[34:35], v[30:31]
	v_mov_b32_e32 v16, v31
	v_pk_add_f32 v[34:35], v[16:17], v[32:33] neg_lo:[0,1] neg_hi:[0,1]
	v_mov_b32_e32 v15, v34
	v_pk_add_f32 v[42:43], v[38:39], v[14:15] neg_lo:[0,1] neg_hi:[0,1]
	v_mov_b32_e32 v30, v39
	v_mov_b32_e32 v38, v33
	;; [unrolled: 1-line block ×4, first 2 shown]
	v_pk_add_f32 v[30:31], v[30:31], v[38:39] neg_lo:[0,1] neg_hi:[0,1]
	v_mov_b32_e32 v34, v37
	v_mov_b32_e32 v35, v32
	v_pk_add_f32 v[30:31], v[34:35], v[30:31] neg_lo:[0,1] neg_hi:[0,1]
	v_mov_b32_e32 v42, v40
	v_pk_add_f32 v[32:33], v[42:43], v[30:31]
	v_mov_b32_e32 v34, v33
	v_pk_add_f32 v[34:35], v[32:33], v[34:35]
	v_pk_add_f32 v[36:37], v[16:17], v[34:35]
	v_mov_b32_e32 v33, v36
	v_pk_add_f32 v[38:39], v[32:33], v[40:41] neg_lo:[0,1] neg_hi:[0,1]
	v_mov_b32_e32 v31, v34
	v_sub_f32_e32 v15, v32, v38
	v_pk_add_f32 v[30:31], v[30:31], v[38:39] neg_lo:[0,1] neg_hi:[0,1]
	v_sub_f32_e32 v15, v40, v15
	s_mov_b32 s3, 0x7f800000
	v_add_f32_e32 v15, v30, v15
	s_mov_b32 s2, 0x33800000
	v_add_f32_e32 v15, v15, v31
	v_cmp_eq_f32_e32 vcc, s3, v44
	v_cmp_lt_f32_e64 s[2:3], |v44|, s2
	v_add_f32_e32 v15, v36, v15
	s_or_b64 vcc, vcc, s[2:3]
	v_cndmask_b32_e32 v15, v15, v44, vcc
	v_add_f32_e32 v15, v29, v15
	v_cvt_f16_f32_e32 v31, v15
	v_cvt_f32_f16_e32 v15, v31
	v_mov_b32_e32 v16, v31
.LBB371_128:
	s_or_b64 exec, exec, s[0:1]
	v_max_f32_e32 v29, v17, v17
	v_max_f32_e32 v32, v15, v15
	v_min_f32_e32 v30, v32, v29
	v_cmp_u_f16_e32 vcc, v31, v31
	v_max_f32_e32 v29, v32, v29
	v_cndmask_b32_e32 v30, v30, v15, vcc
	v_cndmask_b32_e32 v29, v29, v15, vcc
	v_cndmask_b32_e64 v30, v30, v17, s[50:51]
	v_cndmask_b32_e64 v29, v29, v17, s[50:51]
	v_cmp_neq_f32_e32 vcc, v30, v29
	v_cmp_class_f32_e64 s[0:1], v30, s4
	s_or_b64 s[2:3], vcc, s[0:1]
	v_mov_b32_e32 v17, v16
	s_and_saveexec_b64 s[0:1], s[2:3]
	s_cbranch_execz .LBB371_130
; %bb.129:
	v_sub_f32_e32 v15, v30, v29
	s_mov_b32 s2, 0x3fb8aa3b
	v_mul_f32_e32 v17, 0x3fb8aa3b, v15
	v_fma_f32 v30, v15, s2, -v17
	v_rndne_f32_e32 v31, v17
	v_fmac_f32_e32 v30, 0x32a5705f, v15
	v_sub_f32_e32 v17, v17, v31
	v_add_f32_e32 v17, v17, v30
	v_exp_f32_e32 v17, v17
	v_cvt_i32_f32_e32 v30, v31
	s_mov_b32 s2, 0xc2ce8ed0
	v_cmp_ngt_f32_e32 vcc, s2, v15
	s_mov_b32 s2, 0x42b17218
	v_ldexp_f32 v17, v17, v30
	v_cndmask_b32_e32 v17, 0, v17, vcc
	v_mov_b32_e32 v30, 0x7f800000
	v_cmp_nlt_f32_e32 vcc, s2, v15
	v_cndmask_b32_e32 v17, v30, v17, vcc
	v_add_f32_e32 v15, 1.0, v17
	v_add_f32_e32 v30, -1.0, v15
	v_sub_f32_e32 v31, v30, v15
	v_add_f32_e32 v31, 1.0, v31
	v_sub_f32_e32 v30, v17, v30
	v_add_f32_e32 v32, v30, v31
	v_frexp_mant_f32_e32 v33, v15
	s_mov_b32 s2, 0x3f2aaaab
	v_cvt_f64_f32_e32 v[30:31], v15
	v_frexp_exp_i32_f64_e32 v30, v[30:31]
	v_cmp_gt_f32_e32 vcc, s2, v33
	v_subbrev_co_u32_e32 v38, vcc, 0, v30, vcc
	v_sub_u32_e32 v30, 0, v38
	v_ldexp_f32 v15, v15, v30
	v_ldexp_f32 v30, v32, v30
	v_add_f32_e32 v32, -1.0, v15
	v_add_f32_e32 v31, 1.0, v32
	v_sub_f32_e32 v31, v15, v31
	v_add_f32_e32 v33, v30, v31
	v_add_f32_e32 v31, 1.0, v15
	v_add_f32_e32 v34, -1.0, v31
	v_sub_f32_e32 v15, v15, v34
	v_add_f32_e32 v15, v30, v15
	v_add_f32_e32 v39, v31, v15
	v_rcp_f32_e32 v40, v39
	v_sub_f32_e32 v30, v31, v39
	v_add_f32_e32 v31, v32, v33
	v_add_f32_e32 v15, v15, v30
	v_mul_f32_e32 v42, v31, v40
	v_sub_f32_e32 v30, v32, v31
	v_mul_f32_e32 v32, v39, v42
	v_fma_f32 v34, v42, v39, -v32
	v_fmac_f32_e32 v34, v42, v15
	v_add_f32_e32 v41, v33, v30
	v_add_f32_e32 v30, v32, v34
	v_sub_f32_e32 v33, v31, v30
	v_pk_add_f32 v[36:37], v[30:31], v[32:33] neg_lo:[0,1] neg_hi:[0,1]
	v_mov_b32_e32 v35, v30
	v_pk_add_f32 v[30:31], v[36:37], v[34:35] neg_lo:[0,1] neg_hi:[0,1]
	v_add_f32_e32 v31, v41, v31
	v_add_f32_e32 v30, v30, v31
	v_add_f32_e32 v31, v33, v30
	v_mul_f32_e32 v41, v40, v31
	v_mul_f32_e32 v32, v39, v41
	v_fma_f32 v34, v41, v39, -v32
	v_fmac_f32_e32 v34, v41, v15
	v_sub_f32_e32 v15, v33, v31
	v_add_f32_e32 v15, v30, v15
	v_add_f32_e32 v30, v32, v34
	v_sub_f32_e32 v33, v31, v30
	v_pk_add_f32 v[36:37], v[30:31], v[32:33] neg_lo:[0,1] neg_hi:[0,1]
	v_mov_b32_e32 v35, v30
	v_pk_add_f32 v[30:31], v[36:37], v[34:35] neg_lo:[0,1] neg_hi:[0,1]
	v_add_f32_e32 v15, v15, v31
	v_add_f32_e32 v15, v30, v15
	;; [unrolled: 1-line block ×4, first 2 shown]
	v_sub_f32_e32 v31, v30, v42
	v_mul_f32_e32 v15, v40, v15
	v_sub_f32_e32 v31, v41, v31
	v_add_f32_e32 v15, v31, v15
	v_add_f32_e32 v33, v30, v15
	v_mul_f32_e32 v34, v33, v33
	v_mov_b32_e32 v32, 0x3ecc95a3
	v_fmac_f32_e32 v32, 0x3e9b6dac, v34
	v_mov_b32_e32 v31, 0x3f2aaada
	v_fmac_f32_e32 v31, v34, v32
	v_cvt_f32_i32_e32 v32, v38
	v_sub_f32_e32 v30, v33, v30
	v_sub_f32_e32 v15, v15, v30
	v_ldexp_f32 v35, v33, 1
	v_mul_f32_e32 v33, v33, v34
	v_mov_b32_e32 v30, 0x3f317218
	s_mov_b32 s2, 0x3f317218
	v_pk_mul_f32 v[30:31], v[32:33], v[30:31]
	v_fma_f32 v34, v32, s2, -v30
	v_fmac_f32_e32 v34, 0xb102e308, v32
	v_pk_add_f32 v[32:33], v[30:31], v[34:35]
	v_sub_f32_e32 v35, v33, v35
	v_ldexp_f32 v15, v15, 1
	v_sub_f32_e32 v35, v31, v35
	v_add_f32_e32 v37, v15, v35
	v_mov_b32_e32 v36, v30
	v_pk_add_f32 v[30:31], v[32:33], v[30:31] neg_lo:[0,1] neg_hi:[0,1]
	v_pk_add_f32 v[38:39], v[32:33], v[36:37]
	v_mov_b32_e32 v31, v39
	v_mov_b32_e32 v35, v32
	v_pk_add_f32 v[40:41], v[34:35], v[30:31] neg_lo:[0,1] neg_hi:[0,1]
	v_pk_add_f32 v[30:31], v[34:35], v[30:31]
	v_mov_b32_e32 v34, v31
	v_pk_add_f32 v[42:43], v[34:35], v[32:33] neg_lo:[0,1] neg_hi:[0,1]
	v_mov_b32_e32 v15, v42
	v_pk_add_f32 v[44:45], v[38:39], v[14:15] neg_lo:[0,1] neg_hi:[0,1]
	v_mov_b32_e32 v30, v39
	v_mov_b32_e32 v38, v33
	;; [unrolled: 1-line block ×4, first 2 shown]
	v_pk_add_f32 v[30:31], v[30:31], v[38:39] neg_lo:[0,1] neg_hi:[0,1]
	v_mov_b32_e32 v36, v37
	v_mov_b32_e32 v37, v32
	v_pk_add_f32 v[30:31], v[36:37], v[30:31] neg_lo:[0,1] neg_hi:[0,1]
	v_mov_b32_e32 v44, v40
	v_pk_add_f32 v[32:33], v[44:45], v[30:31]
	v_mov_b32_e32 v36, v33
	v_pk_add_f32 v[36:37], v[32:33], v[36:37]
	v_pk_add_f32 v[34:35], v[34:35], v[36:37]
	v_mov_b32_e32 v33, v34
	v_pk_add_f32 v[38:39], v[32:33], v[40:41] neg_lo:[0,1] neg_hi:[0,1]
	v_mov_b32_e32 v31, v36
	v_sub_f32_e32 v15, v32, v38
	v_pk_add_f32 v[30:31], v[30:31], v[38:39] neg_lo:[0,1] neg_hi:[0,1]
	v_sub_f32_e32 v15, v40, v15
	s_mov_b32 s3, 0x7f800000
	v_add_f32_e32 v15, v30, v15
	s_mov_b32 s2, 0x33800000
	v_add_f32_e32 v15, v15, v31
	v_cmp_eq_f32_e32 vcc, s3, v17
	v_cmp_lt_f32_e64 s[2:3], |v17|, s2
	v_add_f32_e32 v15, v34, v15
	s_or_b64 vcc, vcc, s[2:3]
	v_cndmask_b32_e32 v15, v15, v17, vcc
	v_add_f32_e32 v15, v29, v15
	v_cvt_f16_f32_e32 v31, v15
	v_cvt_f32_f16_e32 v15, v31
	v_mov_b32_e32 v17, v31
.LBB371_130:
	s_or_b64 exec, exec, s[0:1]
	v_max_f32_e32 v29, v18, v18
	v_max_f32_e32 v32, v15, v15
	v_min_f32_e32 v30, v32, v29
	v_cmp_u_f16_e32 vcc, v31, v31
	v_max_f32_e32 v29, v32, v29
	v_cndmask_b32_e32 v30, v30, v15, vcc
	v_cndmask_b32_e32 v29, v29, v15, vcc
	v_cndmask_b32_e64 v30, v30, v18, s[52:53]
	v_cndmask_b32_e64 v29, v29, v18, s[52:53]
	v_cmp_neq_f32_e32 vcc, v30, v29
	v_cmp_class_f32_e64 s[0:1], v30, s4
	s_or_b64 s[2:3], vcc, s[0:1]
	v_mov_b32_e32 v18, v17
	s_and_saveexec_b64 s[0:1], s[2:3]
	s_cbranch_execz .LBB371_132
; %bb.131:
	v_sub_f32_e32 v15, v30, v29
	s_mov_b32 s2, 0x3fb8aa3b
	v_mul_f32_e32 v18, 0x3fb8aa3b, v15
	v_fma_f32 v30, v15, s2, -v18
	v_rndne_f32_e32 v31, v18
	v_fmac_f32_e32 v30, 0x32a5705f, v15
	v_sub_f32_e32 v18, v18, v31
	v_add_f32_e32 v18, v18, v30
	v_exp_f32_e32 v18, v18
	v_cvt_i32_f32_e32 v30, v31
	s_mov_b32 s2, 0xc2ce8ed0
	v_cmp_ngt_f32_e32 vcc, s2, v15
	s_mov_b32 s2, 0x42b17218
	v_ldexp_f32 v18, v18, v30
	v_cndmask_b32_e32 v18, 0, v18, vcc
	v_mov_b32_e32 v30, 0x7f800000
	v_cmp_nlt_f32_e32 vcc, s2, v15
	v_cndmask_b32_e32 v44, v30, v18, vcc
	v_add_f32_e32 v15, 1.0, v44
	v_add_f32_e32 v18, -1.0, v15
	v_sub_f32_e32 v30, v18, v15
	v_add_f32_e32 v30, 1.0, v30
	v_sub_f32_e32 v18, v44, v18
	v_add_f32_e32 v18, v18, v30
	v_frexp_mant_f32_e32 v32, v15
	s_mov_b32 s2, 0x3f2aaaab
	v_cvt_f64_f32_e32 v[30:31], v15
	v_frexp_exp_i32_f64_e32 v30, v[30:31]
	v_cmp_gt_f32_e32 vcc, s2, v32
	v_subbrev_co_u32_e32 v38, vcc, 0, v30, vcc
	v_sub_u32_e32 v30, 0, v38
	v_ldexp_f32 v15, v15, v30
	v_ldexp_f32 v18, v18, v30
	v_add_f32_e32 v30, -1.0, v15
	v_add_f32_e32 v31, 1.0, v30
	v_sub_f32_e32 v31, v15, v31
	v_add_f32_e32 v32, v18, v31
	v_add_f32_e32 v31, 1.0, v15
	v_add_f32_e32 v33, -1.0, v31
	v_sub_f32_e32 v15, v15, v33
	v_add_f32_e32 v15, v18, v15
	v_add_f32_e32 v18, v31, v15
	v_rcp_f32_e32 v39, v18
	v_sub_f32_e32 v31, v31, v18
	v_add_f32_e32 v15, v15, v31
	v_add_f32_e32 v31, v30, v32
	v_sub_f32_e32 v30, v30, v31
	v_mul_f32_e32 v41, v31, v39
	v_add_f32_e32 v40, v32, v30
	v_mul_f32_e32 v32, v18, v41
	v_fma_f32 v34, v41, v18, -v32
	v_fmac_f32_e32 v34, v41, v15
	v_add_f32_e32 v30, v32, v34
	v_sub_f32_e32 v33, v31, v30
	v_pk_add_f32 v[36:37], v[30:31], v[32:33] neg_lo:[0,1] neg_hi:[0,1]
	v_mov_b32_e32 v35, v30
	v_pk_add_f32 v[30:31], v[36:37], v[34:35] neg_lo:[0,1] neg_hi:[0,1]
	v_add_f32_e32 v31, v40, v31
	v_add_f32_e32 v30, v30, v31
	;; [unrolled: 1-line block ×3, first 2 shown]
	v_mul_f32_e32 v40, v39, v31
	v_mul_f32_e32 v32, v18, v40
	v_fma_f32 v34, v40, v18, -v32
	v_fmac_f32_e32 v34, v40, v15
	v_sub_f32_e32 v15, v33, v31
	v_add_f32_e32 v15, v30, v15
	v_add_f32_e32 v30, v32, v34
	v_sub_f32_e32 v33, v31, v30
	v_pk_add_f32 v[36:37], v[30:31], v[32:33] neg_lo:[0,1] neg_hi:[0,1]
	v_mov_b32_e32 v35, v30
	v_pk_add_f32 v[30:31], v[36:37], v[34:35] neg_lo:[0,1] neg_hi:[0,1]
	v_add_f32_e32 v15, v15, v31
	v_add_f32_e32 v15, v30, v15
	;; [unrolled: 1-line block ×4, first 2 shown]
	v_sub_f32_e32 v30, v18, v41
	v_mul_f32_e32 v15, v39, v15
	v_sub_f32_e32 v30, v40, v30
	v_add_f32_e32 v15, v30, v15
	v_add_f32_e32 v30, v18, v15
	v_mul_f32_e32 v33, v30, v30
	v_mov_b32_e32 v32, 0x3ecc95a3
	v_fmac_f32_e32 v32, 0x3e9b6dac, v33
	v_mov_b32_e32 v31, 0x3f2aaada
	v_fmac_f32_e32 v31, v33, v32
	v_cvt_f32_i32_e32 v32, v38
	v_sub_f32_e32 v18, v30, v18
	v_ldexp_f32 v35, v30, 1
	v_mul_f32_e32 v33, v30, v33
	v_mov_b32_e32 v30, 0x3f317218
	s_mov_b32 s2, 0x3f317218
	v_pk_mul_f32 v[30:31], v[32:33], v[30:31]
	v_fma_f32 v34, v32, s2, -v30
	v_fmac_f32_e32 v34, 0xb102e308, v32
	v_pk_add_f32 v[32:33], v[30:31], v[34:35]
	v_sub_f32_e32 v15, v15, v18
	v_sub_f32_e32 v18, v33, v35
	v_ldexp_f32 v15, v15, 1
	v_sub_f32_e32 v18, v31, v18
	v_add_f32_e32 v37, v15, v18
	v_mov_b32_e32 v36, v30
	v_pk_add_f32 v[30:31], v[32:33], v[30:31] neg_lo:[0,1] neg_hi:[0,1]
	v_pk_add_f32 v[38:39], v[32:33], v[36:37]
	v_mov_b32_e32 v31, v39
	v_mov_b32_e32 v35, v32
	v_pk_add_f32 v[40:41], v[34:35], v[30:31] neg_lo:[0,1] neg_hi:[0,1]
	v_pk_add_f32 v[30:31], v[34:35], v[30:31]
	v_mov_b32_e32 v18, v31
	v_pk_add_f32 v[34:35], v[18:19], v[32:33] neg_lo:[0,1] neg_hi:[0,1]
	v_mov_b32_e32 v15, v34
	v_pk_add_f32 v[42:43], v[38:39], v[14:15] neg_lo:[0,1] neg_hi:[0,1]
	v_mov_b32_e32 v30, v39
	v_mov_b32_e32 v38, v33
	;; [unrolled: 1-line block ×4, first 2 shown]
	v_pk_add_f32 v[30:31], v[30:31], v[38:39] neg_lo:[0,1] neg_hi:[0,1]
	v_mov_b32_e32 v34, v37
	v_mov_b32_e32 v35, v32
	v_pk_add_f32 v[30:31], v[34:35], v[30:31] neg_lo:[0,1] neg_hi:[0,1]
	v_mov_b32_e32 v42, v40
	v_pk_add_f32 v[32:33], v[42:43], v[30:31]
	v_mov_b32_e32 v34, v33
	v_pk_add_f32 v[34:35], v[32:33], v[34:35]
	v_pk_add_f32 v[36:37], v[18:19], v[34:35]
	v_mov_b32_e32 v33, v36
	v_pk_add_f32 v[38:39], v[32:33], v[40:41] neg_lo:[0,1] neg_hi:[0,1]
	v_mov_b32_e32 v31, v34
	v_sub_f32_e32 v15, v32, v38
	v_pk_add_f32 v[30:31], v[30:31], v[38:39] neg_lo:[0,1] neg_hi:[0,1]
	v_sub_f32_e32 v15, v40, v15
	s_mov_b32 s3, 0x7f800000
	v_add_f32_e32 v15, v30, v15
	s_mov_b32 s2, 0x33800000
	v_add_f32_e32 v15, v15, v31
	v_cmp_eq_f32_e32 vcc, s3, v44
	v_cmp_lt_f32_e64 s[2:3], |v44|, s2
	v_add_f32_e32 v15, v36, v15
	s_or_b64 vcc, vcc, s[2:3]
	v_cndmask_b32_e32 v15, v15, v44, vcc
	v_add_f32_e32 v15, v29, v15
	v_cvt_f16_f32_e32 v31, v15
	v_cvt_f32_f16_e32 v15, v31
	v_mov_b32_e32 v18, v31
.LBB371_132:
	s_or_b64 exec, exec, s[0:1]
	v_max_f32_e32 v29, v3, v3
	v_max_f32_e32 v32, v15, v15
	v_min_f32_e32 v30, v32, v29
	v_cmp_u_f16_e32 vcc, v31, v31
	v_max_f32_e32 v29, v32, v29
	v_cndmask_b32_e32 v30, v30, v15, vcc
	v_cndmask_b32_e32 v29, v29, v15, vcc
	v_cndmask_b32_e64 v30, v30, v3, s[54:55]
	v_cndmask_b32_e64 v29, v29, v3, s[54:55]
	v_cmp_neq_f32_e32 vcc, v30, v29
	v_cmp_class_f32_e64 s[0:1], v30, s4
	s_or_b64 s[2:3], vcc, s[0:1]
	v_mov_b32_e32 v3, v18
	s_and_saveexec_b64 s[0:1], s[2:3]
	s_cbranch_execz .LBB371_134
; %bb.133:
	v_sub_f32_e32 v3, v30, v29
	s_mov_b32 s2, 0x3fb8aa3b
	v_mul_f32_e32 v15, 0x3fb8aa3b, v3
	v_fma_f32 v30, v3, s2, -v15
	v_rndne_f32_e32 v31, v15
	v_fmac_f32_e32 v30, 0x32a5705f, v3
	v_sub_f32_e32 v15, v15, v31
	v_add_f32_e32 v15, v15, v30
	v_exp_f32_e32 v15, v15
	v_cvt_i32_f32_e32 v30, v31
	s_mov_b32 s2, 0xc2ce8ed0
	v_cmp_ngt_f32_e32 vcc, s2, v3
	s_mov_b32 s2, 0x42b17218
	v_ldexp_f32 v15, v15, v30
	v_cndmask_b32_e32 v15, 0, v15, vcc
	v_mov_b32_e32 v30, 0x7f800000
	v_cmp_nlt_f32_e32 vcc, s2, v3
	v_cndmask_b32_e32 v15, v30, v15, vcc
	v_add_f32_e32 v3, 1.0, v15
	v_add_f32_e32 v30, -1.0, v3
	v_sub_f32_e32 v31, v30, v3
	v_add_f32_e32 v31, 1.0, v31
	v_sub_f32_e32 v30, v15, v30
	v_add_f32_e32 v32, v30, v31
	v_frexp_mant_f32_e32 v33, v3
	s_mov_b32 s2, 0x3f2aaaab
	v_cvt_f64_f32_e32 v[30:31], v3
	v_frexp_exp_i32_f64_e32 v30, v[30:31]
	v_cmp_gt_f32_e32 vcc, s2, v33
	v_subbrev_co_u32_e32 v38, vcc, 0, v30, vcc
	v_sub_u32_e32 v30, 0, v38
	v_ldexp_f32 v3, v3, v30
	v_ldexp_f32 v30, v32, v30
	v_add_f32_e32 v32, -1.0, v3
	v_add_f32_e32 v31, 1.0, v32
	v_sub_f32_e32 v31, v3, v31
	v_add_f32_e32 v33, v30, v31
	v_add_f32_e32 v31, 1.0, v3
	v_add_f32_e32 v34, -1.0, v31
	v_sub_f32_e32 v3, v3, v34
	v_add_f32_e32 v3, v30, v3
	v_add_f32_e32 v39, v31, v3
	v_rcp_f32_e32 v40, v39
	v_sub_f32_e32 v30, v31, v39
	v_add_f32_e32 v31, v32, v33
	v_add_f32_e32 v3, v3, v30
	v_mul_f32_e32 v42, v31, v40
	v_sub_f32_e32 v30, v32, v31
	v_mul_f32_e32 v32, v39, v42
	v_fma_f32 v34, v42, v39, -v32
	v_fmac_f32_e32 v34, v42, v3
	v_add_f32_e32 v41, v33, v30
	v_add_f32_e32 v30, v32, v34
	v_sub_f32_e32 v33, v31, v30
	v_pk_add_f32 v[36:37], v[30:31], v[32:33] neg_lo:[0,1] neg_hi:[0,1]
	v_mov_b32_e32 v35, v30
	v_pk_add_f32 v[30:31], v[36:37], v[34:35] neg_lo:[0,1] neg_hi:[0,1]
	v_add_f32_e32 v31, v41, v31
	v_add_f32_e32 v30, v30, v31
	;; [unrolled: 1-line block ×3, first 2 shown]
	v_mul_f32_e32 v41, v40, v31
	v_mul_f32_e32 v32, v39, v41
	v_fma_f32 v34, v41, v39, -v32
	v_fmac_f32_e32 v34, v41, v3
	v_sub_f32_e32 v3, v33, v31
	v_add_f32_e32 v3, v30, v3
	v_add_f32_e32 v30, v32, v34
	v_sub_f32_e32 v33, v31, v30
	v_pk_add_f32 v[36:37], v[30:31], v[32:33] neg_lo:[0,1] neg_hi:[0,1]
	v_mov_b32_e32 v35, v30
	v_pk_add_f32 v[30:31], v[36:37], v[34:35] neg_lo:[0,1] neg_hi:[0,1]
	v_add_f32_e32 v3, v3, v31
	v_add_f32_e32 v3, v30, v3
	;; [unrolled: 1-line block ×4, first 2 shown]
	v_sub_f32_e32 v31, v30, v42
	v_mul_f32_e32 v3, v40, v3
	v_sub_f32_e32 v31, v41, v31
	v_add_f32_e32 v3, v31, v3
	v_add_f32_e32 v33, v30, v3
	v_mul_f32_e32 v34, v33, v33
	v_mov_b32_e32 v32, 0x3ecc95a3
	v_fmac_f32_e32 v32, 0x3e9b6dac, v34
	v_mov_b32_e32 v31, 0x3f2aaada
	v_fmac_f32_e32 v31, v34, v32
	v_cvt_f32_i32_e32 v32, v38
	v_sub_f32_e32 v30, v33, v30
	v_sub_f32_e32 v3, v3, v30
	v_ldexp_f32 v35, v33, 1
	v_mul_f32_e32 v33, v33, v34
	v_mov_b32_e32 v30, 0x3f317218
	s_mov_b32 s2, 0x3f317218
	v_pk_mul_f32 v[30:31], v[32:33], v[30:31]
	v_fma_f32 v34, v32, s2, -v30
	v_fmac_f32_e32 v34, 0xb102e308, v32
	v_pk_add_f32 v[32:33], v[30:31], v[34:35]
	v_sub_f32_e32 v35, v33, v35
	v_ldexp_f32 v3, v3, 1
	v_sub_f32_e32 v35, v31, v35
	v_add_f32_e32 v37, v3, v35
	v_mov_b32_e32 v36, v30
	v_pk_add_f32 v[30:31], v[32:33], v[30:31] neg_lo:[0,1] neg_hi:[0,1]
	v_pk_add_f32 v[38:39], v[32:33], v[36:37]
	v_mov_b32_e32 v31, v39
	v_mov_b32_e32 v35, v32
	v_pk_add_f32 v[40:41], v[34:35], v[30:31] neg_lo:[0,1] neg_hi:[0,1]
	v_pk_add_f32 v[30:31], v[34:35], v[30:31]
	v_mov_b32_e32 v34, v31
	v_pk_add_f32 v[42:43], v[34:35], v[32:33] neg_lo:[0,1] neg_hi:[0,1]
	v_mov_b32_e32 v3, v42
	v_pk_add_f32 v[44:45], v[38:39], v[2:3] neg_lo:[0,1] neg_hi:[0,1]
	v_mov_b32_e32 v30, v39
	v_mov_b32_e32 v38, v33
	;; [unrolled: 1-line block ×4, first 2 shown]
	v_pk_add_f32 v[30:31], v[30:31], v[38:39] neg_lo:[0,1] neg_hi:[0,1]
	v_mov_b32_e32 v36, v37
	v_mov_b32_e32 v37, v32
	v_pk_add_f32 v[30:31], v[36:37], v[30:31] neg_lo:[0,1] neg_hi:[0,1]
	v_mov_b32_e32 v44, v40
	v_pk_add_f32 v[32:33], v[44:45], v[30:31]
	v_mov_b32_e32 v36, v33
	v_pk_add_f32 v[36:37], v[32:33], v[36:37]
	v_pk_add_f32 v[34:35], v[34:35], v[36:37]
	v_mov_b32_e32 v33, v34
	v_pk_add_f32 v[38:39], v[32:33], v[40:41] neg_lo:[0,1] neg_hi:[0,1]
	v_mov_b32_e32 v31, v36
	v_sub_f32_e32 v3, v32, v38
	v_pk_add_f32 v[30:31], v[30:31], v[38:39] neg_lo:[0,1] neg_hi:[0,1]
	v_sub_f32_e32 v3, v40, v3
	s_mov_b32 s3, 0x7f800000
	v_add_f32_e32 v3, v30, v3
	s_mov_b32 s2, 0x33800000
	v_add_f32_e32 v3, v3, v31
	v_cmp_eq_f32_e32 vcc, s3, v15
	v_cmp_lt_f32_e64 s[2:3], |v15|, s2
	v_add_f32_e32 v3, v34, v3
	s_or_b64 vcc, vcc, s[2:3]
	v_cndmask_b32_e32 v3, v3, v15, vcc
	v_add_f32_e32 v3, v29, v3
	v_cvt_f16_f32_e32 v31, v3
	v_cvt_f32_f16_e32 v15, v31
	v_mov_b32_e32 v3, v31
.LBB371_134:
	s_or_b64 exec, exec, s[0:1]
	v_max_f32_e32 v29, v19, v19
	v_max_f32_e32 v32, v15, v15
	v_min_f32_e32 v30, v32, v29
	v_cmp_u_f16_e32 vcc, v31, v31
	v_max_f32_e32 v29, v32, v29
	v_cndmask_b32_e32 v30, v30, v15, vcc
	v_cndmask_b32_e32 v29, v29, v15, vcc
	v_cndmask_b32_e64 v30, v30, v19, s[56:57]
	v_cndmask_b32_e64 v29, v29, v19, s[56:57]
	v_cmp_neq_f32_e32 vcc, v30, v29
	v_cmp_class_f32_e64 s[0:1], v30, s4
	s_or_b64 s[2:3], vcc, s[0:1]
	v_mov_b32_e32 v19, v3
	s_and_saveexec_b64 s[0:1], s[2:3]
	s_cbranch_execz .LBB371_136
; %bb.135:
	v_sub_f32_e32 v15, v30, v29
	s_mov_b32 s2, 0x3fb8aa3b
	v_mul_f32_e32 v19, 0x3fb8aa3b, v15
	v_fma_f32 v30, v15, s2, -v19
	v_rndne_f32_e32 v31, v19
	v_fmac_f32_e32 v30, 0x32a5705f, v15
	v_sub_f32_e32 v19, v19, v31
	v_add_f32_e32 v19, v19, v30
	v_exp_f32_e32 v19, v19
	v_cvt_i32_f32_e32 v30, v31
	s_mov_b32 s2, 0xc2ce8ed0
	v_cmp_ngt_f32_e32 vcc, s2, v15
	s_mov_b32 s2, 0x42b17218
	v_ldexp_f32 v19, v19, v30
	v_cndmask_b32_e32 v19, 0, v19, vcc
	v_mov_b32_e32 v30, 0x7f800000
	v_cmp_nlt_f32_e32 vcc, s2, v15
	v_cndmask_b32_e32 v19, v30, v19, vcc
	v_add_f32_e32 v15, 1.0, v19
	v_add_f32_e32 v30, -1.0, v15
	v_sub_f32_e32 v31, v30, v15
	v_add_f32_e32 v31, 1.0, v31
	v_sub_f32_e32 v30, v19, v30
	v_add_f32_e32 v32, v30, v31
	v_frexp_mant_f32_e32 v33, v15
	s_mov_b32 s2, 0x3f2aaaab
	v_cvt_f64_f32_e32 v[30:31], v15
	v_frexp_exp_i32_f64_e32 v30, v[30:31]
	v_cmp_gt_f32_e32 vcc, s2, v33
	v_subbrev_co_u32_e32 v38, vcc, 0, v30, vcc
	v_sub_u32_e32 v30, 0, v38
	v_ldexp_f32 v15, v15, v30
	v_ldexp_f32 v30, v32, v30
	v_add_f32_e32 v32, -1.0, v15
	v_add_f32_e32 v31, 1.0, v32
	v_sub_f32_e32 v31, v15, v31
	v_add_f32_e32 v33, v30, v31
	v_add_f32_e32 v31, 1.0, v15
	v_add_f32_e32 v34, -1.0, v31
	v_sub_f32_e32 v15, v15, v34
	v_add_f32_e32 v15, v30, v15
	v_add_f32_e32 v39, v31, v15
	v_rcp_f32_e32 v40, v39
	v_sub_f32_e32 v30, v31, v39
	v_add_f32_e32 v31, v32, v33
	v_add_f32_e32 v15, v15, v30
	v_mul_f32_e32 v42, v31, v40
	v_sub_f32_e32 v30, v32, v31
	v_mul_f32_e32 v32, v39, v42
	v_fma_f32 v34, v42, v39, -v32
	v_fmac_f32_e32 v34, v42, v15
	v_add_f32_e32 v41, v33, v30
	v_add_f32_e32 v30, v32, v34
	v_sub_f32_e32 v33, v31, v30
	v_pk_add_f32 v[36:37], v[30:31], v[32:33] neg_lo:[0,1] neg_hi:[0,1]
	v_mov_b32_e32 v35, v30
	v_pk_add_f32 v[30:31], v[36:37], v[34:35] neg_lo:[0,1] neg_hi:[0,1]
	v_add_f32_e32 v31, v41, v31
	v_add_f32_e32 v30, v30, v31
	;; [unrolled: 1-line block ×3, first 2 shown]
	v_mul_f32_e32 v41, v40, v31
	v_mul_f32_e32 v32, v39, v41
	v_fma_f32 v34, v41, v39, -v32
	v_fmac_f32_e32 v34, v41, v15
	v_sub_f32_e32 v15, v33, v31
	v_add_f32_e32 v15, v30, v15
	v_add_f32_e32 v30, v32, v34
	v_sub_f32_e32 v33, v31, v30
	v_pk_add_f32 v[36:37], v[30:31], v[32:33] neg_lo:[0,1] neg_hi:[0,1]
	v_mov_b32_e32 v35, v30
	v_pk_add_f32 v[30:31], v[36:37], v[34:35] neg_lo:[0,1] neg_hi:[0,1]
	v_add_f32_e32 v15, v15, v31
	v_add_f32_e32 v15, v30, v15
	;; [unrolled: 1-line block ×4, first 2 shown]
	v_sub_f32_e32 v31, v30, v42
	v_mul_f32_e32 v15, v40, v15
	v_sub_f32_e32 v31, v41, v31
	v_add_f32_e32 v15, v31, v15
	v_add_f32_e32 v33, v30, v15
	v_mul_f32_e32 v34, v33, v33
	v_mov_b32_e32 v32, 0x3ecc95a3
	v_fmac_f32_e32 v32, 0x3e9b6dac, v34
	v_mov_b32_e32 v31, 0x3f2aaada
	v_fmac_f32_e32 v31, v34, v32
	v_cvt_f32_i32_e32 v32, v38
	v_sub_f32_e32 v30, v33, v30
	v_sub_f32_e32 v15, v15, v30
	v_ldexp_f32 v35, v33, 1
	v_mul_f32_e32 v33, v33, v34
	v_mov_b32_e32 v30, 0x3f317218
	s_mov_b32 s2, 0x3f317218
	v_pk_mul_f32 v[30:31], v[32:33], v[30:31]
	v_fma_f32 v34, v32, s2, -v30
	v_fmac_f32_e32 v34, 0xb102e308, v32
	v_pk_add_f32 v[32:33], v[30:31], v[34:35]
	v_sub_f32_e32 v35, v33, v35
	v_ldexp_f32 v15, v15, 1
	v_sub_f32_e32 v35, v31, v35
	v_add_f32_e32 v37, v15, v35
	v_mov_b32_e32 v36, v30
	v_pk_add_f32 v[30:31], v[32:33], v[30:31] neg_lo:[0,1] neg_hi:[0,1]
	v_pk_add_f32 v[38:39], v[32:33], v[36:37]
	v_mov_b32_e32 v31, v39
	v_mov_b32_e32 v35, v32
	v_pk_add_f32 v[40:41], v[34:35], v[30:31] neg_lo:[0,1] neg_hi:[0,1]
	v_pk_add_f32 v[30:31], v[34:35], v[30:31]
	v_mov_b32_e32 v34, v31
	v_pk_add_f32 v[42:43], v[34:35], v[32:33] neg_lo:[0,1] neg_hi:[0,1]
	v_mov_b32_e32 v15, v42
	v_pk_add_f32 v[44:45], v[38:39], v[14:15] neg_lo:[0,1] neg_hi:[0,1]
	v_mov_b32_e32 v30, v39
	v_mov_b32_e32 v38, v33
	;; [unrolled: 1-line block ×4, first 2 shown]
	v_pk_add_f32 v[30:31], v[30:31], v[38:39] neg_lo:[0,1] neg_hi:[0,1]
	v_mov_b32_e32 v36, v37
	v_mov_b32_e32 v37, v32
	v_pk_add_f32 v[30:31], v[36:37], v[30:31] neg_lo:[0,1] neg_hi:[0,1]
	v_mov_b32_e32 v44, v40
	v_pk_add_f32 v[32:33], v[44:45], v[30:31]
	v_mov_b32_e32 v36, v33
	v_pk_add_f32 v[36:37], v[32:33], v[36:37]
	v_pk_add_f32 v[34:35], v[34:35], v[36:37]
	v_mov_b32_e32 v33, v34
	v_pk_add_f32 v[38:39], v[32:33], v[40:41] neg_lo:[0,1] neg_hi:[0,1]
	v_mov_b32_e32 v31, v36
	v_sub_f32_e32 v15, v32, v38
	v_pk_add_f32 v[30:31], v[30:31], v[38:39] neg_lo:[0,1] neg_hi:[0,1]
	v_sub_f32_e32 v15, v40, v15
	s_mov_b32 s3, 0x7f800000
	v_add_f32_e32 v15, v30, v15
	s_mov_b32 s2, 0x33800000
	v_add_f32_e32 v15, v15, v31
	v_cmp_eq_f32_e32 vcc, s3, v19
	v_cmp_lt_f32_e64 s[2:3], |v19|, s2
	v_add_f32_e32 v15, v34, v15
	s_or_b64 vcc, vcc, s[2:3]
	v_cndmask_b32_e32 v15, v15, v19, vcc
	v_add_f32_e32 v15, v29, v15
	v_cvt_f16_f32_e32 v31, v15
	v_cvt_f32_f16_e32 v15, v31
	v_mov_b32_e32 v19, v31
.LBB371_136:
	s_or_b64 exec, exec, s[0:1]
	v_max_f32_e32 v29, v4, v4
	v_max_f32_e32 v32, v15, v15
	v_min_f32_e32 v30, v32, v29
	v_cmp_u_f16_e32 vcc, v31, v31
	v_max_f32_e32 v29, v32, v29
	v_cndmask_b32_e32 v30, v30, v15, vcc
	v_cndmask_b32_e32 v29, v29, v15, vcc
	v_cndmask_b32_e64 v30, v30, v4, s[58:59]
	v_cndmask_b32_e64 v29, v29, v4, s[58:59]
	v_cmp_neq_f32_e32 vcc, v30, v29
	v_cmp_class_f32_e64 s[0:1], v30, s4
	s_or_b64 s[2:3], vcc, s[0:1]
	v_mov_b32_e32 v4, v19
	s_and_saveexec_b64 s[0:1], s[2:3]
	s_cbranch_execz .LBB371_138
; %bb.137:
	v_sub_f32_e32 v4, v30, v29
	s_mov_b32 s2, 0x3fb8aa3b
	v_mul_f32_e32 v15, 0x3fb8aa3b, v4
	v_fma_f32 v30, v4, s2, -v15
	v_rndne_f32_e32 v31, v15
	v_fmac_f32_e32 v30, 0x32a5705f, v4
	v_sub_f32_e32 v15, v15, v31
	v_add_f32_e32 v15, v15, v30
	v_exp_f32_e32 v15, v15
	v_cvt_i32_f32_e32 v30, v31
	s_mov_b32 s2, 0xc2ce8ed0
	v_cmp_ngt_f32_e32 vcc, s2, v4
	s_mov_b32 s2, 0x42b17218
	v_ldexp_f32 v15, v15, v30
	v_cndmask_b32_e32 v15, 0, v15, vcc
	v_mov_b32_e32 v30, 0x7f800000
	v_cmp_nlt_f32_e32 vcc, s2, v4
	v_cndmask_b32_e32 v44, v30, v15, vcc
	v_add_f32_e32 v4, 1.0, v44
	v_add_f32_e32 v15, -1.0, v4
	v_sub_f32_e32 v30, v15, v4
	v_add_f32_e32 v30, 1.0, v30
	v_sub_f32_e32 v15, v44, v15
	v_add_f32_e32 v15, v15, v30
	v_frexp_mant_f32_e32 v32, v4
	s_mov_b32 s2, 0x3f2aaaab
	v_cvt_f64_f32_e32 v[30:31], v4
	v_frexp_exp_i32_f64_e32 v30, v[30:31]
	v_cmp_gt_f32_e32 vcc, s2, v32
	v_subbrev_co_u32_e32 v38, vcc, 0, v30, vcc
	v_sub_u32_e32 v30, 0, v38
	v_ldexp_f32 v4, v4, v30
	v_ldexp_f32 v15, v15, v30
	v_add_f32_e32 v30, -1.0, v4
	v_add_f32_e32 v31, 1.0, v30
	v_sub_f32_e32 v31, v4, v31
	v_add_f32_e32 v32, v15, v31
	v_add_f32_e32 v31, 1.0, v4
	v_add_f32_e32 v33, -1.0, v31
	v_sub_f32_e32 v4, v4, v33
	v_add_f32_e32 v4, v15, v4
	v_add_f32_e32 v15, v31, v4
	v_rcp_f32_e32 v39, v15
	v_sub_f32_e32 v31, v31, v15
	v_add_f32_e32 v4, v4, v31
	v_add_f32_e32 v31, v30, v32
	v_sub_f32_e32 v30, v30, v31
	v_mul_f32_e32 v41, v31, v39
	v_add_f32_e32 v40, v32, v30
	v_mul_f32_e32 v32, v15, v41
	v_fma_f32 v34, v41, v15, -v32
	v_fmac_f32_e32 v34, v41, v4
	v_add_f32_e32 v30, v32, v34
	v_sub_f32_e32 v33, v31, v30
	v_pk_add_f32 v[36:37], v[30:31], v[32:33] neg_lo:[0,1] neg_hi:[0,1]
	v_mov_b32_e32 v35, v30
	v_pk_add_f32 v[30:31], v[36:37], v[34:35] neg_lo:[0,1] neg_hi:[0,1]
	v_add_f32_e32 v31, v40, v31
	v_add_f32_e32 v30, v30, v31
	;; [unrolled: 1-line block ×3, first 2 shown]
	v_mul_f32_e32 v40, v39, v31
	v_mul_f32_e32 v32, v15, v40
	v_fma_f32 v34, v40, v15, -v32
	v_fmac_f32_e32 v34, v40, v4
	v_sub_f32_e32 v4, v33, v31
	v_add_f32_e32 v4, v30, v4
	v_add_f32_e32 v30, v32, v34
	v_sub_f32_e32 v33, v31, v30
	v_pk_add_f32 v[36:37], v[30:31], v[32:33] neg_lo:[0,1] neg_hi:[0,1]
	v_mov_b32_e32 v35, v30
	v_pk_add_f32 v[30:31], v[36:37], v[34:35] neg_lo:[0,1] neg_hi:[0,1]
	v_add_f32_e32 v4, v4, v31
	v_add_f32_e32 v4, v30, v4
	v_add_f32_e32 v15, v41, v40
	v_add_f32_e32 v4, v33, v4
	v_sub_f32_e32 v30, v15, v41
	v_mul_f32_e32 v4, v39, v4
	v_sub_f32_e32 v30, v40, v30
	v_add_f32_e32 v4, v30, v4
	v_add_f32_e32 v30, v15, v4
	v_mul_f32_e32 v33, v30, v30
	v_mov_b32_e32 v32, 0x3ecc95a3
	v_fmac_f32_e32 v32, 0x3e9b6dac, v33
	v_mov_b32_e32 v31, 0x3f2aaada
	v_fmac_f32_e32 v31, v33, v32
	v_cvt_f32_i32_e32 v32, v38
	v_sub_f32_e32 v15, v30, v15
	v_ldexp_f32 v35, v30, 1
	v_mul_f32_e32 v33, v30, v33
	v_mov_b32_e32 v30, 0x3f317218
	s_mov_b32 s2, 0x3f317218
	v_pk_mul_f32 v[30:31], v[32:33], v[30:31]
	v_fma_f32 v34, v32, s2, -v30
	v_fmac_f32_e32 v34, 0xb102e308, v32
	v_pk_add_f32 v[32:33], v[30:31], v[34:35]
	v_sub_f32_e32 v4, v4, v15
	v_sub_f32_e32 v15, v33, v35
	v_ldexp_f32 v4, v4, 1
	v_sub_f32_e32 v15, v31, v15
	v_add_f32_e32 v37, v4, v15
	v_mov_b32_e32 v36, v30
	v_pk_add_f32 v[30:31], v[32:33], v[30:31] neg_lo:[0,1] neg_hi:[0,1]
	v_pk_add_f32 v[38:39], v[32:33], v[36:37]
	v_mov_b32_e32 v31, v39
	v_mov_b32_e32 v35, v32
	v_pk_add_f32 v[40:41], v[34:35], v[30:31] neg_lo:[0,1] neg_hi:[0,1]
	v_pk_add_f32 v[30:31], v[34:35], v[30:31]
	v_mov_b32_e32 v4, v31
	v_pk_add_f32 v[34:35], v[4:5], v[32:33] neg_lo:[0,1] neg_hi:[0,1]
	v_mov_b32_e32 v15, v34
	v_pk_add_f32 v[42:43], v[38:39], v[14:15] neg_lo:[0,1] neg_hi:[0,1]
	v_mov_b32_e32 v30, v39
	v_mov_b32_e32 v38, v33
	;; [unrolled: 1-line block ×4, first 2 shown]
	v_pk_add_f32 v[30:31], v[30:31], v[38:39] neg_lo:[0,1] neg_hi:[0,1]
	v_mov_b32_e32 v34, v37
	v_mov_b32_e32 v35, v32
	v_pk_add_f32 v[30:31], v[34:35], v[30:31] neg_lo:[0,1] neg_hi:[0,1]
	v_mov_b32_e32 v42, v40
	v_pk_add_f32 v[32:33], v[42:43], v[30:31]
	v_mov_b32_e32 v34, v33
	v_pk_add_f32 v[34:35], v[32:33], v[34:35]
	v_pk_add_f32 v[36:37], v[4:5], v[34:35]
	v_mov_b32_e32 v33, v36
	v_pk_add_f32 v[38:39], v[32:33], v[40:41] neg_lo:[0,1] neg_hi:[0,1]
	v_mov_b32_e32 v31, v34
	v_sub_f32_e32 v4, v32, v38
	v_pk_add_f32 v[30:31], v[30:31], v[38:39] neg_lo:[0,1] neg_hi:[0,1]
	v_sub_f32_e32 v4, v40, v4
	s_mov_b32 s3, 0x7f800000
	v_add_f32_e32 v4, v30, v4
	s_mov_b32 s2, 0x33800000
	v_add_f32_e32 v4, v4, v31
	v_cmp_eq_f32_e32 vcc, s3, v44
	v_cmp_lt_f32_e64 s[2:3], |v44|, s2
	v_add_f32_e32 v4, v36, v4
	s_or_b64 vcc, vcc, s[2:3]
	v_cndmask_b32_e32 v4, v4, v44, vcc
	v_add_f32_e32 v4, v29, v4
	v_cvt_f16_f32_e32 v31, v4
	v_cvt_f32_f16_e32 v15, v31
	v_mov_b32_e32 v4, v31
.LBB371_138:
	s_or_b64 exec, exec, s[0:1]
	v_max_f32_e32 v29, v20, v20
	v_max_f32_e32 v32, v15, v15
	v_min_f32_e32 v30, v32, v29
	v_cmp_u_f16_e32 vcc, v31, v31
	v_max_f32_e32 v29, v32, v29
	v_cndmask_b32_e32 v30, v30, v15, vcc
	v_cndmask_b32_e32 v29, v29, v15, vcc
	v_cndmask_b32_e64 v30, v30, v20, s[60:61]
	v_cndmask_b32_e64 v29, v29, v20, s[60:61]
	v_cmp_neq_f32_e32 vcc, v30, v29
	v_cmp_class_f32_e64 s[0:1], v30, s4
	s_or_b64 s[2:3], vcc, s[0:1]
	v_mov_b32_e32 v20, v4
	s_and_saveexec_b64 s[0:1], s[2:3]
	s_cbranch_execz .LBB371_140
; %bb.139:
	v_sub_f32_e32 v15, v30, v29
	s_mov_b32 s2, 0x3fb8aa3b
	v_mul_f32_e32 v20, 0x3fb8aa3b, v15
	v_fma_f32 v30, v15, s2, -v20
	v_rndne_f32_e32 v31, v20
	v_fmac_f32_e32 v30, 0x32a5705f, v15
	v_sub_f32_e32 v20, v20, v31
	v_add_f32_e32 v20, v20, v30
	v_exp_f32_e32 v20, v20
	v_cvt_i32_f32_e32 v30, v31
	s_mov_b32 s2, 0xc2ce8ed0
	v_cmp_ngt_f32_e32 vcc, s2, v15
	s_mov_b32 s2, 0x42b17218
	v_ldexp_f32 v20, v20, v30
	v_cndmask_b32_e32 v20, 0, v20, vcc
	v_mov_b32_e32 v30, 0x7f800000
	v_cmp_nlt_f32_e32 vcc, s2, v15
	v_cndmask_b32_e32 v44, v30, v20, vcc
	v_add_f32_e32 v15, 1.0, v44
	v_add_f32_e32 v20, -1.0, v15
	v_sub_f32_e32 v30, v20, v15
	v_add_f32_e32 v30, 1.0, v30
	v_sub_f32_e32 v20, v44, v20
	v_add_f32_e32 v20, v20, v30
	v_frexp_mant_f32_e32 v32, v15
	s_mov_b32 s2, 0x3f2aaaab
	v_cvt_f64_f32_e32 v[30:31], v15
	v_frexp_exp_i32_f64_e32 v30, v[30:31]
	v_cmp_gt_f32_e32 vcc, s2, v32
	v_subbrev_co_u32_e32 v38, vcc, 0, v30, vcc
	v_sub_u32_e32 v30, 0, v38
	v_ldexp_f32 v15, v15, v30
	v_ldexp_f32 v20, v20, v30
	v_add_f32_e32 v30, -1.0, v15
	v_add_f32_e32 v31, 1.0, v30
	v_sub_f32_e32 v31, v15, v31
	v_add_f32_e32 v32, v20, v31
	v_add_f32_e32 v31, 1.0, v15
	v_add_f32_e32 v33, -1.0, v31
	v_sub_f32_e32 v15, v15, v33
	v_add_f32_e32 v15, v20, v15
	v_add_f32_e32 v20, v31, v15
	v_rcp_f32_e32 v39, v20
	v_sub_f32_e32 v31, v31, v20
	v_add_f32_e32 v15, v15, v31
	v_add_f32_e32 v31, v30, v32
	v_sub_f32_e32 v30, v30, v31
	v_mul_f32_e32 v41, v31, v39
	v_add_f32_e32 v40, v32, v30
	v_mul_f32_e32 v32, v20, v41
	v_fma_f32 v34, v41, v20, -v32
	v_fmac_f32_e32 v34, v41, v15
	v_add_f32_e32 v30, v32, v34
	v_sub_f32_e32 v33, v31, v30
	v_pk_add_f32 v[36:37], v[30:31], v[32:33] neg_lo:[0,1] neg_hi:[0,1]
	v_mov_b32_e32 v35, v30
	v_pk_add_f32 v[30:31], v[36:37], v[34:35] neg_lo:[0,1] neg_hi:[0,1]
	v_add_f32_e32 v31, v40, v31
	v_add_f32_e32 v30, v30, v31
	;; [unrolled: 1-line block ×3, first 2 shown]
	v_mul_f32_e32 v40, v39, v31
	v_mul_f32_e32 v32, v20, v40
	v_fma_f32 v34, v40, v20, -v32
	v_fmac_f32_e32 v34, v40, v15
	v_sub_f32_e32 v15, v33, v31
	v_add_f32_e32 v15, v30, v15
	v_add_f32_e32 v30, v32, v34
	v_sub_f32_e32 v33, v31, v30
	v_pk_add_f32 v[36:37], v[30:31], v[32:33] neg_lo:[0,1] neg_hi:[0,1]
	v_mov_b32_e32 v35, v30
	v_pk_add_f32 v[30:31], v[36:37], v[34:35] neg_lo:[0,1] neg_hi:[0,1]
	v_add_f32_e32 v15, v15, v31
	v_add_f32_e32 v15, v30, v15
	;; [unrolled: 1-line block ×4, first 2 shown]
	v_sub_f32_e32 v30, v20, v41
	v_mul_f32_e32 v15, v39, v15
	v_sub_f32_e32 v30, v40, v30
	v_add_f32_e32 v15, v30, v15
	v_add_f32_e32 v30, v20, v15
	v_mul_f32_e32 v33, v30, v30
	v_mov_b32_e32 v32, 0x3ecc95a3
	v_fmac_f32_e32 v32, 0x3e9b6dac, v33
	v_mov_b32_e32 v31, 0x3f2aaada
	v_fmac_f32_e32 v31, v33, v32
	v_cvt_f32_i32_e32 v32, v38
	v_sub_f32_e32 v20, v30, v20
	v_ldexp_f32 v35, v30, 1
	v_mul_f32_e32 v33, v30, v33
	v_mov_b32_e32 v30, 0x3f317218
	s_mov_b32 s2, 0x3f317218
	v_pk_mul_f32 v[30:31], v[32:33], v[30:31]
	v_fma_f32 v34, v32, s2, -v30
	v_fmac_f32_e32 v34, 0xb102e308, v32
	v_pk_add_f32 v[32:33], v[30:31], v[34:35]
	v_sub_f32_e32 v15, v15, v20
	v_sub_f32_e32 v20, v33, v35
	v_ldexp_f32 v15, v15, 1
	v_sub_f32_e32 v20, v31, v20
	v_add_f32_e32 v37, v15, v20
	v_mov_b32_e32 v36, v30
	v_pk_add_f32 v[30:31], v[32:33], v[30:31] neg_lo:[0,1] neg_hi:[0,1]
	v_pk_add_f32 v[38:39], v[32:33], v[36:37]
	v_mov_b32_e32 v31, v39
	v_mov_b32_e32 v35, v32
	v_pk_add_f32 v[40:41], v[34:35], v[30:31] neg_lo:[0,1] neg_hi:[0,1]
	v_pk_add_f32 v[30:31], v[34:35], v[30:31]
	v_mov_b32_e32 v20, v31
	v_pk_add_f32 v[34:35], v[20:21], v[32:33] neg_lo:[0,1] neg_hi:[0,1]
	v_mov_b32_e32 v15, v34
	v_pk_add_f32 v[42:43], v[38:39], v[14:15] neg_lo:[0,1] neg_hi:[0,1]
	v_mov_b32_e32 v30, v39
	v_mov_b32_e32 v38, v33
	;; [unrolled: 1-line block ×4, first 2 shown]
	v_pk_add_f32 v[30:31], v[30:31], v[38:39] neg_lo:[0,1] neg_hi:[0,1]
	v_mov_b32_e32 v34, v37
	v_mov_b32_e32 v35, v32
	v_pk_add_f32 v[30:31], v[34:35], v[30:31] neg_lo:[0,1] neg_hi:[0,1]
	v_mov_b32_e32 v42, v40
	v_pk_add_f32 v[32:33], v[42:43], v[30:31]
	v_mov_b32_e32 v34, v33
	v_pk_add_f32 v[34:35], v[32:33], v[34:35]
	v_pk_add_f32 v[36:37], v[20:21], v[34:35]
	v_mov_b32_e32 v33, v36
	v_pk_add_f32 v[38:39], v[32:33], v[40:41] neg_lo:[0,1] neg_hi:[0,1]
	v_mov_b32_e32 v31, v34
	v_sub_f32_e32 v15, v32, v38
	v_pk_add_f32 v[30:31], v[30:31], v[38:39] neg_lo:[0,1] neg_hi:[0,1]
	v_sub_f32_e32 v15, v40, v15
	s_mov_b32 s3, 0x7f800000
	v_add_f32_e32 v15, v30, v15
	s_mov_b32 s2, 0x33800000
	v_add_f32_e32 v15, v15, v31
	v_cmp_eq_f32_e32 vcc, s3, v44
	v_cmp_lt_f32_e64 s[2:3], |v44|, s2
	v_add_f32_e32 v15, v36, v15
	s_or_b64 vcc, vcc, s[2:3]
	v_cndmask_b32_e32 v15, v15, v44, vcc
	v_add_f32_e32 v15, v29, v15
	v_cvt_f16_f32_e32 v31, v15
	v_cvt_f32_f16_e32 v15, v31
	v_mov_b32_e32 v20, v31
.LBB371_140:
	s_or_b64 exec, exec, s[0:1]
	v_max_f32_e32 v29, v5, v5
	v_max_f32_e32 v32, v15, v15
	v_min_f32_e32 v30, v32, v29
	v_cmp_u_f16_e32 vcc, v31, v31
	v_max_f32_e32 v29, v32, v29
	v_cndmask_b32_e32 v30, v30, v15, vcc
	v_cndmask_b32_e32 v29, v29, v15, vcc
	v_cndmask_b32_e64 v30, v30, v5, s[62:63]
	v_cndmask_b32_e64 v29, v29, v5, s[62:63]
	v_cmp_neq_f32_e32 vcc, v30, v29
	v_cmp_class_f32_e64 s[0:1], v30, s4
	s_or_b64 s[2:3], vcc, s[0:1]
	v_mov_b32_e32 v5, v20
	s_and_saveexec_b64 s[0:1], s[2:3]
	s_cbranch_execz .LBB371_142
; %bb.141:
	v_sub_f32_e32 v5, v30, v29
	s_mov_b32 s2, 0x3fb8aa3b
	v_mul_f32_e32 v15, 0x3fb8aa3b, v5
	v_fma_f32 v30, v5, s2, -v15
	v_rndne_f32_e32 v31, v15
	v_fmac_f32_e32 v30, 0x32a5705f, v5
	v_sub_f32_e32 v15, v15, v31
	v_add_f32_e32 v15, v15, v30
	v_exp_f32_e32 v15, v15
	v_cvt_i32_f32_e32 v30, v31
	s_mov_b32 s2, 0xc2ce8ed0
	v_cmp_ngt_f32_e32 vcc, s2, v5
	s_mov_b32 s2, 0x42b17218
	v_ldexp_f32 v15, v15, v30
	v_cndmask_b32_e32 v15, 0, v15, vcc
	v_mov_b32_e32 v30, 0x7f800000
	v_cmp_nlt_f32_e32 vcc, s2, v5
	v_cndmask_b32_e32 v15, v30, v15, vcc
	v_add_f32_e32 v5, 1.0, v15
	v_add_f32_e32 v30, -1.0, v5
	v_sub_f32_e32 v31, v30, v5
	v_add_f32_e32 v31, 1.0, v31
	v_sub_f32_e32 v30, v15, v30
	v_add_f32_e32 v32, v30, v31
	v_frexp_mant_f32_e32 v33, v5
	s_mov_b32 s2, 0x3f2aaaab
	v_cvt_f64_f32_e32 v[30:31], v5
	v_frexp_exp_i32_f64_e32 v30, v[30:31]
	v_cmp_gt_f32_e32 vcc, s2, v33
	v_subbrev_co_u32_e32 v38, vcc, 0, v30, vcc
	v_sub_u32_e32 v30, 0, v38
	v_ldexp_f32 v5, v5, v30
	v_ldexp_f32 v30, v32, v30
	v_add_f32_e32 v32, -1.0, v5
	v_add_f32_e32 v31, 1.0, v32
	v_sub_f32_e32 v31, v5, v31
	v_add_f32_e32 v33, v30, v31
	v_add_f32_e32 v31, 1.0, v5
	v_add_f32_e32 v34, -1.0, v31
	v_sub_f32_e32 v5, v5, v34
	v_add_f32_e32 v5, v30, v5
	v_add_f32_e32 v39, v31, v5
	v_rcp_f32_e32 v40, v39
	v_sub_f32_e32 v30, v31, v39
	v_add_f32_e32 v31, v32, v33
	v_add_f32_e32 v5, v5, v30
	v_mul_f32_e32 v42, v31, v40
	v_sub_f32_e32 v30, v32, v31
	v_mul_f32_e32 v32, v39, v42
	v_fma_f32 v34, v42, v39, -v32
	v_fmac_f32_e32 v34, v42, v5
	v_add_f32_e32 v41, v33, v30
	v_add_f32_e32 v30, v32, v34
	v_sub_f32_e32 v33, v31, v30
	v_pk_add_f32 v[36:37], v[30:31], v[32:33] neg_lo:[0,1] neg_hi:[0,1]
	v_mov_b32_e32 v35, v30
	v_pk_add_f32 v[30:31], v[36:37], v[34:35] neg_lo:[0,1] neg_hi:[0,1]
	v_add_f32_e32 v31, v41, v31
	v_add_f32_e32 v30, v30, v31
	;; [unrolled: 1-line block ×3, first 2 shown]
	v_mul_f32_e32 v41, v40, v31
	v_mul_f32_e32 v32, v39, v41
	v_fma_f32 v34, v41, v39, -v32
	v_fmac_f32_e32 v34, v41, v5
	v_sub_f32_e32 v5, v33, v31
	v_add_f32_e32 v5, v30, v5
	v_add_f32_e32 v30, v32, v34
	v_sub_f32_e32 v33, v31, v30
	v_pk_add_f32 v[36:37], v[30:31], v[32:33] neg_lo:[0,1] neg_hi:[0,1]
	v_mov_b32_e32 v35, v30
	v_pk_add_f32 v[30:31], v[36:37], v[34:35] neg_lo:[0,1] neg_hi:[0,1]
	v_add_f32_e32 v5, v5, v31
	v_add_f32_e32 v5, v30, v5
	;; [unrolled: 1-line block ×4, first 2 shown]
	v_sub_f32_e32 v31, v30, v42
	v_mul_f32_e32 v5, v40, v5
	v_sub_f32_e32 v31, v41, v31
	v_add_f32_e32 v5, v31, v5
	v_add_f32_e32 v33, v30, v5
	v_mul_f32_e32 v34, v33, v33
	v_mov_b32_e32 v32, 0x3ecc95a3
	v_fmac_f32_e32 v32, 0x3e9b6dac, v34
	v_mov_b32_e32 v31, 0x3f2aaada
	v_fmac_f32_e32 v31, v34, v32
	v_cvt_f32_i32_e32 v32, v38
	v_sub_f32_e32 v30, v33, v30
	v_sub_f32_e32 v5, v5, v30
	v_ldexp_f32 v35, v33, 1
	v_mul_f32_e32 v33, v33, v34
	v_mov_b32_e32 v30, 0x3f317218
	s_mov_b32 s2, 0x3f317218
	v_pk_mul_f32 v[30:31], v[32:33], v[30:31]
	v_fma_f32 v34, v32, s2, -v30
	v_fmac_f32_e32 v34, 0xb102e308, v32
	v_pk_add_f32 v[32:33], v[30:31], v[34:35]
	v_sub_f32_e32 v35, v33, v35
	v_ldexp_f32 v5, v5, 1
	v_sub_f32_e32 v35, v31, v35
	v_add_f32_e32 v37, v5, v35
	v_mov_b32_e32 v36, v30
	v_pk_add_f32 v[30:31], v[32:33], v[30:31] neg_lo:[0,1] neg_hi:[0,1]
	v_pk_add_f32 v[38:39], v[32:33], v[36:37]
	v_mov_b32_e32 v31, v39
	v_mov_b32_e32 v35, v32
	v_pk_add_f32 v[40:41], v[34:35], v[30:31] neg_lo:[0,1] neg_hi:[0,1]
	v_pk_add_f32 v[30:31], v[34:35], v[30:31]
	v_mov_b32_e32 v34, v31
	v_pk_add_f32 v[42:43], v[34:35], v[32:33] neg_lo:[0,1] neg_hi:[0,1]
	v_mov_b32_e32 v5, v42
	v_pk_add_f32 v[44:45], v[38:39], v[4:5] neg_lo:[0,1] neg_hi:[0,1]
	v_mov_b32_e32 v30, v39
	v_mov_b32_e32 v38, v33
	;; [unrolled: 1-line block ×4, first 2 shown]
	v_pk_add_f32 v[30:31], v[30:31], v[38:39] neg_lo:[0,1] neg_hi:[0,1]
	v_mov_b32_e32 v36, v37
	v_mov_b32_e32 v37, v32
	v_pk_add_f32 v[30:31], v[36:37], v[30:31] neg_lo:[0,1] neg_hi:[0,1]
	v_mov_b32_e32 v44, v40
	v_pk_add_f32 v[32:33], v[44:45], v[30:31]
	v_mov_b32_e32 v36, v33
	v_pk_add_f32 v[36:37], v[32:33], v[36:37]
	v_pk_add_f32 v[34:35], v[34:35], v[36:37]
	v_mov_b32_e32 v33, v34
	v_pk_add_f32 v[38:39], v[32:33], v[40:41] neg_lo:[0,1] neg_hi:[0,1]
	v_mov_b32_e32 v31, v36
	v_sub_f32_e32 v5, v32, v38
	v_pk_add_f32 v[30:31], v[30:31], v[38:39] neg_lo:[0,1] neg_hi:[0,1]
	v_sub_f32_e32 v5, v40, v5
	s_mov_b32 s3, 0x7f800000
	v_add_f32_e32 v5, v30, v5
	s_mov_b32 s2, 0x33800000
	v_add_f32_e32 v5, v5, v31
	v_cmp_eq_f32_e32 vcc, s3, v15
	v_cmp_lt_f32_e64 s[2:3], |v15|, s2
	v_add_f32_e32 v5, v34, v5
	s_or_b64 vcc, vcc, s[2:3]
	v_cndmask_b32_e32 v5, v5, v15, vcc
	v_add_f32_e32 v5, v29, v5
	v_cvt_f16_f32_e32 v31, v5
	v_cvt_f32_f16_e32 v15, v31
	v_mov_b32_e32 v5, v31
.LBB371_142:
	s_or_b64 exec, exec, s[0:1]
	v_max_f32_e32 v29, v21, v21
	v_max_f32_e32 v32, v15, v15
	v_min_f32_e32 v30, v32, v29
	v_cmp_u_f16_e32 vcc, v31, v31
	v_max_f32_e32 v29, v32, v29
	v_cndmask_b32_e32 v30, v30, v15, vcc
	v_cndmask_b32_e32 v29, v29, v15, vcc
	v_cndmask_b32_e64 v30, v30, v21, s[64:65]
	v_cndmask_b32_e64 v29, v29, v21, s[64:65]
	v_cmp_neq_f32_e32 vcc, v30, v29
	v_cmp_class_f32_e64 s[0:1], v30, s4
	s_or_b64 s[2:3], vcc, s[0:1]
	v_mov_b32_e32 v21, v5
	s_and_saveexec_b64 s[0:1], s[2:3]
	s_cbranch_execz .LBB371_144
; %bb.143:
	v_sub_f32_e32 v15, v30, v29
	s_mov_b32 s2, 0x3fb8aa3b
	v_mul_f32_e32 v21, 0x3fb8aa3b, v15
	v_fma_f32 v30, v15, s2, -v21
	v_rndne_f32_e32 v31, v21
	v_fmac_f32_e32 v30, 0x32a5705f, v15
	v_sub_f32_e32 v21, v21, v31
	v_add_f32_e32 v21, v21, v30
	v_exp_f32_e32 v21, v21
	v_cvt_i32_f32_e32 v30, v31
	s_mov_b32 s2, 0xc2ce8ed0
	v_cmp_ngt_f32_e32 vcc, s2, v15
	s_mov_b32 s2, 0x42b17218
	v_ldexp_f32 v21, v21, v30
	v_cndmask_b32_e32 v21, 0, v21, vcc
	v_mov_b32_e32 v30, 0x7f800000
	v_cmp_nlt_f32_e32 vcc, s2, v15
	v_cndmask_b32_e32 v21, v30, v21, vcc
	v_add_f32_e32 v15, 1.0, v21
	v_add_f32_e32 v30, -1.0, v15
	v_sub_f32_e32 v31, v30, v15
	v_add_f32_e32 v31, 1.0, v31
	v_sub_f32_e32 v30, v21, v30
	v_add_f32_e32 v32, v30, v31
	v_frexp_mant_f32_e32 v33, v15
	s_mov_b32 s2, 0x3f2aaaab
	v_cvt_f64_f32_e32 v[30:31], v15
	v_frexp_exp_i32_f64_e32 v30, v[30:31]
	v_cmp_gt_f32_e32 vcc, s2, v33
	v_subbrev_co_u32_e32 v38, vcc, 0, v30, vcc
	v_sub_u32_e32 v30, 0, v38
	v_ldexp_f32 v15, v15, v30
	v_ldexp_f32 v30, v32, v30
	v_add_f32_e32 v32, -1.0, v15
	v_add_f32_e32 v31, 1.0, v32
	v_sub_f32_e32 v31, v15, v31
	v_add_f32_e32 v33, v30, v31
	v_add_f32_e32 v31, 1.0, v15
	v_add_f32_e32 v34, -1.0, v31
	v_sub_f32_e32 v15, v15, v34
	v_add_f32_e32 v15, v30, v15
	v_add_f32_e32 v39, v31, v15
	v_rcp_f32_e32 v40, v39
	v_sub_f32_e32 v30, v31, v39
	v_add_f32_e32 v31, v32, v33
	v_add_f32_e32 v15, v15, v30
	v_mul_f32_e32 v42, v31, v40
	v_sub_f32_e32 v30, v32, v31
	v_mul_f32_e32 v32, v39, v42
	v_fma_f32 v34, v42, v39, -v32
	v_fmac_f32_e32 v34, v42, v15
	v_add_f32_e32 v41, v33, v30
	v_add_f32_e32 v30, v32, v34
	v_sub_f32_e32 v33, v31, v30
	v_pk_add_f32 v[36:37], v[30:31], v[32:33] neg_lo:[0,1] neg_hi:[0,1]
	v_mov_b32_e32 v35, v30
	v_pk_add_f32 v[30:31], v[36:37], v[34:35] neg_lo:[0,1] neg_hi:[0,1]
	v_add_f32_e32 v31, v41, v31
	v_add_f32_e32 v30, v30, v31
	v_add_f32_e32 v31, v33, v30
	v_mul_f32_e32 v41, v40, v31
	v_mul_f32_e32 v32, v39, v41
	v_fma_f32 v34, v41, v39, -v32
	v_fmac_f32_e32 v34, v41, v15
	v_sub_f32_e32 v15, v33, v31
	v_add_f32_e32 v15, v30, v15
	v_add_f32_e32 v30, v32, v34
	v_sub_f32_e32 v33, v31, v30
	v_pk_add_f32 v[36:37], v[30:31], v[32:33] neg_lo:[0,1] neg_hi:[0,1]
	v_mov_b32_e32 v35, v30
	v_pk_add_f32 v[30:31], v[36:37], v[34:35] neg_lo:[0,1] neg_hi:[0,1]
	v_add_f32_e32 v15, v15, v31
	v_add_f32_e32 v15, v30, v15
	;; [unrolled: 1-line block ×4, first 2 shown]
	v_sub_f32_e32 v31, v30, v42
	v_mul_f32_e32 v15, v40, v15
	v_sub_f32_e32 v31, v41, v31
	v_add_f32_e32 v15, v31, v15
	v_add_f32_e32 v33, v30, v15
	v_mul_f32_e32 v34, v33, v33
	v_mov_b32_e32 v32, 0x3ecc95a3
	v_fmac_f32_e32 v32, 0x3e9b6dac, v34
	v_mov_b32_e32 v31, 0x3f2aaada
	v_fmac_f32_e32 v31, v34, v32
	v_cvt_f32_i32_e32 v32, v38
	v_sub_f32_e32 v30, v33, v30
	v_sub_f32_e32 v15, v15, v30
	v_ldexp_f32 v35, v33, 1
	v_mul_f32_e32 v33, v33, v34
	v_mov_b32_e32 v30, 0x3f317218
	s_mov_b32 s2, 0x3f317218
	v_pk_mul_f32 v[30:31], v[32:33], v[30:31]
	v_fma_f32 v34, v32, s2, -v30
	v_fmac_f32_e32 v34, 0xb102e308, v32
	v_pk_add_f32 v[32:33], v[30:31], v[34:35]
	v_sub_f32_e32 v35, v33, v35
	v_ldexp_f32 v15, v15, 1
	v_sub_f32_e32 v35, v31, v35
	v_add_f32_e32 v37, v15, v35
	v_mov_b32_e32 v36, v30
	v_pk_add_f32 v[30:31], v[32:33], v[30:31] neg_lo:[0,1] neg_hi:[0,1]
	v_pk_add_f32 v[38:39], v[32:33], v[36:37]
	v_mov_b32_e32 v31, v39
	v_mov_b32_e32 v35, v32
	v_pk_add_f32 v[40:41], v[34:35], v[30:31] neg_lo:[0,1] neg_hi:[0,1]
	v_pk_add_f32 v[30:31], v[34:35], v[30:31]
	v_mov_b32_e32 v34, v31
	v_pk_add_f32 v[42:43], v[34:35], v[32:33] neg_lo:[0,1] neg_hi:[0,1]
	v_mov_b32_e32 v15, v42
	v_pk_add_f32 v[44:45], v[38:39], v[14:15] neg_lo:[0,1] neg_hi:[0,1]
	v_mov_b32_e32 v30, v39
	v_mov_b32_e32 v38, v33
	;; [unrolled: 1-line block ×4, first 2 shown]
	v_pk_add_f32 v[30:31], v[30:31], v[38:39] neg_lo:[0,1] neg_hi:[0,1]
	v_mov_b32_e32 v36, v37
	v_mov_b32_e32 v37, v32
	v_pk_add_f32 v[30:31], v[36:37], v[30:31] neg_lo:[0,1] neg_hi:[0,1]
	v_mov_b32_e32 v44, v40
	v_pk_add_f32 v[32:33], v[44:45], v[30:31]
	v_mov_b32_e32 v36, v33
	v_pk_add_f32 v[36:37], v[32:33], v[36:37]
	v_pk_add_f32 v[34:35], v[34:35], v[36:37]
	v_mov_b32_e32 v33, v34
	v_pk_add_f32 v[38:39], v[32:33], v[40:41] neg_lo:[0,1] neg_hi:[0,1]
	v_mov_b32_e32 v31, v36
	v_sub_f32_e32 v15, v32, v38
	v_pk_add_f32 v[30:31], v[30:31], v[38:39] neg_lo:[0,1] neg_hi:[0,1]
	v_sub_f32_e32 v15, v40, v15
	s_mov_b32 s3, 0x7f800000
	v_add_f32_e32 v15, v30, v15
	s_mov_b32 s2, 0x33800000
	v_add_f32_e32 v15, v15, v31
	v_cmp_eq_f32_e32 vcc, s3, v21
	v_cmp_lt_f32_e64 s[2:3], |v21|, s2
	v_add_f32_e32 v15, v34, v15
	s_or_b64 vcc, vcc, s[2:3]
	v_cndmask_b32_e32 v15, v15, v21, vcc
	v_add_f32_e32 v15, v29, v15
	v_cvt_f16_f32_e32 v31, v15
	v_cvt_f32_f16_e32 v15, v31
	v_mov_b32_e32 v21, v31
.LBB371_144:
	s_or_b64 exec, exec, s[0:1]
	v_max_f32_e32 v29, v10, v10
	v_max_f32_e32 v32, v15, v15
	v_min_f32_e32 v30, v32, v29
	v_cmp_u_f16_e32 vcc, v31, v31
	v_max_f32_e32 v29, v32, v29
	v_cndmask_b32_e32 v30, v30, v15, vcc
	v_cndmask_b32_e32 v29, v29, v15, vcc
	v_cndmask_b32_e64 v30, v30, v10, s[66:67]
	v_cndmask_b32_e64 v29, v29, v10, s[66:67]
	v_cmp_neq_f32_e32 vcc, v30, v29
	v_cmp_class_f32_e64 s[0:1], v30, s4
	s_or_b64 s[2:3], vcc, s[0:1]
	v_mov_b32_e32 v10, v21
	s_and_saveexec_b64 s[0:1], s[2:3]
	s_cbranch_execz .LBB371_146
; %bb.145:
	v_sub_f32_e32 v10, v30, v29
	s_mov_b32 s2, 0x3fb8aa3b
	v_mul_f32_e32 v15, 0x3fb8aa3b, v10
	v_fma_f32 v30, v10, s2, -v15
	v_rndne_f32_e32 v31, v15
	v_fmac_f32_e32 v30, 0x32a5705f, v10
	v_sub_f32_e32 v15, v15, v31
	v_add_f32_e32 v15, v15, v30
	v_exp_f32_e32 v15, v15
	v_cvt_i32_f32_e32 v30, v31
	s_mov_b32 s2, 0xc2ce8ed0
	v_cmp_ngt_f32_e32 vcc, s2, v10
	s_mov_b32 s2, 0x42b17218
	v_ldexp_f32 v15, v15, v30
	v_cndmask_b32_e32 v15, 0, v15, vcc
	v_mov_b32_e32 v30, 0x7f800000
	v_cmp_nlt_f32_e32 vcc, s2, v10
	v_cndmask_b32_e32 v44, v30, v15, vcc
	v_add_f32_e32 v10, 1.0, v44
	v_add_f32_e32 v15, -1.0, v10
	v_sub_f32_e32 v30, v15, v10
	v_add_f32_e32 v30, 1.0, v30
	v_sub_f32_e32 v15, v44, v15
	v_add_f32_e32 v15, v15, v30
	v_frexp_mant_f32_e32 v32, v10
	s_mov_b32 s2, 0x3f2aaaab
	v_cvt_f64_f32_e32 v[30:31], v10
	v_frexp_exp_i32_f64_e32 v30, v[30:31]
	v_cmp_gt_f32_e32 vcc, s2, v32
	v_subbrev_co_u32_e32 v38, vcc, 0, v30, vcc
	v_sub_u32_e32 v30, 0, v38
	v_ldexp_f32 v10, v10, v30
	v_ldexp_f32 v15, v15, v30
	v_add_f32_e32 v30, -1.0, v10
	v_add_f32_e32 v31, 1.0, v30
	v_sub_f32_e32 v31, v10, v31
	v_add_f32_e32 v32, v15, v31
	v_add_f32_e32 v31, 1.0, v10
	v_add_f32_e32 v33, -1.0, v31
	v_sub_f32_e32 v10, v10, v33
	v_add_f32_e32 v10, v15, v10
	v_add_f32_e32 v15, v31, v10
	v_rcp_f32_e32 v39, v15
	v_sub_f32_e32 v31, v31, v15
	v_add_f32_e32 v10, v10, v31
	v_add_f32_e32 v31, v30, v32
	v_sub_f32_e32 v30, v30, v31
	v_mul_f32_e32 v41, v31, v39
	v_add_f32_e32 v40, v32, v30
	v_mul_f32_e32 v32, v15, v41
	v_fma_f32 v34, v41, v15, -v32
	v_fmac_f32_e32 v34, v41, v10
	v_add_f32_e32 v30, v32, v34
	v_sub_f32_e32 v33, v31, v30
	v_pk_add_f32 v[36:37], v[30:31], v[32:33] neg_lo:[0,1] neg_hi:[0,1]
	v_mov_b32_e32 v35, v30
	v_pk_add_f32 v[30:31], v[36:37], v[34:35] neg_lo:[0,1] neg_hi:[0,1]
	v_add_f32_e32 v31, v40, v31
	v_add_f32_e32 v30, v30, v31
	;; [unrolled: 1-line block ×3, first 2 shown]
	v_mul_f32_e32 v40, v39, v31
	v_mul_f32_e32 v32, v15, v40
	v_fma_f32 v34, v40, v15, -v32
	v_fmac_f32_e32 v34, v40, v10
	v_sub_f32_e32 v10, v33, v31
	v_add_f32_e32 v10, v30, v10
	v_add_f32_e32 v30, v32, v34
	v_sub_f32_e32 v33, v31, v30
	v_pk_add_f32 v[36:37], v[30:31], v[32:33] neg_lo:[0,1] neg_hi:[0,1]
	v_mov_b32_e32 v35, v30
	v_pk_add_f32 v[30:31], v[36:37], v[34:35] neg_lo:[0,1] neg_hi:[0,1]
	v_add_f32_e32 v10, v10, v31
	v_add_f32_e32 v10, v30, v10
	;; [unrolled: 1-line block ×4, first 2 shown]
	v_sub_f32_e32 v30, v15, v41
	v_mul_f32_e32 v10, v39, v10
	v_sub_f32_e32 v30, v40, v30
	v_add_f32_e32 v10, v30, v10
	v_add_f32_e32 v30, v15, v10
	v_mul_f32_e32 v33, v30, v30
	v_mov_b32_e32 v32, 0x3ecc95a3
	v_fmac_f32_e32 v32, 0x3e9b6dac, v33
	v_mov_b32_e32 v31, 0x3f2aaada
	v_fmac_f32_e32 v31, v33, v32
	v_cvt_f32_i32_e32 v32, v38
	v_sub_f32_e32 v15, v30, v15
	v_ldexp_f32 v35, v30, 1
	v_mul_f32_e32 v33, v30, v33
	v_mov_b32_e32 v30, 0x3f317218
	s_mov_b32 s2, 0x3f317218
	v_pk_mul_f32 v[30:31], v[32:33], v[30:31]
	v_fma_f32 v34, v32, s2, -v30
	v_fmac_f32_e32 v34, 0xb102e308, v32
	v_pk_add_f32 v[32:33], v[30:31], v[34:35]
	v_sub_f32_e32 v10, v10, v15
	v_sub_f32_e32 v15, v33, v35
	v_ldexp_f32 v10, v10, 1
	v_sub_f32_e32 v15, v31, v15
	v_add_f32_e32 v37, v10, v15
	v_mov_b32_e32 v36, v30
	v_pk_add_f32 v[30:31], v[32:33], v[30:31] neg_lo:[0,1] neg_hi:[0,1]
	v_pk_add_f32 v[38:39], v[32:33], v[36:37]
	v_mov_b32_e32 v31, v39
	v_mov_b32_e32 v35, v32
	v_pk_add_f32 v[40:41], v[34:35], v[30:31] neg_lo:[0,1] neg_hi:[0,1]
	v_pk_add_f32 v[30:31], v[34:35], v[30:31]
	v_mov_b32_e32 v10, v31
	v_pk_add_f32 v[34:35], v[10:11], v[32:33] neg_lo:[0,1] neg_hi:[0,1]
	v_mov_b32_e32 v15, v34
	v_pk_add_f32 v[42:43], v[38:39], v[14:15] neg_lo:[0,1] neg_hi:[0,1]
	v_mov_b32_e32 v30, v39
	v_mov_b32_e32 v38, v33
	;; [unrolled: 1-line block ×4, first 2 shown]
	v_pk_add_f32 v[30:31], v[30:31], v[38:39] neg_lo:[0,1] neg_hi:[0,1]
	v_mov_b32_e32 v34, v37
	v_mov_b32_e32 v35, v32
	v_pk_add_f32 v[30:31], v[34:35], v[30:31] neg_lo:[0,1] neg_hi:[0,1]
	v_mov_b32_e32 v42, v40
	v_pk_add_f32 v[32:33], v[42:43], v[30:31]
	v_mov_b32_e32 v34, v33
	v_pk_add_f32 v[34:35], v[32:33], v[34:35]
	v_pk_add_f32 v[36:37], v[10:11], v[34:35]
	v_mov_b32_e32 v33, v36
	v_pk_add_f32 v[38:39], v[32:33], v[40:41] neg_lo:[0,1] neg_hi:[0,1]
	v_mov_b32_e32 v31, v34
	v_sub_f32_e32 v10, v32, v38
	v_pk_add_f32 v[30:31], v[30:31], v[38:39] neg_lo:[0,1] neg_hi:[0,1]
	v_sub_f32_e32 v10, v40, v10
	s_mov_b32 s3, 0x7f800000
	v_add_f32_e32 v10, v30, v10
	s_mov_b32 s2, 0x33800000
	v_add_f32_e32 v10, v10, v31
	v_cmp_eq_f32_e32 vcc, s3, v44
	v_cmp_lt_f32_e64 s[2:3], |v44|, s2
	v_add_f32_e32 v10, v36, v10
	s_or_b64 vcc, vcc, s[2:3]
	v_cndmask_b32_e32 v10, v10, v44, vcc
	v_add_f32_e32 v10, v29, v10
	v_cvt_f16_f32_e32 v31, v10
	v_cvt_f32_f16_e32 v15, v31
	v_mov_b32_e32 v10, v31
.LBB371_146:
	s_or_b64 exec, exec, s[0:1]
	v_max_f32_e32 v29, v22, v22
	v_max_f32_e32 v32, v15, v15
	v_min_f32_e32 v30, v32, v29
	v_cmp_u_f16_e32 vcc, v31, v31
	v_max_f32_e32 v29, v32, v29
	v_cndmask_b32_e32 v30, v30, v15, vcc
	v_cndmask_b32_e32 v29, v29, v15, vcc
	v_cndmask_b32_e64 v30, v30, v22, s[68:69]
	v_cndmask_b32_e64 v29, v29, v22, s[68:69]
	v_cmp_neq_f32_e32 vcc, v30, v29
	v_cmp_class_f32_e64 s[0:1], v30, s4
	s_or_b64 s[2:3], vcc, s[0:1]
	v_mov_b32_e32 v22, v10
	s_and_saveexec_b64 s[0:1], s[2:3]
	s_cbranch_execz .LBB371_148
; %bb.147:
	v_sub_f32_e32 v15, v30, v29
	s_mov_b32 s2, 0x3fb8aa3b
	v_mul_f32_e32 v22, 0x3fb8aa3b, v15
	v_fma_f32 v30, v15, s2, -v22
	v_rndne_f32_e32 v31, v22
	v_fmac_f32_e32 v30, 0x32a5705f, v15
	v_sub_f32_e32 v22, v22, v31
	v_add_f32_e32 v22, v22, v30
	v_exp_f32_e32 v22, v22
	v_cvt_i32_f32_e32 v30, v31
	s_mov_b32 s2, 0xc2ce8ed0
	v_cmp_ngt_f32_e32 vcc, s2, v15
	s_mov_b32 s2, 0x42b17218
	v_ldexp_f32 v22, v22, v30
	v_cndmask_b32_e32 v22, 0, v22, vcc
	v_mov_b32_e32 v30, 0x7f800000
	v_cmp_nlt_f32_e32 vcc, s2, v15
	v_cndmask_b32_e32 v44, v30, v22, vcc
	v_add_f32_e32 v15, 1.0, v44
	v_add_f32_e32 v22, -1.0, v15
	v_sub_f32_e32 v30, v22, v15
	v_add_f32_e32 v30, 1.0, v30
	v_sub_f32_e32 v22, v44, v22
	v_add_f32_e32 v22, v22, v30
	v_frexp_mant_f32_e32 v32, v15
	s_mov_b32 s2, 0x3f2aaaab
	v_cvt_f64_f32_e32 v[30:31], v15
	v_frexp_exp_i32_f64_e32 v30, v[30:31]
	v_cmp_gt_f32_e32 vcc, s2, v32
	v_subbrev_co_u32_e32 v38, vcc, 0, v30, vcc
	v_sub_u32_e32 v30, 0, v38
	v_ldexp_f32 v15, v15, v30
	v_ldexp_f32 v22, v22, v30
	v_add_f32_e32 v30, -1.0, v15
	v_add_f32_e32 v31, 1.0, v30
	v_sub_f32_e32 v31, v15, v31
	v_add_f32_e32 v32, v22, v31
	v_add_f32_e32 v31, 1.0, v15
	v_add_f32_e32 v33, -1.0, v31
	v_sub_f32_e32 v15, v15, v33
	v_add_f32_e32 v15, v22, v15
	v_add_f32_e32 v22, v31, v15
	v_rcp_f32_e32 v39, v22
	v_sub_f32_e32 v31, v31, v22
	v_add_f32_e32 v15, v15, v31
	v_add_f32_e32 v31, v30, v32
	v_sub_f32_e32 v30, v30, v31
	v_mul_f32_e32 v41, v31, v39
	v_add_f32_e32 v40, v32, v30
	v_mul_f32_e32 v32, v22, v41
	v_fma_f32 v34, v41, v22, -v32
	v_fmac_f32_e32 v34, v41, v15
	v_add_f32_e32 v30, v32, v34
	v_sub_f32_e32 v33, v31, v30
	v_pk_add_f32 v[36:37], v[30:31], v[32:33] neg_lo:[0,1] neg_hi:[0,1]
	v_mov_b32_e32 v35, v30
	v_pk_add_f32 v[30:31], v[36:37], v[34:35] neg_lo:[0,1] neg_hi:[0,1]
	v_add_f32_e32 v31, v40, v31
	v_add_f32_e32 v30, v30, v31
	;; [unrolled: 1-line block ×3, first 2 shown]
	v_mul_f32_e32 v40, v39, v31
	v_mul_f32_e32 v32, v22, v40
	v_fma_f32 v34, v40, v22, -v32
	v_fmac_f32_e32 v34, v40, v15
	v_sub_f32_e32 v15, v33, v31
	v_add_f32_e32 v15, v30, v15
	v_add_f32_e32 v30, v32, v34
	v_sub_f32_e32 v33, v31, v30
	v_pk_add_f32 v[36:37], v[30:31], v[32:33] neg_lo:[0,1] neg_hi:[0,1]
	v_mov_b32_e32 v35, v30
	v_pk_add_f32 v[30:31], v[36:37], v[34:35] neg_lo:[0,1] neg_hi:[0,1]
	v_add_f32_e32 v15, v15, v31
	v_add_f32_e32 v15, v30, v15
	;; [unrolled: 1-line block ×4, first 2 shown]
	v_sub_f32_e32 v30, v22, v41
	v_mul_f32_e32 v15, v39, v15
	v_sub_f32_e32 v30, v40, v30
	v_add_f32_e32 v15, v30, v15
	v_add_f32_e32 v30, v22, v15
	v_mul_f32_e32 v33, v30, v30
	v_mov_b32_e32 v32, 0x3ecc95a3
	v_fmac_f32_e32 v32, 0x3e9b6dac, v33
	v_mov_b32_e32 v31, 0x3f2aaada
	v_fmac_f32_e32 v31, v33, v32
	v_cvt_f32_i32_e32 v32, v38
	v_sub_f32_e32 v22, v30, v22
	v_ldexp_f32 v35, v30, 1
	v_mul_f32_e32 v33, v30, v33
	v_mov_b32_e32 v30, 0x3f317218
	s_mov_b32 s2, 0x3f317218
	v_pk_mul_f32 v[30:31], v[32:33], v[30:31]
	v_fma_f32 v34, v32, s2, -v30
	v_fmac_f32_e32 v34, 0xb102e308, v32
	v_pk_add_f32 v[32:33], v[30:31], v[34:35]
	v_sub_f32_e32 v15, v15, v22
	v_sub_f32_e32 v22, v33, v35
	v_ldexp_f32 v15, v15, 1
	v_sub_f32_e32 v22, v31, v22
	v_add_f32_e32 v37, v15, v22
	v_mov_b32_e32 v36, v30
	v_pk_add_f32 v[30:31], v[32:33], v[30:31] neg_lo:[0,1] neg_hi:[0,1]
	v_pk_add_f32 v[38:39], v[32:33], v[36:37]
	v_mov_b32_e32 v31, v39
	v_mov_b32_e32 v35, v32
	v_pk_add_f32 v[40:41], v[34:35], v[30:31] neg_lo:[0,1] neg_hi:[0,1]
	v_pk_add_f32 v[30:31], v[34:35], v[30:31]
	v_mov_b32_e32 v22, v31
	v_pk_add_f32 v[34:35], v[22:23], v[32:33] neg_lo:[0,1] neg_hi:[0,1]
	v_mov_b32_e32 v15, v34
	v_pk_add_f32 v[42:43], v[38:39], v[14:15] neg_lo:[0,1] neg_hi:[0,1]
	v_mov_b32_e32 v30, v39
	v_mov_b32_e32 v38, v33
	;; [unrolled: 1-line block ×4, first 2 shown]
	v_pk_add_f32 v[30:31], v[30:31], v[38:39] neg_lo:[0,1] neg_hi:[0,1]
	v_mov_b32_e32 v34, v37
	v_mov_b32_e32 v35, v32
	v_pk_add_f32 v[30:31], v[34:35], v[30:31] neg_lo:[0,1] neg_hi:[0,1]
	v_mov_b32_e32 v42, v40
	v_pk_add_f32 v[32:33], v[42:43], v[30:31]
	v_mov_b32_e32 v34, v33
	v_pk_add_f32 v[34:35], v[32:33], v[34:35]
	v_pk_add_f32 v[36:37], v[22:23], v[34:35]
	v_mov_b32_e32 v33, v36
	v_pk_add_f32 v[38:39], v[32:33], v[40:41] neg_lo:[0,1] neg_hi:[0,1]
	v_mov_b32_e32 v31, v34
	v_sub_f32_e32 v15, v32, v38
	v_pk_add_f32 v[30:31], v[30:31], v[38:39] neg_lo:[0,1] neg_hi:[0,1]
	v_sub_f32_e32 v15, v40, v15
	s_mov_b32 s3, 0x7f800000
	v_add_f32_e32 v15, v30, v15
	s_mov_b32 s2, 0x33800000
	v_add_f32_e32 v15, v15, v31
	v_cmp_eq_f32_e32 vcc, s3, v44
	v_cmp_lt_f32_e64 s[2:3], |v44|, s2
	v_add_f32_e32 v15, v36, v15
	s_or_b64 vcc, vcc, s[2:3]
	v_cndmask_b32_e32 v15, v15, v44, vcc
	v_add_f32_e32 v15, v29, v15
	v_cvt_f16_f32_e32 v31, v15
	v_cvt_f32_f16_e32 v15, v31
	v_mov_b32_e32 v22, v31
.LBB371_148:
	s_or_b64 exec, exec, s[0:1]
	v_max_f32_e32 v29, v11, v11
	v_max_f32_e32 v32, v15, v15
	v_min_f32_e32 v30, v32, v29
	v_cmp_u_f16_e32 vcc, v31, v31
	v_max_f32_e32 v29, v32, v29
	v_cndmask_b32_e32 v30, v30, v15, vcc
	v_cndmask_b32_e32 v29, v29, v15, vcc
	v_cndmask_b32_e64 v30, v30, v11, s[70:71]
	v_cndmask_b32_e64 v29, v29, v11, s[70:71]
	v_cmp_neq_f32_e32 vcc, v30, v29
	v_cmp_class_f32_e64 s[0:1], v30, s4
	s_or_b64 s[2:3], vcc, s[0:1]
	v_mov_b32_e32 v11, v22
	s_and_saveexec_b64 s[0:1], s[2:3]
	s_cbranch_execz .LBB371_150
; %bb.149:
	v_sub_f32_e32 v11, v30, v29
	s_mov_b32 s2, 0x3fb8aa3b
	v_mul_f32_e32 v15, 0x3fb8aa3b, v11
	v_fma_f32 v30, v11, s2, -v15
	v_rndne_f32_e32 v31, v15
	v_fmac_f32_e32 v30, 0x32a5705f, v11
	v_sub_f32_e32 v15, v15, v31
	v_add_f32_e32 v15, v15, v30
	v_exp_f32_e32 v15, v15
	v_cvt_i32_f32_e32 v30, v31
	s_mov_b32 s2, 0xc2ce8ed0
	v_cmp_ngt_f32_e32 vcc, s2, v11
	s_mov_b32 s2, 0x42b17218
	v_ldexp_f32 v15, v15, v30
	v_cndmask_b32_e32 v15, 0, v15, vcc
	v_mov_b32_e32 v30, 0x7f800000
	v_cmp_nlt_f32_e32 vcc, s2, v11
	v_cndmask_b32_e32 v15, v30, v15, vcc
	v_add_f32_e32 v11, 1.0, v15
	v_add_f32_e32 v30, -1.0, v11
	v_sub_f32_e32 v31, v30, v11
	v_add_f32_e32 v31, 1.0, v31
	v_sub_f32_e32 v30, v15, v30
	v_add_f32_e32 v32, v30, v31
	v_frexp_mant_f32_e32 v33, v11
	s_mov_b32 s2, 0x3f2aaaab
	v_cvt_f64_f32_e32 v[30:31], v11
	v_frexp_exp_i32_f64_e32 v30, v[30:31]
	v_cmp_gt_f32_e32 vcc, s2, v33
	v_subbrev_co_u32_e32 v38, vcc, 0, v30, vcc
	v_sub_u32_e32 v30, 0, v38
	v_ldexp_f32 v11, v11, v30
	v_ldexp_f32 v30, v32, v30
	v_add_f32_e32 v32, -1.0, v11
	v_add_f32_e32 v31, 1.0, v32
	v_sub_f32_e32 v31, v11, v31
	v_add_f32_e32 v33, v30, v31
	v_add_f32_e32 v31, 1.0, v11
	v_add_f32_e32 v34, -1.0, v31
	v_sub_f32_e32 v11, v11, v34
	v_add_f32_e32 v11, v30, v11
	v_add_f32_e32 v39, v31, v11
	v_rcp_f32_e32 v40, v39
	v_sub_f32_e32 v30, v31, v39
	v_add_f32_e32 v31, v32, v33
	v_add_f32_e32 v11, v11, v30
	v_mul_f32_e32 v42, v31, v40
	v_sub_f32_e32 v30, v32, v31
	v_mul_f32_e32 v32, v39, v42
	v_fma_f32 v34, v42, v39, -v32
	v_fmac_f32_e32 v34, v42, v11
	v_add_f32_e32 v41, v33, v30
	v_add_f32_e32 v30, v32, v34
	v_sub_f32_e32 v33, v31, v30
	v_pk_add_f32 v[36:37], v[30:31], v[32:33] neg_lo:[0,1] neg_hi:[0,1]
	v_mov_b32_e32 v35, v30
	v_pk_add_f32 v[30:31], v[36:37], v[34:35] neg_lo:[0,1] neg_hi:[0,1]
	v_add_f32_e32 v31, v41, v31
	v_add_f32_e32 v30, v30, v31
	;; [unrolled: 1-line block ×3, first 2 shown]
	v_mul_f32_e32 v41, v40, v31
	v_mul_f32_e32 v32, v39, v41
	v_fma_f32 v34, v41, v39, -v32
	v_fmac_f32_e32 v34, v41, v11
	v_sub_f32_e32 v11, v33, v31
	v_add_f32_e32 v11, v30, v11
	v_add_f32_e32 v30, v32, v34
	v_sub_f32_e32 v33, v31, v30
	v_pk_add_f32 v[36:37], v[30:31], v[32:33] neg_lo:[0,1] neg_hi:[0,1]
	v_mov_b32_e32 v35, v30
	v_pk_add_f32 v[30:31], v[36:37], v[34:35] neg_lo:[0,1] neg_hi:[0,1]
	v_add_f32_e32 v11, v11, v31
	v_add_f32_e32 v11, v30, v11
	v_add_f32_e32 v30, v42, v41
	v_add_f32_e32 v11, v33, v11
	v_sub_f32_e32 v31, v30, v42
	v_mul_f32_e32 v11, v40, v11
	v_sub_f32_e32 v31, v41, v31
	v_add_f32_e32 v11, v31, v11
	v_add_f32_e32 v33, v30, v11
	v_mul_f32_e32 v34, v33, v33
	v_mov_b32_e32 v32, 0x3ecc95a3
	v_fmac_f32_e32 v32, 0x3e9b6dac, v34
	v_mov_b32_e32 v31, 0x3f2aaada
	v_fmac_f32_e32 v31, v34, v32
	v_cvt_f32_i32_e32 v32, v38
	v_sub_f32_e32 v30, v33, v30
	v_sub_f32_e32 v11, v11, v30
	v_ldexp_f32 v35, v33, 1
	v_mul_f32_e32 v33, v33, v34
	v_mov_b32_e32 v30, 0x3f317218
	s_mov_b32 s2, 0x3f317218
	v_pk_mul_f32 v[30:31], v[32:33], v[30:31]
	v_fma_f32 v34, v32, s2, -v30
	v_fmac_f32_e32 v34, 0xb102e308, v32
	v_pk_add_f32 v[32:33], v[30:31], v[34:35]
	v_sub_f32_e32 v35, v33, v35
	v_ldexp_f32 v11, v11, 1
	v_sub_f32_e32 v35, v31, v35
	v_add_f32_e32 v37, v11, v35
	v_mov_b32_e32 v36, v30
	v_pk_add_f32 v[30:31], v[32:33], v[30:31] neg_lo:[0,1] neg_hi:[0,1]
	v_pk_add_f32 v[38:39], v[32:33], v[36:37]
	v_mov_b32_e32 v31, v39
	v_mov_b32_e32 v35, v32
	v_pk_add_f32 v[40:41], v[34:35], v[30:31] neg_lo:[0,1] neg_hi:[0,1]
	v_pk_add_f32 v[30:31], v[34:35], v[30:31]
	v_mov_b32_e32 v34, v31
	v_pk_add_f32 v[42:43], v[34:35], v[32:33] neg_lo:[0,1] neg_hi:[0,1]
	v_mov_b32_e32 v11, v42
	v_pk_add_f32 v[44:45], v[38:39], v[10:11] neg_lo:[0,1] neg_hi:[0,1]
	v_mov_b32_e32 v30, v39
	v_mov_b32_e32 v38, v33
	;; [unrolled: 1-line block ×4, first 2 shown]
	v_pk_add_f32 v[30:31], v[30:31], v[38:39] neg_lo:[0,1] neg_hi:[0,1]
	v_mov_b32_e32 v36, v37
	v_mov_b32_e32 v37, v32
	v_pk_add_f32 v[30:31], v[36:37], v[30:31] neg_lo:[0,1] neg_hi:[0,1]
	v_mov_b32_e32 v44, v40
	v_pk_add_f32 v[32:33], v[44:45], v[30:31]
	v_mov_b32_e32 v36, v33
	v_pk_add_f32 v[36:37], v[32:33], v[36:37]
	v_pk_add_f32 v[34:35], v[34:35], v[36:37]
	v_mov_b32_e32 v33, v34
	v_pk_add_f32 v[38:39], v[32:33], v[40:41] neg_lo:[0,1] neg_hi:[0,1]
	v_mov_b32_e32 v31, v36
	v_sub_f32_e32 v11, v32, v38
	v_pk_add_f32 v[30:31], v[30:31], v[38:39] neg_lo:[0,1] neg_hi:[0,1]
	v_sub_f32_e32 v11, v40, v11
	s_mov_b32 s3, 0x7f800000
	v_add_f32_e32 v11, v30, v11
	s_mov_b32 s2, 0x33800000
	v_add_f32_e32 v11, v11, v31
	v_cmp_eq_f32_e32 vcc, s3, v15
	v_cmp_lt_f32_e64 s[2:3], |v15|, s2
	v_add_f32_e32 v11, v34, v11
	s_or_b64 vcc, vcc, s[2:3]
	v_cndmask_b32_e32 v11, v11, v15, vcc
	v_add_f32_e32 v11, v29, v11
	v_cvt_f16_f32_e32 v31, v11
	v_cvt_f32_f16_e32 v15, v31
	v_mov_b32_e32 v11, v31
.LBB371_150:
	s_or_b64 exec, exec, s[0:1]
	v_max_f32_e32 v29, v23, v23
	v_max_f32_e32 v32, v15, v15
	v_min_f32_e32 v30, v32, v29
	v_cmp_u_f16_e32 vcc, v31, v31
	v_max_f32_e32 v29, v32, v29
	v_cndmask_b32_e32 v30, v30, v15, vcc
	v_cndmask_b32_e32 v29, v29, v15, vcc
	v_cndmask_b32_e64 v30, v30, v23, s[72:73]
	v_cndmask_b32_e64 v29, v29, v23, s[72:73]
	v_cmp_neq_f32_e32 vcc, v30, v29
	v_cmp_class_f32_e64 s[0:1], v30, s4
	s_or_b64 s[2:3], vcc, s[0:1]
	v_mov_b32_e32 v23, v11
	s_and_saveexec_b64 s[0:1], s[2:3]
	s_cbranch_execz .LBB371_152
; %bb.151:
	v_sub_f32_e32 v15, v30, v29
	s_mov_b32 s2, 0x3fb8aa3b
	v_mul_f32_e32 v23, 0x3fb8aa3b, v15
	v_fma_f32 v30, v15, s2, -v23
	v_rndne_f32_e32 v31, v23
	v_fmac_f32_e32 v30, 0x32a5705f, v15
	v_sub_f32_e32 v23, v23, v31
	v_add_f32_e32 v23, v23, v30
	v_exp_f32_e32 v23, v23
	v_cvt_i32_f32_e32 v30, v31
	s_mov_b32 s2, 0xc2ce8ed0
	v_cmp_ngt_f32_e32 vcc, s2, v15
	s_mov_b32 s2, 0x42b17218
	v_ldexp_f32 v23, v23, v30
	v_cndmask_b32_e32 v23, 0, v23, vcc
	v_mov_b32_e32 v30, 0x7f800000
	v_cmp_nlt_f32_e32 vcc, s2, v15
	v_cndmask_b32_e32 v23, v30, v23, vcc
	v_add_f32_e32 v15, 1.0, v23
	v_add_f32_e32 v30, -1.0, v15
	v_sub_f32_e32 v31, v30, v15
	v_add_f32_e32 v31, 1.0, v31
	v_sub_f32_e32 v30, v23, v30
	v_add_f32_e32 v32, v30, v31
	v_frexp_mant_f32_e32 v33, v15
	s_mov_b32 s2, 0x3f2aaaab
	v_cvt_f64_f32_e32 v[30:31], v15
	v_frexp_exp_i32_f64_e32 v30, v[30:31]
	v_cmp_gt_f32_e32 vcc, s2, v33
	v_subbrev_co_u32_e32 v38, vcc, 0, v30, vcc
	v_sub_u32_e32 v30, 0, v38
	v_ldexp_f32 v15, v15, v30
	v_ldexp_f32 v30, v32, v30
	v_add_f32_e32 v32, -1.0, v15
	v_add_f32_e32 v31, 1.0, v32
	v_sub_f32_e32 v31, v15, v31
	v_add_f32_e32 v33, v30, v31
	v_add_f32_e32 v31, 1.0, v15
	v_add_f32_e32 v34, -1.0, v31
	v_sub_f32_e32 v15, v15, v34
	v_add_f32_e32 v15, v30, v15
	v_add_f32_e32 v39, v31, v15
	v_rcp_f32_e32 v40, v39
	v_sub_f32_e32 v30, v31, v39
	v_add_f32_e32 v31, v32, v33
	v_add_f32_e32 v15, v15, v30
	v_mul_f32_e32 v42, v31, v40
	v_sub_f32_e32 v30, v32, v31
	v_mul_f32_e32 v32, v39, v42
	v_fma_f32 v34, v42, v39, -v32
	v_fmac_f32_e32 v34, v42, v15
	v_add_f32_e32 v41, v33, v30
	v_add_f32_e32 v30, v32, v34
	v_sub_f32_e32 v33, v31, v30
	v_pk_add_f32 v[36:37], v[30:31], v[32:33] neg_lo:[0,1] neg_hi:[0,1]
	v_mov_b32_e32 v35, v30
	v_pk_add_f32 v[30:31], v[36:37], v[34:35] neg_lo:[0,1] neg_hi:[0,1]
	v_add_f32_e32 v31, v41, v31
	v_add_f32_e32 v30, v30, v31
	;; [unrolled: 1-line block ×3, first 2 shown]
	v_mul_f32_e32 v41, v40, v31
	v_mul_f32_e32 v32, v39, v41
	v_fma_f32 v34, v41, v39, -v32
	v_fmac_f32_e32 v34, v41, v15
	v_sub_f32_e32 v15, v33, v31
	v_add_f32_e32 v15, v30, v15
	v_add_f32_e32 v30, v32, v34
	v_sub_f32_e32 v33, v31, v30
	v_pk_add_f32 v[36:37], v[30:31], v[32:33] neg_lo:[0,1] neg_hi:[0,1]
	v_mov_b32_e32 v35, v30
	v_pk_add_f32 v[30:31], v[36:37], v[34:35] neg_lo:[0,1] neg_hi:[0,1]
	v_add_f32_e32 v15, v15, v31
	v_add_f32_e32 v15, v30, v15
	;; [unrolled: 1-line block ×4, first 2 shown]
	v_sub_f32_e32 v31, v30, v42
	v_mul_f32_e32 v15, v40, v15
	v_sub_f32_e32 v31, v41, v31
	v_add_f32_e32 v15, v31, v15
	v_add_f32_e32 v33, v30, v15
	v_mul_f32_e32 v34, v33, v33
	v_mov_b32_e32 v32, 0x3ecc95a3
	v_fmac_f32_e32 v32, 0x3e9b6dac, v34
	v_mov_b32_e32 v31, 0x3f2aaada
	v_fmac_f32_e32 v31, v34, v32
	v_cvt_f32_i32_e32 v32, v38
	v_sub_f32_e32 v30, v33, v30
	v_sub_f32_e32 v15, v15, v30
	v_ldexp_f32 v35, v33, 1
	v_mul_f32_e32 v33, v33, v34
	v_mov_b32_e32 v30, 0x3f317218
	s_mov_b32 s2, 0x3f317218
	v_pk_mul_f32 v[30:31], v[32:33], v[30:31]
	v_fma_f32 v34, v32, s2, -v30
	v_fmac_f32_e32 v34, 0xb102e308, v32
	v_pk_add_f32 v[32:33], v[30:31], v[34:35]
	v_sub_f32_e32 v35, v33, v35
	v_ldexp_f32 v15, v15, 1
	v_sub_f32_e32 v35, v31, v35
	v_add_f32_e32 v37, v15, v35
	v_mov_b32_e32 v36, v30
	v_pk_add_f32 v[30:31], v[32:33], v[30:31] neg_lo:[0,1] neg_hi:[0,1]
	v_pk_add_f32 v[38:39], v[32:33], v[36:37]
	v_mov_b32_e32 v31, v39
	v_mov_b32_e32 v35, v32
	v_pk_add_f32 v[40:41], v[34:35], v[30:31] neg_lo:[0,1] neg_hi:[0,1]
	v_pk_add_f32 v[30:31], v[34:35], v[30:31]
	v_mov_b32_e32 v34, v31
	v_pk_add_f32 v[42:43], v[34:35], v[32:33] neg_lo:[0,1] neg_hi:[0,1]
	v_mov_b32_e32 v15, v42
	v_pk_add_f32 v[44:45], v[38:39], v[14:15] neg_lo:[0,1] neg_hi:[0,1]
	v_mov_b32_e32 v30, v39
	v_mov_b32_e32 v38, v33
	;; [unrolled: 1-line block ×4, first 2 shown]
	v_pk_add_f32 v[30:31], v[30:31], v[38:39] neg_lo:[0,1] neg_hi:[0,1]
	v_mov_b32_e32 v36, v37
	v_mov_b32_e32 v37, v32
	v_pk_add_f32 v[30:31], v[36:37], v[30:31] neg_lo:[0,1] neg_hi:[0,1]
	v_mov_b32_e32 v44, v40
	v_pk_add_f32 v[32:33], v[44:45], v[30:31]
	v_mov_b32_e32 v36, v33
	v_pk_add_f32 v[36:37], v[32:33], v[36:37]
	v_pk_add_f32 v[34:35], v[34:35], v[36:37]
	v_mov_b32_e32 v33, v34
	v_pk_add_f32 v[38:39], v[32:33], v[40:41] neg_lo:[0,1] neg_hi:[0,1]
	v_mov_b32_e32 v31, v36
	v_sub_f32_e32 v15, v32, v38
	v_pk_add_f32 v[30:31], v[30:31], v[38:39] neg_lo:[0,1] neg_hi:[0,1]
	v_sub_f32_e32 v15, v40, v15
	s_mov_b32 s3, 0x7f800000
	v_add_f32_e32 v15, v30, v15
	s_mov_b32 s2, 0x33800000
	v_add_f32_e32 v15, v15, v31
	v_cmp_eq_f32_e32 vcc, s3, v23
	v_cmp_lt_f32_e64 s[2:3], |v23|, s2
	v_add_f32_e32 v15, v34, v15
	s_or_b64 vcc, vcc, s[2:3]
	v_cndmask_b32_e32 v15, v15, v23, vcc
	v_add_f32_e32 v15, v29, v15
	v_cvt_f16_f32_e32 v31, v15
	v_cvt_f32_f16_e32 v15, v31
	v_mov_b32_e32 v23, v31
.LBB371_152:
	s_or_b64 exec, exec, s[0:1]
	v_max_f32_e32 v29, v12, v12
	v_max_f32_e32 v32, v15, v15
	v_min_f32_e32 v30, v32, v29
	v_cmp_u_f16_e32 vcc, v31, v31
	v_max_f32_e32 v29, v32, v29
	v_cndmask_b32_e32 v30, v30, v15, vcc
	v_cndmask_b32_e32 v29, v29, v15, vcc
	v_cndmask_b32_e64 v30, v30, v12, s[74:75]
	v_cndmask_b32_e64 v29, v29, v12, s[74:75]
	v_cmp_neq_f32_e32 vcc, v30, v29
	v_cmp_class_f32_e64 s[0:1], v30, s4
	s_or_b64 s[2:3], vcc, s[0:1]
	v_mov_b32_e32 v12, v23
	s_and_saveexec_b64 s[0:1], s[2:3]
	s_cbranch_execz .LBB371_154
; %bb.153:
	v_sub_f32_e32 v12, v30, v29
	s_mov_b32 s2, 0x3fb8aa3b
	v_mul_f32_e32 v15, 0x3fb8aa3b, v12
	v_fma_f32 v30, v12, s2, -v15
	v_rndne_f32_e32 v31, v15
	v_fmac_f32_e32 v30, 0x32a5705f, v12
	v_sub_f32_e32 v15, v15, v31
	v_add_f32_e32 v15, v15, v30
	v_exp_f32_e32 v15, v15
	v_cvt_i32_f32_e32 v30, v31
	s_mov_b32 s2, 0xc2ce8ed0
	v_cmp_ngt_f32_e32 vcc, s2, v12
	s_mov_b32 s2, 0x42b17218
	v_ldexp_f32 v15, v15, v30
	v_cndmask_b32_e32 v15, 0, v15, vcc
	v_mov_b32_e32 v30, 0x7f800000
	v_cmp_nlt_f32_e32 vcc, s2, v12
	v_cndmask_b32_e32 v44, v30, v15, vcc
	v_add_f32_e32 v12, 1.0, v44
	v_add_f32_e32 v15, -1.0, v12
	v_sub_f32_e32 v30, v15, v12
	v_add_f32_e32 v30, 1.0, v30
	v_sub_f32_e32 v15, v44, v15
	v_add_f32_e32 v15, v15, v30
	v_frexp_mant_f32_e32 v32, v12
	s_mov_b32 s2, 0x3f2aaaab
	v_cvt_f64_f32_e32 v[30:31], v12
	v_frexp_exp_i32_f64_e32 v30, v[30:31]
	v_cmp_gt_f32_e32 vcc, s2, v32
	v_subbrev_co_u32_e32 v38, vcc, 0, v30, vcc
	v_sub_u32_e32 v30, 0, v38
	v_ldexp_f32 v12, v12, v30
	v_ldexp_f32 v15, v15, v30
	v_add_f32_e32 v30, -1.0, v12
	v_add_f32_e32 v31, 1.0, v30
	v_sub_f32_e32 v31, v12, v31
	v_add_f32_e32 v32, v15, v31
	v_add_f32_e32 v31, 1.0, v12
	v_add_f32_e32 v33, -1.0, v31
	v_sub_f32_e32 v12, v12, v33
	v_add_f32_e32 v12, v15, v12
	v_add_f32_e32 v15, v31, v12
	v_rcp_f32_e32 v39, v15
	v_sub_f32_e32 v31, v31, v15
	v_add_f32_e32 v12, v12, v31
	v_add_f32_e32 v31, v30, v32
	v_sub_f32_e32 v30, v30, v31
	v_mul_f32_e32 v41, v31, v39
	v_add_f32_e32 v40, v32, v30
	v_mul_f32_e32 v32, v15, v41
	v_fma_f32 v34, v41, v15, -v32
	v_fmac_f32_e32 v34, v41, v12
	v_add_f32_e32 v30, v32, v34
	v_sub_f32_e32 v33, v31, v30
	v_pk_add_f32 v[36:37], v[30:31], v[32:33] neg_lo:[0,1] neg_hi:[0,1]
	v_mov_b32_e32 v35, v30
	v_pk_add_f32 v[30:31], v[36:37], v[34:35] neg_lo:[0,1] neg_hi:[0,1]
	v_add_f32_e32 v31, v40, v31
	v_add_f32_e32 v30, v30, v31
	;; [unrolled: 1-line block ×3, first 2 shown]
	v_mul_f32_e32 v40, v39, v31
	v_mul_f32_e32 v32, v15, v40
	v_fma_f32 v34, v40, v15, -v32
	v_fmac_f32_e32 v34, v40, v12
	v_sub_f32_e32 v12, v33, v31
	v_add_f32_e32 v12, v30, v12
	v_add_f32_e32 v30, v32, v34
	v_sub_f32_e32 v33, v31, v30
	v_pk_add_f32 v[36:37], v[30:31], v[32:33] neg_lo:[0,1] neg_hi:[0,1]
	v_mov_b32_e32 v35, v30
	v_pk_add_f32 v[30:31], v[36:37], v[34:35] neg_lo:[0,1] neg_hi:[0,1]
	v_add_f32_e32 v12, v12, v31
	v_add_f32_e32 v12, v30, v12
	;; [unrolled: 1-line block ×4, first 2 shown]
	v_sub_f32_e32 v30, v15, v41
	v_mul_f32_e32 v12, v39, v12
	v_sub_f32_e32 v30, v40, v30
	v_add_f32_e32 v12, v30, v12
	v_add_f32_e32 v30, v15, v12
	v_mul_f32_e32 v33, v30, v30
	v_mov_b32_e32 v32, 0x3ecc95a3
	v_fmac_f32_e32 v32, 0x3e9b6dac, v33
	v_mov_b32_e32 v31, 0x3f2aaada
	v_fmac_f32_e32 v31, v33, v32
	v_cvt_f32_i32_e32 v32, v38
	v_sub_f32_e32 v15, v30, v15
	v_ldexp_f32 v35, v30, 1
	v_mul_f32_e32 v33, v30, v33
	v_mov_b32_e32 v30, 0x3f317218
	s_mov_b32 s2, 0x3f317218
	v_pk_mul_f32 v[30:31], v[32:33], v[30:31]
	v_fma_f32 v34, v32, s2, -v30
	v_fmac_f32_e32 v34, 0xb102e308, v32
	v_pk_add_f32 v[32:33], v[30:31], v[34:35]
	v_sub_f32_e32 v12, v12, v15
	v_sub_f32_e32 v15, v33, v35
	v_ldexp_f32 v12, v12, 1
	v_sub_f32_e32 v15, v31, v15
	v_add_f32_e32 v37, v12, v15
	v_mov_b32_e32 v36, v30
	v_pk_add_f32 v[30:31], v[32:33], v[30:31] neg_lo:[0,1] neg_hi:[0,1]
	v_pk_add_f32 v[38:39], v[32:33], v[36:37]
	v_mov_b32_e32 v31, v39
	v_mov_b32_e32 v35, v32
	v_pk_add_f32 v[40:41], v[34:35], v[30:31] neg_lo:[0,1] neg_hi:[0,1]
	v_pk_add_f32 v[30:31], v[34:35], v[30:31]
	v_mov_b32_e32 v12, v31
	v_pk_add_f32 v[34:35], v[12:13], v[32:33] neg_lo:[0,1] neg_hi:[0,1]
	v_mov_b32_e32 v15, v34
	v_pk_add_f32 v[42:43], v[38:39], v[14:15] neg_lo:[0,1] neg_hi:[0,1]
	v_mov_b32_e32 v30, v39
	v_mov_b32_e32 v38, v33
	;; [unrolled: 1-line block ×4, first 2 shown]
	v_pk_add_f32 v[30:31], v[30:31], v[38:39] neg_lo:[0,1] neg_hi:[0,1]
	v_mov_b32_e32 v34, v37
	v_mov_b32_e32 v35, v32
	v_pk_add_f32 v[30:31], v[34:35], v[30:31] neg_lo:[0,1] neg_hi:[0,1]
	v_mov_b32_e32 v42, v40
	v_pk_add_f32 v[32:33], v[42:43], v[30:31]
	v_mov_b32_e32 v34, v33
	v_pk_add_f32 v[34:35], v[32:33], v[34:35]
	v_pk_add_f32 v[36:37], v[12:13], v[34:35]
	v_mov_b32_e32 v33, v36
	v_pk_add_f32 v[38:39], v[32:33], v[40:41] neg_lo:[0,1] neg_hi:[0,1]
	v_mov_b32_e32 v31, v34
	v_sub_f32_e32 v12, v32, v38
	v_pk_add_f32 v[30:31], v[30:31], v[38:39] neg_lo:[0,1] neg_hi:[0,1]
	v_sub_f32_e32 v12, v40, v12
	s_mov_b32 s3, 0x7f800000
	v_add_f32_e32 v12, v30, v12
	s_mov_b32 s2, 0x33800000
	v_add_f32_e32 v12, v12, v31
	v_cmp_eq_f32_e32 vcc, s3, v44
	v_cmp_lt_f32_e64 s[2:3], |v44|, s2
	v_add_f32_e32 v12, v36, v12
	s_or_b64 vcc, vcc, s[2:3]
	v_cndmask_b32_e32 v12, v12, v44, vcc
	v_add_f32_e32 v12, v29, v12
	v_cvt_f16_f32_e32 v31, v12
	v_cvt_f32_f16_e32 v15, v31
	v_mov_b32_e32 v12, v31
.LBB371_154:
	s_or_b64 exec, exec, s[0:1]
	v_max_f32_e32 v29, v24, v24
	v_max_f32_e32 v32, v15, v15
	v_min_f32_e32 v30, v32, v29
	v_cmp_u_f16_e32 vcc, v31, v31
	v_max_f32_e32 v29, v32, v29
	v_cndmask_b32_e32 v30, v30, v15, vcc
	v_cndmask_b32_e32 v29, v29, v15, vcc
	v_cndmask_b32_e64 v30, v30, v24, s[76:77]
	v_cndmask_b32_e64 v29, v29, v24, s[76:77]
	v_cmp_neq_f32_e32 vcc, v30, v29
	v_cmp_class_f32_e64 s[0:1], v30, s4
	s_or_b64 s[2:3], vcc, s[0:1]
	v_mov_b32_e32 v24, v12
	s_and_saveexec_b64 s[0:1], s[2:3]
	s_cbranch_execz .LBB371_156
; %bb.155:
	v_sub_f32_e32 v15, v30, v29
	s_mov_b32 s2, 0x3fb8aa3b
	v_mul_f32_e32 v24, 0x3fb8aa3b, v15
	v_fma_f32 v30, v15, s2, -v24
	v_rndne_f32_e32 v31, v24
	v_fmac_f32_e32 v30, 0x32a5705f, v15
	v_sub_f32_e32 v24, v24, v31
	v_add_f32_e32 v24, v24, v30
	v_exp_f32_e32 v24, v24
	v_cvt_i32_f32_e32 v30, v31
	s_mov_b32 s2, 0xc2ce8ed0
	v_cmp_ngt_f32_e32 vcc, s2, v15
	s_mov_b32 s2, 0x42b17218
	v_ldexp_f32 v24, v24, v30
	v_cndmask_b32_e32 v24, 0, v24, vcc
	v_mov_b32_e32 v30, 0x7f800000
	v_cmp_nlt_f32_e32 vcc, s2, v15
	v_cndmask_b32_e32 v44, v30, v24, vcc
	v_add_f32_e32 v15, 1.0, v44
	v_add_f32_e32 v24, -1.0, v15
	v_sub_f32_e32 v30, v24, v15
	v_add_f32_e32 v30, 1.0, v30
	v_sub_f32_e32 v24, v44, v24
	v_add_f32_e32 v24, v24, v30
	v_frexp_mant_f32_e32 v32, v15
	s_mov_b32 s2, 0x3f2aaaab
	v_cvt_f64_f32_e32 v[30:31], v15
	v_frexp_exp_i32_f64_e32 v30, v[30:31]
	v_cmp_gt_f32_e32 vcc, s2, v32
	v_subbrev_co_u32_e32 v38, vcc, 0, v30, vcc
	v_sub_u32_e32 v30, 0, v38
	v_ldexp_f32 v15, v15, v30
	v_ldexp_f32 v24, v24, v30
	v_add_f32_e32 v30, -1.0, v15
	v_add_f32_e32 v31, 1.0, v30
	v_sub_f32_e32 v31, v15, v31
	v_add_f32_e32 v32, v24, v31
	v_add_f32_e32 v31, 1.0, v15
	v_add_f32_e32 v33, -1.0, v31
	v_sub_f32_e32 v15, v15, v33
	v_add_f32_e32 v15, v24, v15
	v_add_f32_e32 v24, v31, v15
	v_rcp_f32_e32 v39, v24
	v_sub_f32_e32 v31, v31, v24
	v_add_f32_e32 v15, v15, v31
	v_add_f32_e32 v31, v30, v32
	v_sub_f32_e32 v30, v30, v31
	v_mul_f32_e32 v41, v31, v39
	v_add_f32_e32 v40, v32, v30
	v_mul_f32_e32 v32, v24, v41
	v_fma_f32 v34, v41, v24, -v32
	v_fmac_f32_e32 v34, v41, v15
	v_add_f32_e32 v30, v32, v34
	v_sub_f32_e32 v33, v31, v30
	v_pk_add_f32 v[36:37], v[30:31], v[32:33] neg_lo:[0,1] neg_hi:[0,1]
	v_mov_b32_e32 v35, v30
	v_pk_add_f32 v[30:31], v[36:37], v[34:35] neg_lo:[0,1] neg_hi:[0,1]
	v_add_f32_e32 v31, v40, v31
	v_add_f32_e32 v30, v30, v31
	;; [unrolled: 1-line block ×3, first 2 shown]
	v_mul_f32_e32 v40, v39, v31
	v_mul_f32_e32 v32, v24, v40
	v_fma_f32 v34, v40, v24, -v32
	v_fmac_f32_e32 v34, v40, v15
	v_sub_f32_e32 v15, v33, v31
	v_add_f32_e32 v15, v30, v15
	v_add_f32_e32 v30, v32, v34
	v_sub_f32_e32 v33, v31, v30
	v_pk_add_f32 v[36:37], v[30:31], v[32:33] neg_lo:[0,1] neg_hi:[0,1]
	v_mov_b32_e32 v35, v30
	v_pk_add_f32 v[30:31], v[36:37], v[34:35] neg_lo:[0,1] neg_hi:[0,1]
	v_add_f32_e32 v15, v15, v31
	v_add_f32_e32 v15, v30, v15
	;; [unrolled: 1-line block ×4, first 2 shown]
	v_sub_f32_e32 v30, v24, v41
	v_mul_f32_e32 v15, v39, v15
	v_sub_f32_e32 v30, v40, v30
	v_add_f32_e32 v15, v30, v15
	v_add_f32_e32 v30, v24, v15
	v_mul_f32_e32 v33, v30, v30
	v_mov_b32_e32 v32, 0x3ecc95a3
	v_fmac_f32_e32 v32, 0x3e9b6dac, v33
	v_mov_b32_e32 v31, 0x3f2aaada
	v_fmac_f32_e32 v31, v33, v32
	v_cvt_f32_i32_e32 v32, v38
	v_sub_f32_e32 v24, v30, v24
	v_ldexp_f32 v35, v30, 1
	v_mul_f32_e32 v33, v30, v33
	v_mov_b32_e32 v30, 0x3f317218
	s_mov_b32 s2, 0x3f317218
	v_pk_mul_f32 v[30:31], v[32:33], v[30:31]
	v_fma_f32 v34, v32, s2, -v30
	v_fmac_f32_e32 v34, 0xb102e308, v32
	v_pk_add_f32 v[32:33], v[30:31], v[34:35]
	v_sub_f32_e32 v15, v15, v24
	v_sub_f32_e32 v24, v33, v35
	v_ldexp_f32 v15, v15, 1
	v_sub_f32_e32 v24, v31, v24
	v_add_f32_e32 v37, v15, v24
	v_mov_b32_e32 v36, v30
	v_pk_add_f32 v[30:31], v[32:33], v[30:31] neg_lo:[0,1] neg_hi:[0,1]
	v_pk_add_f32 v[38:39], v[32:33], v[36:37]
	v_mov_b32_e32 v31, v39
	v_mov_b32_e32 v35, v32
	v_pk_add_f32 v[40:41], v[34:35], v[30:31] neg_lo:[0,1] neg_hi:[0,1]
	v_pk_add_f32 v[30:31], v[34:35], v[30:31]
	v_mov_b32_e32 v24, v31
	v_pk_add_f32 v[34:35], v[24:25], v[32:33] neg_lo:[0,1] neg_hi:[0,1]
	v_mov_b32_e32 v15, v34
	v_pk_add_f32 v[42:43], v[38:39], v[14:15] neg_lo:[0,1] neg_hi:[0,1]
	v_mov_b32_e32 v30, v39
	v_mov_b32_e32 v38, v33
	;; [unrolled: 1-line block ×4, first 2 shown]
	v_pk_add_f32 v[30:31], v[30:31], v[38:39] neg_lo:[0,1] neg_hi:[0,1]
	v_mov_b32_e32 v34, v37
	v_mov_b32_e32 v35, v32
	v_pk_add_f32 v[30:31], v[34:35], v[30:31] neg_lo:[0,1] neg_hi:[0,1]
	v_mov_b32_e32 v42, v40
	v_pk_add_f32 v[32:33], v[42:43], v[30:31]
	v_mov_b32_e32 v34, v33
	v_pk_add_f32 v[34:35], v[32:33], v[34:35]
	v_pk_add_f32 v[36:37], v[24:25], v[34:35]
	v_mov_b32_e32 v33, v36
	v_pk_add_f32 v[38:39], v[32:33], v[40:41] neg_lo:[0,1] neg_hi:[0,1]
	v_mov_b32_e32 v31, v34
	v_sub_f32_e32 v15, v32, v38
	v_pk_add_f32 v[30:31], v[30:31], v[38:39] neg_lo:[0,1] neg_hi:[0,1]
	v_sub_f32_e32 v15, v40, v15
	s_mov_b32 s3, 0x7f800000
	v_add_f32_e32 v15, v30, v15
	s_mov_b32 s2, 0x33800000
	v_add_f32_e32 v15, v15, v31
	v_cmp_eq_f32_e32 vcc, s3, v44
	v_cmp_lt_f32_e64 s[2:3], |v44|, s2
	v_add_f32_e32 v15, v36, v15
	s_or_b64 vcc, vcc, s[2:3]
	v_cndmask_b32_e32 v15, v15, v44, vcc
	v_add_f32_e32 v15, v29, v15
	v_cvt_f16_f32_e32 v31, v15
	v_cvt_f32_f16_e32 v15, v31
	v_mov_b32_e32 v24, v31
.LBB371_156:
	s_or_b64 exec, exec, s[0:1]
	v_max_f32_e32 v29, v13, v13
	v_max_f32_e32 v32, v15, v15
	v_min_f32_e32 v30, v32, v29
	v_cmp_u_f16_e32 vcc, v31, v31
	v_max_f32_e32 v29, v32, v29
	v_cndmask_b32_e32 v30, v30, v15, vcc
	v_cndmask_b32_e32 v29, v29, v15, vcc
	v_cndmask_b32_e64 v30, v30, v13, s[78:79]
	v_cndmask_b32_e64 v29, v29, v13, s[78:79]
	v_cmp_neq_f32_e32 vcc, v30, v29
	v_cmp_class_f32_e64 s[0:1], v30, s4
	s_or_b64 s[2:3], vcc, s[0:1]
	v_mov_b32_e32 v13, v24
	s_and_saveexec_b64 s[0:1], s[2:3]
	s_cbranch_execz .LBB371_158
; %bb.157:
	v_sub_f32_e32 v13, v30, v29
	s_mov_b32 s2, 0x3fb8aa3b
	v_mul_f32_e32 v15, 0x3fb8aa3b, v13
	v_fma_f32 v30, v13, s2, -v15
	v_rndne_f32_e32 v31, v15
	v_fmac_f32_e32 v30, 0x32a5705f, v13
	v_sub_f32_e32 v15, v15, v31
	v_add_f32_e32 v15, v15, v30
	v_exp_f32_e32 v15, v15
	v_cvt_i32_f32_e32 v30, v31
	s_mov_b32 s2, 0xc2ce8ed0
	v_cmp_ngt_f32_e32 vcc, s2, v13
	s_mov_b32 s2, 0x42b17218
	v_ldexp_f32 v15, v15, v30
	v_cndmask_b32_e32 v15, 0, v15, vcc
	v_mov_b32_e32 v30, 0x7f800000
	v_cmp_nlt_f32_e32 vcc, s2, v13
	v_cndmask_b32_e32 v15, v30, v15, vcc
	v_add_f32_e32 v13, 1.0, v15
	v_add_f32_e32 v30, -1.0, v13
	v_sub_f32_e32 v31, v30, v13
	v_add_f32_e32 v31, 1.0, v31
	v_sub_f32_e32 v30, v15, v30
	v_add_f32_e32 v32, v30, v31
	v_frexp_mant_f32_e32 v33, v13
	s_mov_b32 s2, 0x3f2aaaab
	v_cvt_f64_f32_e32 v[30:31], v13
	v_frexp_exp_i32_f64_e32 v30, v[30:31]
	v_cmp_gt_f32_e32 vcc, s2, v33
	v_subbrev_co_u32_e32 v38, vcc, 0, v30, vcc
	v_sub_u32_e32 v30, 0, v38
	v_ldexp_f32 v13, v13, v30
	v_ldexp_f32 v30, v32, v30
	v_add_f32_e32 v32, -1.0, v13
	v_add_f32_e32 v31, 1.0, v32
	v_sub_f32_e32 v31, v13, v31
	v_add_f32_e32 v33, v30, v31
	v_add_f32_e32 v31, 1.0, v13
	v_add_f32_e32 v34, -1.0, v31
	v_sub_f32_e32 v13, v13, v34
	v_add_f32_e32 v13, v30, v13
	v_add_f32_e32 v39, v31, v13
	v_rcp_f32_e32 v40, v39
	v_sub_f32_e32 v30, v31, v39
	v_add_f32_e32 v31, v32, v33
	v_add_f32_e32 v13, v13, v30
	v_mul_f32_e32 v42, v31, v40
	v_sub_f32_e32 v30, v32, v31
	v_mul_f32_e32 v32, v39, v42
	v_fma_f32 v34, v42, v39, -v32
	v_fmac_f32_e32 v34, v42, v13
	v_add_f32_e32 v41, v33, v30
	v_add_f32_e32 v30, v32, v34
	v_sub_f32_e32 v33, v31, v30
	v_pk_add_f32 v[36:37], v[30:31], v[32:33] neg_lo:[0,1] neg_hi:[0,1]
	v_mov_b32_e32 v35, v30
	v_pk_add_f32 v[30:31], v[36:37], v[34:35] neg_lo:[0,1] neg_hi:[0,1]
	v_add_f32_e32 v31, v41, v31
	v_add_f32_e32 v30, v30, v31
	;; [unrolled: 1-line block ×3, first 2 shown]
	v_mul_f32_e32 v41, v40, v31
	v_mul_f32_e32 v32, v39, v41
	v_fma_f32 v34, v41, v39, -v32
	v_fmac_f32_e32 v34, v41, v13
	v_sub_f32_e32 v13, v33, v31
	v_add_f32_e32 v13, v30, v13
	v_add_f32_e32 v30, v32, v34
	v_sub_f32_e32 v33, v31, v30
	v_pk_add_f32 v[36:37], v[30:31], v[32:33] neg_lo:[0,1] neg_hi:[0,1]
	v_mov_b32_e32 v35, v30
	v_pk_add_f32 v[30:31], v[36:37], v[34:35] neg_lo:[0,1] neg_hi:[0,1]
	v_add_f32_e32 v13, v13, v31
	v_add_f32_e32 v13, v30, v13
	;; [unrolled: 1-line block ×4, first 2 shown]
	v_sub_f32_e32 v31, v30, v42
	v_mul_f32_e32 v13, v40, v13
	v_sub_f32_e32 v31, v41, v31
	v_add_f32_e32 v13, v31, v13
	v_add_f32_e32 v33, v30, v13
	v_mul_f32_e32 v34, v33, v33
	v_mov_b32_e32 v32, 0x3ecc95a3
	v_fmac_f32_e32 v32, 0x3e9b6dac, v34
	v_mov_b32_e32 v31, 0x3f2aaada
	v_fmac_f32_e32 v31, v34, v32
	v_cvt_f32_i32_e32 v32, v38
	v_sub_f32_e32 v30, v33, v30
	v_sub_f32_e32 v13, v13, v30
	v_ldexp_f32 v35, v33, 1
	v_mul_f32_e32 v33, v33, v34
	v_mov_b32_e32 v30, 0x3f317218
	s_mov_b32 s2, 0x3f317218
	v_pk_mul_f32 v[30:31], v[32:33], v[30:31]
	v_fma_f32 v34, v32, s2, -v30
	v_fmac_f32_e32 v34, 0xb102e308, v32
	v_pk_add_f32 v[32:33], v[30:31], v[34:35]
	v_sub_f32_e32 v35, v33, v35
	v_ldexp_f32 v13, v13, 1
	v_sub_f32_e32 v35, v31, v35
	v_add_f32_e32 v37, v13, v35
	v_mov_b32_e32 v36, v30
	v_pk_add_f32 v[30:31], v[32:33], v[30:31] neg_lo:[0,1] neg_hi:[0,1]
	v_pk_add_f32 v[38:39], v[32:33], v[36:37]
	v_mov_b32_e32 v31, v39
	v_mov_b32_e32 v35, v32
	v_pk_add_f32 v[40:41], v[34:35], v[30:31] neg_lo:[0,1] neg_hi:[0,1]
	v_pk_add_f32 v[30:31], v[34:35], v[30:31]
	v_mov_b32_e32 v34, v31
	v_pk_add_f32 v[42:43], v[34:35], v[32:33] neg_lo:[0,1] neg_hi:[0,1]
	v_mov_b32_e32 v13, v42
	v_pk_add_f32 v[44:45], v[38:39], v[12:13] neg_lo:[0,1] neg_hi:[0,1]
	v_mov_b32_e32 v30, v39
	v_mov_b32_e32 v38, v33
	;; [unrolled: 1-line block ×4, first 2 shown]
	v_pk_add_f32 v[30:31], v[30:31], v[38:39] neg_lo:[0,1] neg_hi:[0,1]
	v_mov_b32_e32 v36, v37
	v_mov_b32_e32 v37, v32
	v_pk_add_f32 v[30:31], v[36:37], v[30:31] neg_lo:[0,1] neg_hi:[0,1]
	v_mov_b32_e32 v44, v40
	v_pk_add_f32 v[32:33], v[44:45], v[30:31]
	v_mov_b32_e32 v36, v33
	v_pk_add_f32 v[36:37], v[32:33], v[36:37]
	v_pk_add_f32 v[34:35], v[34:35], v[36:37]
	v_mov_b32_e32 v33, v34
	v_pk_add_f32 v[38:39], v[32:33], v[40:41] neg_lo:[0,1] neg_hi:[0,1]
	v_mov_b32_e32 v31, v36
	v_sub_f32_e32 v13, v32, v38
	v_pk_add_f32 v[30:31], v[30:31], v[38:39] neg_lo:[0,1] neg_hi:[0,1]
	v_sub_f32_e32 v13, v40, v13
	s_mov_b32 s3, 0x7f800000
	v_add_f32_e32 v13, v30, v13
	s_mov_b32 s2, 0x33800000
	v_add_f32_e32 v13, v13, v31
	v_cmp_eq_f32_e32 vcc, s3, v15
	v_cmp_lt_f32_e64 s[2:3], |v15|, s2
	v_add_f32_e32 v13, v34, v13
	s_or_b64 vcc, vcc, s[2:3]
	v_cndmask_b32_e32 v13, v13, v15, vcc
	v_add_f32_e32 v13, v29, v13
	v_cvt_f16_f32_e32 v31, v13
	v_cvt_f32_f16_e32 v15, v31
	v_mov_b32_e32 v13, v31
.LBB371_158:
	s_or_b64 exec, exec, s[0:1]
	v_max_f32_e32 v29, v25, v25
	v_max_f32_e32 v32, v15, v15
	v_min_f32_e32 v30, v32, v29
	v_cmp_u_f16_e32 vcc, v31, v31
	v_max_f32_e32 v29, v32, v29
	v_cndmask_b32_e32 v30, v30, v15, vcc
	v_cndmask_b32_e32 v29, v29, v15, vcc
	v_cndmask_b32_e64 v30, v30, v25, s[80:81]
	v_cndmask_b32_e64 v29, v29, v25, s[80:81]
	v_cmp_neq_f32_e32 vcc, v30, v29
	v_cmp_class_f32_e64 s[0:1], v30, s4
	s_or_b64 s[2:3], vcc, s[0:1]
	v_mov_b32_e32 v25, v13
	s_and_saveexec_b64 s[0:1], s[2:3]
	s_cbranch_execz .LBB371_160
; %bb.159:
	v_sub_f32_e32 v15, v30, v29
	s_mov_b32 s2, 0x3fb8aa3b
	v_mul_f32_e32 v25, 0x3fb8aa3b, v15
	v_fma_f32 v30, v15, s2, -v25
	v_rndne_f32_e32 v31, v25
	v_fmac_f32_e32 v30, 0x32a5705f, v15
	v_sub_f32_e32 v25, v25, v31
	v_add_f32_e32 v25, v25, v30
	v_exp_f32_e32 v25, v25
	v_cvt_i32_f32_e32 v30, v31
	s_mov_b32 s2, 0xc2ce8ed0
	v_cmp_ngt_f32_e32 vcc, s2, v15
	s_mov_b32 s2, 0x42b17218
	v_ldexp_f32 v25, v25, v30
	v_cndmask_b32_e32 v25, 0, v25, vcc
	v_mov_b32_e32 v30, 0x7f800000
	v_cmp_nlt_f32_e32 vcc, s2, v15
	v_cndmask_b32_e32 v25, v30, v25, vcc
	v_add_f32_e32 v15, 1.0, v25
	v_add_f32_e32 v30, -1.0, v15
	v_sub_f32_e32 v31, v30, v15
	v_add_f32_e32 v31, 1.0, v31
	v_sub_f32_e32 v30, v25, v30
	v_add_f32_e32 v32, v30, v31
	v_frexp_mant_f32_e32 v33, v15
	s_mov_b32 s2, 0x3f2aaaab
	v_cvt_f64_f32_e32 v[30:31], v15
	v_frexp_exp_i32_f64_e32 v30, v[30:31]
	v_cmp_gt_f32_e32 vcc, s2, v33
	v_subbrev_co_u32_e32 v38, vcc, 0, v30, vcc
	v_sub_u32_e32 v30, 0, v38
	v_ldexp_f32 v15, v15, v30
	v_ldexp_f32 v30, v32, v30
	v_add_f32_e32 v32, -1.0, v15
	v_add_f32_e32 v31, 1.0, v32
	v_sub_f32_e32 v31, v15, v31
	v_add_f32_e32 v33, v30, v31
	v_add_f32_e32 v31, 1.0, v15
	v_add_f32_e32 v34, -1.0, v31
	v_sub_f32_e32 v15, v15, v34
	v_add_f32_e32 v15, v30, v15
	v_add_f32_e32 v39, v31, v15
	v_rcp_f32_e32 v40, v39
	v_sub_f32_e32 v30, v31, v39
	v_add_f32_e32 v31, v32, v33
	v_add_f32_e32 v15, v15, v30
	v_mul_f32_e32 v42, v31, v40
	v_sub_f32_e32 v30, v32, v31
	v_mul_f32_e32 v32, v39, v42
	v_fma_f32 v34, v42, v39, -v32
	v_fmac_f32_e32 v34, v42, v15
	v_add_f32_e32 v41, v33, v30
	v_add_f32_e32 v30, v32, v34
	v_sub_f32_e32 v33, v31, v30
	v_pk_add_f32 v[36:37], v[30:31], v[32:33] neg_lo:[0,1] neg_hi:[0,1]
	v_mov_b32_e32 v35, v30
	v_pk_add_f32 v[30:31], v[36:37], v[34:35] neg_lo:[0,1] neg_hi:[0,1]
	v_add_f32_e32 v31, v41, v31
	v_add_f32_e32 v30, v30, v31
	;; [unrolled: 1-line block ×3, first 2 shown]
	v_mul_f32_e32 v41, v40, v31
	v_mul_f32_e32 v32, v39, v41
	v_fma_f32 v34, v41, v39, -v32
	v_fmac_f32_e32 v34, v41, v15
	v_sub_f32_e32 v15, v33, v31
	v_add_f32_e32 v15, v30, v15
	v_add_f32_e32 v30, v32, v34
	v_sub_f32_e32 v33, v31, v30
	v_pk_add_f32 v[36:37], v[30:31], v[32:33] neg_lo:[0,1] neg_hi:[0,1]
	v_mov_b32_e32 v35, v30
	v_pk_add_f32 v[30:31], v[36:37], v[34:35] neg_lo:[0,1] neg_hi:[0,1]
	v_add_f32_e32 v15, v15, v31
	v_add_f32_e32 v15, v30, v15
	;; [unrolled: 1-line block ×4, first 2 shown]
	v_sub_f32_e32 v31, v30, v42
	v_mul_f32_e32 v15, v40, v15
	v_sub_f32_e32 v31, v41, v31
	v_add_f32_e32 v15, v31, v15
	v_add_f32_e32 v33, v30, v15
	v_mul_f32_e32 v34, v33, v33
	v_mov_b32_e32 v32, 0x3ecc95a3
	v_fmac_f32_e32 v32, 0x3e9b6dac, v34
	v_mov_b32_e32 v31, 0x3f2aaada
	v_fmac_f32_e32 v31, v34, v32
	v_cvt_f32_i32_e32 v32, v38
	v_sub_f32_e32 v30, v33, v30
	v_sub_f32_e32 v15, v15, v30
	v_ldexp_f32 v35, v33, 1
	v_mul_f32_e32 v33, v33, v34
	v_mov_b32_e32 v30, 0x3f317218
	s_mov_b32 s2, 0x3f317218
	v_pk_mul_f32 v[30:31], v[32:33], v[30:31]
	v_fma_f32 v34, v32, s2, -v30
	v_fmac_f32_e32 v34, 0xb102e308, v32
	v_pk_add_f32 v[32:33], v[30:31], v[34:35]
	v_sub_f32_e32 v35, v33, v35
	v_ldexp_f32 v15, v15, 1
	v_sub_f32_e32 v35, v31, v35
	v_add_f32_e32 v37, v15, v35
	v_mov_b32_e32 v36, v30
	v_pk_add_f32 v[30:31], v[32:33], v[30:31] neg_lo:[0,1] neg_hi:[0,1]
	v_pk_add_f32 v[38:39], v[32:33], v[36:37]
	v_mov_b32_e32 v31, v39
	v_mov_b32_e32 v35, v32
	v_pk_add_f32 v[40:41], v[34:35], v[30:31] neg_lo:[0,1] neg_hi:[0,1]
	v_pk_add_f32 v[30:31], v[34:35], v[30:31]
	v_mov_b32_e32 v34, v31
	v_pk_add_f32 v[42:43], v[34:35], v[32:33] neg_lo:[0,1] neg_hi:[0,1]
	v_mov_b32_e32 v15, v42
	v_pk_add_f32 v[44:45], v[38:39], v[14:15] neg_lo:[0,1] neg_hi:[0,1]
	v_mov_b32_e32 v30, v39
	v_mov_b32_e32 v38, v33
	;; [unrolled: 1-line block ×4, first 2 shown]
	v_pk_add_f32 v[30:31], v[30:31], v[38:39] neg_lo:[0,1] neg_hi:[0,1]
	v_mov_b32_e32 v36, v37
	v_mov_b32_e32 v37, v32
	v_pk_add_f32 v[30:31], v[36:37], v[30:31] neg_lo:[0,1] neg_hi:[0,1]
	v_mov_b32_e32 v44, v40
	v_pk_add_f32 v[32:33], v[44:45], v[30:31]
	v_mov_b32_e32 v36, v33
	v_pk_add_f32 v[36:37], v[32:33], v[36:37]
	v_pk_add_f32 v[34:35], v[34:35], v[36:37]
	v_mov_b32_e32 v33, v34
	v_pk_add_f32 v[38:39], v[32:33], v[40:41] neg_lo:[0,1] neg_hi:[0,1]
	v_mov_b32_e32 v31, v36
	v_sub_f32_e32 v15, v32, v38
	v_pk_add_f32 v[30:31], v[30:31], v[38:39] neg_lo:[0,1] neg_hi:[0,1]
	v_sub_f32_e32 v15, v40, v15
	s_mov_b32 s3, 0x7f800000
	v_add_f32_e32 v15, v30, v15
	s_mov_b32 s2, 0x33800000
	v_add_f32_e32 v15, v15, v31
	v_cmp_eq_f32_e32 vcc, s3, v25
	v_cmp_lt_f32_e64 s[2:3], |v25|, s2
	v_add_f32_e32 v15, v34, v15
	s_or_b64 vcc, vcc, s[2:3]
	v_cndmask_b32_e32 v15, v15, v25, vcc
	v_add_f32_e32 v15, v29, v15
	v_cvt_f16_f32_e32 v31, v15
	v_cvt_f32_f16_e32 v15, v31
	v_mov_b32_e32 v25, v31
.LBB371_160:
	s_or_b64 exec, exec, s[0:1]
	v_max_f32_e32 v29, v6, v6
	v_max_f32_e32 v32, v15, v15
	v_min_f32_e32 v30, v32, v29
	v_cmp_u_f16_e32 vcc, v31, v31
	v_max_f32_e32 v29, v32, v29
	v_cndmask_b32_e32 v30, v30, v15, vcc
	v_cndmask_b32_e32 v29, v29, v15, vcc
	v_cndmask_b32_e64 v30, v30, v6, s[82:83]
	v_cndmask_b32_e64 v29, v29, v6, s[82:83]
	v_cmp_neq_f32_e32 vcc, v30, v29
	v_cmp_class_f32_e64 s[0:1], v30, s4
	s_or_b64 s[2:3], vcc, s[0:1]
	v_mov_b32_e32 v6, v25
	s_and_saveexec_b64 s[0:1], s[2:3]
	s_cbranch_execz .LBB371_162
; %bb.161:
	v_sub_f32_e32 v6, v30, v29
	s_mov_b32 s2, 0x3fb8aa3b
	v_mul_f32_e32 v15, 0x3fb8aa3b, v6
	v_fma_f32 v30, v6, s2, -v15
	v_rndne_f32_e32 v31, v15
	v_fmac_f32_e32 v30, 0x32a5705f, v6
	v_sub_f32_e32 v15, v15, v31
	v_add_f32_e32 v15, v15, v30
	v_exp_f32_e32 v15, v15
	v_cvt_i32_f32_e32 v30, v31
	s_mov_b32 s2, 0xc2ce8ed0
	v_cmp_ngt_f32_e32 vcc, s2, v6
	s_mov_b32 s2, 0x42b17218
	v_ldexp_f32 v15, v15, v30
	v_cndmask_b32_e32 v15, 0, v15, vcc
	v_mov_b32_e32 v30, 0x7f800000
	v_cmp_nlt_f32_e32 vcc, s2, v6
	v_cndmask_b32_e32 v44, v30, v15, vcc
	v_add_f32_e32 v6, 1.0, v44
	v_add_f32_e32 v15, -1.0, v6
	v_sub_f32_e32 v30, v15, v6
	v_add_f32_e32 v30, 1.0, v30
	v_sub_f32_e32 v15, v44, v15
	v_add_f32_e32 v15, v15, v30
	v_frexp_mant_f32_e32 v32, v6
	s_mov_b32 s2, 0x3f2aaaab
	v_cvt_f64_f32_e32 v[30:31], v6
	v_frexp_exp_i32_f64_e32 v30, v[30:31]
	v_cmp_gt_f32_e32 vcc, s2, v32
	v_subbrev_co_u32_e32 v38, vcc, 0, v30, vcc
	v_sub_u32_e32 v30, 0, v38
	v_ldexp_f32 v6, v6, v30
	v_ldexp_f32 v15, v15, v30
	v_add_f32_e32 v30, -1.0, v6
	v_add_f32_e32 v31, 1.0, v30
	v_sub_f32_e32 v31, v6, v31
	v_add_f32_e32 v32, v15, v31
	v_add_f32_e32 v31, 1.0, v6
	v_add_f32_e32 v33, -1.0, v31
	v_sub_f32_e32 v6, v6, v33
	v_add_f32_e32 v6, v15, v6
	v_add_f32_e32 v15, v31, v6
	v_rcp_f32_e32 v39, v15
	v_sub_f32_e32 v31, v31, v15
	v_add_f32_e32 v6, v6, v31
	v_add_f32_e32 v31, v30, v32
	v_sub_f32_e32 v30, v30, v31
	v_mul_f32_e32 v41, v31, v39
	v_add_f32_e32 v40, v32, v30
	v_mul_f32_e32 v32, v15, v41
	v_fma_f32 v34, v41, v15, -v32
	v_fmac_f32_e32 v34, v41, v6
	v_add_f32_e32 v30, v32, v34
	v_sub_f32_e32 v33, v31, v30
	v_pk_add_f32 v[36:37], v[30:31], v[32:33] neg_lo:[0,1] neg_hi:[0,1]
	v_mov_b32_e32 v35, v30
	v_pk_add_f32 v[30:31], v[36:37], v[34:35] neg_lo:[0,1] neg_hi:[0,1]
	v_add_f32_e32 v31, v40, v31
	v_add_f32_e32 v30, v30, v31
	;; [unrolled: 1-line block ×3, first 2 shown]
	v_mul_f32_e32 v40, v39, v31
	v_mul_f32_e32 v32, v15, v40
	v_fma_f32 v34, v40, v15, -v32
	v_fmac_f32_e32 v34, v40, v6
	v_sub_f32_e32 v6, v33, v31
	v_add_f32_e32 v6, v30, v6
	v_add_f32_e32 v30, v32, v34
	v_sub_f32_e32 v33, v31, v30
	v_pk_add_f32 v[36:37], v[30:31], v[32:33] neg_lo:[0,1] neg_hi:[0,1]
	v_mov_b32_e32 v35, v30
	v_pk_add_f32 v[30:31], v[36:37], v[34:35] neg_lo:[0,1] neg_hi:[0,1]
	v_add_f32_e32 v6, v6, v31
	v_add_f32_e32 v6, v30, v6
	;; [unrolled: 1-line block ×4, first 2 shown]
	v_sub_f32_e32 v30, v15, v41
	v_mul_f32_e32 v6, v39, v6
	v_sub_f32_e32 v30, v40, v30
	v_add_f32_e32 v6, v30, v6
	v_add_f32_e32 v30, v15, v6
	v_mul_f32_e32 v33, v30, v30
	v_mov_b32_e32 v32, 0x3ecc95a3
	v_fmac_f32_e32 v32, 0x3e9b6dac, v33
	v_mov_b32_e32 v31, 0x3f2aaada
	v_fmac_f32_e32 v31, v33, v32
	v_cvt_f32_i32_e32 v32, v38
	v_sub_f32_e32 v15, v30, v15
	v_ldexp_f32 v35, v30, 1
	v_mul_f32_e32 v33, v30, v33
	v_mov_b32_e32 v30, 0x3f317218
	s_mov_b32 s2, 0x3f317218
	v_pk_mul_f32 v[30:31], v[32:33], v[30:31]
	v_fma_f32 v34, v32, s2, -v30
	v_fmac_f32_e32 v34, 0xb102e308, v32
	v_pk_add_f32 v[32:33], v[30:31], v[34:35]
	v_sub_f32_e32 v6, v6, v15
	v_sub_f32_e32 v15, v33, v35
	v_ldexp_f32 v6, v6, 1
	v_sub_f32_e32 v15, v31, v15
	v_add_f32_e32 v37, v6, v15
	v_mov_b32_e32 v36, v30
	v_pk_add_f32 v[30:31], v[32:33], v[30:31] neg_lo:[0,1] neg_hi:[0,1]
	v_pk_add_f32 v[38:39], v[32:33], v[36:37]
	v_mov_b32_e32 v31, v39
	v_mov_b32_e32 v35, v32
	v_pk_add_f32 v[40:41], v[34:35], v[30:31] neg_lo:[0,1] neg_hi:[0,1]
	v_pk_add_f32 v[30:31], v[34:35], v[30:31]
	v_mov_b32_e32 v6, v31
	v_pk_add_f32 v[34:35], v[6:7], v[32:33] neg_lo:[0,1] neg_hi:[0,1]
	v_mov_b32_e32 v15, v34
	v_pk_add_f32 v[42:43], v[38:39], v[14:15] neg_lo:[0,1] neg_hi:[0,1]
	v_mov_b32_e32 v30, v39
	v_mov_b32_e32 v38, v33
	;; [unrolled: 1-line block ×4, first 2 shown]
	v_pk_add_f32 v[30:31], v[30:31], v[38:39] neg_lo:[0,1] neg_hi:[0,1]
	v_mov_b32_e32 v34, v37
	v_mov_b32_e32 v35, v32
	v_pk_add_f32 v[30:31], v[34:35], v[30:31] neg_lo:[0,1] neg_hi:[0,1]
	v_mov_b32_e32 v42, v40
	v_pk_add_f32 v[32:33], v[42:43], v[30:31]
	v_mov_b32_e32 v34, v33
	v_pk_add_f32 v[34:35], v[32:33], v[34:35]
	v_pk_add_f32 v[36:37], v[6:7], v[34:35]
	v_mov_b32_e32 v33, v36
	v_pk_add_f32 v[38:39], v[32:33], v[40:41] neg_lo:[0,1] neg_hi:[0,1]
	v_mov_b32_e32 v31, v34
	v_sub_f32_e32 v6, v32, v38
	v_pk_add_f32 v[30:31], v[30:31], v[38:39] neg_lo:[0,1] neg_hi:[0,1]
	v_sub_f32_e32 v6, v40, v6
	s_mov_b32 s3, 0x7f800000
	v_add_f32_e32 v6, v30, v6
	s_mov_b32 s2, 0x33800000
	v_add_f32_e32 v6, v6, v31
	v_cmp_eq_f32_e32 vcc, s3, v44
	v_cmp_lt_f32_e64 s[2:3], |v44|, s2
	v_add_f32_e32 v6, v36, v6
	s_or_b64 vcc, vcc, s[2:3]
	v_cndmask_b32_e32 v6, v6, v44, vcc
	v_add_f32_e32 v6, v29, v6
	v_cvt_f16_f32_e32 v31, v6
	v_cvt_f32_f16_e32 v15, v31
	v_mov_b32_e32 v6, v31
.LBB371_162:
	s_or_b64 exec, exec, s[0:1]
	v_max_f32_e32 v29, v26, v26
	v_max_f32_e32 v32, v15, v15
	v_min_f32_e32 v30, v32, v29
	v_cmp_u_f16_e32 vcc, v31, v31
	v_max_f32_e32 v29, v32, v29
	v_cndmask_b32_e32 v30, v30, v15, vcc
	v_cndmask_b32_e32 v29, v29, v15, vcc
	v_cndmask_b32_e64 v30, v30, v26, s[84:85]
	v_cndmask_b32_e64 v29, v29, v26, s[84:85]
	v_cmp_neq_f32_e32 vcc, v30, v29
	v_cmp_class_f32_e64 s[0:1], v30, s4
	s_or_b64 s[2:3], vcc, s[0:1]
	v_mov_b32_e32 v26, v6
	s_and_saveexec_b64 s[0:1], s[2:3]
	s_cbranch_execz .LBB371_164
; %bb.163:
	v_sub_f32_e32 v15, v30, v29
	s_mov_b32 s2, 0x3fb8aa3b
	v_mul_f32_e32 v26, 0x3fb8aa3b, v15
	v_fma_f32 v30, v15, s2, -v26
	v_rndne_f32_e32 v31, v26
	v_fmac_f32_e32 v30, 0x32a5705f, v15
	v_sub_f32_e32 v26, v26, v31
	v_add_f32_e32 v26, v26, v30
	v_exp_f32_e32 v26, v26
	v_cvt_i32_f32_e32 v30, v31
	s_mov_b32 s2, 0xc2ce8ed0
	v_cmp_ngt_f32_e32 vcc, s2, v15
	s_mov_b32 s2, 0x42b17218
	v_ldexp_f32 v26, v26, v30
	v_cndmask_b32_e32 v26, 0, v26, vcc
	v_mov_b32_e32 v30, 0x7f800000
	v_cmp_nlt_f32_e32 vcc, s2, v15
	v_cndmask_b32_e32 v44, v30, v26, vcc
	v_add_f32_e32 v15, 1.0, v44
	v_add_f32_e32 v26, -1.0, v15
	v_sub_f32_e32 v30, v26, v15
	v_add_f32_e32 v30, 1.0, v30
	v_sub_f32_e32 v26, v44, v26
	v_add_f32_e32 v26, v26, v30
	v_frexp_mant_f32_e32 v32, v15
	s_mov_b32 s2, 0x3f2aaaab
	v_cvt_f64_f32_e32 v[30:31], v15
	v_frexp_exp_i32_f64_e32 v30, v[30:31]
	v_cmp_gt_f32_e32 vcc, s2, v32
	v_subbrev_co_u32_e32 v38, vcc, 0, v30, vcc
	v_sub_u32_e32 v30, 0, v38
	v_ldexp_f32 v15, v15, v30
	v_ldexp_f32 v26, v26, v30
	v_add_f32_e32 v30, -1.0, v15
	v_add_f32_e32 v31, 1.0, v30
	v_sub_f32_e32 v31, v15, v31
	v_add_f32_e32 v32, v26, v31
	v_add_f32_e32 v31, 1.0, v15
	v_add_f32_e32 v33, -1.0, v31
	v_sub_f32_e32 v15, v15, v33
	v_add_f32_e32 v15, v26, v15
	v_add_f32_e32 v26, v31, v15
	v_rcp_f32_e32 v39, v26
	v_sub_f32_e32 v31, v31, v26
	v_add_f32_e32 v15, v15, v31
	v_add_f32_e32 v31, v30, v32
	v_sub_f32_e32 v30, v30, v31
	v_mul_f32_e32 v41, v31, v39
	v_add_f32_e32 v40, v32, v30
	v_mul_f32_e32 v32, v26, v41
	v_fma_f32 v34, v41, v26, -v32
	v_fmac_f32_e32 v34, v41, v15
	v_add_f32_e32 v30, v32, v34
	v_sub_f32_e32 v33, v31, v30
	v_pk_add_f32 v[36:37], v[30:31], v[32:33] neg_lo:[0,1] neg_hi:[0,1]
	v_mov_b32_e32 v35, v30
	v_pk_add_f32 v[30:31], v[36:37], v[34:35] neg_lo:[0,1] neg_hi:[0,1]
	v_add_f32_e32 v31, v40, v31
	v_add_f32_e32 v30, v30, v31
	;; [unrolled: 1-line block ×3, first 2 shown]
	v_mul_f32_e32 v40, v39, v31
	v_mul_f32_e32 v32, v26, v40
	v_fma_f32 v34, v40, v26, -v32
	v_fmac_f32_e32 v34, v40, v15
	v_sub_f32_e32 v15, v33, v31
	v_add_f32_e32 v15, v30, v15
	v_add_f32_e32 v30, v32, v34
	v_sub_f32_e32 v33, v31, v30
	v_pk_add_f32 v[36:37], v[30:31], v[32:33] neg_lo:[0,1] neg_hi:[0,1]
	v_mov_b32_e32 v35, v30
	v_pk_add_f32 v[30:31], v[36:37], v[34:35] neg_lo:[0,1] neg_hi:[0,1]
	v_add_f32_e32 v15, v15, v31
	v_add_f32_e32 v15, v30, v15
	;; [unrolled: 1-line block ×4, first 2 shown]
	v_sub_f32_e32 v30, v26, v41
	v_mul_f32_e32 v15, v39, v15
	v_sub_f32_e32 v30, v40, v30
	v_add_f32_e32 v15, v30, v15
	v_add_f32_e32 v30, v26, v15
	v_mul_f32_e32 v33, v30, v30
	v_mov_b32_e32 v32, 0x3ecc95a3
	v_fmac_f32_e32 v32, 0x3e9b6dac, v33
	v_mov_b32_e32 v31, 0x3f2aaada
	v_fmac_f32_e32 v31, v33, v32
	v_cvt_f32_i32_e32 v32, v38
	v_sub_f32_e32 v26, v30, v26
	v_ldexp_f32 v35, v30, 1
	v_mul_f32_e32 v33, v30, v33
	v_mov_b32_e32 v30, 0x3f317218
	s_mov_b32 s2, 0x3f317218
	v_pk_mul_f32 v[30:31], v[32:33], v[30:31]
	v_fma_f32 v34, v32, s2, -v30
	v_fmac_f32_e32 v34, 0xb102e308, v32
	v_pk_add_f32 v[32:33], v[30:31], v[34:35]
	v_sub_f32_e32 v15, v15, v26
	v_sub_f32_e32 v26, v33, v35
	v_ldexp_f32 v15, v15, 1
	v_sub_f32_e32 v26, v31, v26
	v_add_f32_e32 v37, v15, v26
	v_mov_b32_e32 v36, v30
	v_pk_add_f32 v[30:31], v[32:33], v[30:31] neg_lo:[0,1] neg_hi:[0,1]
	v_pk_add_f32 v[38:39], v[32:33], v[36:37]
	v_mov_b32_e32 v31, v39
	v_mov_b32_e32 v35, v32
	v_pk_add_f32 v[40:41], v[34:35], v[30:31] neg_lo:[0,1] neg_hi:[0,1]
	v_pk_add_f32 v[30:31], v[34:35], v[30:31]
	v_mov_b32_e32 v26, v31
	v_pk_add_f32 v[34:35], v[26:27], v[32:33] neg_lo:[0,1] neg_hi:[0,1]
	v_mov_b32_e32 v15, v34
	v_pk_add_f32 v[42:43], v[38:39], v[14:15] neg_lo:[0,1] neg_hi:[0,1]
	v_mov_b32_e32 v30, v39
	v_mov_b32_e32 v38, v33
	;; [unrolled: 1-line block ×4, first 2 shown]
	v_pk_add_f32 v[30:31], v[30:31], v[38:39] neg_lo:[0,1] neg_hi:[0,1]
	v_mov_b32_e32 v34, v37
	v_mov_b32_e32 v35, v32
	v_pk_add_f32 v[30:31], v[34:35], v[30:31] neg_lo:[0,1] neg_hi:[0,1]
	v_mov_b32_e32 v42, v40
	v_pk_add_f32 v[32:33], v[42:43], v[30:31]
	v_mov_b32_e32 v34, v33
	v_pk_add_f32 v[34:35], v[32:33], v[34:35]
	v_pk_add_f32 v[36:37], v[26:27], v[34:35]
	v_mov_b32_e32 v33, v36
	v_pk_add_f32 v[38:39], v[32:33], v[40:41] neg_lo:[0,1] neg_hi:[0,1]
	v_mov_b32_e32 v31, v34
	v_sub_f32_e32 v15, v32, v38
	v_pk_add_f32 v[30:31], v[30:31], v[38:39] neg_lo:[0,1] neg_hi:[0,1]
	v_sub_f32_e32 v15, v40, v15
	s_mov_b32 s3, 0x7f800000
	v_add_f32_e32 v15, v30, v15
	s_mov_b32 s2, 0x33800000
	v_add_f32_e32 v15, v15, v31
	v_cmp_eq_f32_e32 vcc, s3, v44
	v_cmp_lt_f32_e64 s[2:3], |v44|, s2
	v_add_f32_e32 v15, v36, v15
	s_or_b64 vcc, vcc, s[2:3]
	v_cndmask_b32_e32 v15, v15, v44, vcc
	v_add_f32_e32 v15, v29, v15
	v_cvt_f16_f32_e32 v31, v15
	v_cvt_f32_f16_e32 v15, v31
	v_mov_b32_e32 v26, v31
.LBB371_164:
	s_or_b64 exec, exec, s[0:1]
	v_max_f32_e32 v29, v7, v7
	v_max_f32_e32 v32, v15, v15
	v_min_f32_e32 v30, v32, v29
	v_cmp_u_f16_e32 vcc, v31, v31
	v_max_f32_e32 v29, v32, v29
	v_cndmask_b32_e32 v30, v30, v15, vcc
	v_cndmask_b32_e32 v29, v29, v15, vcc
	v_cndmask_b32_e64 v30, v30, v7, s[86:87]
	v_cndmask_b32_e64 v29, v29, v7, s[86:87]
	v_cmp_neq_f32_e32 vcc, v30, v29
	v_cmp_class_f32_e64 s[0:1], v30, s4
	s_or_b64 s[2:3], vcc, s[0:1]
	v_mov_b32_e32 v7, v26
	s_and_saveexec_b64 s[0:1], s[2:3]
	s_cbranch_execz .LBB371_166
; %bb.165:
	v_sub_f32_e32 v7, v30, v29
	s_mov_b32 s2, 0x3fb8aa3b
	v_mul_f32_e32 v15, 0x3fb8aa3b, v7
	v_fma_f32 v30, v7, s2, -v15
	v_rndne_f32_e32 v31, v15
	v_fmac_f32_e32 v30, 0x32a5705f, v7
	v_sub_f32_e32 v15, v15, v31
	v_add_f32_e32 v15, v15, v30
	v_exp_f32_e32 v15, v15
	v_cvt_i32_f32_e32 v30, v31
	s_mov_b32 s2, 0xc2ce8ed0
	v_cmp_ngt_f32_e32 vcc, s2, v7
	s_mov_b32 s2, 0x42b17218
	v_ldexp_f32 v15, v15, v30
	v_cndmask_b32_e32 v15, 0, v15, vcc
	v_mov_b32_e32 v30, 0x7f800000
	v_cmp_nlt_f32_e32 vcc, s2, v7
	v_cndmask_b32_e32 v15, v30, v15, vcc
	v_add_f32_e32 v7, 1.0, v15
	v_add_f32_e32 v30, -1.0, v7
	v_sub_f32_e32 v31, v30, v7
	v_add_f32_e32 v31, 1.0, v31
	v_sub_f32_e32 v30, v15, v30
	v_add_f32_e32 v32, v30, v31
	v_frexp_mant_f32_e32 v33, v7
	s_mov_b32 s2, 0x3f2aaaab
	v_cvt_f64_f32_e32 v[30:31], v7
	v_frexp_exp_i32_f64_e32 v30, v[30:31]
	v_cmp_gt_f32_e32 vcc, s2, v33
	v_subbrev_co_u32_e32 v38, vcc, 0, v30, vcc
	v_sub_u32_e32 v30, 0, v38
	v_ldexp_f32 v7, v7, v30
	v_ldexp_f32 v30, v32, v30
	v_add_f32_e32 v32, -1.0, v7
	v_add_f32_e32 v31, 1.0, v32
	v_sub_f32_e32 v31, v7, v31
	v_add_f32_e32 v33, v30, v31
	v_add_f32_e32 v31, 1.0, v7
	v_add_f32_e32 v34, -1.0, v31
	v_sub_f32_e32 v7, v7, v34
	v_add_f32_e32 v7, v30, v7
	v_add_f32_e32 v39, v31, v7
	v_rcp_f32_e32 v40, v39
	v_sub_f32_e32 v30, v31, v39
	v_add_f32_e32 v31, v32, v33
	v_add_f32_e32 v7, v7, v30
	v_mul_f32_e32 v42, v31, v40
	v_sub_f32_e32 v30, v32, v31
	v_mul_f32_e32 v32, v39, v42
	v_fma_f32 v34, v42, v39, -v32
	v_fmac_f32_e32 v34, v42, v7
	v_add_f32_e32 v41, v33, v30
	v_add_f32_e32 v30, v32, v34
	v_sub_f32_e32 v33, v31, v30
	v_pk_add_f32 v[36:37], v[30:31], v[32:33] neg_lo:[0,1] neg_hi:[0,1]
	v_mov_b32_e32 v35, v30
	v_pk_add_f32 v[30:31], v[36:37], v[34:35] neg_lo:[0,1] neg_hi:[0,1]
	v_add_f32_e32 v31, v41, v31
	v_add_f32_e32 v30, v30, v31
	;; [unrolled: 1-line block ×3, first 2 shown]
	v_mul_f32_e32 v41, v40, v31
	v_mul_f32_e32 v32, v39, v41
	v_fma_f32 v34, v41, v39, -v32
	v_fmac_f32_e32 v34, v41, v7
	v_sub_f32_e32 v7, v33, v31
	v_add_f32_e32 v7, v30, v7
	v_add_f32_e32 v30, v32, v34
	v_sub_f32_e32 v33, v31, v30
	v_pk_add_f32 v[36:37], v[30:31], v[32:33] neg_lo:[0,1] neg_hi:[0,1]
	v_mov_b32_e32 v35, v30
	v_pk_add_f32 v[30:31], v[36:37], v[34:35] neg_lo:[0,1] neg_hi:[0,1]
	v_add_f32_e32 v7, v7, v31
	v_add_f32_e32 v7, v30, v7
	;; [unrolled: 1-line block ×4, first 2 shown]
	v_sub_f32_e32 v31, v30, v42
	v_mul_f32_e32 v7, v40, v7
	v_sub_f32_e32 v31, v41, v31
	v_add_f32_e32 v7, v31, v7
	v_add_f32_e32 v33, v30, v7
	v_mul_f32_e32 v34, v33, v33
	v_mov_b32_e32 v32, 0x3ecc95a3
	v_fmac_f32_e32 v32, 0x3e9b6dac, v34
	v_mov_b32_e32 v31, 0x3f2aaada
	v_fmac_f32_e32 v31, v34, v32
	v_cvt_f32_i32_e32 v32, v38
	v_sub_f32_e32 v30, v33, v30
	v_sub_f32_e32 v7, v7, v30
	v_ldexp_f32 v35, v33, 1
	v_mul_f32_e32 v33, v33, v34
	v_mov_b32_e32 v30, 0x3f317218
	s_mov_b32 s2, 0x3f317218
	v_pk_mul_f32 v[30:31], v[32:33], v[30:31]
	v_fma_f32 v34, v32, s2, -v30
	v_fmac_f32_e32 v34, 0xb102e308, v32
	v_pk_add_f32 v[32:33], v[30:31], v[34:35]
	v_sub_f32_e32 v35, v33, v35
	v_ldexp_f32 v7, v7, 1
	v_sub_f32_e32 v35, v31, v35
	v_add_f32_e32 v37, v7, v35
	v_mov_b32_e32 v36, v30
	v_pk_add_f32 v[30:31], v[32:33], v[30:31] neg_lo:[0,1] neg_hi:[0,1]
	v_pk_add_f32 v[38:39], v[32:33], v[36:37]
	v_mov_b32_e32 v31, v39
	v_mov_b32_e32 v35, v32
	v_pk_add_f32 v[40:41], v[34:35], v[30:31] neg_lo:[0,1] neg_hi:[0,1]
	v_pk_add_f32 v[30:31], v[34:35], v[30:31]
	v_mov_b32_e32 v34, v31
	v_pk_add_f32 v[42:43], v[34:35], v[32:33] neg_lo:[0,1] neg_hi:[0,1]
	v_mov_b32_e32 v7, v42
	v_pk_add_f32 v[44:45], v[38:39], v[6:7] neg_lo:[0,1] neg_hi:[0,1]
	v_mov_b32_e32 v30, v39
	v_mov_b32_e32 v38, v33
	v_mov_b32_e32 v39, v42
	v_mov_b32_e32 v41, v31
	v_pk_add_f32 v[30:31], v[30:31], v[38:39] neg_lo:[0,1] neg_hi:[0,1]
	v_mov_b32_e32 v36, v37
	v_mov_b32_e32 v37, v32
	v_pk_add_f32 v[30:31], v[36:37], v[30:31] neg_lo:[0,1] neg_hi:[0,1]
	v_mov_b32_e32 v44, v40
	v_pk_add_f32 v[32:33], v[44:45], v[30:31]
	v_mov_b32_e32 v36, v33
	v_pk_add_f32 v[36:37], v[32:33], v[36:37]
	v_pk_add_f32 v[34:35], v[34:35], v[36:37]
	v_mov_b32_e32 v33, v34
	v_pk_add_f32 v[38:39], v[32:33], v[40:41] neg_lo:[0,1] neg_hi:[0,1]
	v_mov_b32_e32 v31, v36
	v_sub_f32_e32 v7, v32, v38
	v_pk_add_f32 v[30:31], v[30:31], v[38:39] neg_lo:[0,1] neg_hi:[0,1]
	v_sub_f32_e32 v7, v40, v7
	s_mov_b32 s3, 0x7f800000
	v_add_f32_e32 v7, v30, v7
	s_mov_b32 s2, 0x33800000
	v_add_f32_e32 v7, v7, v31
	v_cmp_eq_f32_e32 vcc, s3, v15
	v_cmp_lt_f32_e64 s[2:3], |v15|, s2
	v_add_f32_e32 v7, v34, v7
	s_or_b64 vcc, vcc, s[2:3]
	v_cndmask_b32_e32 v7, v7, v15, vcc
	v_add_f32_e32 v7, v29, v7
	v_cvt_f16_f32_e32 v31, v7
	v_cvt_f32_f16_e32 v15, v31
	v_mov_b32_e32 v7, v31
.LBB371_166:
	s_or_b64 exec, exec, s[0:1]
	v_max_f32_e32 v29, v27, v27
	v_max_f32_e32 v32, v15, v15
	v_min_f32_e32 v30, v32, v29
	v_cmp_u_f16_e32 vcc, v31, v31
	v_max_f32_e32 v29, v32, v29
	v_cndmask_b32_e32 v30, v30, v15, vcc
	v_cndmask_b32_e32 v29, v29, v15, vcc
	v_cndmask_b32_e64 v30, v30, v27, s[88:89]
	v_cndmask_b32_e64 v29, v29, v27, s[88:89]
	v_cmp_neq_f32_e32 vcc, v30, v29
	v_cmp_class_f32_e64 s[0:1], v30, s4
	s_or_b64 s[2:3], vcc, s[0:1]
	v_mov_b32_e32 v27, v7
	s_and_saveexec_b64 s[0:1], s[2:3]
	s_cbranch_execz .LBB371_168
; %bb.167:
	v_sub_f32_e32 v15, v30, v29
	s_mov_b32 s2, 0x3fb8aa3b
	v_mul_f32_e32 v27, 0x3fb8aa3b, v15
	v_fma_f32 v30, v15, s2, -v27
	v_rndne_f32_e32 v31, v27
	v_fmac_f32_e32 v30, 0x32a5705f, v15
	v_sub_f32_e32 v27, v27, v31
	v_add_f32_e32 v27, v27, v30
	v_exp_f32_e32 v27, v27
	v_cvt_i32_f32_e32 v30, v31
	s_mov_b32 s2, 0xc2ce8ed0
	v_cmp_ngt_f32_e32 vcc, s2, v15
	s_mov_b32 s2, 0x42b17218
	v_ldexp_f32 v27, v27, v30
	v_cndmask_b32_e32 v27, 0, v27, vcc
	v_mov_b32_e32 v30, 0x7f800000
	v_cmp_nlt_f32_e32 vcc, s2, v15
	v_cndmask_b32_e32 v27, v30, v27, vcc
	v_add_f32_e32 v15, 1.0, v27
	v_add_f32_e32 v30, -1.0, v15
	v_sub_f32_e32 v31, v30, v15
	v_add_f32_e32 v31, 1.0, v31
	v_sub_f32_e32 v30, v27, v30
	v_add_f32_e32 v32, v30, v31
	v_frexp_mant_f32_e32 v33, v15
	s_mov_b32 s2, 0x3f2aaaab
	v_cvt_f64_f32_e32 v[30:31], v15
	v_frexp_exp_i32_f64_e32 v30, v[30:31]
	v_cmp_gt_f32_e32 vcc, s2, v33
	v_subbrev_co_u32_e32 v38, vcc, 0, v30, vcc
	v_sub_u32_e32 v30, 0, v38
	v_ldexp_f32 v15, v15, v30
	v_ldexp_f32 v30, v32, v30
	v_add_f32_e32 v32, -1.0, v15
	v_add_f32_e32 v31, 1.0, v32
	v_sub_f32_e32 v31, v15, v31
	v_add_f32_e32 v33, v30, v31
	v_add_f32_e32 v31, 1.0, v15
	v_add_f32_e32 v34, -1.0, v31
	v_sub_f32_e32 v15, v15, v34
	v_add_f32_e32 v15, v30, v15
	v_add_f32_e32 v39, v31, v15
	v_rcp_f32_e32 v40, v39
	v_sub_f32_e32 v30, v31, v39
	v_add_f32_e32 v31, v32, v33
	v_add_f32_e32 v15, v15, v30
	v_mul_f32_e32 v42, v31, v40
	v_sub_f32_e32 v30, v32, v31
	v_mul_f32_e32 v32, v39, v42
	v_fma_f32 v34, v42, v39, -v32
	v_fmac_f32_e32 v34, v42, v15
	v_add_f32_e32 v41, v33, v30
	v_add_f32_e32 v30, v32, v34
	v_sub_f32_e32 v33, v31, v30
	v_pk_add_f32 v[36:37], v[30:31], v[32:33] neg_lo:[0,1] neg_hi:[0,1]
	v_mov_b32_e32 v35, v30
	v_pk_add_f32 v[30:31], v[36:37], v[34:35] neg_lo:[0,1] neg_hi:[0,1]
	v_add_f32_e32 v31, v41, v31
	v_add_f32_e32 v30, v30, v31
	;; [unrolled: 1-line block ×3, first 2 shown]
	v_mul_f32_e32 v41, v40, v31
	v_mul_f32_e32 v32, v39, v41
	v_fma_f32 v34, v41, v39, -v32
	v_fmac_f32_e32 v34, v41, v15
	v_sub_f32_e32 v15, v33, v31
	v_add_f32_e32 v15, v30, v15
	v_add_f32_e32 v30, v32, v34
	v_sub_f32_e32 v33, v31, v30
	v_pk_add_f32 v[36:37], v[30:31], v[32:33] neg_lo:[0,1] neg_hi:[0,1]
	v_mov_b32_e32 v35, v30
	v_pk_add_f32 v[30:31], v[36:37], v[34:35] neg_lo:[0,1] neg_hi:[0,1]
	v_add_f32_e32 v15, v15, v31
	v_add_f32_e32 v15, v30, v15
	;; [unrolled: 1-line block ×4, first 2 shown]
	v_sub_f32_e32 v31, v30, v42
	v_mul_f32_e32 v15, v40, v15
	v_sub_f32_e32 v31, v41, v31
	v_add_f32_e32 v15, v31, v15
	v_add_f32_e32 v33, v30, v15
	v_mul_f32_e32 v34, v33, v33
	v_mov_b32_e32 v32, 0x3ecc95a3
	v_fmac_f32_e32 v32, 0x3e9b6dac, v34
	v_mov_b32_e32 v31, 0x3f2aaada
	v_fmac_f32_e32 v31, v34, v32
	v_cvt_f32_i32_e32 v32, v38
	v_sub_f32_e32 v30, v33, v30
	v_sub_f32_e32 v15, v15, v30
	v_ldexp_f32 v35, v33, 1
	v_mul_f32_e32 v33, v33, v34
	v_mov_b32_e32 v30, 0x3f317218
	s_mov_b32 s2, 0x3f317218
	v_pk_mul_f32 v[30:31], v[32:33], v[30:31]
	v_fma_f32 v34, v32, s2, -v30
	v_fmac_f32_e32 v34, 0xb102e308, v32
	v_pk_add_f32 v[32:33], v[30:31], v[34:35]
	v_sub_f32_e32 v35, v33, v35
	v_ldexp_f32 v15, v15, 1
	v_sub_f32_e32 v35, v31, v35
	v_add_f32_e32 v37, v15, v35
	v_mov_b32_e32 v36, v30
	v_pk_add_f32 v[30:31], v[32:33], v[30:31] neg_lo:[0,1] neg_hi:[0,1]
	v_pk_add_f32 v[38:39], v[32:33], v[36:37]
	v_mov_b32_e32 v31, v39
	v_mov_b32_e32 v35, v32
	v_pk_add_f32 v[40:41], v[34:35], v[30:31] neg_lo:[0,1] neg_hi:[0,1]
	v_pk_add_f32 v[30:31], v[34:35], v[30:31]
	v_mov_b32_e32 v34, v31
	v_pk_add_f32 v[42:43], v[34:35], v[32:33] neg_lo:[0,1] neg_hi:[0,1]
	v_mov_b32_e32 v15, v42
	v_pk_add_f32 v[44:45], v[38:39], v[14:15] neg_lo:[0,1] neg_hi:[0,1]
	v_mov_b32_e32 v30, v39
	v_mov_b32_e32 v38, v33
	;; [unrolled: 1-line block ×4, first 2 shown]
	v_pk_add_f32 v[30:31], v[30:31], v[38:39] neg_lo:[0,1] neg_hi:[0,1]
	v_mov_b32_e32 v36, v37
	v_mov_b32_e32 v37, v32
	v_pk_add_f32 v[30:31], v[36:37], v[30:31] neg_lo:[0,1] neg_hi:[0,1]
	v_mov_b32_e32 v44, v40
	v_pk_add_f32 v[32:33], v[44:45], v[30:31]
	v_mov_b32_e32 v36, v33
	v_pk_add_f32 v[36:37], v[32:33], v[36:37]
	v_pk_add_f32 v[34:35], v[34:35], v[36:37]
	v_mov_b32_e32 v33, v34
	v_pk_add_f32 v[38:39], v[32:33], v[40:41] neg_lo:[0,1] neg_hi:[0,1]
	v_mov_b32_e32 v31, v36
	v_sub_f32_e32 v15, v32, v38
	v_pk_add_f32 v[30:31], v[30:31], v[38:39] neg_lo:[0,1] neg_hi:[0,1]
	v_sub_f32_e32 v15, v40, v15
	s_mov_b32 s3, 0x7f800000
	v_add_f32_e32 v15, v30, v15
	s_mov_b32 s2, 0x33800000
	v_add_f32_e32 v15, v15, v31
	v_cmp_eq_f32_e32 vcc, s3, v27
	v_cmp_lt_f32_e64 s[2:3], |v27|, s2
	v_add_f32_e32 v15, v34, v15
	s_or_b64 vcc, vcc, s[2:3]
	v_cndmask_b32_e32 v15, v15, v27, vcc
	v_add_f32_e32 v15, v29, v15
	v_cvt_f16_f32_e32 v31, v15
	v_cvt_f32_f16_e32 v15, v31
	v_mov_b32_e32 v27, v31
.LBB371_168:
	s_or_b64 exec, exec, s[0:1]
	v_max_f32_e32 v29, v8, v8
	v_max_f32_e32 v32, v15, v15
	v_min_f32_e32 v30, v32, v29
	v_cmp_u_f16_e32 vcc, v31, v31
	v_max_f32_e32 v29, v32, v29
	v_cndmask_b32_e32 v30, v30, v15, vcc
	v_cndmask_b32_e32 v29, v29, v15, vcc
	v_cndmask_b32_e64 v30, v30, v8, s[90:91]
	v_cndmask_b32_e64 v29, v29, v8, s[90:91]
	v_cmp_neq_f32_e32 vcc, v30, v29
	v_cmp_class_f32_e64 s[0:1], v30, s4
	s_or_b64 s[2:3], vcc, s[0:1]
	v_mov_b32_e32 v8, v27
	s_and_saveexec_b64 s[0:1], s[2:3]
	s_cbranch_execz .LBB371_170
; %bb.169:
	v_sub_f32_e32 v8, v30, v29
	s_mov_b32 s2, 0x3fb8aa3b
	v_mul_f32_e32 v15, 0x3fb8aa3b, v8
	v_fma_f32 v30, v8, s2, -v15
	v_rndne_f32_e32 v31, v15
	v_fmac_f32_e32 v30, 0x32a5705f, v8
	v_sub_f32_e32 v15, v15, v31
	v_add_f32_e32 v15, v15, v30
	v_exp_f32_e32 v15, v15
	v_cvt_i32_f32_e32 v30, v31
	s_mov_b32 s2, 0xc2ce8ed0
	v_cmp_ngt_f32_e32 vcc, s2, v8
	s_mov_b32 s2, 0x42b17218
	v_ldexp_f32 v15, v15, v30
	v_cndmask_b32_e32 v15, 0, v15, vcc
	v_mov_b32_e32 v30, 0x7f800000
	v_cmp_nlt_f32_e32 vcc, s2, v8
	v_cndmask_b32_e32 v44, v30, v15, vcc
	v_add_f32_e32 v8, 1.0, v44
	v_add_f32_e32 v15, -1.0, v8
	v_sub_f32_e32 v30, v15, v8
	v_add_f32_e32 v30, 1.0, v30
	v_sub_f32_e32 v15, v44, v15
	v_add_f32_e32 v15, v15, v30
	v_frexp_mant_f32_e32 v32, v8
	s_mov_b32 s2, 0x3f2aaaab
	v_cvt_f64_f32_e32 v[30:31], v8
	v_frexp_exp_i32_f64_e32 v30, v[30:31]
	v_cmp_gt_f32_e32 vcc, s2, v32
	v_subbrev_co_u32_e32 v38, vcc, 0, v30, vcc
	v_sub_u32_e32 v30, 0, v38
	v_ldexp_f32 v8, v8, v30
	v_ldexp_f32 v15, v15, v30
	v_add_f32_e32 v30, -1.0, v8
	v_add_f32_e32 v31, 1.0, v30
	v_sub_f32_e32 v31, v8, v31
	v_add_f32_e32 v32, v15, v31
	v_add_f32_e32 v31, 1.0, v8
	v_add_f32_e32 v33, -1.0, v31
	v_sub_f32_e32 v8, v8, v33
	v_add_f32_e32 v8, v15, v8
	v_add_f32_e32 v15, v31, v8
	v_rcp_f32_e32 v39, v15
	v_sub_f32_e32 v31, v31, v15
	v_add_f32_e32 v8, v8, v31
	v_add_f32_e32 v31, v30, v32
	v_sub_f32_e32 v30, v30, v31
	v_mul_f32_e32 v41, v31, v39
	v_add_f32_e32 v40, v32, v30
	v_mul_f32_e32 v32, v15, v41
	v_fma_f32 v34, v41, v15, -v32
	v_fmac_f32_e32 v34, v41, v8
	v_add_f32_e32 v30, v32, v34
	v_sub_f32_e32 v33, v31, v30
	v_pk_add_f32 v[36:37], v[30:31], v[32:33] neg_lo:[0,1] neg_hi:[0,1]
	v_mov_b32_e32 v35, v30
	v_pk_add_f32 v[30:31], v[36:37], v[34:35] neg_lo:[0,1] neg_hi:[0,1]
	v_add_f32_e32 v31, v40, v31
	v_add_f32_e32 v30, v30, v31
	v_add_f32_e32 v31, v33, v30
	v_mul_f32_e32 v40, v39, v31
	v_mul_f32_e32 v32, v15, v40
	v_fma_f32 v34, v40, v15, -v32
	v_fmac_f32_e32 v34, v40, v8
	v_sub_f32_e32 v8, v33, v31
	v_add_f32_e32 v8, v30, v8
	v_add_f32_e32 v30, v32, v34
	v_sub_f32_e32 v33, v31, v30
	v_pk_add_f32 v[36:37], v[30:31], v[32:33] neg_lo:[0,1] neg_hi:[0,1]
	v_mov_b32_e32 v35, v30
	v_pk_add_f32 v[30:31], v[36:37], v[34:35] neg_lo:[0,1] neg_hi:[0,1]
	v_add_f32_e32 v8, v8, v31
	v_add_f32_e32 v8, v30, v8
	;; [unrolled: 1-line block ×4, first 2 shown]
	v_sub_f32_e32 v30, v15, v41
	v_mul_f32_e32 v8, v39, v8
	v_sub_f32_e32 v30, v40, v30
	v_add_f32_e32 v8, v30, v8
	v_add_f32_e32 v30, v15, v8
	v_mul_f32_e32 v33, v30, v30
	v_mov_b32_e32 v32, 0x3ecc95a3
	v_fmac_f32_e32 v32, 0x3e9b6dac, v33
	v_mov_b32_e32 v31, 0x3f2aaada
	v_fmac_f32_e32 v31, v33, v32
	v_cvt_f32_i32_e32 v32, v38
	v_sub_f32_e32 v15, v30, v15
	v_ldexp_f32 v35, v30, 1
	v_mul_f32_e32 v33, v30, v33
	v_mov_b32_e32 v30, 0x3f317218
	s_mov_b32 s2, 0x3f317218
	v_pk_mul_f32 v[30:31], v[32:33], v[30:31]
	v_fma_f32 v34, v32, s2, -v30
	v_fmac_f32_e32 v34, 0xb102e308, v32
	v_pk_add_f32 v[32:33], v[30:31], v[34:35]
	v_sub_f32_e32 v8, v8, v15
	v_sub_f32_e32 v15, v33, v35
	v_ldexp_f32 v8, v8, 1
	v_sub_f32_e32 v15, v31, v15
	v_add_f32_e32 v37, v8, v15
	v_mov_b32_e32 v36, v30
	v_pk_add_f32 v[30:31], v[32:33], v[30:31] neg_lo:[0,1] neg_hi:[0,1]
	v_pk_add_f32 v[38:39], v[32:33], v[36:37]
	v_mov_b32_e32 v31, v39
	v_mov_b32_e32 v35, v32
	v_pk_add_f32 v[40:41], v[34:35], v[30:31] neg_lo:[0,1] neg_hi:[0,1]
	v_pk_add_f32 v[30:31], v[34:35], v[30:31]
	v_mov_b32_e32 v8, v31
	v_pk_add_f32 v[34:35], v[8:9], v[32:33] neg_lo:[0,1] neg_hi:[0,1]
	v_mov_b32_e32 v15, v34
	v_pk_add_f32 v[42:43], v[38:39], v[14:15] neg_lo:[0,1] neg_hi:[0,1]
	v_mov_b32_e32 v30, v39
	v_mov_b32_e32 v38, v33
	;; [unrolled: 1-line block ×4, first 2 shown]
	v_pk_add_f32 v[30:31], v[30:31], v[38:39] neg_lo:[0,1] neg_hi:[0,1]
	v_mov_b32_e32 v34, v37
	v_mov_b32_e32 v35, v32
	v_pk_add_f32 v[30:31], v[34:35], v[30:31] neg_lo:[0,1] neg_hi:[0,1]
	v_mov_b32_e32 v42, v40
	v_pk_add_f32 v[32:33], v[42:43], v[30:31]
	v_mov_b32_e32 v34, v33
	v_pk_add_f32 v[34:35], v[32:33], v[34:35]
	v_pk_add_f32 v[36:37], v[8:9], v[34:35]
	v_mov_b32_e32 v33, v36
	v_pk_add_f32 v[38:39], v[32:33], v[40:41] neg_lo:[0,1] neg_hi:[0,1]
	v_mov_b32_e32 v31, v34
	v_sub_f32_e32 v8, v32, v38
	v_pk_add_f32 v[30:31], v[30:31], v[38:39] neg_lo:[0,1] neg_hi:[0,1]
	v_sub_f32_e32 v8, v40, v8
	s_mov_b32 s3, 0x7f800000
	v_add_f32_e32 v8, v30, v8
	s_mov_b32 s2, 0x33800000
	v_add_f32_e32 v8, v8, v31
	v_cmp_eq_f32_e32 vcc, s3, v44
	v_cmp_lt_f32_e64 s[2:3], |v44|, s2
	v_add_f32_e32 v8, v36, v8
	s_or_b64 vcc, vcc, s[2:3]
	v_cndmask_b32_e32 v8, v8, v44, vcc
	v_add_f32_e32 v8, v29, v8
	v_cvt_f16_f32_e32 v31, v8
	v_cvt_f32_f16_e32 v15, v31
	v_mov_b32_e32 v8, v31
.LBB371_170:
	s_or_b64 exec, exec, s[0:1]
	v_max_f32_e32 v30, v28, v28
	v_max_f32_e32 v32, v15, v15
	v_min_f32_e32 v29, v32, v30
	v_cmp_u_f16_e32 vcc, v31, v31
	v_max_f32_e32 v30, v32, v30
	v_cndmask_b32_e32 v29, v29, v15, vcc
	v_cndmask_b32_e32 v15, v30, v15, vcc
	v_cndmask_b32_e64 v29, v29, v28, s[92:93]
	v_cndmask_b32_e64 v15, v15, v28, s[92:93]
	s_movk_i32 s0, 0x1f8
	v_cmp_neq_f32_e32 vcc, v29, v15
	v_cmp_class_f32_e64 s[0:1], v29, s0
	s_or_b64 s[2:3], vcc, s[0:1]
	v_mov_b32_e32 v28, v8
	s_and_saveexec_b64 s[0:1], s[2:3]
	s_cbranch_execz .LBB371_172
; %bb.171:
	v_sub_f32_e32 v28, v29, v15
	s_mov_b32 s2, 0x3fb8aa3b
	v_mul_f32_e32 v29, 0x3fb8aa3b, v28
	v_fma_f32 v30, v28, s2, -v29
	v_rndne_f32_e32 v31, v29
	v_fmac_f32_e32 v30, 0x32a5705f, v28
	v_sub_f32_e32 v29, v29, v31
	v_add_f32_e32 v29, v29, v30
	v_exp_f32_e32 v29, v29
	v_cvt_i32_f32_e32 v30, v31
	s_mov_b32 s2, 0xc2ce8ed0
	v_cmp_ngt_f32_e32 vcc, s2, v28
	s_mov_b32 s2, 0x42b17218
	v_ldexp_f32 v29, v29, v30
	v_cndmask_b32_e32 v29, 0, v29, vcc
	v_mov_b32_e32 v30, 0x7f800000
	v_cmp_nlt_f32_e32 vcc, s2, v28
	v_cndmask_b32_e32 v44, v30, v29, vcc
	v_add_f32_e32 v30, 1.0, v44
	v_add_f32_e32 v28, -1.0, v30
	v_sub_f32_e32 v29, v28, v30
	v_add_f32_e32 v29, 1.0, v29
	v_sub_f32_e32 v28, v44, v28
	v_add_f32_e32 v31, v28, v29
	v_frexp_mant_f32_e32 v32, v30
	s_mov_b32 s2, 0x3f2aaaab
	v_cvt_f64_f32_e32 v[28:29], v30
	v_frexp_exp_i32_f64_e32 v28, v[28:29]
	v_cmp_gt_f32_e32 vcc, s2, v32
	v_subbrev_co_u32_e32 v36, vcc, 0, v28, vcc
	v_sub_u32_e32 v28, 0, v36
	v_ldexp_f32 v29, v30, v28
	v_add_f32_e32 v30, -1.0, v29
	v_add_f32_e32 v32, 1.0, v29
	v_ldexp_f32 v28, v31, v28
	v_add_f32_e32 v31, 1.0, v30
	v_add_f32_e32 v33, -1.0, v32
	v_sub_f32_e32 v31, v29, v31
	v_sub_f32_e32 v29, v29, v33
	v_add_f32_e32 v31, v28, v31
	v_add_f32_e32 v28, v28, v29
	v_add_f32_e32 v37, v32, v28
	v_rcp_f32_e32 v39, v37
	v_sub_f32_e32 v29, v32, v37
	v_add_f32_e32 v38, v28, v29
	v_add_f32_e32 v29, v30, v31
	v_mul_f32_e32 v41, v29, v39
	v_sub_f32_e32 v28, v30, v29
	v_mul_f32_e32 v30, v37, v41
	v_fma_f32 v32, v41, v37, -v30
	v_fmac_f32_e32 v32, v41, v38
	v_add_f32_e32 v40, v31, v28
	v_add_f32_e32 v28, v30, v32
	v_sub_f32_e32 v31, v29, v28
	v_pk_add_f32 v[34:35], v[28:29], v[30:31] neg_lo:[0,1] neg_hi:[0,1]
	v_mov_b32_e32 v33, v28
	v_pk_add_f32 v[28:29], v[34:35], v[32:33] neg_lo:[0,1] neg_hi:[0,1]
	v_add_f32_e32 v29, v40, v29
	v_add_f32_e32 v28, v28, v29
	;; [unrolled: 1-line block ×3, first 2 shown]
	v_mul_f32_e32 v40, v39, v29
	v_mul_f32_e32 v30, v37, v40
	v_fma_f32 v32, v40, v37, -v30
	v_fmac_f32_e32 v32, v40, v38
	v_sub_f32_e32 v31, v31, v29
	v_add_f32_e32 v37, v28, v31
	v_add_f32_e32 v28, v30, v32
	v_sub_f32_e32 v31, v29, v28
	v_pk_add_f32 v[34:35], v[28:29], v[30:31] neg_lo:[0,1] neg_hi:[0,1]
	v_mov_b32_e32 v33, v28
	v_pk_add_f32 v[28:29], v[34:35], v[32:33] neg_lo:[0,1] neg_hi:[0,1]
	v_add_f32_e32 v29, v37, v29
	v_add_f32_e32 v28, v28, v29
	;; [unrolled: 1-line block ×4, first 2 shown]
	v_sub_f32_e32 v29, v31, v41
	v_mul_f32_e32 v28, v39, v28
	v_sub_f32_e32 v29, v40, v29
	v_add_f32_e32 v28, v29, v28
	v_add_f32_e32 v32, v31, v28
	v_mul_f32_e32 v34, v32, v32
	v_mov_b32_e32 v30, 0x3ecc95a3
	v_fmac_f32_e32 v30, 0x3e9b6dac, v34
	v_mov_b32_e32 v29, 0x3f2aaada
	v_fmac_f32_e32 v29, v34, v30
	v_cvt_f32_i32_e32 v30, v36
	v_sub_f32_e32 v31, v32, v31
	v_sub_f32_e32 v28, v28, v31
	v_ldexp_f32 v35, v28, 1
	v_mul_f32_e32 v31, v32, v34
	v_mov_b32_e32 v28, 0x3f317218
	s_mov_b32 s2, 0x3f317218
	v_pk_mul_f32 v[28:29], v[30:31], v[28:29]
	v_ldexp_f32 v33, v32, 1
	v_fma_f32 v32, v30, s2, -v28
	v_fmac_f32_e32 v32, 0xb102e308, v30
	v_pk_add_f32 v[30:31], v[28:29], v[32:33]
	v_sub_f32_e32 v33, v31, v33
	v_sub_f32_e32 v33, v29, v33
	v_add_f32_e32 v35, v35, v33
	v_mov_b32_e32 v34, v28
	v_pk_add_f32 v[28:29], v[30:31], v[28:29] neg_lo:[0,1] neg_hi:[0,1]
	v_pk_add_f32 v[36:37], v[30:31], v[34:35]
	v_mov_b32_e32 v29, v37
	v_mov_b32_e32 v33, v30
	v_pk_add_f32 v[38:39], v[32:33], v[28:29] neg_lo:[0,1] neg_hi:[0,1]
	v_pk_add_f32 v[28:29], v[32:33], v[28:29]
	v_mov_b32_e32 v32, v29
	v_pk_add_f32 v[40:41], v[32:33], v[30:31] neg_lo:[0,1] neg_hi:[0,1]
	v_mov_b32_e32 v33, v40
	v_pk_add_f32 v[42:43], v[36:37], v[32:33] neg_lo:[0,1] neg_hi:[0,1]
	v_mov_b32_e32 v28, v37
	v_mov_b32_e32 v36, v31
	;; [unrolled: 1-line block ×4, first 2 shown]
	v_pk_add_f32 v[28:29], v[28:29], v[36:37] neg_lo:[0,1] neg_hi:[0,1]
	v_mov_b32_e32 v34, v35
	v_mov_b32_e32 v35, v30
	v_pk_add_f32 v[28:29], v[34:35], v[28:29] neg_lo:[0,1] neg_hi:[0,1]
	v_mov_b32_e32 v42, v38
	v_pk_add_f32 v[30:31], v[42:43], v[28:29]
	v_mov_b32_e32 v34, v31
	v_pk_add_f32 v[34:35], v[30:31], v[34:35]
	v_pk_add_f32 v[32:33], v[32:33], v[34:35]
	v_mov_b32_e32 v31, v32
	v_pk_add_f32 v[36:37], v[30:31], v[38:39] neg_lo:[0,1] neg_hi:[0,1]
	v_mov_b32_e32 v29, v34
	v_sub_f32_e32 v30, v30, v36
	v_pk_add_f32 v[28:29], v[28:29], v[36:37] neg_lo:[0,1] neg_hi:[0,1]
	v_sub_f32_e32 v30, v38, v30
	s_mov_b32 s3, 0x7f800000
	v_add_f32_e32 v28, v28, v30
	s_mov_b32 s2, 0x33800000
	v_add_f32_e32 v28, v28, v29
	v_cmp_eq_f32_e32 vcc, s3, v44
	v_cmp_lt_f32_e64 s[2:3], |v44|, s2
	v_add_f32_e32 v28, v32, v28
	s_or_b64 vcc, vcc, s[2:3]
	v_cndmask_b32_e32 v28, v28, v44, vcc
	v_add_f32_e32 v15, v15, v28
	v_cvt_f16_f32_e32 v28, v15
.LBB371_172:
	s_or_b64 exec, exec, s[0:1]
	s_mov_b32 s0, 0x5040100
	v_add_u32_e32 v9, v14, v9
	v_perm_b32 v33, v20, v4, s0
	v_perm_b32 v32, v19, v3, s0
	;; [unrolled: 1-line block ×12, first 2 shown]
	s_waitcnt lgkmcnt(0)
	; wave barrier
	ds_write_b128 v9, v[30:33]
	ds_write_b128 v9, v[16:19] offset:16
	ds_write_b128 v9, v[2:5] offset:32
	s_waitcnt lgkmcnt(0)
	; wave barrier
	s_waitcnt lgkmcnt(0)
	ds_read_u16 v25, v14 offset:128
	ds_read_u16 v24, v14 offset:256
	;; [unrolled: 1-line block ×23, first 2 shown]
	v_readlane_b32 s0, v51, 8
	v_lshlrev_b64 v[0:1], 1, v[0:1]
	v_readlane_b32 s1, v51, 9
	v_mov_b32_e32 v26, s1
	v_add_co_u32_e32 v0, vcc, s0, v0
	v_addc_co_u32_e32 v1, vcc, v26, v1, vcc
	s_mov_b64 s[0:1], exec
	v_readlane_b32 s2, v51, 0
	v_readlane_b32 s3, v51, 1
	s_and_b64 s[2:3], s[0:1], s[2:3]
	s_mov_b64 exec, s[2:3]
	s_cbranch_execz .LBB371_174
; %bb.173:
	ds_read_u16 v14, v14
	s_waitcnt lgkmcnt(0)
	global_store_short v[0:1], v14, off
.LBB371_174:
	s_or_b64 exec, exec, s[0:1]
	s_mov_b64 s[0:1], exec
	v_readlane_b32 s2, v51, 2
	v_readlane_b32 s3, v51, 3
	s_and_b64 s[2:3], s[0:1], s[2:3]
	s_mov_b64 exec, s[2:3]
	s_cbranch_execz .LBB371_176
; %bb.175:
	s_waitcnt lgkmcnt(14)
	global_store_short v[0:1], v25, off offset:128
.LBB371_176:
	s_or_b64 exec, exec, s[0:1]
	s_mov_b64 s[0:1], exec
	v_readlane_b32 s2, v51, 4
	v_readlane_b32 s3, v51, 5
	s_and_b64 s[2:3], s[0:1], s[2:3]
	s_mov_b64 exec, s[2:3]
	s_cbranch_execnz .LBB371_201
; %bb.177:
	s_or_b64 exec, exec, s[0:1]
	s_and_saveexec_b64 s[0:1], s[46:47]
	s_cbranch_execnz .LBB371_202
.LBB371_178:
	s_or_b64 exec, exec, s[0:1]
	s_and_saveexec_b64 s[0:1], s[6:7]
	s_cbranch_execnz .LBB371_203
.LBB371_179:
	s_or_b64 exec, exec, s[0:1]
	s_and_saveexec_b64 s[0:1], s[8:9]
	s_cbranch_execnz .LBB371_204
.LBB371_180:
	s_or_b64 exec, exec, s[0:1]
	s_and_saveexec_b64 s[0:1], s[10:11]
	s_cbranch_execnz .LBB371_205
.LBB371_181:
	s_or_b64 exec, exec, s[0:1]
	s_and_saveexec_b64 s[0:1], s[12:13]
	s_cbranch_execnz .LBB371_206
.LBB371_182:
	s_or_b64 exec, exec, s[0:1]
	s_and_saveexec_b64 s[0:1], s[14:15]
	s_cbranch_execnz .LBB371_207
.LBB371_183:
	s_or_b64 exec, exec, s[0:1]
	s_and_saveexec_b64 s[0:1], s[16:17]
	s_cbranch_execnz .LBB371_208
.LBB371_184:
	s_or_b64 exec, exec, s[0:1]
	s_and_saveexec_b64 s[0:1], s[18:19]
	s_cbranch_execnz .LBB371_209
.LBB371_185:
	s_or_b64 exec, exec, s[0:1]
	s_and_saveexec_b64 s[0:1], s[20:21]
	s_cbranch_execnz .LBB371_210
.LBB371_186:
	s_or_b64 exec, exec, s[0:1]
	s_and_saveexec_b64 s[0:1], s[22:23]
	s_cbranch_execnz .LBB371_211
.LBB371_187:
	s_or_b64 exec, exec, s[0:1]
	s_and_saveexec_b64 s[0:1], s[24:25]
	s_cbranch_execnz .LBB371_212
.LBB371_188:
	s_or_b64 exec, exec, s[0:1]
	s_and_saveexec_b64 s[0:1], s[26:27]
	s_cbranch_execnz .LBB371_213
.LBB371_189:
	s_or_b64 exec, exec, s[0:1]
	s_and_saveexec_b64 s[0:1], s[28:29]
	s_cbranch_execnz .LBB371_214
.LBB371_190:
	s_or_b64 exec, exec, s[0:1]
	s_and_saveexec_b64 s[0:1], s[30:31]
	s_cbranch_execnz .LBB371_215
.LBB371_191:
	s_or_b64 exec, exec, s[0:1]
	s_and_saveexec_b64 s[0:1], s[34:35]
	s_cbranch_execnz .LBB371_216
.LBB371_192:
	s_or_b64 exec, exec, s[0:1]
	s_and_saveexec_b64 s[0:1], s[36:37]
	s_cbranch_execnz .LBB371_217
.LBB371_193:
	s_or_b64 exec, exec, s[0:1]
	s_and_saveexec_b64 s[0:1], s[38:39]
	s_cbranch_execnz .LBB371_218
.LBB371_194:
	s_or_b64 exec, exec, s[0:1]
	s_and_saveexec_b64 s[0:1], s[40:41]
	s_cbranch_execnz .LBB371_219
.LBB371_195:
	s_or_b64 exec, exec, s[0:1]
	s_and_saveexec_b64 s[0:1], s[42:43]
	s_cbranch_execnz .LBB371_220
.LBB371_196:
	s_or_b64 exec, exec, s[0:1]
	s_and_saveexec_b64 s[0:1], s[44:45]
	s_cbranch_execz .LBB371_198
.LBB371_197:
	s_waitcnt lgkmcnt(1)
	global_store_short v[0:1], v3, off offset:2816
.LBB371_198:
	s_or_b64 exec, exec, s[0:1]
	v_readlane_b32 s2, v51, 6
	v_readlane_b32 s3, v51, 7
	s_and_saveexec_b64 s[0:1], s[2:3]
	s_cbranch_execz .LBB371_200
; %bb.199:
	s_waitcnt lgkmcnt(0)
	global_store_short v[0:1], v2, off offset:2944
.LBB371_200:
	s_endpgm
.LBB371_201:
	s_waitcnt lgkmcnt(14)
	global_store_short v[0:1], v24, off offset:256
	s_or_b64 exec, exec, s[0:1]
	s_and_saveexec_b64 s[0:1], s[46:47]
	s_cbranch_execz .LBB371_178
.LBB371_202:
	s_waitcnt lgkmcnt(14)
	global_store_short v[0:1], v23, off offset:384
	s_or_b64 exec, exec, s[0:1]
	s_and_saveexec_b64 s[0:1], s[6:7]
	s_cbranch_execz .LBB371_179
.LBB371_203:
	s_waitcnt lgkmcnt(14)
	global_store_short v[0:1], v22, off offset:512
	s_or_b64 exec, exec, s[0:1]
	s_and_saveexec_b64 s[0:1], s[8:9]
	s_cbranch_execz .LBB371_180
.LBB371_204:
	s_waitcnt lgkmcnt(14)
	global_store_short v[0:1], v21, off offset:640
	s_or_b64 exec, exec, s[0:1]
	s_and_saveexec_b64 s[0:1], s[10:11]
	s_cbranch_execz .LBB371_181
.LBB371_205:
	s_waitcnt lgkmcnt(14)
	global_store_short v[0:1], v20, off offset:768
	s_or_b64 exec, exec, s[0:1]
	s_and_saveexec_b64 s[0:1], s[12:13]
	s_cbranch_execz .LBB371_182
.LBB371_206:
	s_waitcnt lgkmcnt(14)
	global_store_short v[0:1], v19, off offset:896
	s_or_b64 exec, exec, s[0:1]
	s_and_saveexec_b64 s[0:1], s[14:15]
	s_cbranch_execz .LBB371_183
.LBB371_207:
	s_waitcnt lgkmcnt(14)
	global_store_short v[0:1], v18, off offset:1024
	s_or_b64 exec, exec, s[0:1]
	s_and_saveexec_b64 s[0:1], s[16:17]
	s_cbranch_execz .LBB371_184
.LBB371_208:
	s_waitcnt lgkmcnt(14)
	global_store_short v[0:1], v17, off offset:1152
	s_or_b64 exec, exec, s[0:1]
	s_and_saveexec_b64 s[0:1], s[18:19]
	s_cbranch_execz .LBB371_185
.LBB371_209:
	s_waitcnt lgkmcnt(13)
	global_store_short v[0:1], v16, off offset:1280
	s_or_b64 exec, exec, s[0:1]
	s_and_saveexec_b64 s[0:1], s[20:21]
	s_cbranch_execz .LBB371_186
.LBB371_210:
	s_waitcnt lgkmcnt(12)
	global_store_short v[0:1], v15, off offset:1408
	s_or_b64 exec, exec, s[0:1]
	s_and_saveexec_b64 s[0:1], s[22:23]
	s_cbranch_execz .LBB371_187
.LBB371_211:
	s_waitcnt lgkmcnt(11)
	global_store_short v[0:1], v13, off offset:1536
	s_or_b64 exec, exec, s[0:1]
	s_and_saveexec_b64 s[0:1], s[24:25]
	s_cbranch_execz .LBB371_188
.LBB371_212:
	s_waitcnt lgkmcnt(10)
	global_store_short v[0:1], v12, off offset:1664
	s_or_b64 exec, exec, s[0:1]
	s_and_saveexec_b64 s[0:1], s[26:27]
	s_cbranch_execz .LBB371_189
.LBB371_213:
	s_waitcnt lgkmcnt(9)
	global_store_short v[0:1], v11, off offset:1792
	s_or_b64 exec, exec, s[0:1]
	s_and_saveexec_b64 s[0:1], s[28:29]
	s_cbranch_execz .LBB371_190
.LBB371_214:
	s_waitcnt lgkmcnt(8)
	global_store_short v[0:1], v10, off offset:1920
	s_or_b64 exec, exec, s[0:1]
	s_and_saveexec_b64 s[0:1], s[30:31]
	s_cbranch_execz .LBB371_191
.LBB371_215:
	s_waitcnt lgkmcnt(7)
	global_store_short v[0:1], v9, off offset:2048
	s_or_b64 exec, exec, s[0:1]
	s_and_saveexec_b64 s[0:1], s[34:35]
	s_cbranch_execz .LBB371_192
.LBB371_216:
	s_waitcnt lgkmcnt(6)
	global_store_short v[0:1], v8, off offset:2176
	s_or_b64 exec, exec, s[0:1]
	s_and_saveexec_b64 s[0:1], s[36:37]
	s_cbranch_execz .LBB371_193
.LBB371_217:
	s_waitcnt lgkmcnt(5)
	global_store_short v[0:1], v7, off offset:2304
	s_or_b64 exec, exec, s[0:1]
	s_and_saveexec_b64 s[0:1], s[38:39]
	s_cbranch_execz .LBB371_194
.LBB371_218:
	s_waitcnt lgkmcnt(4)
	global_store_short v[0:1], v6, off offset:2432
	s_or_b64 exec, exec, s[0:1]
	s_and_saveexec_b64 s[0:1], s[40:41]
	s_cbranch_execz .LBB371_195
.LBB371_219:
	s_waitcnt lgkmcnt(3)
	global_store_short v[0:1], v5, off offset:2560
	s_or_b64 exec, exec, s[0:1]
	s_and_saveexec_b64 s[0:1], s[42:43]
	s_cbranch_execz .LBB371_196
.LBB371_220:
	s_waitcnt lgkmcnt(2)
	global_store_short v[0:1], v4, off offset:2688
	s_or_b64 exec, exec, s[0:1]
	s_and_saveexec_b64 s[0:1], s[44:45]
	s_cbranch_execnz .LBB371_197
	s_branch .LBB371_198
	.section	.rodata,"a",@progbits
	.p2align	6, 0x0
	.amdhsa_kernel _ZN7rocprim17ROCPRIM_400000_NS6detail17trampoline_kernelINS0_14default_configENS1_20scan_config_selectorIN3c104HalfEEEZZNS1_9scan_implILNS1_25lookback_scan_determinismE0ELb0ELb0ES3_PKS6_PS6_S6_ZZZN2at6native31launch_logcumsumexp_cuda_kernelERKNSD_10TensorBaseESH_lENKUlvE_clEvENKUlvE3_clEvEUlS6_S6_E_S6_EEDaPvRmT3_T4_T5_mT6_P12ihipStream_tbENKUlT_T0_E_clISt17integral_constantIbLb0EESY_EEDaST_SU_EUlST_E0_NS1_11comp_targetILNS1_3genE4ELNS1_11target_archE910ELNS1_3gpuE8ELNS1_3repE0EEENS1_30default_config_static_selectorELNS0_4arch9wavefront6targetE1EEEvT1_
		.amdhsa_group_segment_fixed_size 3072
		.amdhsa_private_segment_fixed_size 0
		.amdhsa_kernarg_size 32
		.amdhsa_user_sgpr_count 6
		.amdhsa_user_sgpr_private_segment_buffer 1
		.amdhsa_user_sgpr_dispatch_ptr 0
		.amdhsa_user_sgpr_queue_ptr 0
		.amdhsa_user_sgpr_kernarg_segment_ptr 1
		.amdhsa_user_sgpr_dispatch_id 0
		.amdhsa_user_sgpr_flat_scratch_init 0
		.amdhsa_user_sgpr_kernarg_preload_length 0
		.amdhsa_user_sgpr_kernarg_preload_offset 0
		.amdhsa_user_sgpr_private_segment_size 0
		.amdhsa_uses_dynamic_stack 0
		.amdhsa_system_sgpr_private_segment_wavefront_offset 0
		.amdhsa_system_sgpr_workgroup_id_x 1
		.amdhsa_system_sgpr_workgroup_id_y 0
		.amdhsa_system_sgpr_workgroup_id_z 0
		.amdhsa_system_sgpr_workgroup_info 0
		.amdhsa_system_vgpr_workitem_id 0
		.amdhsa_next_free_vgpr 52
		.amdhsa_next_free_sgpr 96
		.amdhsa_accum_offset 52
		.amdhsa_reserve_vcc 1
		.amdhsa_reserve_flat_scratch 0
		.amdhsa_float_round_mode_32 0
		.amdhsa_float_round_mode_16_64 0
		.amdhsa_float_denorm_mode_32 3
		.amdhsa_float_denorm_mode_16_64 3
		.amdhsa_dx10_clamp 1
		.amdhsa_ieee_mode 1
		.amdhsa_fp16_overflow 0
		.amdhsa_tg_split 0
		.amdhsa_exception_fp_ieee_invalid_op 0
		.amdhsa_exception_fp_denorm_src 0
		.amdhsa_exception_fp_ieee_div_zero 0
		.amdhsa_exception_fp_ieee_overflow 0
		.amdhsa_exception_fp_ieee_underflow 0
		.amdhsa_exception_fp_ieee_inexact 0
		.amdhsa_exception_int_div_zero 0
	.end_amdhsa_kernel
	.section	.text._ZN7rocprim17ROCPRIM_400000_NS6detail17trampoline_kernelINS0_14default_configENS1_20scan_config_selectorIN3c104HalfEEEZZNS1_9scan_implILNS1_25lookback_scan_determinismE0ELb0ELb0ES3_PKS6_PS6_S6_ZZZN2at6native31launch_logcumsumexp_cuda_kernelERKNSD_10TensorBaseESH_lENKUlvE_clEvENKUlvE3_clEvEUlS6_S6_E_S6_EEDaPvRmT3_T4_T5_mT6_P12ihipStream_tbENKUlT_T0_E_clISt17integral_constantIbLb0EESY_EEDaST_SU_EUlST_E0_NS1_11comp_targetILNS1_3genE4ELNS1_11target_archE910ELNS1_3gpuE8ELNS1_3repE0EEENS1_30default_config_static_selectorELNS0_4arch9wavefront6targetE1EEEvT1_,"axG",@progbits,_ZN7rocprim17ROCPRIM_400000_NS6detail17trampoline_kernelINS0_14default_configENS1_20scan_config_selectorIN3c104HalfEEEZZNS1_9scan_implILNS1_25lookback_scan_determinismE0ELb0ELb0ES3_PKS6_PS6_S6_ZZZN2at6native31launch_logcumsumexp_cuda_kernelERKNSD_10TensorBaseESH_lENKUlvE_clEvENKUlvE3_clEvEUlS6_S6_E_S6_EEDaPvRmT3_T4_T5_mT6_P12ihipStream_tbENKUlT_T0_E_clISt17integral_constantIbLb0EESY_EEDaST_SU_EUlST_E0_NS1_11comp_targetILNS1_3genE4ELNS1_11target_archE910ELNS1_3gpuE8ELNS1_3repE0EEENS1_30default_config_static_selectorELNS0_4arch9wavefront6targetE1EEEvT1_,comdat
.Lfunc_end371:
	.size	_ZN7rocprim17ROCPRIM_400000_NS6detail17trampoline_kernelINS0_14default_configENS1_20scan_config_selectorIN3c104HalfEEEZZNS1_9scan_implILNS1_25lookback_scan_determinismE0ELb0ELb0ES3_PKS6_PS6_S6_ZZZN2at6native31launch_logcumsumexp_cuda_kernelERKNSD_10TensorBaseESH_lENKUlvE_clEvENKUlvE3_clEvEUlS6_S6_E_S6_EEDaPvRmT3_T4_T5_mT6_P12ihipStream_tbENKUlT_T0_E_clISt17integral_constantIbLb0EESY_EEDaST_SU_EUlST_E0_NS1_11comp_targetILNS1_3genE4ELNS1_11target_archE910ELNS1_3gpuE8ELNS1_3repE0EEENS1_30default_config_static_selectorELNS0_4arch9wavefront6targetE1EEEvT1_, .Lfunc_end371-_ZN7rocprim17ROCPRIM_400000_NS6detail17trampoline_kernelINS0_14default_configENS1_20scan_config_selectorIN3c104HalfEEEZZNS1_9scan_implILNS1_25lookback_scan_determinismE0ELb0ELb0ES3_PKS6_PS6_S6_ZZZN2at6native31launch_logcumsumexp_cuda_kernelERKNSD_10TensorBaseESH_lENKUlvE_clEvENKUlvE3_clEvEUlS6_S6_E_S6_EEDaPvRmT3_T4_T5_mT6_P12ihipStream_tbENKUlT_T0_E_clISt17integral_constantIbLb0EESY_EEDaST_SU_EUlST_E0_NS1_11comp_targetILNS1_3genE4ELNS1_11target_archE910ELNS1_3gpuE8ELNS1_3repE0EEENS1_30default_config_static_selectorELNS0_4arch9wavefront6targetE1EEEvT1_
                                        ; -- End function
	.section	.AMDGPU.csdata,"",@progbits
; Kernel info:
; codeLenInByte = 47852
; NumSgprs: 100
; NumVgprs: 52
; NumAgprs: 0
; TotalNumVgprs: 52
; ScratchSize: 0
; MemoryBound: 0
; FloatMode: 240
; IeeeMode: 1
; LDSByteSize: 3072 bytes/workgroup (compile time only)
; SGPRBlocks: 12
; VGPRBlocks: 6
; NumSGPRsForWavesPerEU: 100
; NumVGPRsForWavesPerEU: 52
; AccumOffset: 52
; Occupancy: 6
; WaveLimiterHint : 0
; COMPUTE_PGM_RSRC2:SCRATCH_EN: 0
; COMPUTE_PGM_RSRC2:USER_SGPR: 6
; COMPUTE_PGM_RSRC2:TRAP_HANDLER: 0
; COMPUTE_PGM_RSRC2:TGID_X_EN: 1
; COMPUTE_PGM_RSRC2:TGID_Y_EN: 0
; COMPUTE_PGM_RSRC2:TGID_Z_EN: 0
; COMPUTE_PGM_RSRC2:TIDIG_COMP_CNT: 0
; COMPUTE_PGM_RSRC3_GFX90A:ACCUM_OFFSET: 12
; COMPUTE_PGM_RSRC3_GFX90A:TG_SPLIT: 0
	.section	.text._ZN7rocprim17ROCPRIM_400000_NS6detail17trampoline_kernelINS0_14default_configENS1_20scan_config_selectorIN3c104HalfEEEZZNS1_9scan_implILNS1_25lookback_scan_determinismE0ELb0ELb0ES3_PKS6_PS6_S6_ZZZN2at6native31launch_logcumsumexp_cuda_kernelERKNSD_10TensorBaseESH_lENKUlvE_clEvENKUlvE3_clEvEUlS6_S6_E_S6_EEDaPvRmT3_T4_T5_mT6_P12ihipStream_tbENKUlT_T0_E_clISt17integral_constantIbLb0EESY_EEDaST_SU_EUlST_E0_NS1_11comp_targetILNS1_3genE3ELNS1_11target_archE908ELNS1_3gpuE7ELNS1_3repE0EEENS1_30default_config_static_selectorELNS0_4arch9wavefront6targetE1EEEvT1_,"axG",@progbits,_ZN7rocprim17ROCPRIM_400000_NS6detail17trampoline_kernelINS0_14default_configENS1_20scan_config_selectorIN3c104HalfEEEZZNS1_9scan_implILNS1_25lookback_scan_determinismE0ELb0ELb0ES3_PKS6_PS6_S6_ZZZN2at6native31launch_logcumsumexp_cuda_kernelERKNSD_10TensorBaseESH_lENKUlvE_clEvENKUlvE3_clEvEUlS6_S6_E_S6_EEDaPvRmT3_T4_T5_mT6_P12ihipStream_tbENKUlT_T0_E_clISt17integral_constantIbLb0EESY_EEDaST_SU_EUlST_E0_NS1_11comp_targetILNS1_3genE3ELNS1_11target_archE908ELNS1_3gpuE7ELNS1_3repE0EEENS1_30default_config_static_selectorELNS0_4arch9wavefront6targetE1EEEvT1_,comdat
	.globl	_ZN7rocprim17ROCPRIM_400000_NS6detail17trampoline_kernelINS0_14default_configENS1_20scan_config_selectorIN3c104HalfEEEZZNS1_9scan_implILNS1_25lookback_scan_determinismE0ELb0ELb0ES3_PKS6_PS6_S6_ZZZN2at6native31launch_logcumsumexp_cuda_kernelERKNSD_10TensorBaseESH_lENKUlvE_clEvENKUlvE3_clEvEUlS6_S6_E_S6_EEDaPvRmT3_T4_T5_mT6_P12ihipStream_tbENKUlT_T0_E_clISt17integral_constantIbLb0EESY_EEDaST_SU_EUlST_E0_NS1_11comp_targetILNS1_3genE3ELNS1_11target_archE908ELNS1_3gpuE7ELNS1_3repE0EEENS1_30default_config_static_selectorELNS0_4arch9wavefront6targetE1EEEvT1_ ; -- Begin function _ZN7rocprim17ROCPRIM_400000_NS6detail17trampoline_kernelINS0_14default_configENS1_20scan_config_selectorIN3c104HalfEEEZZNS1_9scan_implILNS1_25lookback_scan_determinismE0ELb0ELb0ES3_PKS6_PS6_S6_ZZZN2at6native31launch_logcumsumexp_cuda_kernelERKNSD_10TensorBaseESH_lENKUlvE_clEvENKUlvE3_clEvEUlS6_S6_E_S6_EEDaPvRmT3_T4_T5_mT6_P12ihipStream_tbENKUlT_T0_E_clISt17integral_constantIbLb0EESY_EEDaST_SU_EUlST_E0_NS1_11comp_targetILNS1_3genE3ELNS1_11target_archE908ELNS1_3gpuE7ELNS1_3repE0EEENS1_30default_config_static_selectorELNS0_4arch9wavefront6targetE1EEEvT1_
	.p2align	8
	.type	_ZN7rocprim17ROCPRIM_400000_NS6detail17trampoline_kernelINS0_14default_configENS1_20scan_config_selectorIN3c104HalfEEEZZNS1_9scan_implILNS1_25lookback_scan_determinismE0ELb0ELb0ES3_PKS6_PS6_S6_ZZZN2at6native31launch_logcumsumexp_cuda_kernelERKNSD_10TensorBaseESH_lENKUlvE_clEvENKUlvE3_clEvEUlS6_S6_E_S6_EEDaPvRmT3_T4_T5_mT6_P12ihipStream_tbENKUlT_T0_E_clISt17integral_constantIbLb0EESY_EEDaST_SU_EUlST_E0_NS1_11comp_targetILNS1_3genE3ELNS1_11target_archE908ELNS1_3gpuE7ELNS1_3repE0EEENS1_30default_config_static_selectorELNS0_4arch9wavefront6targetE1EEEvT1_,@function
_ZN7rocprim17ROCPRIM_400000_NS6detail17trampoline_kernelINS0_14default_configENS1_20scan_config_selectorIN3c104HalfEEEZZNS1_9scan_implILNS1_25lookback_scan_determinismE0ELb0ELb0ES3_PKS6_PS6_S6_ZZZN2at6native31launch_logcumsumexp_cuda_kernelERKNSD_10TensorBaseESH_lENKUlvE_clEvENKUlvE3_clEvEUlS6_S6_E_S6_EEDaPvRmT3_T4_T5_mT6_P12ihipStream_tbENKUlT_T0_E_clISt17integral_constantIbLb0EESY_EEDaST_SU_EUlST_E0_NS1_11comp_targetILNS1_3genE3ELNS1_11target_archE908ELNS1_3gpuE7ELNS1_3repE0EEENS1_30default_config_static_selectorELNS0_4arch9wavefront6targetE1EEEvT1_: ; @_ZN7rocprim17ROCPRIM_400000_NS6detail17trampoline_kernelINS0_14default_configENS1_20scan_config_selectorIN3c104HalfEEEZZNS1_9scan_implILNS1_25lookback_scan_determinismE0ELb0ELb0ES3_PKS6_PS6_S6_ZZZN2at6native31launch_logcumsumexp_cuda_kernelERKNSD_10TensorBaseESH_lENKUlvE_clEvENKUlvE3_clEvEUlS6_S6_E_S6_EEDaPvRmT3_T4_T5_mT6_P12ihipStream_tbENKUlT_T0_E_clISt17integral_constantIbLb0EESY_EEDaST_SU_EUlST_E0_NS1_11comp_targetILNS1_3genE3ELNS1_11target_archE908ELNS1_3gpuE7ELNS1_3repE0EEENS1_30default_config_static_selectorELNS0_4arch9wavefront6targetE1EEEvT1_
; %bb.0:
	.section	.rodata,"a",@progbits
	.p2align	6, 0x0
	.amdhsa_kernel _ZN7rocprim17ROCPRIM_400000_NS6detail17trampoline_kernelINS0_14default_configENS1_20scan_config_selectorIN3c104HalfEEEZZNS1_9scan_implILNS1_25lookback_scan_determinismE0ELb0ELb0ES3_PKS6_PS6_S6_ZZZN2at6native31launch_logcumsumexp_cuda_kernelERKNSD_10TensorBaseESH_lENKUlvE_clEvENKUlvE3_clEvEUlS6_S6_E_S6_EEDaPvRmT3_T4_T5_mT6_P12ihipStream_tbENKUlT_T0_E_clISt17integral_constantIbLb0EESY_EEDaST_SU_EUlST_E0_NS1_11comp_targetILNS1_3genE3ELNS1_11target_archE908ELNS1_3gpuE7ELNS1_3repE0EEENS1_30default_config_static_selectorELNS0_4arch9wavefront6targetE1EEEvT1_
		.amdhsa_group_segment_fixed_size 0
		.amdhsa_private_segment_fixed_size 0
		.amdhsa_kernarg_size 32
		.amdhsa_user_sgpr_count 6
		.amdhsa_user_sgpr_private_segment_buffer 1
		.amdhsa_user_sgpr_dispatch_ptr 0
		.amdhsa_user_sgpr_queue_ptr 0
		.amdhsa_user_sgpr_kernarg_segment_ptr 1
		.amdhsa_user_sgpr_dispatch_id 0
		.amdhsa_user_sgpr_flat_scratch_init 0
		.amdhsa_user_sgpr_kernarg_preload_length 0
		.amdhsa_user_sgpr_kernarg_preload_offset 0
		.amdhsa_user_sgpr_private_segment_size 0
		.amdhsa_uses_dynamic_stack 0
		.amdhsa_system_sgpr_private_segment_wavefront_offset 0
		.amdhsa_system_sgpr_workgroup_id_x 1
		.amdhsa_system_sgpr_workgroup_id_y 0
		.amdhsa_system_sgpr_workgroup_id_z 0
		.amdhsa_system_sgpr_workgroup_info 0
		.amdhsa_system_vgpr_workitem_id 0
		.amdhsa_next_free_vgpr 1
		.amdhsa_next_free_sgpr 0
		.amdhsa_accum_offset 4
		.amdhsa_reserve_vcc 0
		.amdhsa_reserve_flat_scratch 0
		.amdhsa_float_round_mode_32 0
		.amdhsa_float_round_mode_16_64 0
		.amdhsa_float_denorm_mode_32 3
		.amdhsa_float_denorm_mode_16_64 3
		.amdhsa_dx10_clamp 1
		.amdhsa_ieee_mode 1
		.amdhsa_fp16_overflow 0
		.amdhsa_tg_split 0
		.amdhsa_exception_fp_ieee_invalid_op 0
		.amdhsa_exception_fp_denorm_src 0
		.amdhsa_exception_fp_ieee_div_zero 0
		.amdhsa_exception_fp_ieee_overflow 0
		.amdhsa_exception_fp_ieee_underflow 0
		.amdhsa_exception_fp_ieee_inexact 0
		.amdhsa_exception_int_div_zero 0
	.end_amdhsa_kernel
	.section	.text._ZN7rocprim17ROCPRIM_400000_NS6detail17trampoline_kernelINS0_14default_configENS1_20scan_config_selectorIN3c104HalfEEEZZNS1_9scan_implILNS1_25lookback_scan_determinismE0ELb0ELb0ES3_PKS6_PS6_S6_ZZZN2at6native31launch_logcumsumexp_cuda_kernelERKNSD_10TensorBaseESH_lENKUlvE_clEvENKUlvE3_clEvEUlS6_S6_E_S6_EEDaPvRmT3_T4_T5_mT6_P12ihipStream_tbENKUlT_T0_E_clISt17integral_constantIbLb0EESY_EEDaST_SU_EUlST_E0_NS1_11comp_targetILNS1_3genE3ELNS1_11target_archE908ELNS1_3gpuE7ELNS1_3repE0EEENS1_30default_config_static_selectorELNS0_4arch9wavefront6targetE1EEEvT1_,"axG",@progbits,_ZN7rocprim17ROCPRIM_400000_NS6detail17trampoline_kernelINS0_14default_configENS1_20scan_config_selectorIN3c104HalfEEEZZNS1_9scan_implILNS1_25lookback_scan_determinismE0ELb0ELb0ES3_PKS6_PS6_S6_ZZZN2at6native31launch_logcumsumexp_cuda_kernelERKNSD_10TensorBaseESH_lENKUlvE_clEvENKUlvE3_clEvEUlS6_S6_E_S6_EEDaPvRmT3_T4_T5_mT6_P12ihipStream_tbENKUlT_T0_E_clISt17integral_constantIbLb0EESY_EEDaST_SU_EUlST_E0_NS1_11comp_targetILNS1_3genE3ELNS1_11target_archE908ELNS1_3gpuE7ELNS1_3repE0EEENS1_30default_config_static_selectorELNS0_4arch9wavefront6targetE1EEEvT1_,comdat
.Lfunc_end372:
	.size	_ZN7rocprim17ROCPRIM_400000_NS6detail17trampoline_kernelINS0_14default_configENS1_20scan_config_selectorIN3c104HalfEEEZZNS1_9scan_implILNS1_25lookback_scan_determinismE0ELb0ELb0ES3_PKS6_PS6_S6_ZZZN2at6native31launch_logcumsumexp_cuda_kernelERKNSD_10TensorBaseESH_lENKUlvE_clEvENKUlvE3_clEvEUlS6_S6_E_S6_EEDaPvRmT3_T4_T5_mT6_P12ihipStream_tbENKUlT_T0_E_clISt17integral_constantIbLb0EESY_EEDaST_SU_EUlST_E0_NS1_11comp_targetILNS1_3genE3ELNS1_11target_archE908ELNS1_3gpuE7ELNS1_3repE0EEENS1_30default_config_static_selectorELNS0_4arch9wavefront6targetE1EEEvT1_, .Lfunc_end372-_ZN7rocprim17ROCPRIM_400000_NS6detail17trampoline_kernelINS0_14default_configENS1_20scan_config_selectorIN3c104HalfEEEZZNS1_9scan_implILNS1_25lookback_scan_determinismE0ELb0ELb0ES3_PKS6_PS6_S6_ZZZN2at6native31launch_logcumsumexp_cuda_kernelERKNSD_10TensorBaseESH_lENKUlvE_clEvENKUlvE3_clEvEUlS6_S6_E_S6_EEDaPvRmT3_T4_T5_mT6_P12ihipStream_tbENKUlT_T0_E_clISt17integral_constantIbLb0EESY_EEDaST_SU_EUlST_E0_NS1_11comp_targetILNS1_3genE3ELNS1_11target_archE908ELNS1_3gpuE7ELNS1_3repE0EEENS1_30default_config_static_selectorELNS0_4arch9wavefront6targetE1EEEvT1_
                                        ; -- End function
	.section	.AMDGPU.csdata,"",@progbits
; Kernel info:
; codeLenInByte = 0
; NumSgprs: 4
; NumVgprs: 0
; NumAgprs: 0
; TotalNumVgprs: 0
; ScratchSize: 0
; MemoryBound: 0
; FloatMode: 240
; IeeeMode: 1
; LDSByteSize: 0 bytes/workgroup (compile time only)
; SGPRBlocks: 0
; VGPRBlocks: 0
; NumSGPRsForWavesPerEU: 4
; NumVGPRsForWavesPerEU: 1
; AccumOffset: 4
; Occupancy: 8
; WaveLimiterHint : 0
; COMPUTE_PGM_RSRC2:SCRATCH_EN: 0
; COMPUTE_PGM_RSRC2:USER_SGPR: 6
; COMPUTE_PGM_RSRC2:TRAP_HANDLER: 0
; COMPUTE_PGM_RSRC2:TGID_X_EN: 1
; COMPUTE_PGM_RSRC2:TGID_Y_EN: 0
; COMPUTE_PGM_RSRC2:TGID_Z_EN: 0
; COMPUTE_PGM_RSRC2:TIDIG_COMP_CNT: 0
; COMPUTE_PGM_RSRC3_GFX90A:ACCUM_OFFSET: 0
; COMPUTE_PGM_RSRC3_GFX90A:TG_SPLIT: 0
	.section	.text._ZN7rocprim17ROCPRIM_400000_NS6detail17trampoline_kernelINS0_14default_configENS1_20scan_config_selectorIN3c104HalfEEEZZNS1_9scan_implILNS1_25lookback_scan_determinismE0ELb0ELb0ES3_PKS6_PS6_S6_ZZZN2at6native31launch_logcumsumexp_cuda_kernelERKNSD_10TensorBaseESH_lENKUlvE_clEvENKUlvE3_clEvEUlS6_S6_E_S6_EEDaPvRmT3_T4_T5_mT6_P12ihipStream_tbENKUlT_T0_E_clISt17integral_constantIbLb0EESY_EEDaST_SU_EUlST_E0_NS1_11comp_targetILNS1_3genE2ELNS1_11target_archE906ELNS1_3gpuE6ELNS1_3repE0EEENS1_30default_config_static_selectorELNS0_4arch9wavefront6targetE1EEEvT1_,"axG",@progbits,_ZN7rocprim17ROCPRIM_400000_NS6detail17trampoline_kernelINS0_14default_configENS1_20scan_config_selectorIN3c104HalfEEEZZNS1_9scan_implILNS1_25lookback_scan_determinismE0ELb0ELb0ES3_PKS6_PS6_S6_ZZZN2at6native31launch_logcumsumexp_cuda_kernelERKNSD_10TensorBaseESH_lENKUlvE_clEvENKUlvE3_clEvEUlS6_S6_E_S6_EEDaPvRmT3_T4_T5_mT6_P12ihipStream_tbENKUlT_T0_E_clISt17integral_constantIbLb0EESY_EEDaST_SU_EUlST_E0_NS1_11comp_targetILNS1_3genE2ELNS1_11target_archE906ELNS1_3gpuE6ELNS1_3repE0EEENS1_30default_config_static_selectorELNS0_4arch9wavefront6targetE1EEEvT1_,comdat
	.globl	_ZN7rocprim17ROCPRIM_400000_NS6detail17trampoline_kernelINS0_14default_configENS1_20scan_config_selectorIN3c104HalfEEEZZNS1_9scan_implILNS1_25lookback_scan_determinismE0ELb0ELb0ES3_PKS6_PS6_S6_ZZZN2at6native31launch_logcumsumexp_cuda_kernelERKNSD_10TensorBaseESH_lENKUlvE_clEvENKUlvE3_clEvEUlS6_S6_E_S6_EEDaPvRmT3_T4_T5_mT6_P12ihipStream_tbENKUlT_T0_E_clISt17integral_constantIbLb0EESY_EEDaST_SU_EUlST_E0_NS1_11comp_targetILNS1_3genE2ELNS1_11target_archE906ELNS1_3gpuE6ELNS1_3repE0EEENS1_30default_config_static_selectorELNS0_4arch9wavefront6targetE1EEEvT1_ ; -- Begin function _ZN7rocprim17ROCPRIM_400000_NS6detail17trampoline_kernelINS0_14default_configENS1_20scan_config_selectorIN3c104HalfEEEZZNS1_9scan_implILNS1_25lookback_scan_determinismE0ELb0ELb0ES3_PKS6_PS6_S6_ZZZN2at6native31launch_logcumsumexp_cuda_kernelERKNSD_10TensorBaseESH_lENKUlvE_clEvENKUlvE3_clEvEUlS6_S6_E_S6_EEDaPvRmT3_T4_T5_mT6_P12ihipStream_tbENKUlT_T0_E_clISt17integral_constantIbLb0EESY_EEDaST_SU_EUlST_E0_NS1_11comp_targetILNS1_3genE2ELNS1_11target_archE906ELNS1_3gpuE6ELNS1_3repE0EEENS1_30default_config_static_selectorELNS0_4arch9wavefront6targetE1EEEvT1_
	.p2align	8
	.type	_ZN7rocprim17ROCPRIM_400000_NS6detail17trampoline_kernelINS0_14default_configENS1_20scan_config_selectorIN3c104HalfEEEZZNS1_9scan_implILNS1_25lookback_scan_determinismE0ELb0ELb0ES3_PKS6_PS6_S6_ZZZN2at6native31launch_logcumsumexp_cuda_kernelERKNSD_10TensorBaseESH_lENKUlvE_clEvENKUlvE3_clEvEUlS6_S6_E_S6_EEDaPvRmT3_T4_T5_mT6_P12ihipStream_tbENKUlT_T0_E_clISt17integral_constantIbLb0EESY_EEDaST_SU_EUlST_E0_NS1_11comp_targetILNS1_3genE2ELNS1_11target_archE906ELNS1_3gpuE6ELNS1_3repE0EEENS1_30default_config_static_selectorELNS0_4arch9wavefront6targetE1EEEvT1_,@function
_ZN7rocprim17ROCPRIM_400000_NS6detail17trampoline_kernelINS0_14default_configENS1_20scan_config_selectorIN3c104HalfEEEZZNS1_9scan_implILNS1_25lookback_scan_determinismE0ELb0ELb0ES3_PKS6_PS6_S6_ZZZN2at6native31launch_logcumsumexp_cuda_kernelERKNSD_10TensorBaseESH_lENKUlvE_clEvENKUlvE3_clEvEUlS6_S6_E_S6_EEDaPvRmT3_T4_T5_mT6_P12ihipStream_tbENKUlT_T0_E_clISt17integral_constantIbLb0EESY_EEDaST_SU_EUlST_E0_NS1_11comp_targetILNS1_3genE2ELNS1_11target_archE906ELNS1_3gpuE6ELNS1_3repE0EEENS1_30default_config_static_selectorELNS0_4arch9wavefront6targetE1EEEvT1_: ; @_ZN7rocprim17ROCPRIM_400000_NS6detail17trampoline_kernelINS0_14default_configENS1_20scan_config_selectorIN3c104HalfEEEZZNS1_9scan_implILNS1_25lookback_scan_determinismE0ELb0ELb0ES3_PKS6_PS6_S6_ZZZN2at6native31launch_logcumsumexp_cuda_kernelERKNSD_10TensorBaseESH_lENKUlvE_clEvENKUlvE3_clEvEUlS6_S6_E_S6_EEDaPvRmT3_T4_T5_mT6_P12ihipStream_tbENKUlT_T0_E_clISt17integral_constantIbLb0EESY_EEDaST_SU_EUlST_E0_NS1_11comp_targetILNS1_3genE2ELNS1_11target_archE906ELNS1_3gpuE6ELNS1_3repE0EEENS1_30default_config_static_selectorELNS0_4arch9wavefront6targetE1EEEvT1_
; %bb.0:
	.section	.rodata,"a",@progbits
	.p2align	6, 0x0
	.amdhsa_kernel _ZN7rocprim17ROCPRIM_400000_NS6detail17trampoline_kernelINS0_14default_configENS1_20scan_config_selectorIN3c104HalfEEEZZNS1_9scan_implILNS1_25lookback_scan_determinismE0ELb0ELb0ES3_PKS6_PS6_S6_ZZZN2at6native31launch_logcumsumexp_cuda_kernelERKNSD_10TensorBaseESH_lENKUlvE_clEvENKUlvE3_clEvEUlS6_S6_E_S6_EEDaPvRmT3_T4_T5_mT6_P12ihipStream_tbENKUlT_T0_E_clISt17integral_constantIbLb0EESY_EEDaST_SU_EUlST_E0_NS1_11comp_targetILNS1_3genE2ELNS1_11target_archE906ELNS1_3gpuE6ELNS1_3repE0EEENS1_30default_config_static_selectorELNS0_4arch9wavefront6targetE1EEEvT1_
		.amdhsa_group_segment_fixed_size 0
		.amdhsa_private_segment_fixed_size 0
		.amdhsa_kernarg_size 32
		.amdhsa_user_sgpr_count 6
		.amdhsa_user_sgpr_private_segment_buffer 1
		.amdhsa_user_sgpr_dispatch_ptr 0
		.amdhsa_user_sgpr_queue_ptr 0
		.amdhsa_user_sgpr_kernarg_segment_ptr 1
		.amdhsa_user_sgpr_dispatch_id 0
		.amdhsa_user_sgpr_flat_scratch_init 0
		.amdhsa_user_sgpr_kernarg_preload_length 0
		.amdhsa_user_sgpr_kernarg_preload_offset 0
		.amdhsa_user_sgpr_private_segment_size 0
		.amdhsa_uses_dynamic_stack 0
		.amdhsa_system_sgpr_private_segment_wavefront_offset 0
		.amdhsa_system_sgpr_workgroup_id_x 1
		.amdhsa_system_sgpr_workgroup_id_y 0
		.amdhsa_system_sgpr_workgroup_id_z 0
		.amdhsa_system_sgpr_workgroup_info 0
		.amdhsa_system_vgpr_workitem_id 0
		.amdhsa_next_free_vgpr 1
		.amdhsa_next_free_sgpr 0
		.amdhsa_accum_offset 4
		.amdhsa_reserve_vcc 0
		.amdhsa_reserve_flat_scratch 0
		.amdhsa_float_round_mode_32 0
		.amdhsa_float_round_mode_16_64 0
		.amdhsa_float_denorm_mode_32 3
		.amdhsa_float_denorm_mode_16_64 3
		.amdhsa_dx10_clamp 1
		.amdhsa_ieee_mode 1
		.amdhsa_fp16_overflow 0
		.amdhsa_tg_split 0
		.amdhsa_exception_fp_ieee_invalid_op 0
		.amdhsa_exception_fp_denorm_src 0
		.amdhsa_exception_fp_ieee_div_zero 0
		.amdhsa_exception_fp_ieee_overflow 0
		.amdhsa_exception_fp_ieee_underflow 0
		.amdhsa_exception_fp_ieee_inexact 0
		.amdhsa_exception_int_div_zero 0
	.end_amdhsa_kernel
	.section	.text._ZN7rocprim17ROCPRIM_400000_NS6detail17trampoline_kernelINS0_14default_configENS1_20scan_config_selectorIN3c104HalfEEEZZNS1_9scan_implILNS1_25lookback_scan_determinismE0ELb0ELb0ES3_PKS6_PS6_S6_ZZZN2at6native31launch_logcumsumexp_cuda_kernelERKNSD_10TensorBaseESH_lENKUlvE_clEvENKUlvE3_clEvEUlS6_S6_E_S6_EEDaPvRmT3_T4_T5_mT6_P12ihipStream_tbENKUlT_T0_E_clISt17integral_constantIbLb0EESY_EEDaST_SU_EUlST_E0_NS1_11comp_targetILNS1_3genE2ELNS1_11target_archE906ELNS1_3gpuE6ELNS1_3repE0EEENS1_30default_config_static_selectorELNS0_4arch9wavefront6targetE1EEEvT1_,"axG",@progbits,_ZN7rocprim17ROCPRIM_400000_NS6detail17trampoline_kernelINS0_14default_configENS1_20scan_config_selectorIN3c104HalfEEEZZNS1_9scan_implILNS1_25lookback_scan_determinismE0ELb0ELb0ES3_PKS6_PS6_S6_ZZZN2at6native31launch_logcumsumexp_cuda_kernelERKNSD_10TensorBaseESH_lENKUlvE_clEvENKUlvE3_clEvEUlS6_S6_E_S6_EEDaPvRmT3_T4_T5_mT6_P12ihipStream_tbENKUlT_T0_E_clISt17integral_constantIbLb0EESY_EEDaST_SU_EUlST_E0_NS1_11comp_targetILNS1_3genE2ELNS1_11target_archE906ELNS1_3gpuE6ELNS1_3repE0EEENS1_30default_config_static_selectorELNS0_4arch9wavefront6targetE1EEEvT1_,comdat
.Lfunc_end373:
	.size	_ZN7rocprim17ROCPRIM_400000_NS6detail17trampoline_kernelINS0_14default_configENS1_20scan_config_selectorIN3c104HalfEEEZZNS1_9scan_implILNS1_25lookback_scan_determinismE0ELb0ELb0ES3_PKS6_PS6_S6_ZZZN2at6native31launch_logcumsumexp_cuda_kernelERKNSD_10TensorBaseESH_lENKUlvE_clEvENKUlvE3_clEvEUlS6_S6_E_S6_EEDaPvRmT3_T4_T5_mT6_P12ihipStream_tbENKUlT_T0_E_clISt17integral_constantIbLb0EESY_EEDaST_SU_EUlST_E0_NS1_11comp_targetILNS1_3genE2ELNS1_11target_archE906ELNS1_3gpuE6ELNS1_3repE0EEENS1_30default_config_static_selectorELNS0_4arch9wavefront6targetE1EEEvT1_, .Lfunc_end373-_ZN7rocprim17ROCPRIM_400000_NS6detail17trampoline_kernelINS0_14default_configENS1_20scan_config_selectorIN3c104HalfEEEZZNS1_9scan_implILNS1_25lookback_scan_determinismE0ELb0ELb0ES3_PKS6_PS6_S6_ZZZN2at6native31launch_logcumsumexp_cuda_kernelERKNSD_10TensorBaseESH_lENKUlvE_clEvENKUlvE3_clEvEUlS6_S6_E_S6_EEDaPvRmT3_T4_T5_mT6_P12ihipStream_tbENKUlT_T0_E_clISt17integral_constantIbLb0EESY_EEDaST_SU_EUlST_E0_NS1_11comp_targetILNS1_3genE2ELNS1_11target_archE906ELNS1_3gpuE6ELNS1_3repE0EEENS1_30default_config_static_selectorELNS0_4arch9wavefront6targetE1EEEvT1_
                                        ; -- End function
	.section	.AMDGPU.csdata,"",@progbits
; Kernel info:
; codeLenInByte = 0
; NumSgprs: 4
; NumVgprs: 0
; NumAgprs: 0
; TotalNumVgprs: 0
; ScratchSize: 0
; MemoryBound: 0
; FloatMode: 240
; IeeeMode: 1
; LDSByteSize: 0 bytes/workgroup (compile time only)
; SGPRBlocks: 0
; VGPRBlocks: 0
; NumSGPRsForWavesPerEU: 4
; NumVGPRsForWavesPerEU: 1
; AccumOffset: 4
; Occupancy: 8
; WaveLimiterHint : 0
; COMPUTE_PGM_RSRC2:SCRATCH_EN: 0
; COMPUTE_PGM_RSRC2:USER_SGPR: 6
; COMPUTE_PGM_RSRC2:TRAP_HANDLER: 0
; COMPUTE_PGM_RSRC2:TGID_X_EN: 1
; COMPUTE_PGM_RSRC2:TGID_Y_EN: 0
; COMPUTE_PGM_RSRC2:TGID_Z_EN: 0
; COMPUTE_PGM_RSRC2:TIDIG_COMP_CNT: 0
; COMPUTE_PGM_RSRC3_GFX90A:ACCUM_OFFSET: 0
; COMPUTE_PGM_RSRC3_GFX90A:TG_SPLIT: 0
	.section	.text._ZN7rocprim17ROCPRIM_400000_NS6detail17trampoline_kernelINS0_14default_configENS1_20scan_config_selectorIN3c104HalfEEEZZNS1_9scan_implILNS1_25lookback_scan_determinismE0ELb0ELb0ES3_PKS6_PS6_S6_ZZZN2at6native31launch_logcumsumexp_cuda_kernelERKNSD_10TensorBaseESH_lENKUlvE_clEvENKUlvE3_clEvEUlS6_S6_E_S6_EEDaPvRmT3_T4_T5_mT6_P12ihipStream_tbENKUlT_T0_E_clISt17integral_constantIbLb0EESY_EEDaST_SU_EUlST_E0_NS1_11comp_targetILNS1_3genE10ELNS1_11target_archE1201ELNS1_3gpuE5ELNS1_3repE0EEENS1_30default_config_static_selectorELNS0_4arch9wavefront6targetE1EEEvT1_,"axG",@progbits,_ZN7rocprim17ROCPRIM_400000_NS6detail17trampoline_kernelINS0_14default_configENS1_20scan_config_selectorIN3c104HalfEEEZZNS1_9scan_implILNS1_25lookback_scan_determinismE0ELb0ELb0ES3_PKS6_PS6_S6_ZZZN2at6native31launch_logcumsumexp_cuda_kernelERKNSD_10TensorBaseESH_lENKUlvE_clEvENKUlvE3_clEvEUlS6_S6_E_S6_EEDaPvRmT3_T4_T5_mT6_P12ihipStream_tbENKUlT_T0_E_clISt17integral_constantIbLb0EESY_EEDaST_SU_EUlST_E0_NS1_11comp_targetILNS1_3genE10ELNS1_11target_archE1201ELNS1_3gpuE5ELNS1_3repE0EEENS1_30default_config_static_selectorELNS0_4arch9wavefront6targetE1EEEvT1_,comdat
	.globl	_ZN7rocprim17ROCPRIM_400000_NS6detail17trampoline_kernelINS0_14default_configENS1_20scan_config_selectorIN3c104HalfEEEZZNS1_9scan_implILNS1_25lookback_scan_determinismE0ELb0ELb0ES3_PKS6_PS6_S6_ZZZN2at6native31launch_logcumsumexp_cuda_kernelERKNSD_10TensorBaseESH_lENKUlvE_clEvENKUlvE3_clEvEUlS6_S6_E_S6_EEDaPvRmT3_T4_T5_mT6_P12ihipStream_tbENKUlT_T0_E_clISt17integral_constantIbLb0EESY_EEDaST_SU_EUlST_E0_NS1_11comp_targetILNS1_3genE10ELNS1_11target_archE1201ELNS1_3gpuE5ELNS1_3repE0EEENS1_30default_config_static_selectorELNS0_4arch9wavefront6targetE1EEEvT1_ ; -- Begin function _ZN7rocprim17ROCPRIM_400000_NS6detail17trampoline_kernelINS0_14default_configENS1_20scan_config_selectorIN3c104HalfEEEZZNS1_9scan_implILNS1_25lookback_scan_determinismE0ELb0ELb0ES3_PKS6_PS6_S6_ZZZN2at6native31launch_logcumsumexp_cuda_kernelERKNSD_10TensorBaseESH_lENKUlvE_clEvENKUlvE3_clEvEUlS6_S6_E_S6_EEDaPvRmT3_T4_T5_mT6_P12ihipStream_tbENKUlT_T0_E_clISt17integral_constantIbLb0EESY_EEDaST_SU_EUlST_E0_NS1_11comp_targetILNS1_3genE10ELNS1_11target_archE1201ELNS1_3gpuE5ELNS1_3repE0EEENS1_30default_config_static_selectorELNS0_4arch9wavefront6targetE1EEEvT1_
	.p2align	8
	.type	_ZN7rocprim17ROCPRIM_400000_NS6detail17trampoline_kernelINS0_14default_configENS1_20scan_config_selectorIN3c104HalfEEEZZNS1_9scan_implILNS1_25lookback_scan_determinismE0ELb0ELb0ES3_PKS6_PS6_S6_ZZZN2at6native31launch_logcumsumexp_cuda_kernelERKNSD_10TensorBaseESH_lENKUlvE_clEvENKUlvE3_clEvEUlS6_S6_E_S6_EEDaPvRmT3_T4_T5_mT6_P12ihipStream_tbENKUlT_T0_E_clISt17integral_constantIbLb0EESY_EEDaST_SU_EUlST_E0_NS1_11comp_targetILNS1_3genE10ELNS1_11target_archE1201ELNS1_3gpuE5ELNS1_3repE0EEENS1_30default_config_static_selectorELNS0_4arch9wavefront6targetE1EEEvT1_,@function
_ZN7rocprim17ROCPRIM_400000_NS6detail17trampoline_kernelINS0_14default_configENS1_20scan_config_selectorIN3c104HalfEEEZZNS1_9scan_implILNS1_25lookback_scan_determinismE0ELb0ELb0ES3_PKS6_PS6_S6_ZZZN2at6native31launch_logcumsumexp_cuda_kernelERKNSD_10TensorBaseESH_lENKUlvE_clEvENKUlvE3_clEvEUlS6_S6_E_S6_EEDaPvRmT3_T4_T5_mT6_P12ihipStream_tbENKUlT_T0_E_clISt17integral_constantIbLb0EESY_EEDaST_SU_EUlST_E0_NS1_11comp_targetILNS1_3genE10ELNS1_11target_archE1201ELNS1_3gpuE5ELNS1_3repE0EEENS1_30default_config_static_selectorELNS0_4arch9wavefront6targetE1EEEvT1_: ; @_ZN7rocprim17ROCPRIM_400000_NS6detail17trampoline_kernelINS0_14default_configENS1_20scan_config_selectorIN3c104HalfEEEZZNS1_9scan_implILNS1_25lookback_scan_determinismE0ELb0ELb0ES3_PKS6_PS6_S6_ZZZN2at6native31launch_logcumsumexp_cuda_kernelERKNSD_10TensorBaseESH_lENKUlvE_clEvENKUlvE3_clEvEUlS6_S6_E_S6_EEDaPvRmT3_T4_T5_mT6_P12ihipStream_tbENKUlT_T0_E_clISt17integral_constantIbLb0EESY_EEDaST_SU_EUlST_E0_NS1_11comp_targetILNS1_3genE10ELNS1_11target_archE1201ELNS1_3gpuE5ELNS1_3repE0EEENS1_30default_config_static_selectorELNS0_4arch9wavefront6targetE1EEEvT1_
; %bb.0:
	.section	.rodata,"a",@progbits
	.p2align	6, 0x0
	.amdhsa_kernel _ZN7rocprim17ROCPRIM_400000_NS6detail17trampoline_kernelINS0_14default_configENS1_20scan_config_selectorIN3c104HalfEEEZZNS1_9scan_implILNS1_25lookback_scan_determinismE0ELb0ELb0ES3_PKS6_PS6_S6_ZZZN2at6native31launch_logcumsumexp_cuda_kernelERKNSD_10TensorBaseESH_lENKUlvE_clEvENKUlvE3_clEvEUlS6_S6_E_S6_EEDaPvRmT3_T4_T5_mT6_P12ihipStream_tbENKUlT_T0_E_clISt17integral_constantIbLb0EESY_EEDaST_SU_EUlST_E0_NS1_11comp_targetILNS1_3genE10ELNS1_11target_archE1201ELNS1_3gpuE5ELNS1_3repE0EEENS1_30default_config_static_selectorELNS0_4arch9wavefront6targetE1EEEvT1_
		.amdhsa_group_segment_fixed_size 0
		.amdhsa_private_segment_fixed_size 0
		.amdhsa_kernarg_size 32
		.amdhsa_user_sgpr_count 6
		.amdhsa_user_sgpr_private_segment_buffer 1
		.amdhsa_user_sgpr_dispatch_ptr 0
		.amdhsa_user_sgpr_queue_ptr 0
		.amdhsa_user_sgpr_kernarg_segment_ptr 1
		.amdhsa_user_sgpr_dispatch_id 0
		.amdhsa_user_sgpr_flat_scratch_init 0
		.amdhsa_user_sgpr_kernarg_preload_length 0
		.amdhsa_user_sgpr_kernarg_preload_offset 0
		.amdhsa_user_sgpr_private_segment_size 0
		.amdhsa_uses_dynamic_stack 0
		.amdhsa_system_sgpr_private_segment_wavefront_offset 0
		.amdhsa_system_sgpr_workgroup_id_x 1
		.amdhsa_system_sgpr_workgroup_id_y 0
		.amdhsa_system_sgpr_workgroup_id_z 0
		.amdhsa_system_sgpr_workgroup_info 0
		.amdhsa_system_vgpr_workitem_id 0
		.amdhsa_next_free_vgpr 1
		.amdhsa_next_free_sgpr 0
		.amdhsa_accum_offset 4
		.amdhsa_reserve_vcc 0
		.amdhsa_reserve_flat_scratch 0
		.amdhsa_float_round_mode_32 0
		.amdhsa_float_round_mode_16_64 0
		.amdhsa_float_denorm_mode_32 3
		.amdhsa_float_denorm_mode_16_64 3
		.amdhsa_dx10_clamp 1
		.amdhsa_ieee_mode 1
		.amdhsa_fp16_overflow 0
		.amdhsa_tg_split 0
		.amdhsa_exception_fp_ieee_invalid_op 0
		.amdhsa_exception_fp_denorm_src 0
		.amdhsa_exception_fp_ieee_div_zero 0
		.amdhsa_exception_fp_ieee_overflow 0
		.amdhsa_exception_fp_ieee_underflow 0
		.amdhsa_exception_fp_ieee_inexact 0
		.amdhsa_exception_int_div_zero 0
	.end_amdhsa_kernel
	.section	.text._ZN7rocprim17ROCPRIM_400000_NS6detail17trampoline_kernelINS0_14default_configENS1_20scan_config_selectorIN3c104HalfEEEZZNS1_9scan_implILNS1_25lookback_scan_determinismE0ELb0ELb0ES3_PKS6_PS6_S6_ZZZN2at6native31launch_logcumsumexp_cuda_kernelERKNSD_10TensorBaseESH_lENKUlvE_clEvENKUlvE3_clEvEUlS6_S6_E_S6_EEDaPvRmT3_T4_T5_mT6_P12ihipStream_tbENKUlT_T0_E_clISt17integral_constantIbLb0EESY_EEDaST_SU_EUlST_E0_NS1_11comp_targetILNS1_3genE10ELNS1_11target_archE1201ELNS1_3gpuE5ELNS1_3repE0EEENS1_30default_config_static_selectorELNS0_4arch9wavefront6targetE1EEEvT1_,"axG",@progbits,_ZN7rocprim17ROCPRIM_400000_NS6detail17trampoline_kernelINS0_14default_configENS1_20scan_config_selectorIN3c104HalfEEEZZNS1_9scan_implILNS1_25lookback_scan_determinismE0ELb0ELb0ES3_PKS6_PS6_S6_ZZZN2at6native31launch_logcumsumexp_cuda_kernelERKNSD_10TensorBaseESH_lENKUlvE_clEvENKUlvE3_clEvEUlS6_S6_E_S6_EEDaPvRmT3_T4_T5_mT6_P12ihipStream_tbENKUlT_T0_E_clISt17integral_constantIbLb0EESY_EEDaST_SU_EUlST_E0_NS1_11comp_targetILNS1_3genE10ELNS1_11target_archE1201ELNS1_3gpuE5ELNS1_3repE0EEENS1_30default_config_static_selectorELNS0_4arch9wavefront6targetE1EEEvT1_,comdat
.Lfunc_end374:
	.size	_ZN7rocprim17ROCPRIM_400000_NS6detail17trampoline_kernelINS0_14default_configENS1_20scan_config_selectorIN3c104HalfEEEZZNS1_9scan_implILNS1_25lookback_scan_determinismE0ELb0ELb0ES3_PKS6_PS6_S6_ZZZN2at6native31launch_logcumsumexp_cuda_kernelERKNSD_10TensorBaseESH_lENKUlvE_clEvENKUlvE3_clEvEUlS6_S6_E_S6_EEDaPvRmT3_T4_T5_mT6_P12ihipStream_tbENKUlT_T0_E_clISt17integral_constantIbLb0EESY_EEDaST_SU_EUlST_E0_NS1_11comp_targetILNS1_3genE10ELNS1_11target_archE1201ELNS1_3gpuE5ELNS1_3repE0EEENS1_30default_config_static_selectorELNS0_4arch9wavefront6targetE1EEEvT1_, .Lfunc_end374-_ZN7rocprim17ROCPRIM_400000_NS6detail17trampoline_kernelINS0_14default_configENS1_20scan_config_selectorIN3c104HalfEEEZZNS1_9scan_implILNS1_25lookback_scan_determinismE0ELb0ELb0ES3_PKS6_PS6_S6_ZZZN2at6native31launch_logcumsumexp_cuda_kernelERKNSD_10TensorBaseESH_lENKUlvE_clEvENKUlvE3_clEvEUlS6_S6_E_S6_EEDaPvRmT3_T4_T5_mT6_P12ihipStream_tbENKUlT_T0_E_clISt17integral_constantIbLb0EESY_EEDaST_SU_EUlST_E0_NS1_11comp_targetILNS1_3genE10ELNS1_11target_archE1201ELNS1_3gpuE5ELNS1_3repE0EEENS1_30default_config_static_selectorELNS0_4arch9wavefront6targetE1EEEvT1_
                                        ; -- End function
	.section	.AMDGPU.csdata,"",@progbits
; Kernel info:
; codeLenInByte = 0
; NumSgprs: 4
; NumVgprs: 0
; NumAgprs: 0
; TotalNumVgprs: 0
; ScratchSize: 0
; MemoryBound: 0
; FloatMode: 240
; IeeeMode: 1
; LDSByteSize: 0 bytes/workgroup (compile time only)
; SGPRBlocks: 0
; VGPRBlocks: 0
; NumSGPRsForWavesPerEU: 4
; NumVGPRsForWavesPerEU: 1
; AccumOffset: 4
; Occupancy: 8
; WaveLimiterHint : 0
; COMPUTE_PGM_RSRC2:SCRATCH_EN: 0
; COMPUTE_PGM_RSRC2:USER_SGPR: 6
; COMPUTE_PGM_RSRC2:TRAP_HANDLER: 0
; COMPUTE_PGM_RSRC2:TGID_X_EN: 1
; COMPUTE_PGM_RSRC2:TGID_Y_EN: 0
; COMPUTE_PGM_RSRC2:TGID_Z_EN: 0
; COMPUTE_PGM_RSRC2:TIDIG_COMP_CNT: 0
; COMPUTE_PGM_RSRC3_GFX90A:ACCUM_OFFSET: 0
; COMPUTE_PGM_RSRC3_GFX90A:TG_SPLIT: 0
	.section	.text._ZN7rocprim17ROCPRIM_400000_NS6detail17trampoline_kernelINS0_14default_configENS1_20scan_config_selectorIN3c104HalfEEEZZNS1_9scan_implILNS1_25lookback_scan_determinismE0ELb0ELb0ES3_PKS6_PS6_S6_ZZZN2at6native31launch_logcumsumexp_cuda_kernelERKNSD_10TensorBaseESH_lENKUlvE_clEvENKUlvE3_clEvEUlS6_S6_E_S6_EEDaPvRmT3_T4_T5_mT6_P12ihipStream_tbENKUlT_T0_E_clISt17integral_constantIbLb0EESY_EEDaST_SU_EUlST_E0_NS1_11comp_targetILNS1_3genE10ELNS1_11target_archE1200ELNS1_3gpuE4ELNS1_3repE0EEENS1_30default_config_static_selectorELNS0_4arch9wavefront6targetE1EEEvT1_,"axG",@progbits,_ZN7rocprim17ROCPRIM_400000_NS6detail17trampoline_kernelINS0_14default_configENS1_20scan_config_selectorIN3c104HalfEEEZZNS1_9scan_implILNS1_25lookback_scan_determinismE0ELb0ELb0ES3_PKS6_PS6_S6_ZZZN2at6native31launch_logcumsumexp_cuda_kernelERKNSD_10TensorBaseESH_lENKUlvE_clEvENKUlvE3_clEvEUlS6_S6_E_S6_EEDaPvRmT3_T4_T5_mT6_P12ihipStream_tbENKUlT_T0_E_clISt17integral_constantIbLb0EESY_EEDaST_SU_EUlST_E0_NS1_11comp_targetILNS1_3genE10ELNS1_11target_archE1200ELNS1_3gpuE4ELNS1_3repE0EEENS1_30default_config_static_selectorELNS0_4arch9wavefront6targetE1EEEvT1_,comdat
	.globl	_ZN7rocprim17ROCPRIM_400000_NS6detail17trampoline_kernelINS0_14default_configENS1_20scan_config_selectorIN3c104HalfEEEZZNS1_9scan_implILNS1_25lookback_scan_determinismE0ELb0ELb0ES3_PKS6_PS6_S6_ZZZN2at6native31launch_logcumsumexp_cuda_kernelERKNSD_10TensorBaseESH_lENKUlvE_clEvENKUlvE3_clEvEUlS6_S6_E_S6_EEDaPvRmT3_T4_T5_mT6_P12ihipStream_tbENKUlT_T0_E_clISt17integral_constantIbLb0EESY_EEDaST_SU_EUlST_E0_NS1_11comp_targetILNS1_3genE10ELNS1_11target_archE1200ELNS1_3gpuE4ELNS1_3repE0EEENS1_30default_config_static_selectorELNS0_4arch9wavefront6targetE1EEEvT1_ ; -- Begin function _ZN7rocprim17ROCPRIM_400000_NS6detail17trampoline_kernelINS0_14default_configENS1_20scan_config_selectorIN3c104HalfEEEZZNS1_9scan_implILNS1_25lookback_scan_determinismE0ELb0ELb0ES3_PKS6_PS6_S6_ZZZN2at6native31launch_logcumsumexp_cuda_kernelERKNSD_10TensorBaseESH_lENKUlvE_clEvENKUlvE3_clEvEUlS6_S6_E_S6_EEDaPvRmT3_T4_T5_mT6_P12ihipStream_tbENKUlT_T0_E_clISt17integral_constantIbLb0EESY_EEDaST_SU_EUlST_E0_NS1_11comp_targetILNS1_3genE10ELNS1_11target_archE1200ELNS1_3gpuE4ELNS1_3repE0EEENS1_30default_config_static_selectorELNS0_4arch9wavefront6targetE1EEEvT1_
	.p2align	8
	.type	_ZN7rocprim17ROCPRIM_400000_NS6detail17trampoline_kernelINS0_14default_configENS1_20scan_config_selectorIN3c104HalfEEEZZNS1_9scan_implILNS1_25lookback_scan_determinismE0ELb0ELb0ES3_PKS6_PS6_S6_ZZZN2at6native31launch_logcumsumexp_cuda_kernelERKNSD_10TensorBaseESH_lENKUlvE_clEvENKUlvE3_clEvEUlS6_S6_E_S6_EEDaPvRmT3_T4_T5_mT6_P12ihipStream_tbENKUlT_T0_E_clISt17integral_constantIbLb0EESY_EEDaST_SU_EUlST_E0_NS1_11comp_targetILNS1_3genE10ELNS1_11target_archE1200ELNS1_3gpuE4ELNS1_3repE0EEENS1_30default_config_static_selectorELNS0_4arch9wavefront6targetE1EEEvT1_,@function
_ZN7rocprim17ROCPRIM_400000_NS6detail17trampoline_kernelINS0_14default_configENS1_20scan_config_selectorIN3c104HalfEEEZZNS1_9scan_implILNS1_25lookback_scan_determinismE0ELb0ELb0ES3_PKS6_PS6_S6_ZZZN2at6native31launch_logcumsumexp_cuda_kernelERKNSD_10TensorBaseESH_lENKUlvE_clEvENKUlvE3_clEvEUlS6_S6_E_S6_EEDaPvRmT3_T4_T5_mT6_P12ihipStream_tbENKUlT_T0_E_clISt17integral_constantIbLb0EESY_EEDaST_SU_EUlST_E0_NS1_11comp_targetILNS1_3genE10ELNS1_11target_archE1200ELNS1_3gpuE4ELNS1_3repE0EEENS1_30default_config_static_selectorELNS0_4arch9wavefront6targetE1EEEvT1_: ; @_ZN7rocprim17ROCPRIM_400000_NS6detail17trampoline_kernelINS0_14default_configENS1_20scan_config_selectorIN3c104HalfEEEZZNS1_9scan_implILNS1_25lookback_scan_determinismE0ELb0ELb0ES3_PKS6_PS6_S6_ZZZN2at6native31launch_logcumsumexp_cuda_kernelERKNSD_10TensorBaseESH_lENKUlvE_clEvENKUlvE3_clEvEUlS6_S6_E_S6_EEDaPvRmT3_T4_T5_mT6_P12ihipStream_tbENKUlT_T0_E_clISt17integral_constantIbLb0EESY_EEDaST_SU_EUlST_E0_NS1_11comp_targetILNS1_3genE10ELNS1_11target_archE1200ELNS1_3gpuE4ELNS1_3repE0EEENS1_30default_config_static_selectorELNS0_4arch9wavefront6targetE1EEEvT1_
; %bb.0:
	.section	.rodata,"a",@progbits
	.p2align	6, 0x0
	.amdhsa_kernel _ZN7rocprim17ROCPRIM_400000_NS6detail17trampoline_kernelINS0_14default_configENS1_20scan_config_selectorIN3c104HalfEEEZZNS1_9scan_implILNS1_25lookback_scan_determinismE0ELb0ELb0ES3_PKS6_PS6_S6_ZZZN2at6native31launch_logcumsumexp_cuda_kernelERKNSD_10TensorBaseESH_lENKUlvE_clEvENKUlvE3_clEvEUlS6_S6_E_S6_EEDaPvRmT3_T4_T5_mT6_P12ihipStream_tbENKUlT_T0_E_clISt17integral_constantIbLb0EESY_EEDaST_SU_EUlST_E0_NS1_11comp_targetILNS1_3genE10ELNS1_11target_archE1200ELNS1_3gpuE4ELNS1_3repE0EEENS1_30default_config_static_selectorELNS0_4arch9wavefront6targetE1EEEvT1_
		.amdhsa_group_segment_fixed_size 0
		.amdhsa_private_segment_fixed_size 0
		.amdhsa_kernarg_size 32
		.amdhsa_user_sgpr_count 6
		.amdhsa_user_sgpr_private_segment_buffer 1
		.amdhsa_user_sgpr_dispatch_ptr 0
		.amdhsa_user_sgpr_queue_ptr 0
		.amdhsa_user_sgpr_kernarg_segment_ptr 1
		.amdhsa_user_sgpr_dispatch_id 0
		.amdhsa_user_sgpr_flat_scratch_init 0
		.amdhsa_user_sgpr_kernarg_preload_length 0
		.amdhsa_user_sgpr_kernarg_preload_offset 0
		.amdhsa_user_sgpr_private_segment_size 0
		.amdhsa_uses_dynamic_stack 0
		.amdhsa_system_sgpr_private_segment_wavefront_offset 0
		.amdhsa_system_sgpr_workgroup_id_x 1
		.amdhsa_system_sgpr_workgroup_id_y 0
		.amdhsa_system_sgpr_workgroup_id_z 0
		.amdhsa_system_sgpr_workgroup_info 0
		.amdhsa_system_vgpr_workitem_id 0
		.amdhsa_next_free_vgpr 1
		.amdhsa_next_free_sgpr 0
		.amdhsa_accum_offset 4
		.amdhsa_reserve_vcc 0
		.amdhsa_reserve_flat_scratch 0
		.amdhsa_float_round_mode_32 0
		.amdhsa_float_round_mode_16_64 0
		.amdhsa_float_denorm_mode_32 3
		.amdhsa_float_denorm_mode_16_64 3
		.amdhsa_dx10_clamp 1
		.amdhsa_ieee_mode 1
		.amdhsa_fp16_overflow 0
		.amdhsa_tg_split 0
		.amdhsa_exception_fp_ieee_invalid_op 0
		.amdhsa_exception_fp_denorm_src 0
		.amdhsa_exception_fp_ieee_div_zero 0
		.amdhsa_exception_fp_ieee_overflow 0
		.amdhsa_exception_fp_ieee_underflow 0
		.amdhsa_exception_fp_ieee_inexact 0
		.amdhsa_exception_int_div_zero 0
	.end_amdhsa_kernel
	.section	.text._ZN7rocprim17ROCPRIM_400000_NS6detail17trampoline_kernelINS0_14default_configENS1_20scan_config_selectorIN3c104HalfEEEZZNS1_9scan_implILNS1_25lookback_scan_determinismE0ELb0ELb0ES3_PKS6_PS6_S6_ZZZN2at6native31launch_logcumsumexp_cuda_kernelERKNSD_10TensorBaseESH_lENKUlvE_clEvENKUlvE3_clEvEUlS6_S6_E_S6_EEDaPvRmT3_T4_T5_mT6_P12ihipStream_tbENKUlT_T0_E_clISt17integral_constantIbLb0EESY_EEDaST_SU_EUlST_E0_NS1_11comp_targetILNS1_3genE10ELNS1_11target_archE1200ELNS1_3gpuE4ELNS1_3repE0EEENS1_30default_config_static_selectorELNS0_4arch9wavefront6targetE1EEEvT1_,"axG",@progbits,_ZN7rocprim17ROCPRIM_400000_NS6detail17trampoline_kernelINS0_14default_configENS1_20scan_config_selectorIN3c104HalfEEEZZNS1_9scan_implILNS1_25lookback_scan_determinismE0ELb0ELb0ES3_PKS6_PS6_S6_ZZZN2at6native31launch_logcumsumexp_cuda_kernelERKNSD_10TensorBaseESH_lENKUlvE_clEvENKUlvE3_clEvEUlS6_S6_E_S6_EEDaPvRmT3_T4_T5_mT6_P12ihipStream_tbENKUlT_T0_E_clISt17integral_constantIbLb0EESY_EEDaST_SU_EUlST_E0_NS1_11comp_targetILNS1_3genE10ELNS1_11target_archE1200ELNS1_3gpuE4ELNS1_3repE0EEENS1_30default_config_static_selectorELNS0_4arch9wavefront6targetE1EEEvT1_,comdat
.Lfunc_end375:
	.size	_ZN7rocprim17ROCPRIM_400000_NS6detail17trampoline_kernelINS0_14default_configENS1_20scan_config_selectorIN3c104HalfEEEZZNS1_9scan_implILNS1_25lookback_scan_determinismE0ELb0ELb0ES3_PKS6_PS6_S6_ZZZN2at6native31launch_logcumsumexp_cuda_kernelERKNSD_10TensorBaseESH_lENKUlvE_clEvENKUlvE3_clEvEUlS6_S6_E_S6_EEDaPvRmT3_T4_T5_mT6_P12ihipStream_tbENKUlT_T0_E_clISt17integral_constantIbLb0EESY_EEDaST_SU_EUlST_E0_NS1_11comp_targetILNS1_3genE10ELNS1_11target_archE1200ELNS1_3gpuE4ELNS1_3repE0EEENS1_30default_config_static_selectorELNS0_4arch9wavefront6targetE1EEEvT1_, .Lfunc_end375-_ZN7rocprim17ROCPRIM_400000_NS6detail17trampoline_kernelINS0_14default_configENS1_20scan_config_selectorIN3c104HalfEEEZZNS1_9scan_implILNS1_25lookback_scan_determinismE0ELb0ELb0ES3_PKS6_PS6_S6_ZZZN2at6native31launch_logcumsumexp_cuda_kernelERKNSD_10TensorBaseESH_lENKUlvE_clEvENKUlvE3_clEvEUlS6_S6_E_S6_EEDaPvRmT3_T4_T5_mT6_P12ihipStream_tbENKUlT_T0_E_clISt17integral_constantIbLb0EESY_EEDaST_SU_EUlST_E0_NS1_11comp_targetILNS1_3genE10ELNS1_11target_archE1200ELNS1_3gpuE4ELNS1_3repE0EEENS1_30default_config_static_selectorELNS0_4arch9wavefront6targetE1EEEvT1_
                                        ; -- End function
	.section	.AMDGPU.csdata,"",@progbits
; Kernel info:
; codeLenInByte = 0
; NumSgprs: 4
; NumVgprs: 0
; NumAgprs: 0
; TotalNumVgprs: 0
; ScratchSize: 0
; MemoryBound: 0
; FloatMode: 240
; IeeeMode: 1
; LDSByteSize: 0 bytes/workgroup (compile time only)
; SGPRBlocks: 0
; VGPRBlocks: 0
; NumSGPRsForWavesPerEU: 4
; NumVGPRsForWavesPerEU: 1
; AccumOffset: 4
; Occupancy: 8
; WaveLimiterHint : 0
; COMPUTE_PGM_RSRC2:SCRATCH_EN: 0
; COMPUTE_PGM_RSRC2:USER_SGPR: 6
; COMPUTE_PGM_RSRC2:TRAP_HANDLER: 0
; COMPUTE_PGM_RSRC2:TGID_X_EN: 1
; COMPUTE_PGM_RSRC2:TGID_Y_EN: 0
; COMPUTE_PGM_RSRC2:TGID_Z_EN: 0
; COMPUTE_PGM_RSRC2:TIDIG_COMP_CNT: 0
; COMPUTE_PGM_RSRC3_GFX90A:ACCUM_OFFSET: 0
; COMPUTE_PGM_RSRC3_GFX90A:TG_SPLIT: 0
	.section	.text._ZN7rocprim17ROCPRIM_400000_NS6detail17trampoline_kernelINS0_14default_configENS1_20scan_config_selectorIN3c104HalfEEEZZNS1_9scan_implILNS1_25lookback_scan_determinismE0ELb0ELb0ES3_PKS6_PS6_S6_ZZZN2at6native31launch_logcumsumexp_cuda_kernelERKNSD_10TensorBaseESH_lENKUlvE_clEvENKUlvE3_clEvEUlS6_S6_E_S6_EEDaPvRmT3_T4_T5_mT6_P12ihipStream_tbENKUlT_T0_E_clISt17integral_constantIbLb0EESY_EEDaST_SU_EUlST_E0_NS1_11comp_targetILNS1_3genE9ELNS1_11target_archE1100ELNS1_3gpuE3ELNS1_3repE0EEENS1_30default_config_static_selectorELNS0_4arch9wavefront6targetE1EEEvT1_,"axG",@progbits,_ZN7rocprim17ROCPRIM_400000_NS6detail17trampoline_kernelINS0_14default_configENS1_20scan_config_selectorIN3c104HalfEEEZZNS1_9scan_implILNS1_25lookback_scan_determinismE0ELb0ELb0ES3_PKS6_PS6_S6_ZZZN2at6native31launch_logcumsumexp_cuda_kernelERKNSD_10TensorBaseESH_lENKUlvE_clEvENKUlvE3_clEvEUlS6_S6_E_S6_EEDaPvRmT3_T4_T5_mT6_P12ihipStream_tbENKUlT_T0_E_clISt17integral_constantIbLb0EESY_EEDaST_SU_EUlST_E0_NS1_11comp_targetILNS1_3genE9ELNS1_11target_archE1100ELNS1_3gpuE3ELNS1_3repE0EEENS1_30default_config_static_selectorELNS0_4arch9wavefront6targetE1EEEvT1_,comdat
	.globl	_ZN7rocprim17ROCPRIM_400000_NS6detail17trampoline_kernelINS0_14default_configENS1_20scan_config_selectorIN3c104HalfEEEZZNS1_9scan_implILNS1_25lookback_scan_determinismE0ELb0ELb0ES3_PKS6_PS6_S6_ZZZN2at6native31launch_logcumsumexp_cuda_kernelERKNSD_10TensorBaseESH_lENKUlvE_clEvENKUlvE3_clEvEUlS6_S6_E_S6_EEDaPvRmT3_T4_T5_mT6_P12ihipStream_tbENKUlT_T0_E_clISt17integral_constantIbLb0EESY_EEDaST_SU_EUlST_E0_NS1_11comp_targetILNS1_3genE9ELNS1_11target_archE1100ELNS1_3gpuE3ELNS1_3repE0EEENS1_30default_config_static_selectorELNS0_4arch9wavefront6targetE1EEEvT1_ ; -- Begin function _ZN7rocprim17ROCPRIM_400000_NS6detail17trampoline_kernelINS0_14default_configENS1_20scan_config_selectorIN3c104HalfEEEZZNS1_9scan_implILNS1_25lookback_scan_determinismE0ELb0ELb0ES3_PKS6_PS6_S6_ZZZN2at6native31launch_logcumsumexp_cuda_kernelERKNSD_10TensorBaseESH_lENKUlvE_clEvENKUlvE3_clEvEUlS6_S6_E_S6_EEDaPvRmT3_T4_T5_mT6_P12ihipStream_tbENKUlT_T0_E_clISt17integral_constantIbLb0EESY_EEDaST_SU_EUlST_E0_NS1_11comp_targetILNS1_3genE9ELNS1_11target_archE1100ELNS1_3gpuE3ELNS1_3repE0EEENS1_30default_config_static_selectorELNS0_4arch9wavefront6targetE1EEEvT1_
	.p2align	8
	.type	_ZN7rocprim17ROCPRIM_400000_NS6detail17trampoline_kernelINS0_14default_configENS1_20scan_config_selectorIN3c104HalfEEEZZNS1_9scan_implILNS1_25lookback_scan_determinismE0ELb0ELb0ES3_PKS6_PS6_S6_ZZZN2at6native31launch_logcumsumexp_cuda_kernelERKNSD_10TensorBaseESH_lENKUlvE_clEvENKUlvE3_clEvEUlS6_S6_E_S6_EEDaPvRmT3_T4_T5_mT6_P12ihipStream_tbENKUlT_T0_E_clISt17integral_constantIbLb0EESY_EEDaST_SU_EUlST_E0_NS1_11comp_targetILNS1_3genE9ELNS1_11target_archE1100ELNS1_3gpuE3ELNS1_3repE0EEENS1_30default_config_static_selectorELNS0_4arch9wavefront6targetE1EEEvT1_,@function
_ZN7rocprim17ROCPRIM_400000_NS6detail17trampoline_kernelINS0_14default_configENS1_20scan_config_selectorIN3c104HalfEEEZZNS1_9scan_implILNS1_25lookback_scan_determinismE0ELb0ELb0ES3_PKS6_PS6_S6_ZZZN2at6native31launch_logcumsumexp_cuda_kernelERKNSD_10TensorBaseESH_lENKUlvE_clEvENKUlvE3_clEvEUlS6_S6_E_S6_EEDaPvRmT3_T4_T5_mT6_P12ihipStream_tbENKUlT_T0_E_clISt17integral_constantIbLb0EESY_EEDaST_SU_EUlST_E0_NS1_11comp_targetILNS1_3genE9ELNS1_11target_archE1100ELNS1_3gpuE3ELNS1_3repE0EEENS1_30default_config_static_selectorELNS0_4arch9wavefront6targetE1EEEvT1_: ; @_ZN7rocprim17ROCPRIM_400000_NS6detail17trampoline_kernelINS0_14default_configENS1_20scan_config_selectorIN3c104HalfEEEZZNS1_9scan_implILNS1_25lookback_scan_determinismE0ELb0ELb0ES3_PKS6_PS6_S6_ZZZN2at6native31launch_logcumsumexp_cuda_kernelERKNSD_10TensorBaseESH_lENKUlvE_clEvENKUlvE3_clEvEUlS6_S6_E_S6_EEDaPvRmT3_T4_T5_mT6_P12ihipStream_tbENKUlT_T0_E_clISt17integral_constantIbLb0EESY_EEDaST_SU_EUlST_E0_NS1_11comp_targetILNS1_3genE9ELNS1_11target_archE1100ELNS1_3gpuE3ELNS1_3repE0EEENS1_30default_config_static_selectorELNS0_4arch9wavefront6targetE1EEEvT1_
; %bb.0:
	.section	.rodata,"a",@progbits
	.p2align	6, 0x0
	.amdhsa_kernel _ZN7rocprim17ROCPRIM_400000_NS6detail17trampoline_kernelINS0_14default_configENS1_20scan_config_selectorIN3c104HalfEEEZZNS1_9scan_implILNS1_25lookback_scan_determinismE0ELb0ELb0ES3_PKS6_PS6_S6_ZZZN2at6native31launch_logcumsumexp_cuda_kernelERKNSD_10TensorBaseESH_lENKUlvE_clEvENKUlvE3_clEvEUlS6_S6_E_S6_EEDaPvRmT3_T4_T5_mT6_P12ihipStream_tbENKUlT_T0_E_clISt17integral_constantIbLb0EESY_EEDaST_SU_EUlST_E0_NS1_11comp_targetILNS1_3genE9ELNS1_11target_archE1100ELNS1_3gpuE3ELNS1_3repE0EEENS1_30default_config_static_selectorELNS0_4arch9wavefront6targetE1EEEvT1_
		.amdhsa_group_segment_fixed_size 0
		.amdhsa_private_segment_fixed_size 0
		.amdhsa_kernarg_size 32
		.amdhsa_user_sgpr_count 6
		.amdhsa_user_sgpr_private_segment_buffer 1
		.amdhsa_user_sgpr_dispatch_ptr 0
		.amdhsa_user_sgpr_queue_ptr 0
		.amdhsa_user_sgpr_kernarg_segment_ptr 1
		.amdhsa_user_sgpr_dispatch_id 0
		.amdhsa_user_sgpr_flat_scratch_init 0
		.amdhsa_user_sgpr_kernarg_preload_length 0
		.amdhsa_user_sgpr_kernarg_preload_offset 0
		.amdhsa_user_sgpr_private_segment_size 0
		.amdhsa_uses_dynamic_stack 0
		.amdhsa_system_sgpr_private_segment_wavefront_offset 0
		.amdhsa_system_sgpr_workgroup_id_x 1
		.amdhsa_system_sgpr_workgroup_id_y 0
		.amdhsa_system_sgpr_workgroup_id_z 0
		.amdhsa_system_sgpr_workgroup_info 0
		.amdhsa_system_vgpr_workitem_id 0
		.amdhsa_next_free_vgpr 1
		.amdhsa_next_free_sgpr 0
		.amdhsa_accum_offset 4
		.amdhsa_reserve_vcc 0
		.amdhsa_reserve_flat_scratch 0
		.amdhsa_float_round_mode_32 0
		.amdhsa_float_round_mode_16_64 0
		.amdhsa_float_denorm_mode_32 3
		.amdhsa_float_denorm_mode_16_64 3
		.amdhsa_dx10_clamp 1
		.amdhsa_ieee_mode 1
		.amdhsa_fp16_overflow 0
		.amdhsa_tg_split 0
		.amdhsa_exception_fp_ieee_invalid_op 0
		.amdhsa_exception_fp_denorm_src 0
		.amdhsa_exception_fp_ieee_div_zero 0
		.amdhsa_exception_fp_ieee_overflow 0
		.amdhsa_exception_fp_ieee_underflow 0
		.amdhsa_exception_fp_ieee_inexact 0
		.amdhsa_exception_int_div_zero 0
	.end_amdhsa_kernel
	.section	.text._ZN7rocprim17ROCPRIM_400000_NS6detail17trampoline_kernelINS0_14default_configENS1_20scan_config_selectorIN3c104HalfEEEZZNS1_9scan_implILNS1_25lookback_scan_determinismE0ELb0ELb0ES3_PKS6_PS6_S6_ZZZN2at6native31launch_logcumsumexp_cuda_kernelERKNSD_10TensorBaseESH_lENKUlvE_clEvENKUlvE3_clEvEUlS6_S6_E_S6_EEDaPvRmT3_T4_T5_mT6_P12ihipStream_tbENKUlT_T0_E_clISt17integral_constantIbLb0EESY_EEDaST_SU_EUlST_E0_NS1_11comp_targetILNS1_3genE9ELNS1_11target_archE1100ELNS1_3gpuE3ELNS1_3repE0EEENS1_30default_config_static_selectorELNS0_4arch9wavefront6targetE1EEEvT1_,"axG",@progbits,_ZN7rocprim17ROCPRIM_400000_NS6detail17trampoline_kernelINS0_14default_configENS1_20scan_config_selectorIN3c104HalfEEEZZNS1_9scan_implILNS1_25lookback_scan_determinismE0ELb0ELb0ES3_PKS6_PS6_S6_ZZZN2at6native31launch_logcumsumexp_cuda_kernelERKNSD_10TensorBaseESH_lENKUlvE_clEvENKUlvE3_clEvEUlS6_S6_E_S6_EEDaPvRmT3_T4_T5_mT6_P12ihipStream_tbENKUlT_T0_E_clISt17integral_constantIbLb0EESY_EEDaST_SU_EUlST_E0_NS1_11comp_targetILNS1_3genE9ELNS1_11target_archE1100ELNS1_3gpuE3ELNS1_3repE0EEENS1_30default_config_static_selectorELNS0_4arch9wavefront6targetE1EEEvT1_,comdat
.Lfunc_end376:
	.size	_ZN7rocprim17ROCPRIM_400000_NS6detail17trampoline_kernelINS0_14default_configENS1_20scan_config_selectorIN3c104HalfEEEZZNS1_9scan_implILNS1_25lookback_scan_determinismE0ELb0ELb0ES3_PKS6_PS6_S6_ZZZN2at6native31launch_logcumsumexp_cuda_kernelERKNSD_10TensorBaseESH_lENKUlvE_clEvENKUlvE3_clEvEUlS6_S6_E_S6_EEDaPvRmT3_T4_T5_mT6_P12ihipStream_tbENKUlT_T0_E_clISt17integral_constantIbLb0EESY_EEDaST_SU_EUlST_E0_NS1_11comp_targetILNS1_3genE9ELNS1_11target_archE1100ELNS1_3gpuE3ELNS1_3repE0EEENS1_30default_config_static_selectorELNS0_4arch9wavefront6targetE1EEEvT1_, .Lfunc_end376-_ZN7rocprim17ROCPRIM_400000_NS6detail17trampoline_kernelINS0_14default_configENS1_20scan_config_selectorIN3c104HalfEEEZZNS1_9scan_implILNS1_25lookback_scan_determinismE0ELb0ELb0ES3_PKS6_PS6_S6_ZZZN2at6native31launch_logcumsumexp_cuda_kernelERKNSD_10TensorBaseESH_lENKUlvE_clEvENKUlvE3_clEvEUlS6_S6_E_S6_EEDaPvRmT3_T4_T5_mT6_P12ihipStream_tbENKUlT_T0_E_clISt17integral_constantIbLb0EESY_EEDaST_SU_EUlST_E0_NS1_11comp_targetILNS1_3genE9ELNS1_11target_archE1100ELNS1_3gpuE3ELNS1_3repE0EEENS1_30default_config_static_selectorELNS0_4arch9wavefront6targetE1EEEvT1_
                                        ; -- End function
	.section	.AMDGPU.csdata,"",@progbits
; Kernel info:
; codeLenInByte = 0
; NumSgprs: 4
; NumVgprs: 0
; NumAgprs: 0
; TotalNumVgprs: 0
; ScratchSize: 0
; MemoryBound: 0
; FloatMode: 240
; IeeeMode: 1
; LDSByteSize: 0 bytes/workgroup (compile time only)
; SGPRBlocks: 0
; VGPRBlocks: 0
; NumSGPRsForWavesPerEU: 4
; NumVGPRsForWavesPerEU: 1
; AccumOffset: 4
; Occupancy: 8
; WaveLimiterHint : 0
; COMPUTE_PGM_RSRC2:SCRATCH_EN: 0
; COMPUTE_PGM_RSRC2:USER_SGPR: 6
; COMPUTE_PGM_RSRC2:TRAP_HANDLER: 0
; COMPUTE_PGM_RSRC2:TGID_X_EN: 1
; COMPUTE_PGM_RSRC2:TGID_Y_EN: 0
; COMPUTE_PGM_RSRC2:TGID_Z_EN: 0
; COMPUTE_PGM_RSRC2:TIDIG_COMP_CNT: 0
; COMPUTE_PGM_RSRC3_GFX90A:ACCUM_OFFSET: 0
; COMPUTE_PGM_RSRC3_GFX90A:TG_SPLIT: 0
	.section	.text._ZN7rocprim17ROCPRIM_400000_NS6detail17trampoline_kernelINS0_14default_configENS1_20scan_config_selectorIN3c104HalfEEEZZNS1_9scan_implILNS1_25lookback_scan_determinismE0ELb0ELb0ES3_PKS6_PS6_S6_ZZZN2at6native31launch_logcumsumexp_cuda_kernelERKNSD_10TensorBaseESH_lENKUlvE_clEvENKUlvE3_clEvEUlS6_S6_E_S6_EEDaPvRmT3_T4_T5_mT6_P12ihipStream_tbENKUlT_T0_E_clISt17integral_constantIbLb0EESY_EEDaST_SU_EUlST_E0_NS1_11comp_targetILNS1_3genE8ELNS1_11target_archE1030ELNS1_3gpuE2ELNS1_3repE0EEENS1_30default_config_static_selectorELNS0_4arch9wavefront6targetE1EEEvT1_,"axG",@progbits,_ZN7rocprim17ROCPRIM_400000_NS6detail17trampoline_kernelINS0_14default_configENS1_20scan_config_selectorIN3c104HalfEEEZZNS1_9scan_implILNS1_25lookback_scan_determinismE0ELb0ELb0ES3_PKS6_PS6_S6_ZZZN2at6native31launch_logcumsumexp_cuda_kernelERKNSD_10TensorBaseESH_lENKUlvE_clEvENKUlvE3_clEvEUlS6_S6_E_S6_EEDaPvRmT3_T4_T5_mT6_P12ihipStream_tbENKUlT_T0_E_clISt17integral_constantIbLb0EESY_EEDaST_SU_EUlST_E0_NS1_11comp_targetILNS1_3genE8ELNS1_11target_archE1030ELNS1_3gpuE2ELNS1_3repE0EEENS1_30default_config_static_selectorELNS0_4arch9wavefront6targetE1EEEvT1_,comdat
	.globl	_ZN7rocprim17ROCPRIM_400000_NS6detail17trampoline_kernelINS0_14default_configENS1_20scan_config_selectorIN3c104HalfEEEZZNS1_9scan_implILNS1_25lookback_scan_determinismE0ELb0ELb0ES3_PKS6_PS6_S6_ZZZN2at6native31launch_logcumsumexp_cuda_kernelERKNSD_10TensorBaseESH_lENKUlvE_clEvENKUlvE3_clEvEUlS6_S6_E_S6_EEDaPvRmT3_T4_T5_mT6_P12ihipStream_tbENKUlT_T0_E_clISt17integral_constantIbLb0EESY_EEDaST_SU_EUlST_E0_NS1_11comp_targetILNS1_3genE8ELNS1_11target_archE1030ELNS1_3gpuE2ELNS1_3repE0EEENS1_30default_config_static_selectorELNS0_4arch9wavefront6targetE1EEEvT1_ ; -- Begin function _ZN7rocprim17ROCPRIM_400000_NS6detail17trampoline_kernelINS0_14default_configENS1_20scan_config_selectorIN3c104HalfEEEZZNS1_9scan_implILNS1_25lookback_scan_determinismE0ELb0ELb0ES3_PKS6_PS6_S6_ZZZN2at6native31launch_logcumsumexp_cuda_kernelERKNSD_10TensorBaseESH_lENKUlvE_clEvENKUlvE3_clEvEUlS6_S6_E_S6_EEDaPvRmT3_T4_T5_mT6_P12ihipStream_tbENKUlT_T0_E_clISt17integral_constantIbLb0EESY_EEDaST_SU_EUlST_E0_NS1_11comp_targetILNS1_3genE8ELNS1_11target_archE1030ELNS1_3gpuE2ELNS1_3repE0EEENS1_30default_config_static_selectorELNS0_4arch9wavefront6targetE1EEEvT1_
	.p2align	8
	.type	_ZN7rocprim17ROCPRIM_400000_NS6detail17trampoline_kernelINS0_14default_configENS1_20scan_config_selectorIN3c104HalfEEEZZNS1_9scan_implILNS1_25lookback_scan_determinismE0ELb0ELb0ES3_PKS6_PS6_S6_ZZZN2at6native31launch_logcumsumexp_cuda_kernelERKNSD_10TensorBaseESH_lENKUlvE_clEvENKUlvE3_clEvEUlS6_S6_E_S6_EEDaPvRmT3_T4_T5_mT6_P12ihipStream_tbENKUlT_T0_E_clISt17integral_constantIbLb0EESY_EEDaST_SU_EUlST_E0_NS1_11comp_targetILNS1_3genE8ELNS1_11target_archE1030ELNS1_3gpuE2ELNS1_3repE0EEENS1_30default_config_static_selectorELNS0_4arch9wavefront6targetE1EEEvT1_,@function
_ZN7rocprim17ROCPRIM_400000_NS6detail17trampoline_kernelINS0_14default_configENS1_20scan_config_selectorIN3c104HalfEEEZZNS1_9scan_implILNS1_25lookback_scan_determinismE0ELb0ELb0ES3_PKS6_PS6_S6_ZZZN2at6native31launch_logcumsumexp_cuda_kernelERKNSD_10TensorBaseESH_lENKUlvE_clEvENKUlvE3_clEvEUlS6_S6_E_S6_EEDaPvRmT3_T4_T5_mT6_P12ihipStream_tbENKUlT_T0_E_clISt17integral_constantIbLb0EESY_EEDaST_SU_EUlST_E0_NS1_11comp_targetILNS1_3genE8ELNS1_11target_archE1030ELNS1_3gpuE2ELNS1_3repE0EEENS1_30default_config_static_selectorELNS0_4arch9wavefront6targetE1EEEvT1_: ; @_ZN7rocprim17ROCPRIM_400000_NS6detail17trampoline_kernelINS0_14default_configENS1_20scan_config_selectorIN3c104HalfEEEZZNS1_9scan_implILNS1_25lookback_scan_determinismE0ELb0ELb0ES3_PKS6_PS6_S6_ZZZN2at6native31launch_logcumsumexp_cuda_kernelERKNSD_10TensorBaseESH_lENKUlvE_clEvENKUlvE3_clEvEUlS6_S6_E_S6_EEDaPvRmT3_T4_T5_mT6_P12ihipStream_tbENKUlT_T0_E_clISt17integral_constantIbLb0EESY_EEDaST_SU_EUlST_E0_NS1_11comp_targetILNS1_3genE8ELNS1_11target_archE1030ELNS1_3gpuE2ELNS1_3repE0EEENS1_30default_config_static_selectorELNS0_4arch9wavefront6targetE1EEEvT1_
; %bb.0:
	.section	.rodata,"a",@progbits
	.p2align	6, 0x0
	.amdhsa_kernel _ZN7rocprim17ROCPRIM_400000_NS6detail17trampoline_kernelINS0_14default_configENS1_20scan_config_selectorIN3c104HalfEEEZZNS1_9scan_implILNS1_25lookback_scan_determinismE0ELb0ELb0ES3_PKS6_PS6_S6_ZZZN2at6native31launch_logcumsumexp_cuda_kernelERKNSD_10TensorBaseESH_lENKUlvE_clEvENKUlvE3_clEvEUlS6_S6_E_S6_EEDaPvRmT3_T4_T5_mT6_P12ihipStream_tbENKUlT_T0_E_clISt17integral_constantIbLb0EESY_EEDaST_SU_EUlST_E0_NS1_11comp_targetILNS1_3genE8ELNS1_11target_archE1030ELNS1_3gpuE2ELNS1_3repE0EEENS1_30default_config_static_selectorELNS0_4arch9wavefront6targetE1EEEvT1_
		.amdhsa_group_segment_fixed_size 0
		.amdhsa_private_segment_fixed_size 0
		.amdhsa_kernarg_size 32
		.amdhsa_user_sgpr_count 6
		.amdhsa_user_sgpr_private_segment_buffer 1
		.amdhsa_user_sgpr_dispatch_ptr 0
		.amdhsa_user_sgpr_queue_ptr 0
		.amdhsa_user_sgpr_kernarg_segment_ptr 1
		.amdhsa_user_sgpr_dispatch_id 0
		.amdhsa_user_sgpr_flat_scratch_init 0
		.amdhsa_user_sgpr_kernarg_preload_length 0
		.amdhsa_user_sgpr_kernarg_preload_offset 0
		.amdhsa_user_sgpr_private_segment_size 0
		.amdhsa_uses_dynamic_stack 0
		.amdhsa_system_sgpr_private_segment_wavefront_offset 0
		.amdhsa_system_sgpr_workgroup_id_x 1
		.amdhsa_system_sgpr_workgroup_id_y 0
		.amdhsa_system_sgpr_workgroup_id_z 0
		.amdhsa_system_sgpr_workgroup_info 0
		.amdhsa_system_vgpr_workitem_id 0
		.amdhsa_next_free_vgpr 1
		.amdhsa_next_free_sgpr 0
		.amdhsa_accum_offset 4
		.amdhsa_reserve_vcc 0
		.amdhsa_reserve_flat_scratch 0
		.amdhsa_float_round_mode_32 0
		.amdhsa_float_round_mode_16_64 0
		.amdhsa_float_denorm_mode_32 3
		.amdhsa_float_denorm_mode_16_64 3
		.amdhsa_dx10_clamp 1
		.amdhsa_ieee_mode 1
		.amdhsa_fp16_overflow 0
		.amdhsa_tg_split 0
		.amdhsa_exception_fp_ieee_invalid_op 0
		.amdhsa_exception_fp_denorm_src 0
		.amdhsa_exception_fp_ieee_div_zero 0
		.amdhsa_exception_fp_ieee_overflow 0
		.amdhsa_exception_fp_ieee_underflow 0
		.amdhsa_exception_fp_ieee_inexact 0
		.amdhsa_exception_int_div_zero 0
	.end_amdhsa_kernel
	.section	.text._ZN7rocprim17ROCPRIM_400000_NS6detail17trampoline_kernelINS0_14default_configENS1_20scan_config_selectorIN3c104HalfEEEZZNS1_9scan_implILNS1_25lookback_scan_determinismE0ELb0ELb0ES3_PKS6_PS6_S6_ZZZN2at6native31launch_logcumsumexp_cuda_kernelERKNSD_10TensorBaseESH_lENKUlvE_clEvENKUlvE3_clEvEUlS6_S6_E_S6_EEDaPvRmT3_T4_T5_mT6_P12ihipStream_tbENKUlT_T0_E_clISt17integral_constantIbLb0EESY_EEDaST_SU_EUlST_E0_NS1_11comp_targetILNS1_3genE8ELNS1_11target_archE1030ELNS1_3gpuE2ELNS1_3repE0EEENS1_30default_config_static_selectorELNS0_4arch9wavefront6targetE1EEEvT1_,"axG",@progbits,_ZN7rocprim17ROCPRIM_400000_NS6detail17trampoline_kernelINS0_14default_configENS1_20scan_config_selectorIN3c104HalfEEEZZNS1_9scan_implILNS1_25lookback_scan_determinismE0ELb0ELb0ES3_PKS6_PS6_S6_ZZZN2at6native31launch_logcumsumexp_cuda_kernelERKNSD_10TensorBaseESH_lENKUlvE_clEvENKUlvE3_clEvEUlS6_S6_E_S6_EEDaPvRmT3_T4_T5_mT6_P12ihipStream_tbENKUlT_T0_E_clISt17integral_constantIbLb0EESY_EEDaST_SU_EUlST_E0_NS1_11comp_targetILNS1_3genE8ELNS1_11target_archE1030ELNS1_3gpuE2ELNS1_3repE0EEENS1_30default_config_static_selectorELNS0_4arch9wavefront6targetE1EEEvT1_,comdat
.Lfunc_end377:
	.size	_ZN7rocprim17ROCPRIM_400000_NS6detail17trampoline_kernelINS0_14default_configENS1_20scan_config_selectorIN3c104HalfEEEZZNS1_9scan_implILNS1_25lookback_scan_determinismE0ELb0ELb0ES3_PKS6_PS6_S6_ZZZN2at6native31launch_logcumsumexp_cuda_kernelERKNSD_10TensorBaseESH_lENKUlvE_clEvENKUlvE3_clEvEUlS6_S6_E_S6_EEDaPvRmT3_T4_T5_mT6_P12ihipStream_tbENKUlT_T0_E_clISt17integral_constantIbLb0EESY_EEDaST_SU_EUlST_E0_NS1_11comp_targetILNS1_3genE8ELNS1_11target_archE1030ELNS1_3gpuE2ELNS1_3repE0EEENS1_30default_config_static_selectorELNS0_4arch9wavefront6targetE1EEEvT1_, .Lfunc_end377-_ZN7rocprim17ROCPRIM_400000_NS6detail17trampoline_kernelINS0_14default_configENS1_20scan_config_selectorIN3c104HalfEEEZZNS1_9scan_implILNS1_25lookback_scan_determinismE0ELb0ELb0ES3_PKS6_PS6_S6_ZZZN2at6native31launch_logcumsumexp_cuda_kernelERKNSD_10TensorBaseESH_lENKUlvE_clEvENKUlvE3_clEvEUlS6_S6_E_S6_EEDaPvRmT3_T4_T5_mT6_P12ihipStream_tbENKUlT_T0_E_clISt17integral_constantIbLb0EESY_EEDaST_SU_EUlST_E0_NS1_11comp_targetILNS1_3genE8ELNS1_11target_archE1030ELNS1_3gpuE2ELNS1_3repE0EEENS1_30default_config_static_selectorELNS0_4arch9wavefront6targetE1EEEvT1_
                                        ; -- End function
	.section	.AMDGPU.csdata,"",@progbits
; Kernel info:
; codeLenInByte = 0
; NumSgprs: 4
; NumVgprs: 0
; NumAgprs: 0
; TotalNumVgprs: 0
; ScratchSize: 0
; MemoryBound: 0
; FloatMode: 240
; IeeeMode: 1
; LDSByteSize: 0 bytes/workgroup (compile time only)
; SGPRBlocks: 0
; VGPRBlocks: 0
; NumSGPRsForWavesPerEU: 4
; NumVGPRsForWavesPerEU: 1
; AccumOffset: 4
; Occupancy: 8
; WaveLimiterHint : 0
; COMPUTE_PGM_RSRC2:SCRATCH_EN: 0
; COMPUTE_PGM_RSRC2:USER_SGPR: 6
; COMPUTE_PGM_RSRC2:TRAP_HANDLER: 0
; COMPUTE_PGM_RSRC2:TGID_X_EN: 1
; COMPUTE_PGM_RSRC2:TGID_Y_EN: 0
; COMPUTE_PGM_RSRC2:TGID_Z_EN: 0
; COMPUTE_PGM_RSRC2:TIDIG_COMP_CNT: 0
; COMPUTE_PGM_RSRC3_GFX90A:ACCUM_OFFSET: 0
; COMPUTE_PGM_RSRC3_GFX90A:TG_SPLIT: 0
	.section	.text._ZN7rocprim17ROCPRIM_400000_NS6detail31init_lookback_scan_state_kernelINS1_19lookback_scan_stateIN3c104HalfELb1ELb1EEENS1_16block_id_wrapperIjLb1EEEEEvT_jT0_jPNS9_10value_typeE,"axG",@progbits,_ZN7rocprim17ROCPRIM_400000_NS6detail31init_lookback_scan_state_kernelINS1_19lookback_scan_stateIN3c104HalfELb1ELb1EEENS1_16block_id_wrapperIjLb1EEEEEvT_jT0_jPNS9_10value_typeE,comdat
	.protected	_ZN7rocprim17ROCPRIM_400000_NS6detail31init_lookback_scan_state_kernelINS1_19lookback_scan_stateIN3c104HalfELb1ELb1EEENS1_16block_id_wrapperIjLb1EEEEEvT_jT0_jPNS9_10value_typeE ; -- Begin function _ZN7rocprim17ROCPRIM_400000_NS6detail31init_lookback_scan_state_kernelINS1_19lookback_scan_stateIN3c104HalfELb1ELb1EEENS1_16block_id_wrapperIjLb1EEEEEvT_jT0_jPNS9_10value_typeE
	.globl	_ZN7rocprim17ROCPRIM_400000_NS6detail31init_lookback_scan_state_kernelINS1_19lookback_scan_stateIN3c104HalfELb1ELb1EEENS1_16block_id_wrapperIjLb1EEEEEvT_jT0_jPNS9_10value_typeE
	.p2align	8
	.type	_ZN7rocprim17ROCPRIM_400000_NS6detail31init_lookback_scan_state_kernelINS1_19lookback_scan_stateIN3c104HalfELb1ELb1EEENS1_16block_id_wrapperIjLb1EEEEEvT_jT0_jPNS9_10value_typeE,@function
_ZN7rocprim17ROCPRIM_400000_NS6detail31init_lookback_scan_state_kernelINS1_19lookback_scan_stateIN3c104HalfELb1ELb1EEENS1_16block_id_wrapperIjLb1EEEEEvT_jT0_jPNS9_10value_typeE: ; @_ZN7rocprim17ROCPRIM_400000_NS6detail31init_lookback_scan_state_kernelINS1_19lookback_scan_stateIN3c104HalfELb1ELb1EEENS1_16block_id_wrapperIjLb1EEEEEvT_jT0_jPNS9_10value_typeE
; %bb.0:
	s_load_dword s7, s[4:5], 0x34
	s_load_dwordx2 s[2:3], s[4:5], 0x20
	s_load_dwordx2 s[0:1], s[4:5], 0x0
	s_load_dword s10, s[4:5], 0x8
	s_waitcnt lgkmcnt(0)
	s_and_b32 s7, s7, 0xffff
	s_mul_i32 s6, s6, s7
	s_cmp_eq_u64 s[2:3], 0
	v_add_u32_e32 v0, s6, v0
	s_cbranch_scc1 .LBB378_9
; %bb.1:
	s_load_dword s8, s[4:5], 0x18
	s_mov_b32 s9, 0
	s_waitcnt lgkmcnt(0)
	s_cmp_lt_u32 s8, s10
	s_cselect_b32 s6, s8, 0
	v_cmp_eq_u32_e32 vcc, s6, v0
	s_and_saveexec_b64 s[6:7], vcc
	s_cbranch_execz .LBB378_8
; %bb.2:
	s_add_i32 s8, s8, 64
	s_lshl_b64 s[8:9], s[8:9], 2
	s_add_u32 s8, s0, s8
	s_addc_u32 s9, s1, s9
	v_mov_b32_e32 v1, 0
	global_load_dword v2, v1, s[8:9] glc
	s_waitcnt vmcnt(0)
	v_and_b32_e32 v3, 0xff0000, v2
	v_cmp_ne_u32_e32 vcc, 0, v3
	s_cbranch_vccnz .LBB378_7
; %bb.3:
	s_mov_b32 s11, 1
.LBB378_4:                              ; =>This Loop Header: Depth=1
                                        ;     Child Loop BB378_5 Depth 2
	s_max_u32 s12, s11, 1
.LBB378_5:                              ;   Parent Loop BB378_4 Depth=1
                                        ; =>  This Inner Loop Header: Depth=2
	s_add_i32 s12, s12, -1
	s_cmp_eq_u32 s12, 0
	s_sleep 1
	s_cbranch_scc0 .LBB378_5
; %bb.6:                                ;   in Loop: Header=BB378_4 Depth=1
	global_load_dword v2, v1, s[8:9] glc
	s_cmp_lt_u32 s11, 32
	s_cselect_b64 s[12:13], -1, 0
	s_cmp_lg_u64 s[12:13], 0
	s_addc_u32 s11, s11, 0
	s_waitcnt vmcnt(0)
	v_and_b32_e32 v3, 0xff0000, v2
	v_cmp_ne_u32_e32 vcc, 0, v3
	s_cbranch_vccz .LBB378_4
.LBB378_7:
	v_mov_b32_e32 v1, 0
	global_store_short v1, v2, s[2:3]
.LBB378_8:
	s_or_b64 exec, exec, s[6:7]
.LBB378_9:
	v_cmp_eq_u32_e32 vcc, 0, v0
	s_and_saveexec_b64 s[2:3], vcc
	s_cbranch_execnz .LBB378_13
; %bb.10:
	s_or_b64 exec, exec, s[2:3]
	v_cmp_gt_u32_e32 vcc, s10, v0
	s_and_saveexec_b64 s[2:3], vcc
	s_cbranch_execnz .LBB378_14
.LBB378_11:
	s_or_b64 exec, exec, s[2:3]
	v_cmp_gt_u32_e32 vcc, 64, v0
	s_and_saveexec_b64 s[2:3], vcc
	s_cbranch_execnz .LBB378_15
.LBB378_12:
	s_endpgm
.LBB378_13:
	s_load_dwordx2 s[4:5], s[4:5], 0x10
	v_mov_b32_e32 v1, 0
	s_waitcnt lgkmcnt(0)
	global_store_dword v1, v1, s[4:5]
	s_or_b64 exec, exec, s[2:3]
	v_cmp_gt_u32_e32 vcc, s10, v0
	s_and_saveexec_b64 s[2:3], vcc
	s_cbranch_execz .LBB378_11
.LBB378_14:
	v_add_u32_e32 v2, 64, v0
	v_mov_b32_e32 v3, 0
	v_lshlrev_b64 v[4:5], 2, v[2:3]
	v_mov_b32_e32 v1, s1
	v_add_co_u32_e32 v4, vcc, s0, v4
	v_addc_co_u32_e32 v5, vcc, v1, v5, vcc
	global_store_dword v[4:5], v3, off
	s_or_b64 exec, exec, s[2:3]
	v_cmp_gt_u32_e32 vcc, 64, v0
	s_and_saveexec_b64 s[2:3], vcc
	s_cbranch_execz .LBB378_12
.LBB378_15:
	v_mov_b32_e32 v1, 0
	v_lshlrev_b64 v[0:1], 2, v[0:1]
	v_mov_b32_e32 v2, s1
	v_add_co_u32_e32 v0, vcc, s0, v0
	v_addc_co_u32_e32 v1, vcc, v2, v1, vcc
	v_mov_b32_e32 v2, 0xff0000
	global_store_dword v[0:1], v2, off
	s_endpgm
	.section	.rodata,"a",@progbits
	.p2align	6, 0x0
	.amdhsa_kernel _ZN7rocprim17ROCPRIM_400000_NS6detail31init_lookback_scan_state_kernelINS1_19lookback_scan_stateIN3c104HalfELb1ELb1EEENS1_16block_id_wrapperIjLb1EEEEEvT_jT0_jPNS9_10value_typeE
		.amdhsa_group_segment_fixed_size 0
		.amdhsa_private_segment_fixed_size 0
		.amdhsa_kernarg_size 296
		.amdhsa_user_sgpr_count 6
		.amdhsa_user_sgpr_private_segment_buffer 1
		.amdhsa_user_sgpr_dispatch_ptr 0
		.amdhsa_user_sgpr_queue_ptr 0
		.amdhsa_user_sgpr_kernarg_segment_ptr 1
		.amdhsa_user_sgpr_dispatch_id 0
		.amdhsa_user_sgpr_flat_scratch_init 0
		.amdhsa_user_sgpr_kernarg_preload_length 0
		.amdhsa_user_sgpr_kernarg_preload_offset 0
		.amdhsa_user_sgpr_private_segment_size 0
		.amdhsa_uses_dynamic_stack 0
		.amdhsa_system_sgpr_private_segment_wavefront_offset 0
		.amdhsa_system_sgpr_workgroup_id_x 1
		.amdhsa_system_sgpr_workgroup_id_y 0
		.amdhsa_system_sgpr_workgroup_id_z 0
		.amdhsa_system_sgpr_workgroup_info 0
		.amdhsa_system_vgpr_workitem_id 0
		.amdhsa_next_free_vgpr 6
		.amdhsa_next_free_sgpr 14
		.amdhsa_accum_offset 8
		.amdhsa_reserve_vcc 1
		.amdhsa_reserve_flat_scratch 0
		.amdhsa_float_round_mode_32 0
		.amdhsa_float_round_mode_16_64 0
		.amdhsa_float_denorm_mode_32 3
		.amdhsa_float_denorm_mode_16_64 3
		.amdhsa_dx10_clamp 1
		.amdhsa_ieee_mode 1
		.amdhsa_fp16_overflow 0
		.amdhsa_tg_split 0
		.amdhsa_exception_fp_ieee_invalid_op 0
		.amdhsa_exception_fp_denorm_src 0
		.amdhsa_exception_fp_ieee_div_zero 0
		.amdhsa_exception_fp_ieee_overflow 0
		.amdhsa_exception_fp_ieee_underflow 0
		.amdhsa_exception_fp_ieee_inexact 0
		.amdhsa_exception_int_div_zero 0
	.end_amdhsa_kernel
	.section	.text._ZN7rocprim17ROCPRIM_400000_NS6detail31init_lookback_scan_state_kernelINS1_19lookback_scan_stateIN3c104HalfELb1ELb1EEENS1_16block_id_wrapperIjLb1EEEEEvT_jT0_jPNS9_10value_typeE,"axG",@progbits,_ZN7rocprim17ROCPRIM_400000_NS6detail31init_lookback_scan_state_kernelINS1_19lookback_scan_stateIN3c104HalfELb1ELb1EEENS1_16block_id_wrapperIjLb1EEEEEvT_jT0_jPNS9_10value_typeE,comdat
.Lfunc_end378:
	.size	_ZN7rocprim17ROCPRIM_400000_NS6detail31init_lookback_scan_state_kernelINS1_19lookback_scan_stateIN3c104HalfELb1ELb1EEENS1_16block_id_wrapperIjLb1EEEEEvT_jT0_jPNS9_10value_typeE, .Lfunc_end378-_ZN7rocprim17ROCPRIM_400000_NS6detail31init_lookback_scan_state_kernelINS1_19lookback_scan_stateIN3c104HalfELb1ELb1EEENS1_16block_id_wrapperIjLb1EEEEEvT_jT0_jPNS9_10value_typeE
                                        ; -- End function
	.section	.AMDGPU.csdata,"",@progbits
; Kernel info:
; codeLenInByte = 412
; NumSgprs: 18
; NumVgprs: 6
; NumAgprs: 0
; TotalNumVgprs: 6
; ScratchSize: 0
; MemoryBound: 0
; FloatMode: 240
; IeeeMode: 1
; LDSByteSize: 0 bytes/workgroup (compile time only)
; SGPRBlocks: 2
; VGPRBlocks: 0
; NumSGPRsForWavesPerEU: 18
; NumVGPRsForWavesPerEU: 6
; AccumOffset: 8
; Occupancy: 8
; WaveLimiterHint : 0
; COMPUTE_PGM_RSRC2:SCRATCH_EN: 0
; COMPUTE_PGM_RSRC2:USER_SGPR: 6
; COMPUTE_PGM_RSRC2:TRAP_HANDLER: 0
; COMPUTE_PGM_RSRC2:TGID_X_EN: 1
; COMPUTE_PGM_RSRC2:TGID_Y_EN: 0
; COMPUTE_PGM_RSRC2:TGID_Z_EN: 0
; COMPUTE_PGM_RSRC2:TIDIG_COMP_CNT: 0
; COMPUTE_PGM_RSRC3_GFX90A:ACCUM_OFFSET: 1
; COMPUTE_PGM_RSRC3_GFX90A:TG_SPLIT: 0
	.section	.text._ZN7rocprim17ROCPRIM_400000_NS6detail17trampoline_kernelINS0_14default_configENS1_20scan_config_selectorIN3c104HalfEEEZZNS1_9scan_implILNS1_25lookback_scan_determinismE0ELb0ELb0ES3_PKS6_PS6_S6_ZZZN2at6native31launch_logcumsumexp_cuda_kernelERKNSD_10TensorBaseESH_lENKUlvE_clEvENKUlvE3_clEvEUlS6_S6_E_S6_EEDaPvRmT3_T4_T5_mT6_P12ihipStream_tbENKUlT_T0_E_clISt17integral_constantIbLb1EESY_EEDaST_SU_EUlST_E_NS1_11comp_targetILNS1_3genE0ELNS1_11target_archE4294967295ELNS1_3gpuE0ELNS1_3repE0EEENS1_30default_config_static_selectorELNS0_4arch9wavefront6targetE1EEEvT1_,"axG",@progbits,_ZN7rocprim17ROCPRIM_400000_NS6detail17trampoline_kernelINS0_14default_configENS1_20scan_config_selectorIN3c104HalfEEEZZNS1_9scan_implILNS1_25lookback_scan_determinismE0ELb0ELb0ES3_PKS6_PS6_S6_ZZZN2at6native31launch_logcumsumexp_cuda_kernelERKNSD_10TensorBaseESH_lENKUlvE_clEvENKUlvE3_clEvEUlS6_S6_E_S6_EEDaPvRmT3_T4_T5_mT6_P12ihipStream_tbENKUlT_T0_E_clISt17integral_constantIbLb1EESY_EEDaST_SU_EUlST_E_NS1_11comp_targetILNS1_3genE0ELNS1_11target_archE4294967295ELNS1_3gpuE0ELNS1_3repE0EEENS1_30default_config_static_selectorELNS0_4arch9wavefront6targetE1EEEvT1_,comdat
	.globl	_ZN7rocprim17ROCPRIM_400000_NS6detail17trampoline_kernelINS0_14default_configENS1_20scan_config_selectorIN3c104HalfEEEZZNS1_9scan_implILNS1_25lookback_scan_determinismE0ELb0ELb0ES3_PKS6_PS6_S6_ZZZN2at6native31launch_logcumsumexp_cuda_kernelERKNSD_10TensorBaseESH_lENKUlvE_clEvENKUlvE3_clEvEUlS6_S6_E_S6_EEDaPvRmT3_T4_T5_mT6_P12ihipStream_tbENKUlT_T0_E_clISt17integral_constantIbLb1EESY_EEDaST_SU_EUlST_E_NS1_11comp_targetILNS1_3genE0ELNS1_11target_archE4294967295ELNS1_3gpuE0ELNS1_3repE0EEENS1_30default_config_static_selectorELNS0_4arch9wavefront6targetE1EEEvT1_ ; -- Begin function _ZN7rocprim17ROCPRIM_400000_NS6detail17trampoline_kernelINS0_14default_configENS1_20scan_config_selectorIN3c104HalfEEEZZNS1_9scan_implILNS1_25lookback_scan_determinismE0ELb0ELb0ES3_PKS6_PS6_S6_ZZZN2at6native31launch_logcumsumexp_cuda_kernelERKNSD_10TensorBaseESH_lENKUlvE_clEvENKUlvE3_clEvEUlS6_S6_E_S6_EEDaPvRmT3_T4_T5_mT6_P12ihipStream_tbENKUlT_T0_E_clISt17integral_constantIbLb1EESY_EEDaST_SU_EUlST_E_NS1_11comp_targetILNS1_3genE0ELNS1_11target_archE4294967295ELNS1_3gpuE0ELNS1_3repE0EEENS1_30default_config_static_selectorELNS0_4arch9wavefront6targetE1EEEvT1_
	.p2align	8
	.type	_ZN7rocprim17ROCPRIM_400000_NS6detail17trampoline_kernelINS0_14default_configENS1_20scan_config_selectorIN3c104HalfEEEZZNS1_9scan_implILNS1_25lookback_scan_determinismE0ELb0ELb0ES3_PKS6_PS6_S6_ZZZN2at6native31launch_logcumsumexp_cuda_kernelERKNSD_10TensorBaseESH_lENKUlvE_clEvENKUlvE3_clEvEUlS6_S6_E_S6_EEDaPvRmT3_T4_T5_mT6_P12ihipStream_tbENKUlT_T0_E_clISt17integral_constantIbLb1EESY_EEDaST_SU_EUlST_E_NS1_11comp_targetILNS1_3genE0ELNS1_11target_archE4294967295ELNS1_3gpuE0ELNS1_3repE0EEENS1_30default_config_static_selectorELNS0_4arch9wavefront6targetE1EEEvT1_,@function
_ZN7rocprim17ROCPRIM_400000_NS6detail17trampoline_kernelINS0_14default_configENS1_20scan_config_selectorIN3c104HalfEEEZZNS1_9scan_implILNS1_25lookback_scan_determinismE0ELb0ELb0ES3_PKS6_PS6_S6_ZZZN2at6native31launch_logcumsumexp_cuda_kernelERKNSD_10TensorBaseESH_lENKUlvE_clEvENKUlvE3_clEvEUlS6_S6_E_S6_EEDaPvRmT3_T4_T5_mT6_P12ihipStream_tbENKUlT_T0_E_clISt17integral_constantIbLb1EESY_EEDaST_SU_EUlST_E_NS1_11comp_targetILNS1_3genE0ELNS1_11target_archE4294967295ELNS1_3gpuE0ELNS1_3repE0EEENS1_30default_config_static_selectorELNS0_4arch9wavefront6targetE1EEEvT1_: ; @_ZN7rocprim17ROCPRIM_400000_NS6detail17trampoline_kernelINS0_14default_configENS1_20scan_config_selectorIN3c104HalfEEEZZNS1_9scan_implILNS1_25lookback_scan_determinismE0ELb0ELb0ES3_PKS6_PS6_S6_ZZZN2at6native31launch_logcumsumexp_cuda_kernelERKNSD_10TensorBaseESH_lENKUlvE_clEvENKUlvE3_clEvEUlS6_S6_E_S6_EEDaPvRmT3_T4_T5_mT6_P12ihipStream_tbENKUlT_T0_E_clISt17integral_constantIbLb1EESY_EEDaST_SU_EUlST_E_NS1_11comp_targetILNS1_3genE0ELNS1_11target_archE4294967295ELNS1_3gpuE0ELNS1_3repE0EEENS1_30default_config_static_selectorELNS0_4arch9wavefront6targetE1EEEvT1_
; %bb.0:
	.section	.rodata,"a",@progbits
	.p2align	6, 0x0
	.amdhsa_kernel _ZN7rocprim17ROCPRIM_400000_NS6detail17trampoline_kernelINS0_14default_configENS1_20scan_config_selectorIN3c104HalfEEEZZNS1_9scan_implILNS1_25lookback_scan_determinismE0ELb0ELb0ES3_PKS6_PS6_S6_ZZZN2at6native31launch_logcumsumexp_cuda_kernelERKNSD_10TensorBaseESH_lENKUlvE_clEvENKUlvE3_clEvEUlS6_S6_E_S6_EEDaPvRmT3_T4_T5_mT6_P12ihipStream_tbENKUlT_T0_E_clISt17integral_constantIbLb1EESY_EEDaST_SU_EUlST_E_NS1_11comp_targetILNS1_3genE0ELNS1_11target_archE4294967295ELNS1_3gpuE0ELNS1_3repE0EEENS1_30default_config_static_selectorELNS0_4arch9wavefront6targetE1EEEvT1_
		.amdhsa_group_segment_fixed_size 0
		.amdhsa_private_segment_fixed_size 0
		.amdhsa_kernarg_size 96
		.amdhsa_user_sgpr_count 6
		.amdhsa_user_sgpr_private_segment_buffer 1
		.amdhsa_user_sgpr_dispatch_ptr 0
		.amdhsa_user_sgpr_queue_ptr 0
		.amdhsa_user_sgpr_kernarg_segment_ptr 1
		.amdhsa_user_sgpr_dispatch_id 0
		.amdhsa_user_sgpr_flat_scratch_init 0
		.amdhsa_user_sgpr_kernarg_preload_length 0
		.amdhsa_user_sgpr_kernarg_preload_offset 0
		.amdhsa_user_sgpr_private_segment_size 0
		.amdhsa_uses_dynamic_stack 0
		.amdhsa_system_sgpr_private_segment_wavefront_offset 0
		.amdhsa_system_sgpr_workgroup_id_x 1
		.amdhsa_system_sgpr_workgroup_id_y 0
		.amdhsa_system_sgpr_workgroup_id_z 0
		.amdhsa_system_sgpr_workgroup_info 0
		.amdhsa_system_vgpr_workitem_id 0
		.amdhsa_next_free_vgpr 1
		.amdhsa_next_free_sgpr 0
		.amdhsa_accum_offset 4
		.amdhsa_reserve_vcc 0
		.amdhsa_reserve_flat_scratch 0
		.amdhsa_float_round_mode_32 0
		.amdhsa_float_round_mode_16_64 0
		.amdhsa_float_denorm_mode_32 3
		.amdhsa_float_denorm_mode_16_64 3
		.amdhsa_dx10_clamp 1
		.amdhsa_ieee_mode 1
		.amdhsa_fp16_overflow 0
		.amdhsa_tg_split 0
		.amdhsa_exception_fp_ieee_invalid_op 0
		.amdhsa_exception_fp_denorm_src 0
		.amdhsa_exception_fp_ieee_div_zero 0
		.amdhsa_exception_fp_ieee_overflow 0
		.amdhsa_exception_fp_ieee_underflow 0
		.amdhsa_exception_fp_ieee_inexact 0
		.amdhsa_exception_int_div_zero 0
	.end_amdhsa_kernel
	.section	.text._ZN7rocprim17ROCPRIM_400000_NS6detail17trampoline_kernelINS0_14default_configENS1_20scan_config_selectorIN3c104HalfEEEZZNS1_9scan_implILNS1_25lookback_scan_determinismE0ELb0ELb0ES3_PKS6_PS6_S6_ZZZN2at6native31launch_logcumsumexp_cuda_kernelERKNSD_10TensorBaseESH_lENKUlvE_clEvENKUlvE3_clEvEUlS6_S6_E_S6_EEDaPvRmT3_T4_T5_mT6_P12ihipStream_tbENKUlT_T0_E_clISt17integral_constantIbLb1EESY_EEDaST_SU_EUlST_E_NS1_11comp_targetILNS1_3genE0ELNS1_11target_archE4294967295ELNS1_3gpuE0ELNS1_3repE0EEENS1_30default_config_static_selectorELNS0_4arch9wavefront6targetE1EEEvT1_,"axG",@progbits,_ZN7rocprim17ROCPRIM_400000_NS6detail17trampoline_kernelINS0_14default_configENS1_20scan_config_selectorIN3c104HalfEEEZZNS1_9scan_implILNS1_25lookback_scan_determinismE0ELb0ELb0ES3_PKS6_PS6_S6_ZZZN2at6native31launch_logcumsumexp_cuda_kernelERKNSD_10TensorBaseESH_lENKUlvE_clEvENKUlvE3_clEvEUlS6_S6_E_S6_EEDaPvRmT3_T4_T5_mT6_P12ihipStream_tbENKUlT_T0_E_clISt17integral_constantIbLb1EESY_EEDaST_SU_EUlST_E_NS1_11comp_targetILNS1_3genE0ELNS1_11target_archE4294967295ELNS1_3gpuE0ELNS1_3repE0EEENS1_30default_config_static_selectorELNS0_4arch9wavefront6targetE1EEEvT1_,comdat
.Lfunc_end379:
	.size	_ZN7rocprim17ROCPRIM_400000_NS6detail17trampoline_kernelINS0_14default_configENS1_20scan_config_selectorIN3c104HalfEEEZZNS1_9scan_implILNS1_25lookback_scan_determinismE0ELb0ELb0ES3_PKS6_PS6_S6_ZZZN2at6native31launch_logcumsumexp_cuda_kernelERKNSD_10TensorBaseESH_lENKUlvE_clEvENKUlvE3_clEvEUlS6_S6_E_S6_EEDaPvRmT3_T4_T5_mT6_P12ihipStream_tbENKUlT_T0_E_clISt17integral_constantIbLb1EESY_EEDaST_SU_EUlST_E_NS1_11comp_targetILNS1_3genE0ELNS1_11target_archE4294967295ELNS1_3gpuE0ELNS1_3repE0EEENS1_30default_config_static_selectorELNS0_4arch9wavefront6targetE1EEEvT1_, .Lfunc_end379-_ZN7rocprim17ROCPRIM_400000_NS6detail17trampoline_kernelINS0_14default_configENS1_20scan_config_selectorIN3c104HalfEEEZZNS1_9scan_implILNS1_25lookback_scan_determinismE0ELb0ELb0ES3_PKS6_PS6_S6_ZZZN2at6native31launch_logcumsumexp_cuda_kernelERKNSD_10TensorBaseESH_lENKUlvE_clEvENKUlvE3_clEvEUlS6_S6_E_S6_EEDaPvRmT3_T4_T5_mT6_P12ihipStream_tbENKUlT_T0_E_clISt17integral_constantIbLb1EESY_EEDaST_SU_EUlST_E_NS1_11comp_targetILNS1_3genE0ELNS1_11target_archE4294967295ELNS1_3gpuE0ELNS1_3repE0EEENS1_30default_config_static_selectorELNS0_4arch9wavefront6targetE1EEEvT1_
                                        ; -- End function
	.section	.AMDGPU.csdata,"",@progbits
; Kernel info:
; codeLenInByte = 0
; NumSgprs: 4
; NumVgprs: 0
; NumAgprs: 0
; TotalNumVgprs: 0
; ScratchSize: 0
; MemoryBound: 0
; FloatMode: 240
; IeeeMode: 1
; LDSByteSize: 0 bytes/workgroup (compile time only)
; SGPRBlocks: 0
; VGPRBlocks: 0
; NumSGPRsForWavesPerEU: 4
; NumVGPRsForWavesPerEU: 1
; AccumOffset: 4
; Occupancy: 8
; WaveLimiterHint : 0
; COMPUTE_PGM_RSRC2:SCRATCH_EN: 0
; COMPUTE_PGM_RSRC2:USER_SGPR: 6
; COMPUTE_PGM_RSRC2:TRAP_HANDLER: 0
; COMPUTE_PGM_RSRC2:TGID_X_EN: 1
; COMPUTE_PGM_RSRC2:TGID_Y_EN: 0
; COMPUTE_PGM_RSRC2:TGID_Z_EN: 0
; COMPUTE_PGM_RSRC2:TIDIG_COMP_CNT: 0
; COMPUTE_PGM_RSRC3_GFX90A:ACCUM_OFFSET: 0
; COMPUTE_PGM_RSRC3_GFX90A:TG_SPLIT: 0
	.section	.text._ZN7rocprim17ROCPRIM_400000_NS6detail17trampoline_kernelINS0_14default_configENS1_20scan_config_selectorIN3c104HalfEEEZZNS1_9scan_implILNS1_25lookback_scan_determinismE0ELb0ELb0ES3_PKS6_PS6_S6_ZZZN2at6native31launch_logcumsumexp_cuda_kernelERKNSD_10TensorBaseESH_lENKUlvE_clEvENKUlvE3_clEvEUlS6_S6_E_S6_EEDaPvRmT3_T4_T5_mT6_P12ihipStream_tbENKUlT_T0_E_clISt17integral_constantIbLb1EESY_EEDaST_SU_EUlST_E_NS1_11comp_targetILNS1_3genE5ELNS1_11target_archE942ELNS1_3gpuE9ELNS1_3repE0EEENS1_30default_config_static_selectorELNS0_4arch9wavefront6targetE1EEEvT1_,"axG",@progbits,_ZN7rocprim17ROCPRIM_400000_NS6detail17trampoline_kernelINS0_14default_configENS1_20scan_config_selectorIN3c104HalfEEEZZNS1_9scan_implILNS1_25lookback_scan_determinismE0ELb0ELb0ES3_PKS6_PS6_S6_ZZZN2at6native31launch_logcumsumexp_cuda_kernelERKNSD_10TensorBaseESH_lENKUlvE_clEvENKUlvE3_clEvEUlS6_S6_E_S6_EEDaPvRmT3_T4_T5_mT6_P12ihipStream_tbENKUlT_T0_E_clISt17integral_constantIbLb1EESY_EEDaST_SU_EUlST_E_NS1_11comp_targetILNS1_3genE5ELNS1_11target_archE942ELNS1_3gpuE9ELNS1_3repE0EEENS1_30default_config_static_selectorELNS0_4arch9wavefront6targetE1EEEvT1_,comdat
	.globl	_ZN7rocprim17ROCPRIM_400000_NS6detail17trampoline_kernelINS0_14default_configENS1_20scan_config_selectorIN3c104HalfEEEZZNS1_9scan_implILNS1_25lookback_scan_determinismE0ELb0ELb0ES3_PKS6_PS6_S6_ZZZN2at6native31launch_logcumsumexp_cuda_kernelERKNSD_10TensorBaseESH_lENKUlvE_clEvENKUlvE3_clEvEUlS6_S6_E_S6_EEDaPvRmT3_T4_T5_mT6_P12ihipStream_tbENKUlT_T0_E_clISt17integral_constantIbLb1EESY_EEDaST_SU_EUlST_E_NS1_11comp_targetILNS1_3genE5ELNS1_11target_archE942ELNS1_3gpuE9ELNS1_3repE0EEENS1_30default_config_static_selectorELNS0_4arch9wavefront6targetE1EEEvT1_ ; -- Begin function _ZN7rocprim17ROCPRIM_400000_NS6detail17trampoline_kernelINS0_14default_configENS1_20scan_config_selectorIN3c104HalfEEEZZNS1_9scan_implILNS1_25lookback_scan_determinismE0ELb0ELb0ES3_PKS6_PS6_S6_ZZZN2at6native31launch_logcumsumexp_cuda_kernelERKNSD_10TensorBaseESH_lENKUlvE_clEvENKUlvE3_clEvEUlS6_S6_E_S6_EEDaPvRmT3_T4_T5_mT6_P12ihipStream_tbENKUlT_T0_E_clISt17integral_constantIbLb1EESY_EEDaST_SU_EUlST_E_NS1_11comp_targetILNS1_3genE5ELNS1_11target_archE942ELNS1_3gpuE9ELNS1_3repE0EEENS1_30default_config_static_selectorELNS0_4arch9wavefront6targetE1EEEvT1_
	.p2align	8
	.type	_ZN7rocprim17ROCPRIM_400000_NS6detail17trampoline_kernelINS0_14default_configENS1_20scan_config_selectorIN3c104HalfEEEZZNS1_9scan_implILNS1_25lookback_scan_determinismE0ELb0ELb0ES3_PKS6_PS6_S6_ZZZN2at6native31launch_logcumsumexp_cuda_kernelERKNSD_10TensorBaseESH_lENKUlvE_clEvENKUlvE3_clEvEUlS6_S6_E_S6_EEDaPvRmT3_T4_T5_mT6_P12ihipStream_tbENKUlT_T0_E_clISt17integral_constantIbLb1EESY_EEDaST_SU_EUlST_E_NS1_11comp_targetILNS1_3genE5ELNS1_11target_archE942ELNS1_3gpuE9ELNS1_3repE0EEENS1_30default_config_static_selectorELNS0_4arch9wavefront6targetE1EEEvT1_,@function
_ZN7rocprim17ROCPRIM_400000_NS6detail17trampoline_kernelINS0_14default_configENS1_20scan_config_selectorIN3c104HalfEEEZZNS1_9scan_implILNS1_25lookback_scan_determinismE0ELb0ELb0ES3_PKS6_PS6_S6_ZZZN2at6native31launch_logcumsumexp_cuda_kernelERKNSD_10TensorBaseESH_lENKUlvE_clEvENKUlvE3_clEvEUlS6_S6_E_S6_EEDaPvRmT3_T4_T5_mT6_P12ihipStream_tbENKUlT_T0_E_clISt17integral_constantIbLb1EESY_EEDaST_SU_EUlST_E_NS1_11comp_targetILNS1_3genE5ELNS1_11target_archE942ELNS1_3gpuE9ELNS1_3repE0EEENS1_30default_config_static_selectorELNS0_4arch9wavefront6targetE1EEEvT1_: ; @_ZN7rocprim17ROCPRIM_400000_NS6detail17trampoline_kernelINS0_14default_configENS1_20scan_config_selectorIN3c104HalfEEEZZNS1_9scan_implILNS1_25lookback_scan_determinismE0ELb0ELb0ES3_PKS6_PS6_S6_ZZZN2at6native31launch_logcumsumexp_cuda_kernelERKNSD_10TensorBaseESH_lENKUlvE_clEvENKUlvE3_clEvEUlS6_S6_E_S6_EEDaPvRmT3_T4_T5_mT6_P12ihipStream_tbENKUlT_T0_E_clISt17integral_constantIbLb1EESY_EEDaST_SU_EUlST_E_NS1_11comp_targetILNS1_3genE5ELNS1_11target_archE942ELNS1_3gpuE9ELNS1_3repE0EEENS1_30default_config_static_selectorELNS0_4arch9wavefront6targetE1EEEvT1_
; %bb.0:
	.section	.rodata,"a",@progbits
	.p2align	6, 0x0
	.amdhsa_kernel _ZN7rocprim17ROCPRIM_400000_NS6detail17trampoline_kernelINS0_14default_configENS1_20scan_config_selectorIN3c104HalfEEEZZNS1_9scan_implILNS1_25lookback_scan_determinismE0ELb0ELb0ES3_PKS6_PS6_S6_ZZZN2at6native31launch_logcumsumexp_cuda_kernelERKNSD_10TensorBaseESH_lENKUlvE_clEvENKUlvE3_clEvEUlS6_S6_E_S6_EEDaPvRmT3_T4_T5_mT6_P12ihipStream_tbENKUlT_T0_E_clISt17integral_constantIbLb1EESY_EEDaST_SU_EUlST_E_NS1_11comp_targetILNS1_3genE5ELNS1_11target_archE942ELNS1_3gpuE9ELNS1_3repE0EEENS1_30default_config_static_selectorELNS0_4arch9wavefront6targetE1EEEvT1_
		.amdhsa_group_segment_fixed_size 0
		.amdhsa_private_segment_fixed_size 0
		.amdhsa_kernarg_size 96
		.amdhsa_user_sgpr_count 6
		.amdhsa_user_sgpr_private_segment_buffer 1
		.amdhsa_user_sgpr_dispatch_ptr 0
		.amdhsa_user_sgpr_queue_ptr 0
		.amdhsa_user_sgpr_kernarg_segment_ptr 1
		.amdhsa_user_sgpr_dispatch_id 0
		.amdhsa_user_sgpr_flat_scratch_init 0
		.amdhsa_user_sgpr_kernarg_preload_length 0
		.amdhsa_user_sgpr_kernarg_preload_offset 0
		.amdhsa_user_sgpr_private_segment_size 0
		.amdhsa_uses_dynamic_stack 0
		.amdhsa_system_sgpr_private_segment_wavefront_offset 0
		.amdhsa_system_sgpr_workgroup_id_x 1
		.amdhsa_system_sgpr_workgroup_id_y 0
		.amdhsa_system_sgpr_workgroup_id_z 0
		.amdhsa_system_sgpr_workgroup_info 0
		.amdhsa_system_vgpr_workitem_id 0
		.amdhsa_next_free_vgpr 1
		.amdhsa_next_free_sgpr 0
		.amdhsa_accum_offset 4
		.amdhsa_reserve_vcc 0
		.amdhsa_reserve_flat_scratch 0
		.amdhsa_float_round_mode_32 0
		.amdhsa_float_round_mode_16_64 0
		.amdhsa_float_denorm_mode_32 3
		.amdhsa_float_denorm_mode_16_64 3
		.amdhsa_dx10_clamp 1
		.amdhsa_ieee_mode 1
		.amdhsa_fp16_overflow 0
		.amdhsa_tg_split 0
		.amdhsa_exception_fp_ieee_invalid_op 0
		.amdhsa_exception_fp_denorm_src 0
		.amdhsa_exception_fp_ieee_div_zero 0
		.amdhsa_exception_fp_ieee_overflow 0
		.amdhsa_exception_fp_ieee_underflow 0
		.amdhsa_exception_fp_ieee_inexact 0
		.amdhsa_exception_int_div_zero 0
	.end_amdhsa_kernel
	.section	.text._ZN7rocprim17ROCPRIM_400000_NS6detail17trampoline_kernelINS0_14default_configENS1_20scan_config_selectorIN3c104HalfEEEZZNS1_9scan_implILNS1_25lookback_scan_determinismE0ELb0ELb0ES3_PKS6_PS6_S6_ZZZN2at6native31launch_logcumsumexp_cuda_kernelERKNSD_10TensorBaseESH_lENKUlvE_clEvENKUlvE3_clEvEUlS6_S6_E_S6_EEDaPvRmT3_T4_T5_mT6_P12ihipStream_tbENKUlT_T0_E_clISt17integral_constantIbLb1EESY_EEDaST_SU_EUlST_E_NS1_11comp_targetILNS1_3genE5ELNS1_11target_archE942ELNS1_3gpuE9ELNS1_3repE0EEENS1_30default_config_static_selectorELNS0_4arch9wavefront6targetE1EEEvT1_,"axG",@progbits,_ZN7rocprim17ROCPRIM_400000_NS6detail17trampoline_kernelINS0_14default_configENS1_20scan_config_selectorIN3c104HalfEEEZZNS1_9scan_implILNS1_25lookback_scan_determinismE0ELb0ELb0ES3_PKS6_PS6_S6_ZZZN2at6native31launch_logcumsumexp_cuda_kernelERKNSD_10TensorBaseESH_lENKUlvE_clEvENKUlvE3_clEvEUlS6_S6_E_S6_EEDaPvRmT3_T4_T5_mT6_P12ihipStream_tbENKUlT_T0_E_clISt17integral_constantIbLb1EESY_EEDaST_SU_EUlST_E_NS1_11comp_targetILNS1_3genE5ELNS1_11target_archE942ELNS1_3gpuE9ELNS1_3repE0EEENS1_30default_config_static_selectorELNS0_4arch9wavefront6targetE1EEEvT1_,comdat
.Lfunc_end380:
	.size	_ZN7rocprim17ROCPRIM_400000_NS6detail17trampoline_kernelINS0_14default_configENS1_20scan_config_selectorIN3c104HalfEEEZZNS1_9scan_implILNS1_25lookback_scan_determinismE0ELb0ELb0ES3_PKS6_PS6_S6_ZZZN2at6native31launch_logcumsumexp_cuda_kernelERKNSD_10TensorBaseESH_lENKUlvE_clEvENKUlvE3_clEvEUlS6_S6_E_S6_EEDaPvRmT3_T4_T5_mT6_P12ihipStream_tbENKUlT_T0_E_clISt17integral_constantIbLb1EESY_EEDaST_SU_EUlST_E_NS1_11comp_targetILNS1_3genE5ELNS1_11target_archE942ELNS1_3gpuE9ELNS1_3repE0EEENS1_30default_config_static_selectorELNS0_4arch9wavefront6targetE1EEEvT1_, .Lfunc_end380-_ZN7rocprim17ROCPRIM_400000_NS6detail17trampoline_kernelINS0_14default_configENS1_20scan_config_selectorIN3c104HalfEEEZZNS1_9scan_implILNS1_25lookback_scan_determinismE0ELb0ELb0ES3_PKS6_PS6_S6_ZZZN2at6native31launch_logcumsumexp_cuda_kernelERKNSD_10TensorBaseESH_lENKUlvE_clEvENKUlvE3_clEvEUlS6_S6_E_S6_EEDaPvRmT3_T4_T5_mT6_P12ihipStream_tbENKUlT_T0_E_clISt17integral_constantIbLb1EESY_EEDaST_SU_EUlST_E_NS1_11comp_targetILNS1_3genE5ELNS1_11target_archE942ELNS1_3gpuE9ELNS1_3repE0EEENS1_30default_config_static_selectorELNS0_4arch9wavefront6targetE1EEEvT1_
                                        ; -- End function
	.section	.AMDGPU.csdata,"",@progbits
; Kernel info:
; codeLenInByte = 0
; NumSgprs: 4
; NumVgprs: 0
; NumAgprs: 0
; TotalNumVgprs: 0
; ScratchSize: 0
; MemoryBound: 0
; FloatMode: 240
; IeeeMode: 1
; LDSByteSize: 0 bytes/workgroup (compile time only)
; SGPRBlocks: 0
; VGPRBlocks: 0
; NumSGPRsForWavesPerEU: 4
; NumVGPRsForWavesPerEU: 1
; AccumOffset: 4
; Occupancy: 8
; WaveLimiterHint : 0
; COMPUTE_PGM_RSRC2:SCRATCH_EN: 0
; COMPUTE_PGM_RSRC2:USER_SGPR: 6
; COMPUTE_PGM_RSRC2:TRAP_HANDLER: 0
; COMPUTE_PGM_RSRC2:TGID_X_EN: 1
; COMPUTE_PGM_RSRC2:TGID_Y_EN: 0
; COMPUTE_PGM_RSRC2:TGID_Z_EN: 0
; COMPUTE_PGM_RSRC2:TIDIG_COMP_CNT: 0
; COMPUTE_PGM_RSRC3_GFX90A:ACCUM_OFFSET: 0
; COMPUTE_PGM_RSRC3_GFX90A:TG_SPLIT: 0
	.text
	.p2align	2                               ; -- Begin function _ZZZN7rocprim17ROCPRIM_400000_NS6detail9scan_implILNS1_25lookback_scan_determinismE0ELb0ELb0ENS0_14default_configEPKN3c104HalfEPS6_S6_ZZZN2at6native31launch_logcumsumexp_cuda_kernelERKNSA_10TensorBaseESE_lENKUlvE_clEvENKUlvE3_clEvEUlS6_S6_E_S6_EEDaPvRmT3_T4_T5_mT6_P12ihipStream_tbENKUlT_T0_E_clISt17integral_constantIbLb1EESV_EEDaSQ_SR_ENKUlSQ_E_clINS1_13target_configIS4_NS1_20scan_config_selectorIS6_EENS1_11comp_targetILNS1_3genE4ELNS1_11target_archE910ELNS1_3gpuE8ELNS1_3repE0EEELNS0_4arch9wavefront6targetE1EEEEEDaSQ_
	.type	_ZZZN7rocprim17ROCPRIM_400000_NS6detail9scan_implILNS1_25lookback_scan_determinismE0ELb0ELb0ENS0_14default_configEPKN3c104HalfEPS6_S6_ZZZN2at6native31launch_logcumsumexp_cuda_kernelERKNSA_10TensorBaseESE_lENKUlvE_clEvENKUlvE3_clEvEUlS6_S6_E_S6_EEDaPvRmT3_T4_T5_mT6_P12ihipStream_tbENKUlT_T0_E_clISt17integral_constantIbLb1EESV_EEDaSQ_SR_ENKUlSQ_E_clINS1_13target_configIS4_NS1_20scan_config_selectorIS6_EENS1_11comp_targetILNS1_3genE4ELNS1_11target_archE910ELNS1_3gpuE8ELNS1_3repE0EEELNS0_4arch9wavefront6targetE1EEEEEDaSQ_,@function
_ZZZN7rocprim17ROCPRIM_400000_NS6detail9scan_implILNS1_25lookback_scan_determinismE0ELb0ELb0ENS0_14default_configEPKN3c104HalfEPS6_S6_ZZZN2at6native31launch_logcumsumexp_cuda_kernelERKNSA_10TensorBaseESE_lENKUlvE_clEvENKUlvE3_clEvEUlS6_S6_E_S6_EEDaPvRmT3_T4_T5_mT6_P12ihipStream_tbENKUlT_T0_E_clISt17integral_constantIbLb1EESV_EEDaSQ_SR_ENKUlSQ_E_clINS1_13target_configIS4_NS1_20scan_config_selectorIS6_EENS1_11comp_targetILNS1_3genE4ELNS1_11target_archE910ELNS1_3gpuE8ELNS1_3repE0EEELNS0_4arch9wavefront6targetE1EEEEEDaSQ_: ; @_ZZZN7rocprim17ROCPRIM_400000_NS6detail9scan_implILNS1_25lookback_scan_determinismE0ELb0ELb0ENS0_14default_configEPKN3c104HalfEPS6_S6_ZZZN2at6native31launch_logcumsumexp_cuda_kernelERKNSA_10TensorBaseESE_lENKUlvE_clEvENKUlvE3_clEvEUlS6_S6_E_S6_EEDaPvRmT3_T4_T5_mT6_P12ihipStream_tbENKUlT_T0_E_clISt17integral_constantIbLb1EESV_EEDaSQ_SR_ENKUlSQ_E_clINS1_13target_configIS4_NS1_20scan_config_selectorIS6_EENS1_11comp_targetILNS1_3genE4ELNS1_11target_archE910ELNS1_3gpuE8ELNS1_3repE0EEELNS0_4arch9wavefront6targetE1EEEEEDaSQ_
; %bb.0:
	s_waitcnt vmcnt(0) expcnt(0) lgkmcnt(0)
	s_or_saveexec_b64 s[4:5], -1
	buffer_store_dword v40, off, s[0:3], s32 ; 4-byte Folded Spill
	s_mov_b64 exec, s[4:5]
	v_writelane_b32 v40, s30, 0
	v_writelane_b32 v40, s31, 1
	flat_load_dwordx4 v[14:17], v[0:1]
	flat_load_dwordx4 v[10:13], v[0:1] offset:16
	flat_load_dwordx3 v[24:26], v[0:1] offset:40
	flat_load_dwordx4 v[2:5], v[0:1] offset:56
	flat_load_dwordx4 v[6:9], v[0:1] offset:72
	v_and_b32_e32 v28, 0x3ff, v31
	v_cmp_ne_u32_e64 s[6:7], 0, v28
	v_cmp_eq_u32_e64 s[8:9], 0, v28
	s_and_saveexec_b64 s[4:5], s[8:9]
	s_cbranch_execz .LBB381_2
; %bb.1:
	flat_load_dwordx2 v[0:1], v[0:1] offset:88
	v_mov_b32_e32 v18, 1
	s_waitcnt vmcnt(0) lgkmcnt(0)
	flat_atomic_add v0, v[0:1], v18 glc
	v_mov_b32_e32 v1, 0
	s_waitcnt vmcnt(0) lgkmcnt(0)
	ds_write_b32 v1, v0
.LBB381_2:
	s_or_b64 exec, exec, s[4:5]
	s_waitcnt vmcnt(0) lgkmcnt(0)
	v_lshlrev_b64 v[0:1], 1, v[16:17]
	v_mov_b32_e32 v17, 0
	s_waitcnt lgkmcnt(0)
	; wave barrier
	ds_read_b32 v18, v17
	v_add_co_u32_e32 v14, vcc, v14, v0
	s_movk_i32 s4, 0x600
	v_add_u32_e32 v19, -1, v26
	v_addc_co_u32_e32 v15, vcc, v15, v1, vcc
	v_mul_lo_u32 v20, v19, s4
	s_waitcnt lgkmcnt(0)
	v_mul_lo_u32 v16, v18, s4
	v_sub_co_u32_e32 v38, vcc, v12, v20
	v_subbrev_co_u32_e32 v39, vcc, 0, v13, vcc
	v_lshlrev_b64 v[26:27], 1, v[16:17]
	v_add_co_u32_e32 v12, vcc, v14, v26
	v_readfirstlane_b32 s68, v18
	v_cmp_ne_u32_e64 s[4:5], v18, v19
	v_addc_co_u32_e32 v13, vcc, v15, v27, vcc
	v_lshlrev_b32_e32 v48, 1, v28
	s_waitcnt lgkmcnt(0)
	; wave barrier
	s_and_saveexec_b64 s[10:11], s[4:5]
	s_xor_b64 s[10:11], exec, s[10:11]
	s_cbranch_execz .LBB381_4
; %bb.3:
	v_add_co_u32_e32 v12, vcc, v12, v48
	v_addc_co_u32_e32 v13, vcc, 0, v13, vcc
	flat_load_ushort v14, v[12:13]
	flat_load_ushort v15, v[12:13] offset:128
	flat_load_ushort v16, v[12:13] offset:256
	;; [unrolled: 1-line block ×23, first 2 shown]
                                        ; implicit-def: $vgpr12
	s_waitcnt vmcnt(0) lgkmcnt(0)
	ds_write_b16 v48, v14
	ds_write_b16 v48, v15 offset:128
	ds_write_b16 v48, v16 offset:256
	;; [unrolled: 1-line block ×23, first 2 shown]
	s_waitcnt lgkmcnt(0)
	; wave barrier
.LBB381_4:
	s_andn2_saveexec_b64 s[10:11], s[10:11]
	s_cbranch_execz .LBB381_54
; %bb.5:
	flat_load_ushort v14, v[12:13]
	v_cmp_lt_u32_e32 vcc, v28, v38
	s_waitcnt vmcnt(0) lgkmcnt(0)
	v_mov_b32_e32 v15, v14
	s_and_saveexec_b64 s[12:13], vcc
	s_cbranch_execz .LBB381_7
; %bb.6:
	v_add_co_u32_e32 v16, vcc, v12, v48
	v_addc_co_u32_e32 v17, vcc, 0, v13, vcc
	flat_load_ushort v15, v[16:17]
.LBB381_7:
	s_or_b64 exec, exec, s[12:13]
	v_add_u32_e32 v16, 64, v28
	v_cmp_lt_u32_e32 vcc, v16, v38
	v_mov_b32_e32 v16, v14
	s_and_saveexec_b64 s[12:13], vcc
	s_cbranch_execz .LBB381_9
; %bb.8:
	v_add_co_u32_e32 v16, vcc, v12, v48
	v_addc_co_u32_e32 v17, vcc, 0, v13, vcc
	flat_load_ushort v16, v[16:17] offset:128
.LBB381_9:
	s_or_b64 exec, exec, s[12:13]
	v_add_u32_e32 v17, 0x80, v28
	v_cmp_lt_u32_e32 vcc, v17, v38
	v_mov_b32_e32 v17, v14
	s_and_saveexec_b64 s[12:13], vcc
	s_cbranch_execz .LBB381_11
; %bb.10:
	v_add_co_u32_e32 v18, vcc, v12, v48
	v_addc_co_u32_e32 v19, vcc, 0, v13, vcc
	flat_load_ushort v17, v[18:19] offset:256
.LBB381_11:
	;; [unrolled: 11-line block ×15, first 2 shown]
	s_or_b64 exec, exec, s[12:13]
	v_or_b32_e32 v36, 0x400, v28
	v_cmp_lt_u32_e32 vcc, v36, v38
	v_mov_b32_e32 v36, v14
	s_and_saveexec_b64 s[12:13], vcc
	s_cbranch_execz .LBB381_39
; %bb.38:
	v_add_co_u32_e32 v36, vcc, v12, v48
	v_addc_co_u32_e32 v37, vcc, 0, v13, vcc
	flat_load_ushort v36, v[36:37] offset:2048
.LBB381_39:
	s_or_b64 exec, exec, s[12:13]
	v_add_u32_e32 v37, 0x440, v28
	v_cmp_lt_u32_e32 vcc, v37, v38
	v_mov_b32_e32 v37, v14
	s_and_saveexec_b64 s[12:13], vcc
	s_cbranch_execz .LBB381_41
; %bb.40:
	v_add_co_u32_e32 v50, vcc, v12, v48
	v_addc_co_u32_e32 v51, vcc, 0, v13, vcc
	flat_load_ushort v37, v[50:51] offset:2176
.LBB381_41:
	s_or_b64 exec, exec, s[12:13]
	v_add_u32_e32 v49, 0x480, v28
	;; [unrolled: 11-line block ×7, first 2 shown]
	v_cmp_lt_u32_e32 vcc, v54, v38
	s_and_saveexec_b64 s[12:13], vcc
	s_cbranch_execz .LBB381_53
; %bb.52:
	v_add_co_u32_e32 v12, vcc, v12, v48
	v_addc_co_u32_e32 v13, vcc, 0, v13, vcc
	flat_load_ushort v14, v[12:13] offset:2944
.LBB381_53:
	s_or_b64 exec, exec, s[12:13]
	s_waitcnt vmcnt(0) lgkmcnt(0)
	ds_write_b16 v48, v15
	ds_write_b16 v48, v16 offset:128
	ds_write_b16 v48, v17 offset:256
	;; [unrolled: 1-line block ×23, first 2 shown]
	s_waitcnt lgkmcnt(0)
	; wave barrier
.LBB381_54:
	s_or_b64 exec, exec, s[10:11]
	v_mul_u32_u24_e32 v49, 24, v28
	v_lshlrev_b32_e32 v29, 1, v49
	s_waitcnt lgkmcnt(0)
	ds_read_b128 v[20:23], v29
	ds_read_b128 v[16:19], v29 offset:16
	ds_read_b128 v[12:15], v29 offset:32
	s_cmp_lg_u32 s68, 0
	s_waitcnt lgkmcnt(0)
	v_cvt_f32_f16_sdwa v50, v20 dst_sel:DWORD dst_unused:UNUSED_PAD src0_sel:WORD_1
	v_cmp_u_f16_sdwa s[10:11], v20, v20 src0_sel:WORD_1 src1_sel:WORD_1
	; wave barrier
	s_cbranch_scc0 .LBB381_255
; %bb.55:
	v_cvt_f32_f16_e32 v97, v20
	v_cmp_u_f16_e64 s[58:59], v20, v20
	s_movk_i32 s14, 0x1f8
	v_min_f32_e32 v30, v97, v50
	v_max_f32_e32 v31, v97, v50
	v_cndmask_b32_e64 v30, v30, v97, s[58:59]
	v_cndmask_b32_e64 v31, v31, v97, s[58:59]
	;; [unrolled: 1-line block ×4, first 2 shown]
	v_cmp_neq_f32_e32 vcc, v34, v33
	v_cmp_class_f32_e64 s[12:13], v34, s14
	s_or_b64 s[16:17], vcc, s[12:13]
	v_mov_b32_e32 v32, v97
	v_mov_b32_e32 v31, v20
	;; [unrolled: 1-line block ×3, first 2 shown]
	s_and_saveexec_b64 s[12:13], s[16:17]
	s_cbranch_execz .LBB381_57
; %bb.56:
	v_sub_f32_e32 v30, v34, v33
	s_mov_b32 s15, 0x3fb8aa3b
	v_mul_f32_e32 v31, 0x3fb8aa3b, v30
	v_fma_f32 v32, v30, s15, -v31
	v_rndne_f32_e32 v34, v31
	v_fmac_f32_e32 v32, 0x32a5705f, v30
	v_sub_f32_e32 v31, v31, v34
	v_add_f32_e32 v31, v31, v32
	v_exp_f32_e32 v31, v31
	v_cvt_i32_f32_e32 v32, v34
	s_mov_b32 s15, 0xc2ce8ed0
	v_cmp_ngt_f32_e32 vcc, s15, v30
	s_mov_b32 s15, 0x42b17218
	v_ldexp_f32 v31, v31, v32
	v_cndmask_b32_e32 v31, 0, v31, vcc
	v_mov_b32_e32 v32, 0x7f800000
	v_cmp_nlt_f32_e32 vcc, s15, v30
	v_cndmask_b32_e32 v51, v32, v31, vcc
	v_add_f32_e32 v32, 1.0, v51
	v_add_f32_e32 v30, -1.0, v32
	v_sub_f32_e32 v31, v30, v32
	v_add_f32_e32 v31, 1.0, v31
	v_sub_f32_e32 v30, v51, v30
	v_add_f32_e32 v34, v30, v31
	v_frexp_mant_f32_e32 v35, v32
	s_mov_b32 s15, 0x3f2aaaab
	v_cvt_f64_f32_e32 v[30:31], v32
	v_frexp_exp_i32_f64_e32 v30, v[30:31]
	v_cmp_gt_f32_e32 vcc, s15, v35
	v_subbrev_co_u32_e32 v54, vcc, 0, v30, vcc
	v_sub_u32_e32 v30, 0, v54
	v_ldexp_f32 v31, v32, v30
	v_add_f32_e32 v32, -1.0, v31
	v_add_f32_e32 v35, 1.0, v31
	v_ldexp_f32 v30, v34, v30
	v_add_f32_e32 v34, 1.0, v32
	v_add_f32_e32 v36, -1.0, v35
	v_sub_f32_e32 v34, v31, v34
	v_sub_f32_e32 v31, v31, v36
	v_add_f32_e32 v34, v30, v34
	v_add_f32_e32 v30, v30, v31
	;; [unrolled: 1-line block ×3, first 2 shown]
	v_rcp_f32_e32 v65, v55
	v_sub_f32_e32 v31, v35, v55
	v_add_f32_e32 v64, v30, v31
	v_add_f32_e32 v31, v32, v34
	v_sub_f32_e32 v30, v32, v31
	v_mul_f32_e32 v66, v31, v65
	v_add_f32_e32 v32, v34, v30
	v_mul_f32_e32 v34, v55, v66
	v_fma_f32 v36, v66, v55, -v34
	v_fmac_f32_e32 v36, v66, v64
	v_add_f32_e32 v30, v34, v36
	v_sub_f32_e32 v35, v31, v30
	v_pk_add_f32 v[52:53], v[30:31], v[34:35] neg_lo:[0,1] neg_hi:[0,1]
	v_mov_b32_e32 v37, v30
	v_pk_add_f32 v[30:31], v[52:53], v[36:37] neg_lo:[0,1] neg_hi:[0,1]
	v_add_f32_e32 v31, v32, v31
	v_add_f32_e32 v30, v30, v31
	;; [unrolled: 1-line block ×3, first 2 shown]
	v_mul_f32_e32 v32, v65, v31
	v_mul_f32_e32 v34, v55, v32
	v_fma_f32 v36, v32, v55, -v34
	v_fmac_f32_e32 v36, v32, v64
	v_sub_f32_e32 v35, v35, v31
	v_add_f32_e32 v55, v30, v35
	v_add_f32_e32 v30, v34, v36
	v_sub_f32_e32 v35, v31, v30
	v_pk_add_f32 v[52:53], v[30:31], v[34:35] neg_lo:[0,1] neg_hi:[0,1]
	v_mov_b32_e32 v37, v30
	v_pk_add_f32 v[30:31], v[52:53], v[36:37] neg_lo:[0,1] neg_hi:[0,1]
	v_add_f32_e32 v31, v55, v31
	v_add_f32_e32 v30, v30, v31
	;; [unrolled: 1-line block ×4, first 2 shown]
	v_sub_f32_e32 v31, v35, v66
	v_mul_f32_e32 v30, v65, v30
	v_sub_f32_e32 v31, v32, v31
	v_add_f32_e32 v30, v31, v30
	v_add_f32_e32 v32, v35, v30
	v_mul_f32_e32 v36, v32, v32
	v_mov_b32_e32 v34, 0x3ecc95a3
	v_fmac_f32_e32 v34, 0x3e9b6dac, v36
	v_mov_b32_e32 v31, 0x3f2aaada
	v_fmac_f32_e32 v31, v36, v34
	v_cvt_f32_i32_e32 v34, v54
	v_sub_f32_e32 v35, v32, v35
	v_sub_f32_e32 v30, v30, v35
	v_ldexp_f32 v52, v30, 1
	v_mul_f32_e32 v35, v32, v36
	v_mov_b32_e32 v30, 0x3f317218
	s_mov_b32 s15, 0x3f317218
	v_pk_mul_f32 v[30:31], v[34:35], v[30:31]
	v_fma_f32 v36, v34, s15, -v30
	v_ldexp_f32 v37, v32, 1
	v_fmac_f32_e32 v36, 0xb102e308, v34
	v_pk_add_f32 v[34:35], v[30:31], v[36:37]
	v_sub_f32_e32 v32, v35, v37
	v_sub_f32_e32 v32, v31, v32
	v_add_f32_e32 v53, v52, v32
	v_mov_b32_e32 v52, v30
	v_pk_add_f32 v[30:31], v[34:35], v[30:31] neg_lo:[0,1] neg_hi:[0,1]
	v_pk_add_f32 v[54:55], v[34:35], v[52:53]
	v_mov_b32_e32 v31, v55
	v_mov_b32_e32 v37, v34
	v_pk_add_f32 v[64:65], v[36:37], v[30:31] neg_lo:[0,1] neg_hi:[0,1]
	v_pk_add_f32 v[30:31], v[36:37], v[30:31]
	v_mov_b32_e32 v32, v31
	v_pk_add_f32 v[36:37], v[32:33], v[34:35] neg_lo:[0,1] neg_hi:[0,1]
	v_mov_b32_e32 v37, v36
	v_pk_add_f32 v[66:67], v[54:55], v[36:37] neg_lo:[0,1] neg_hi:[0,1]
	v_mov_b32_e32 v30, v55
	v_mov_b32_e32 v54, v35
	;; [unrolled: 1-line block ×4, first 2 shown]
	v_pk_add_f32 v[30:31], v[30:31], v[54:55] neg_lo:[0,1] neg_hi:[0,1]
	v_mov_b32_e32 v36, v53
	v_mov_b32_e32 v37, v34
	v_pk_add_f32 v[30:31], v[36:37], v[30:31] neg_lo:[0,1] neg_hi:[0,1]
	v_mov_b32_e32 v66, v64
	v_pk_add_f32 v[34:35], v[66:67], v[30:31]
	v_mov_b32_e32 v36, v35
	v_pk_add_f32 v[36:37], v[34:35], v[36:37]
	v_pk_add_f32 v[52:53], v[32:33], v[36:37]
	v_mov_b32_e32 v35, v52
	v_pk_add_f32 v[54:55], v[34:35], v[64:65] neg_lo:[0,1] neg_hi:[0,1]
	v_mov_b32_e32 v31, v36
	v_sub_f32_e32 v32, v34, v54
	v_pk_add_f32 v[30:31], v[30:31], v[54:55] neg_lo:[0,1] neg_hi:[0,1]
	v_sub_f32_e32 v32, v64, v32
	s_mov_b32 s16, 0x7f800000
	v_add_f32_e32 v30, v30, v32
	s_mov_b32 s15, 0x33800000
	v_add_f32_e32 v30, v30, v31
	v_cmp_eq_f32_e32 vcc, s16, v51
	v_cmp_lt_f32_e64 s[16:17], |v51|, s15
	v_add_f32_e32 v30, v52, v30
	s_or_b64 vcc, vcc, s[16:17]
	v_cndmask_b32_e32 v30, v30, v51, vcc
	v_add_f32_e32 v30, v33, v30
	v_cvt_f16_f32_e32 v31, v30
	v_cvt_f32_f16_e32 v32, v31
	v_mov_b32_e32 v30, v31
.LBB381_57:
	s_or_b64 exec, exec, s[12:13]
	v_cvt_f32_f16_e32 v51, v21
	v_max_f32_e32 v33, v32, v32
	v_cmp_u_f16_e32 vcc, v31, v31
	v_cmp_u_f16_e64 s[12:13], v21, v21
	v_min_f32_e32 v34, v33, v51
	v_max_f32_e32 v33, v33, v51
	v_cndmask_b32_e32 v34, v34, v32, vcc
	v_cndmask_b32_e32 v33, v33, v32, vcc
	v_cndmask_b32_e64 v34, v34, v51, s[12:13]
	v_cndmask_b32_e64 v33, v33, v51, s[12:13]
	v_cmp_neq_f32_e32 vcc, v34, v33
	v_cmp_class_f32_e64 s[14:15], v34, s14
	s_or_b64 s[16:17], vcc, s[14:15]
	s_and_saveexec_b64 s[14:15], s[16:17]
	s_cbranch_execz .LBB381_59
; %bb.58:
	v_sub_f32_e32 v30, v34, v33
	s_mov_b32 s16, 0x3fb8aa3b
	v_mul_f32_e32 v31, 0x3fb8aa3b, v30
	v_fma_f32 v32, v30, s16, -v31
	v_rndne_f32_e32 v34, v31
	v_fmac_f32_e32 v32, 0x32a5705f, v30
	v_sub_f32_e32 v31, v31, v34
	v_add_f32_e32 v31, v31, v32
	v_exp_f32_e32 v31, v31
	v_cvt_i32_f32_e32 v32, v34
	s_mov_b32 s16, 0xc2ce8ed0
	v_cmp_ngt_f32_e32 vcc, s16, v30
	s_mov_b32 s16, 0x42b17218
	v_ldexp_f32 v31, v31, v32
	v_cndmask_b32_e32 v31, 0, v31, vcc
	v_mov_b32_e32 v32, 0x7f800000
	v_cmp_nlt_f32_e32 vcc, s16, v30
	v_cndmask_b32_e32 v68, v32, v31, vcc
	v_add_f32_e32 v32, 1.0, v68
	v_add_f32_e32 v30, -1.0, v32
	v_sub_f32_e32 v31, v30, v32
	v_add_f32_e32 v31, 1.0, v31
	v_sub_f32_e32 v30, v68, v30
	v_add_f32_e32 v34, v30, v31
	v_frexp_mant_f32_e32 v35, v32
	s_mov_b32 s16, 0x3f2aaaab
	v_cvt_f64_f32_e32 v[30:31], v32
	v_frexp_exp_i32_f64_e32 v30, v[30:31]
	v_cmp_gt_f32_e32 vcc, s16, v35
	v_subbrev_co_u32_e32 v54, vcc, 0, v30, vcc
	v_sub_u32_e32 v30, 0, v54
	v_ldexp_f32 v31, v32, v30
	v_add_f32_e32 v32, -1.0, v31
	v_add_f32_e32 v35, 1.0, v31
	v_ldexp_f32 v30, v34, v30
	v_add_f32_e32 v34, 1.0, v32
	v_add_f32_e32 v36, -1.0, v35
	v_sub_f32_e32 v34, v31, v34
	v_sub_f32_e32 v31, v31, v36
	v_add_f32_e32 v34, v30, v34
	v_add_f32_e32 v30, v30, v31
	;; [unrolled: 1-line block ×3, first 2 shown]
	v_rcp_f32_e32 v65, v55
	v_sub_f32_e32 v31, v35, v55
	v_add_f32_e32 v64, v30, v31
	v_add_f32_e32 v31, v32, v34
	v_sub_f32_e32 v30, v32, v31
	v_mul_f32_e32 v66, v31, v65
	v_add_f32_e32 v32, v34, v30
	v_mul_f32_e32 v34, v55, v66
	v_fma_f32 v36, v66, v55, -v34
	v_fmac_f32_e32 v36, v66, v64
	v_add_f32_e32 v30, v34, v36
	v_sub_f32_e32 v35, v31, v30
	v_pk_add_f32 v[52:53], v[30:31], v[34:35] neg_lo:[0,1] neg_hi:[0,1]
	v_mov_b32_e32 v37, v30
	v_pk_add_f32 v[30:31], v[52:53], v[36:37] neg_lo:[0,1] neg_hi:[0,1]
	v_add_f32_e32 v31, v32, v31
	v_add_f32_e32 v30, v30, v31
	;; [unrolled: 1-line block ×3, first 2 shown]
	v_mul_f32_e32 v32, v65, v31
	v_mul_f32_e32 v34, v55, v32
	v_fma_f32 v36, v32, v55, -v34
	v_fmac_f32_e32 v36, v32, v64
	v_sub_f32_e32 v35, v35, v31
	v_add_f32_e32 v55, v30, v35
	v_add_f32_e32 v30, v34, v36
	v_sub_f32_e32 v35, v31, v30
	v_pk_add_f32 v[52:53], v[30:31], v[34:35] neg_lo:[0,1] neg_hi:[0,1]
	v_mov_b32_e32 v37, v30
	v_pk_add_f32 v[30:31], v[52:53], v[36:37] neg_lo:[0,1] neg_hi:[0,1]
	v_add_f32_e32 v31, v55, v31
	v_add_f32_e32 v30, v30, v31
	;; [unrolled: 1-line block ×4, first 2 shown]
	v_sub_f32_e32 v31, v35, v66
	v_mul_f32_e32 v30, v65, v30
	v_sub_f32_e32 v31, v32, v31
	v_add_f32_e32 v30, v31, v30
	v_add_f32_e32 v32, v35, v30
	v_mul_f32_e32 v36, v32, v32
	v_mov_b32_e32 v34, 0x3ecc95a3
	v_fmac_f32_e32 v34, 0x3e9b6dac, v36
	v_mov_b32_e32 v31, 0x3f2aaada
	v_fmac_f32_e32 v31, v36, v34
	v_cvt_f32_i32_e32 v34, v54
	v_sub_f32_e32 v35, v32, v35
	v_sub_f32_e32 v30, v30, v35
	v_ldexp_f32 v52, v30, 1
	v_mul_f32_e32 v35, v32, v36
	v_mov_b32_e32 v30, 0x3f317218
	s_mov_b32 s16, 0x3f317218
	v_pk_mul_f32 v[30:31], v[34:35], v[30:31]
	v_fma_f32 v36, v34, s16, -v30
	v_ldexp_f32 v37, v32, 1
	v_fmac_f32_e32 v36, 0xb102e308, v34
	v_pk_add_f32 v[34:35], v[30:31], v[36:37]
	v_sub_f32_e32 v32, v35, v37
	v_sub_f32_e32 v32, v31, v32
	v_add_f32_e32 v53, v52, v32
	v_mov_b32_e32 v52, v30
	v_pk_add_f32 v[30:31], v[34:35], v[30:31] neg_lo:[0,1] neg_hi:[0,1]
	v_pk_add_f32 v[54:55], v[34:35], v[52:53]
	v_mov_b32_e32 v31, v55
	v_mov_b32_e32 v37, v34
	v_pk_add_f32 v[64:65], v[36:37], v[30:31] neg_lo:[0,1] neg_hi:[0,1]
	v_pk_add_f32 v[30:31], v[36:37], v[30:31]
	v_mov_b32_e32 v32, v31
	v_pk_add_f32 v[36:37], v[32:33], v[34:35] neg_lo:[0,1] neg_hi:[0,1]
	v_mov_b32_e32 v37, v36
	v_pk_add_f32 v[66:67], v[54:55], v[36:37] neg_lo:[0,1] neg_hi:[0,1]
	v_mov_b32_e32 v30, v55
	v_mov_b32_e32 v54, v35
	;; [unrolled: 1-line block ×4, first 2 shown]
	v_pk_add_f32 v[30:31], v[30:31], v[54:55] neg_lo:[0,1] neg_hi:[0,1]
	v_mov_b32_e32 v36, v53
	v_mov_b32_e32 v37, v34
	v_pk_add_f32 v[30:31], v[36:37], v[30:31] neg_lo:[0,1] neg_hi:[0,1]
	v_mov_b32_e32 v66, v64
	v_pk_add_f32 v[34:35], v[66:67], v[30:31]
	v_mov_b32_e32 v36, v35
	v_pk_add_f32 v[36:37], v[34:35], v[36:37]
	v_pk_add_f32 v[52:53], v[32:33], v[36:37]
	v_mov_b32_e32 v35, v52
	v_pk_add_f32 v[54:55], v[34:35], v[64:65] neg_lo:[0,1] neg_hi:[0,1]
	v_mov_b32_e32 v31, v36
	v_sub_f32_e32 v32, v34, v54
	v_pk_add_f32 v[30:31], v[30:31], v[54:55] neg_lo:[0,1] neg_hi:[0,1]
	v_sub_f32_e32 v32, v64, v32
	s_mov_b32 s17, 0x7f800000
	v_add_f32_e32 v30, v30, v32
	s_mov_b32 s16, 0x33800000
	v_add_f32_e32 v30, v30, v31
	v_cmp_eq_f32_e32 vcc, s17, v68
	v_cmp_lt_f32_e64 s[16:17], |v68|, s16
	v_add_f32_e32 v30, v52, v30
	s_or_b64 vcc, vcc, s[16:17]
	v_cndmask_b32_e32 v30, v30, v68, vcc
	v_add_f32_e32 v30, v33, v30
	v_cvt_f16_f32_e32 v31, v30
	v_cvt_f32_f16_e32 v32, v31
	v_mov_b32_e32 v30, v31
.LBB381_59:
	s_or_b64 exec, exec, s[14:15]
	v_cvt_f32_f16_sdwa v52, v21 dst_sel:DWORD dst_unused:UNUSED_PAD src0_sel:WORD_1
	v_max_f32_e32 v33, v32, v32
	v_cmp_u_f16_e32 vcc, v31, v31
	v_cmp_u_f16_sdwa s[14:15], v21, v21 src0_sel:WORD_1 src1_sel:WORD_1
	v_min_f32_e32 v34, v33, v52
	v_max_f32_e32 v33, v33, v52
	v_cndmask_b32_e32 v34, v34, v32, vcc
	v_cndmask_b32_e32 v33, v33, v32, vcc
	v_cndmask_b32_e64 v34, v34, v52, s[14:15]
	v_cndmask_b32_e64 v33, v33, v52, s[14:15]
	s_movk_i32 s18, 0x1f8
	v_cmp_neq_f32_e32 vcc, v34, v33
	v_cmp_class_f32_e64 s[16:17], v34, s18
	s_or_b64 s[20:21], vcc, s[16:17]
	s_and_saveexec_b64 s[16:17], s[20:21]
	s_cbranch_execz .LBB381_61
; %bb.60:
	v_sub_f32_e32 v30, v34, v33
	s_mov_b32 s19, 0x3fb8aa3b
	v_mul_f32_e32 v31, 0x3fb8aa3b, v30
	v_fma_f32 v32, v30, s19, -v31
	v_rndne_f32_e32 v34, v31
	v_fmac_f32_e32 v32, 0x32a5705f, v30
	v_sub_f32_e32 v31, v31, v34
	v_add_f32_e32 v31, v31, v32
	v_exp_f32_e32 v31, v31
	v_cvt_i32_f32_e32 v32, v34
	s_mov_b32 s19, 0xc2ce8ed0
	v_cmp_ngt_f32_e32 vcc, s19, v30
	s_mov_b32 s19, 0x42b17218
	v_ldexp_f32 v31, v31, v32
	v_cndmask_b32_e32 v31, 0, v31, vcc
	v_mov_b32_e32 v32, 0x7f800000
	v_cmp_nlt_f32_e32 vcc, s19, v30
	v_cndmask_b32_e32 v53, v32, v31, vcc
	v_add_f32_e32 v32, 1.0, v53
	v_add_f32_e32 v30, -1.0, v32
	v_sub_f32_e32 v31, v30, v32
	v_add_f32_e32 v31, 1.0, v31
	v_sub_f32_e32 v30, v53, v30
	v_add_f32_e32 v34, v30, v31
	v_frexp_mant_f32_e32 v35, v32
	s_mov_b32 s19, 0x3f2aaaab
	v_cvt_f64_f32_e32 v[30:31], v32
	v_frexp_exp_i32_f64_e32 v30, v[30:31]
	v_cmp_gt_f32_e32 vcc, s19, v35
	v_subbrev_co_u32_e32 v64, vcc, 0, v30, vcc
	v_sub_u32_e32 v30, 0, v64
	v_ldexp_f32 v31, v32, v30
	v_add_f32_e32 v32, -1.0, v31
	v_add_f32_e32 v35, 1.0, v31
	v_ldexp_f32 v30, v34, v30
	v_add_f32_e32 v34, 1.0, v32
	v_add_f32_e32 v36, -1.0, v35
	v_sub_f32_e32 v34, v31, v34
	v_sub_f32_e32 v31, v31, v36
	v_add_f32_e32 v34, v30, v34
	v_add_f32_e32 v30, v30, v31
	;; [unrolled: 1-line block ×3, first 2 shown]
	v_rcp_f32_e32 v67, v65
	v_sub_f32_e32 v31, v35, v65
	v_add_f32_e32 v66, v30, v31
	v_add_f32_e32 v31, v32, v34
	v_sub_f32_e32 v30, v32, v31
	v_mul_f32_e32 v68, v31, v67
	v_add_f32_e32 v32, v34, v30
	v_mul_f32_e32 v34, v65, v68
	v_fma_f32 v36, v68, v65, -v34
	v_fmac_f32_e32 v36, v68, v66
	v_add_f32_e32 v30, v34, v36
	v_sub_f32_e32 v35, v31, v30
	v_pk_add_f32 v[54:55], v[30:31], v[34:35] neg_lo:[0,1] neg_hi:[0,1]
	v_mov_b32_e32 v37, v30
	v_pk_add_f32 v[30:31], v[54:55], v[36:37] neg_lo:[0,1] neg_hi:[0,1]
	v_add_f32_e32 v31, v32, v31
	v_add_f32_e32 v30, v30, v31
	;; [unrolled: 1-line block ×3, first 2 shown]
	v_mul_f32_e32 v32, v67, v31
	v_mul_f32_e32 v34, v65, v32
	v_fma_f32 v36, v32, v65, -v34
	v_fmac_f32_e32 v36, v32, v66
	v_sub_f32_e32 v35, v35, v31
	v_add_f32_e32 v65, v30, v35
	v_add_f32_e32 v30, v34, v36
	v_sub_f32_e32 v35, v31, v30
	v_pk_add_f32 v[54:55], v[30:31], v[34:35] neg_lo:[0,1] neg_hi:[0,1]
	v_mov_b32_e32 v37, v30
	v_pk_add_f32 v[30:31], v[54:55], v[36:37] neg_lo:[0,1] neg_hi:[0,1]
	v_add_f32_e32 v31, v65, v31
	v_add_f32_e32 v30, v30, v31
	;; [unrolled: 1-line block ×4, first 2 shown]
	v_sub_f32_e32 v31, v35, v68
	v_mul_f32_e32 v30, v67, v30
	v_sub_f32_e32 v31, v32, v31
	v_add_f32_e32 v30, v31, v30
	v_add_f32_e32 v32, v35, v30
	v_mul_f32_e32 v36, v32, v32
	v_mov_b32_e32 v34, 0x3ecc95a3
	v_fmac_f32_e32 v34, 0x3e9b6dac, v36
	v_mov_b32_e32 v31, 0x3f2aaada
	v_fmac_f32_e32 v31, v36, v34
	v_cvt_f32_i32_e32 v34, v64
	v_sub_f32_e32 v35, v32, v35
	v_sub_f32_e32 v30, v30, v35
	v_ldexp_f32 v54, v30, 1
	v_mul_f32_e32 v35, v32, v36
	v_mov_b32_e32 v30, 0x3f317218
	s_mov_b32 s19, 0x3f317218
	v_pk_mul_f32 v[30:31], v[34:35], v[30:31]
	v_fma_f32 v36, v34, s19, -v30
	v_ldexp_f32 v37, v32, 1
	v_fmac_f32_e32 v36, 0xb102e308, v34
	v_pk_add_f32 v[34:35], v[30:31], v[36:37]
	v_sub_f32_e32 v32, v35, v37
	v_sub_f32_e32 v32, v31, v32
	v_add_f32_e32 v55, v54, v32
	v_mov_b32_e32 v54, v30
	v_pk_add_f32 v[30:31], v[34:35], v[30:31] neg_lo:[0,1] neg_hi:[0,1]
	v_pk_add_f32 v[64:65], v[34:35], v[54:55]
	v_mov_b32_e32 v31, v65
	v_mov_b32_e32 v37, v34
	v_pk_add_f32 v[66:67], v[36:37], v[30:31] neg_lo:[0,1] neg_hi:[0,1]
	v_pk_add_f32 v[30:31], v[36:37], v[30:31]
	v_mov_b32_e32 v32, v31
	v_pk_add_f32 v[36:37], v[32:33], v[34:35] neg_lo:[0,1] neg_hi:[0,1]
	v_mov_b32_e32 v37, v36
	v_pk_add_f32 v[68:69], v[64:65], v[36:37] neg_lo:[0,1] neg_hi:[0,1]
	v_mov_b32_e32 v30, v65
	v_mov_b32_e32 v64, v35
	;; [unrolled: 1-line block ×4, first 2 shown]
	v_pk_add_f32 v[30:31], v[30:31], v[64:65] neg_lo:[0,1] neg_hi:[0,1]
	v_mov_b32_e32 v36, v55
	v_mov_b32_e32 v37, v34
	v_pk_add_f32 v[30:31], v[36:37], v[30:31] neg_lo:[0,1] neg_hi:[0,1]
	v_mov_b32_e32 v68, v66
	v_pk_add_f32 v[34:35], v[68:69], v[30:31]
	v_mov_b32_e32 v36, v35
	v_pk_add_f32 v[36:37], v[34:35], v[36:37]
	v_pk_add_f32 v[54:55], v[32:33], v[36:37]
	v_mov_b32_e32 v35, v54
	v_pk_add_f32 v[64:65], v[34:35], v[66:67] neg_lo:[0,1] neg_hi:[0,1]
	v_mov_b32_e32 v31, v36
	v_sub_f32_e32 v32, v34, v64
	v_pk_add_f32 v[30:31], v[30:31], v[64:65] neg_lo:[0,1] neg_hi:[0,1]
	v_sub_f32_e32 v32, v66, v32
	s_mov_b32 s20, 0x7f800000
	v_add_f32_e32 v30, v30, v32
	s_mov_b32 s19, 0x33800000
	v_add_f32_e32 v30, v30, v31
	v_cmp_eq_f32_e32 vcc, s20, v53
	v_cmp_lt_f32_e64 s[20:21], |v53|, s19
	v_add_f32_e32 v30, v54, v30
	s_or_b64 vcc, vcc, s[20:21]
	v_cndmask_b32_e32 v30, v30, v53, vcc
	v_add_f32_e32 v30, v33, v30
	v_cvt_f16_f32_e32 v31, v30
	v_cvt_f32_f16_e32 v32, v31
	v_mov_b32_e32 v30, v31
.LBB381_61:
	s_or_b64 exec, exec, s[16:17]
	v_cvt_f32_f16_e32 v53, v22
	v_max_f32_e32 v33, v32, v32
	v_cmp_u_f16_e32 vcc, v31, v31
	v_cmp_u_f16_e64 s[16:17], v22, v22
	v_min_f32_e32 v34, v33, v53
	v_max_f32_e32 v33, v33, v53
	v_cndmask_b32_e32 v34, v34, v32, vcc
	v_cndmask_b32_e32 v33, v33, v32, vcc
	v_cndmask_b32_e64 v34, v34, v53, s[16:17]
	v_cndmask_b32_e64 v33, v33, v53, s[16:17]
	v_cmp_neq_f32_e32 vcc, v34, v33
	v_cmp_class_f32_e64 s[18:19], v34, s18
	s_or_b64 s[20:21], vcc, s[18:19]
	s_and_saveexec_b64 s[18:19], s[20:21]
	s_cbranch_execz .LBB381_63
; %bb.62:
	v_sub_f32_e32 v30, v34, v33
	s_mov_b32 s20, 0x3fb8aa3b
	v_mul_f32_e32 v31, 0x3fb8aa3b, v30
	v_fma_f32 v32, v30, s20, -v31
	v_rndne_f32_e32 v34, v31
	v_fmac_f32_e32 v32, 0x32a5705f, v30
	v_sub_f32_e32 v31, v31, v34
	v_add_f32_e32 v31, v31, v32
	v_exp_f32_e32 v31, v31
	v_cvt_i32_f32_e32 v32, v34
	s_mov_b32 s20, 0xc2ce8ed0
	v_cmp_ngt_f32_e32 vcc, s20, v30
	s_mov_b32 s20, 0x42b17218
	v_ldexp_f32 v31, v31, v32
	v_cndmask_b32_e32 v31, 0, v31, vcc
	v_mov_b32_e32 v32, 0x7f800000
	v_cmp_nlt_f32_e32 vcc, s20, v30
	v_cndmask_b32_e32 v70, v32, v31, vcc
	v_add_f32_e32 v32, 1.0, v70
	v_add_f32_e32 v30, -1.0, v32
	v_sub_f32_e32 v31, v30, v32
	v_add_f32_e32 v31, 1.0, v31
	v_sub_f32_e32 v30, v70, v30
	v_add_f32_e32 v34, v30, v31
	v_frexp_mant_f32_e32 v35, v32
	s_mov_b32 s20, 0x3f2aaaab
	v_cvt_f64_f32_e32 v[30:31], v32
	v_frexp_exp_i32_f64_e32 v30, v[30:31]
	v_cmp_gt_f32_e32 vcc, s20, v35
	v_subbrev_co_u32_e32 v64, vcc, 0, v30, vcc
	v_sub_u32_e32 v30, 0, v64
	v_ldexp_f32 v31, v32, v30
	v_add_f32_e32 v32, -1.0, v31
	v_add_f32_e32 v35, 1.0, v31
	v_ldexp_f32 v30, v34, v30
	v_add_f32_e32 v34, 1.0, v32
	v_add_f32_e32 v36, -1.0, v35
	v_sub_f32_e32 v34, v31, v34
	v_sub_f32_e32 v31, v31, v36
	v_add_f32_e32 v34, v30, v34
	v_add_f32_e32 v30, v30, v31
	;; [unrolled: 1-line block ×3, first 2 shown]
	v_rcp_f32_e32 v67, v65
	v_sub_f32_e32 v31, v35, v65
	v_add_f32_e32 v66, v30, v31
	v_add_f32_e32 v31, v32, v34
	v_sub_f32_e32 v30, v32, v31
	v_mul_f32_e32 v68, v31, v67
	v_add_f32_e32 v32, v34, v30
	v_mul_f32_e32 v34, v65, v68
	v_fma_f32 v36, v68, v65, -v34
	v_fmac_f32_e32 v36, v68, v66
	v_add_f32_e32 v30, v34, v36
	v_sub_f32_e32 v35, v31, v30
	v_pk_add_f32 v[54:55], v[30:31], v[34:35] neg_lo:[0,1] neg_hi:[0,1]
	v_mov_b32_e32 v37, v30
	v_pk_add_f32 v[30:31], v[54:55], v[36:37] neg_lo:[0,1] neg_hi:[0,1]
	v_add_f32_e32 v31, v32, v31
	v_add_f32_e32 v30, v30, v31
	;; [unrolled: 1-line block ×3, first 2 shown]
	v_mul_f32_e32 v32, v67, v31
	v_mul_f32_e32 v34, v65, v32
	v_fma_f32 v36, v32, v65, -v34
	v_fmac_f32_e32 v36, v32, v66
	v_sub_f32_e32 v35, v35, v31
	v_add_f32_e32 v65, v30, v35
	v_add_f32_e32 v30, v34, v36
	v_sub_f32_e32 v35, v31, v30
	v_pk_add_f32 v[54:55], v[30:31], v[34:35] neg_lo:[0,1] neg_hi:[0,1]
	v_mov_b32_e32 v37, v30
	v_pk_add_f32 v[30:31], v[54:55], v[36:37] neg_lo:[0,1] neg_hi:[0,1]
	v_add_f32_e32 v31, v65, v31
	v_add_f32_e32 v30, v30, v31
	;; [unrolled: 1-line block ×4, first 2 shown]
	v_sub_f32_e32 v31, v35, v68
	v_mul_f32_e32 v30, v67, v30
	v_sub_f32_e32 v31, v32, v31
	v_add_f32_e32 v30, v31, v30
	v_add_f32_e32 v32, v35, v30
	v_mul_f32_e32 v36, v32, v32
	v_mov_b32_e32 v34, 0x3ecc95a3
	v_fmac_f32_e32 v34, 0x3e9b6dac, v36
	v_mov_b32_e32 v31, 0x3f2aaada
	v_fmac_f32_e32 v31, v36, v34
	v_cvt_f32_i32_e32 v34, v64
	v_sub_f32_e32 v35, v32, v35
	v_sub_f32_e32 v30, v30, v35
	v_ldexp_f32 v54, v30, 1
	v_mul_f32_e32 v35, v32, v36
	v_mov_b32_e32 v30, 0x3f317218
	s_mov_b32 s20, 0x3f317218
	v_pk_mul_f32 v[30:31], v[34:35], v[30:31]
	v_fma_f32 v36, v34, s20, -v30
	v_ldexp_f32 v37, v32, 1
	v_fmac_f32_e32 v36, 0xb102e308, v34
	v_pk_add_f32 v[34:35], v[30:31], v[36:37]
	v_sub_f32_e32 v32, v35, v37
	v_sub_f32_e32 v32, v31, v32
	v_add_f32_e32 v55, v54, v32
	v_mov_b32_e32 v54, v30
	v_pk_add_f32 v[30:31], v[34:35], v[30:31] neg_lo:[0,1] neg_hi:[0,1]
	v_pk_add_f32 v[64:65], v[34:35], v[54:55]
	v_mov_b32_e32 v31, v65
	v_mov_b32_e32 v37, v34
	v_pk_add_f32 v[66:67], v[36:37], v[30:31] neg_lo:[0,1] neg_hi:[0,1]
	v_pk_add_f32 v[30:31], v[36:37], v[30:31]
	v_mov_b32_e32 v32, v31
	v_pk_add_f32 v[36:37], v[32:33], v[34:35] neg_lo:[0,1] neg_hi:[0,1]
	v_mov_b32_e32 v37, v36
	v_pk_add_f32 v[68:69], v[64:65], v[36:37] neg_lo:[0,1] neg_hi:[0,1]
	v_mov_b32_e32 v30, v65
	v_mov_b32_e32 v64, v35
	;; [unrolled: 1-line block ×4, first 2 shown]
	v_pk_add_f32 v[30:31], v[30:31], v[64:65] neg_lo:[0,1] neg_hi:[0,1]
	v_mov_b32_e32 v36, v55
	v_mov_b32_e32 v37, v34
	v_pk_add_f32 v[30:31], v[36:37], v[30:31] neg_lo:[0,1] neg_hi:[0,1]
	v_mov_b32_e32 v68, v66
	v_pk_add_f32 v[34:35], v[68:69], v[30:31]
	v_mov_b32_e32 v36, v35
	v_pk_add_f32 v[36:37], v[34:35], v[36:37]
	v_pk_add_f32 v[54:55], v[32:33], v[36:37]
	v_mov_b32_e32 v35, v54
	v_pk_add_f32 v[64:65], v[34:35], v[66:67] neg_lo:[0,1] neg_hi:[0,1]
	v_mov_b32_e32 v31, v36
	v_sub_f32_e32 v32, v34, v64
	v_pk_add_f32 v[30:31], v[30:31], v[64:65] neg_lo:[0,1] neg_hi:[0,1]
	v_sub_f32_e32 v32, v66, v32
	s_mov_b32 s21, 0x7f800000
	v_add_f32_e32 v30, v30, v32
	s_mov_b32 s20, 0x33800000
	v_add_f32_e32 v30, v30, v31
	v_cmp_eq_f32_e32 vcc, s21, v70
	v_cmp_lt_f32_e64 s[20:21], |v70|, s20
	v_add_f32_e32 v30, v54, v30
	s_or_b64 vcc, vcc, s[20:21]
	v_cndmask_b32_e32 v30, v30, v70, vcc
	v_add_f32_e32 v30, v33, v30
	v_cvt_f16_f32_e32 v31, v30
	v_cvt_f32_f16_e32 v32, v31
	v_mov_b32_e32 v30, v31
.LBB381_63:
	s_or_b64 exec, exec, s[18:19]
	v_cvt_f32_f16_sdwa v54, v22 dst_sel:DWORD dst_unused:UNUSED_PAD src0_sel:WORD_1
	v_max_f32_e32 v33, v32, v32
	v_cmp_u_f16_e32 vcc, v31, v31
	v_cmp_u_f16_sdwa s[18:19], v22, v22 src0_sel:WORD_1 src1_sel:WORD_1
	v_min_f32_e32 v34, v33, v54
	v_max_f32_e32 v33, v33, v54
	v_cndmask_b32_e32 v34, v34, v32, vcc
	v_cndmask_b32_e32 v33, v33, v32, vcc
	v_cndmask_b32_e64 v34, v34, v54, s[18:19]
	v_cndmask_b32_e64 v33, v33, v54, s[18:19]
	s_movk_i32 s22, 0x1f8
	v_cmp_neq_f32_e32 vcc, v34, v33
	v_cmp_class_f32_e64 s[20:21], v34, s22
	s_or_b64 s[24:25], vcc, s[20:21]
	s_and_saveexec_b64 s[20:21], s[24:25]
	s_cbranch_execz .LBB381_65
; %bb.64:
	v_sub_f32_e32 v30, v34, v33
	s_mov_b32 s23, 0x3fb8aa3b
	v_mul_f32_e32 v31, 0x3fb8aa3b, v30
	v_fma_f32 v32, v30, s23, -v31
	v_rndne_f32_e32 v34, v31
	v_fmac_f32_e32 v32, 0x32a5705f, v30
	v_sub_f32_e32 v31, v31, v34
	v_add_f32_e32 v31, v31, v32
	v_exp_f32_e32 v31, v31
	v_cvt_i32_f32_e32 v32, v34
	s_mov_b32 s23, 0xc2ce8ed0
	v_cmp_ngt_f32_e32 vcc, s23, v30
	s_mov_b32 s23, 0x42b17218
	v_ldexp_f32 v31, v31, v32
	v_cndmask_b32_e32 v31, 0, v31, vcc
	v_mov_b32_e32 v32, 0x7f800000
	v_cmp_nlt_f32_e32 vcc, s23, v30
	v_cndmask_b32_e32 v55, v32, v31, vcc
	v_add_f32_e32 v32, 1.0, v55
	v_add_f32_e32 v30, -1.0, v32
	v_sub_f32_e32 v31, v30, v32
	v_add_f32_e32 v31, 1.0, v31
	v_sub_f32_e32 v30, v55, v30
	v_add_f32_e32 v34, v30, v31
	v_frexp_mant_f32_e32 v35, v32
	s_mov_b32 s23, 0x3f2aaaab
	v_cvt_f64_f32_e32 v[30:31], v32
	v_frexp_exp_i32_f64_e32 v30, v[30:31]
	v_cmp_gt_f32_e32 vcc, s23, v35
	v_subbrev_co_u32_e32 v66, vcc, 0, v30, vcc
	v_sub_u32_e32 v30, 0, v66
	v_ldexp_f32 v31, v32, v30
	v_add_f32_e32 v32, -1.0, v31
	v_add_f32_e32 v35, 1.0, v31
	v_ldexp_f32 v30, v34, v30
	v_add_f32_e32 v34, 1.0, v32
	v_add_f32_e32 v36, -1.0, v35
	v_sub_f32_e32 v34, v31, v34
	v_sub_f32_e32 v31, v31, v36
	v_add_f32_e32 v34, v30, v34
	v_add_f32_e32 v30, v30, v31
	v_add_f32_e32 v67, v35, v30
	v_rcp_f32_e32 v69, v67
	v_sub_f32_e32 v31, v35, v67
	v_add_f32_e32 v68, v30, v31
	v_add_f32_e32 v31, v32, v34
	v_sub_f32_e32 v30, v32, v31
	v_mul_f32_e32 v70, v31, v69
	v_add_f32_e32 v32, v34, v30
	v_mul_f32_e32 v34, v67, v70
	v_fma_f32 v36, v70, v67, -v34
	v_fmac_f32_e32 v36, v70, v68
	v_add_f32_e32 v30, v34, v36
	v_sub_f32_e32 v35, v31, v30
	v_pk_add_f32 v[64:65], v[30:31], v[34:35] neg_lo:[0,1] neg_hi:[0,1]
	v_mov_b32_e32 v37, v30
	v_pk_add_f32 v[30:31], v[64:65], v[36:37] neg_lo:[0,1] neg_hi:[0,1]
	v_add_f32_e32 v31, v32, v31
	v_add_f32_e32 v30, v30, v31
	;; [unrolled: 1-line block ×3, first 2 shown]
	v_mul_f32_e32 v32, v69, v31
	v_mul_f32_e32 v34, v67, v32
	v_fma_f32 v36, v32, v67, -v34
	v_fmac_f32_e32 v36, v32, v68
	v_sub_f32_e32 v35, v35, v31
	v_add_f32_e32 v67, v30, v35
	v_add_f32_e32 v30, v34, v36
	v_sub_f32_e32 v35, v31, v30
	v_pk_add_f32 v[64:65], v[30:31], v[34:35] neg_lo:[0,1] neg_hi:[0,1]
	v_mov_b32_e32 v37, v30
	v_pk_add_f32 v[30:31], v[64:65], v[36:37] neg_lo:[0,1] neg_hi:[0,1]
	v_add_f32_e32 v31, v67, v31
	v_add_f32_e32 v30, v30, v31
	;; [unrolled: 1-line block ×4, first 2 shown]
	v_sub_f32_e32 v31, v35, v70
	v_mul_f32_e32 v30, v69, v30
	v_sub_f32_e32 v31, v32, v31
	v_add_f32_e32 v30, v31, v30
	v_add_f32_e32 v32, v35, v30
	v_mul_f32_e32 v36, v32, v32
	v_mov_b32_e32 v34, 0x3ecc95a3
	v_fmac_f32_e32 v34, 0x3e9b6dac, v36
	v_mov_b32_e32 v31, 0x3f2aaada
	v_fmac_f32_e32 v31, v36, v34
	v_cvt_f32_i32_e32 v34, v66
	v_sub_f32_e32 v35, v32, v35
	v_sub_f32_e32 v30, v30, v35
	v_ldexp_f32 v64, v30, 1
	v_mul_f32_e32 v35, v32, v36
	v_mov_b32_e32 v30, 0x3f317218
	s_mov_b32 s23, 0x3f317218
	v_pk_mul_f32 v[30:31], v[34:35], v[30:31]
	v_fma_f32 v36, v34, s23, -v30
	v_ldexp_f32 v37, v32, 1
	v_fmac_f32_e32 v36, 0xb102e308, v34
	v_pk_add_f32 v[34:35], v[30:31], v[36:37]
	v_sub_f32_e32 v32, v35, v37
	v_sub_f32_e32 v32, v31, v32
	v_add_f32_e32 v65, v64, v32
	v_mov_b32_e32 v64, v30
	v_pk_add_f32 v[30:31], v[34:35], v[30:31] neg_lo:[0,1] neg_hi:[0,1]
	v_pk_add_f32 v[66:67], v[34:35], v[64:65]
	v_mov_b32_e32 v31, v67
	v_mov_b32_e32 v37, v34
	v_pk_add_f32 v[68:69], v[36:37], v[30:31] neg_lo:[0,1] neg_hi:[0,1]
	v_pk_add_f32 v[30:31], v[36:37], v[30:31]
	v_mov_b32_e32 v32, v31
	v_pk_add_f32 v[36:37], v[32:33], v[34:35] neg_lo:[0,1] neg_hi:[0,1]
	v_mov_b32_e32 v37, v36
	v_pk_add_f32 v[70:71], v[66:67], v[36:37] neg_lo:[0,1] neg_hi:[0,1]
	v_mov_b32_e32 v30, v67
	v_mov_b32_e32 v66, v35
	v_mov_b32_e32 v67, v36
	v_mov_b32_e32 v69, v31
	v_pk_add_f32 v[30:31], v[30:31], v[66:67] neg_lo:[0,1] neg_hi:[0,1]
	v_mov_b32_e32 v36, v65
	v_mov_b32_e32 v37, v34
	v_pk_add_f32 v[30:31], v[36:37], v[30:31] neg_lo:[0,1] neg_hi:[0,1]
	v_mov_b32_e32 v70, v68
	v_pk_add_f32 v[34:35], v[70:71], v[30:31]
	v_mov_b32_e32 v36, v35
	v_pk_add_f32 v[36:37], v[34:35], v[36:37]
	v_pk_add_f32 v[64:65], v[32:33], v[36:37]
	v_mov_b32_e32 v35, v64
	v_pk_add_f32 v[66:67], v[34:35], v[68:69] neg_lo:[0,1] neg_hi:[0,1]
	v_mov_b32_e32 v31, v36
	v_sub_f32_e32 v32, v34, v66
	v_pk_add_f32 v[30:31], v[30:31], v[66:67] neg_lo:[0,1] neg_hi:[0,1]
	v_sub_f32_e32 v32, v68, v32
	s_mov_b32 s24, 0x7f800000
	v_add_f32_e32 v30, v30, v32
	s_mov_b32 s23, 0x33800000
	v_add_f32_e32 v30, v30, v31
	v_cmp_eq_f32_e32 vcc, s24, v55
	v_cmp_lt_f32_e64 s[24:25], |v55|, s23
	v_add_f32_e32 v30, v64, v30
	s_or_b64 vcc, vcc, s[24:25]
	v_cndmask_b32_e32 v30, v30, v55, vcc
	v_add_f32_e32 v30, v33, v30
	v_cvt_f16_f32_e32 v31, v30
	v_cvt_f32_f16_e32 v32, v31
	v_mov_b32_e32 v30, v31
.LBB381_65:
	s_or_b64 exec, exec, s[20:21]
	v_cvt_f32_f16_e32 v55, v23
	v_max_f32_e32 v33, v32, v32
	v_cmp_u_f16_e32 vcc, v31, v31
	v_cmp_u_f16_e64 s[20:21], v23, v23
	v_min_f32_e32 v34, v33, v55
	v_max_f32_e32 v33, v33, v55
	v_cndmask_b32_e32 v34, v34, v32, vcc
	v_cndmask_b32_e32 v33, v33, v32, vcc
	v_cndmask_b32_e64 v34, v34, v55, s[20:21]
	v_cndmask_b32_e64 v33, v33, v55, s[20:21]
	v_cmp_neq_f32_e32 vcc, v34, v33
	v_cmp_class_f32_e64 s[22:23], v34, s22
	s_or_b64 s[24:25], vcc, s[22:23]
	s_and_saveexec_b64 s[22:23], s[24:25]
	s_cbranch_execz .LBB381_67
; %bb.66:
	v_sub_f32_e32 v30, v34, v33
	s_mov_b32 s24, 0x3fb8aa3b
	v_mul_f32_e32 v31, 0x3fb8aa3b, v30
	v_fma_f32 v32, v30, s24, -v31
	v_rndne_f32_e32 v34, v31
	v_fmac_f32_e32 v32, 0x32a5705f, v30
	v_sub_f32_e32 v31, v31, v34
	v_add_f32_e32 v31, v31, v32
	v_exp_f32_e32 v31, v31
	v_cvt_i32_f32_e32 v32, v34
	s_mov_b32 s24, 0xc2ce8ed0
	v_cmp_ngt_f32_e32 vcc, s24, v30
	s_mov_b32 s24, 0x42b17218
	v_ldexp_f32 v31, v31, v32
	v_cndmask_b32_e32 v31, 0, v31, vcc
	v_mov_b32_e32 v32, 0x7f800000
	v_cmp_nlt_f32_e32 vcc, s24, v30
	v_cndmask_b32_e32 v80, v32, v31, vcc
	v_add_f32_e32 v32, 1.0, v80
	v_add_f32_e32 v30, -1.0, v32
	v_sub_f32_e32 v31, v30, v32
	v_add_f32_e32 v31, 1.0, v31
	v_sub_f32_e32 v30, v80, v30
	v_add_f32_e32 v34, v30, v31
	v_frexp_mant_f32_e32 v35, v32
	s_mov_b32 s24, 0x3f2aaaab
	v_cvt_f64_f32_e32 v[30:31], v32
	v_frexp_exp_i32_f64_e32 v30, v[30:31]
	v_cmp_gt_f32_e32 vcc, s24, v35
	v_subbrev_co_u32_e32 v66, vcc, 0, v30, vcc
	v_sub_u32_e32 v30, 0, v66
	v_ldexp_f32 v31, v32, v30
	v_add_f32_e32 v32, -1.0, v31
	v_add_f32_e32 v35, 1.0, v31
	v_ldexp_f32 v30, v34, v30
	v_add_f32_e32 v34, 1.0, v32
	v_add_f32_e32 v36, -1.0, v35
	v_sub_f32_e32 v34, v31, v34
	v_sub_f32_e32 v31, v31, v36
	v_add_f32_e32 v34, v30, v34
	v_add_f32_e32 v30, v30, v31
	;; [unrolled: 1-line block ×3, first 2 shown]
	v_rcp_f32_e32 v69, v67
	v_sub_f32_e32 v31, v35, v67
	v_add_f32_e32 v68, v30, v31
	v_add_f32_e32 v31, v32, v34
	v_sub_f32_e32 v30, v32, v31
	v_mul_f32_e32 v70, v31, v69
	v_add_f32_e32 v32, v34, v30
	v_mul_f32_e32 v34, v67, v70
	v_fma_f32 v36, v70, v67, -v34
	v_fmac_f32_e32 v36, v70, v68
	v_add_f32_e32 v30, v34, v36
	v_sub_f32_e32 v35, v31, v30
	v_pk_add_f32 v[64:65], v[30:31], v[34:35] neg_lo:[0,1] neg_hi:[0,1]
	v_mov_b32_e32 v37, v30
	v_pk_add_f32 v[30:31], v[64:65], v[36:37] neg_lo:[0,1] neg_hi:[0,1]
	v_add_f32_e32 v31, v32, v31
	v_add_f32_e32 v30, v30, v31
	;; [unrolled: 1-line block ×3, first 2 shown]
	v_mul_f32_e32 v32, v69, v31
	v_mul_f32_e32 v34, v67, v32
	v_fma_f32 v36, v32, v67, -v34
	v_fmac_f32_e32 v36, v32, v68
	v_sub_f32_e32 v35, v35, v31
	v_add_f32_e32 v67, v30, v35
	v_add_f32_e32 v30, v34, v36
	v_sub_f32_e32 v35, v31, v30
	v_pk_add_f32 v[64:65], v[30:31], v[34:35] neg_lo:[0,1] neg_hi:[0,1]
	v_mov_b32_e32 v37, v30
	v_pk_add_f32 v[30:31], v[64:65], v[36:37] neg_lo:[0,1] neg_hi:[0,1]
	v_add_f32_e32 v31, v67, v31
	v_add_f32_e32 v30, v30, v31
	;; [unrolled: 1-line block ×4, first 2 shown]
	v_sub_f32_e32 v31, v35, v70
	v_mul_f32_e32 v30, v69, v30
	v_sub_f32_e32 v31, v32, v31
	v_add_f32_e32 v30, v31, v30
	v_add_f32_e32 v32, v35, v30
	v_mul_f32_e32 v36, v32, v32
	v_mov_b32_e32 v34, 0x3ecc95a3
	v_fmac_f32_e32 v34, 0x3e9b6dac, v36
	v_mov_b32_e32 v31, 0x3f2aaada
	v_fmac_f32_e32 v31, v36, v34
	v_cvt_f32_i32_e32 v34, v66
	v_sub_f32_e32 v35, v32, v35
	v_sub_f32_e32 v30, v30, v35
	v_ldexp_f32 v64, v30, 1
	v_mul_f32_e32 v35, v32, v36
	v_mov_b32_e32 v30, 0x3f317218
	s_mov_b32 s24, 0x3f317218
	v_pk_mul_f32 v[30:31], v[34:35], v[30:31]
	v_fma_f32 v36, v34, s24, -v30
	v_ldexp_f32 v37, v32, 1
	v_fmac_f32_e32 v36, 0xb102e308, v34
	v_pk_add_f32 v[34:35], v[30:31], v[36:37]
	v_sub_f32_e32 v32, v35, v37
	v_sub_f32_e32 v32, v31, v32
	v_add_f32_e32 v65, v64, v32
	v_mov_b32_e32 v64, v30
	v_pk_add_f32 v[30:31], v[34:35], v[30:31] neg_lo:[0,1] neg_hi:[0,1]
	v_pk_add_f32 v[66:67], v[34:35], v[64:65]
	v_mov_b32_e32 v31, v67
	v_mov_b32_e32 v37, v34
	v_pk_add_f32 v[68:69], v[36:37], v[30:31] neg_lo:[0,1] neg_hi:[0,1]
	v_pk_add_f32 v[30:31], v[36:37], v[30:31]
	v_mov_b32_e32 v32, v31
	v_pk_add_f32 v[36:37], v[32:33], v[34:35] neg_lo:[0,1] neg_hi:[0,1]
	v_mov_b32_e32 v37, v36
	v_pk_add_f32 v[70:71], v[66:67], v[36:37] neg_lo:[0,1] neg_hi:[0,1]
	v_mov_b32_e32 v30, v67
	v_mov_b32_e32 v66, v35
	;; [unrolled: 1-line block ×4, first 2 shown]
	v_pk_add_f32 v[30:31], v[30:31], v[66:67] neg_lo:[0,1] neg_hi:[0,1]
	v_mov_b32_e32 v36, v65
	v_mov_b32_e32 v37, v34
	v_pk_add_f32 v[30:31], v[36:37], v[30:31] neg_lo:[0,1] neg_hi:[0,1]
	v_mov_b32_e32 v70, v68
	v_pk_add_f32 v[34:35], v[70:71], v[30:31]
	v_mov_b32_e32 v36, v35
	v_pk_add_f32 v[36:37], v[34:35], v[36:37]
	v_pk_add_f32 v[64:65], v[32:33], v[36:37]
	v_mov_b32_e32 v35, v64
	v_pk_add_f32 v[66:67], v[34:35], v[68:69] neg_lo:[0,1] neg_hi:[0,1]
	v_mov_b32_e32 v31, v36
	v_sub_f32_e32 v32, v34, v66
	v_pk_add_f32 v[30:31], v[30:31], v[66:67] neg_lo:[0,1] neg_hi:[0,1]
	v_sub_f32_e32 v32, v68, v32
	s_mov_b32 s25, 0x7f800000
	v_add_f32_e32 v30, v30, v32
	s_mov_b32 s24, 0x33800000
	v_add_f32_e32 v30, v30, v31
	v_cmp_eq_f32_e32 vcc, s25, v80
	v_cmp_lt_f32_e64 s[24:25], |v80|, s24
	v_add_f32_e32 v30, v64, v30
	s_or_b64 vcc, vcc, s[24:25]
	v_cndmask_b32_e32 v30, v30, v80, vcc
	v_add_f32_e32 v30, v33, v30
	v_cvt_f16_f32_e32 v31, v30
	v_cvt_f32_f16_e32 v32, v31
	v_mov_b32_e32 v30, v31
.LBB381_67:
	s_or_b64 exec, exec, s[22:23]
	v_cvt_f32_f16_sdwa v64, v23 dst_sel:DWORD dst_unused:UNUSED_PAD src0_sel:WORD_1
	v_max_f32_e32 v33, v32, v32
	v_cmp_u_f16_e32 vcc, v31, v31
	v_cmp_u_f16_sdwa s[22:23], v23, v23 src0_sel:WORD_1 src1_sel:WORD_1
	v_min_f32_e32 v34, v33, v64
	v_max_f32_e32 v33, v33, v64
	v_cndmask_b32_e32 v34, v34, v32, vcc
	v_cndmask_b32_e32 v33, v33, v32, vcc
	v_cndmask_b32_e64 v34, v34, v64, s[22:23]
	v_cndmask_b32_e64 v33, v33, v64, s[22:23]
	s_movk_i32 s26, 0x1f8
	v_cmp_neq_f32_e32 vcc, v34, v33
	v_cmp_class_f32_e64 s[24:25], v34, s26
	s_or_b64 s[28:29], vcc, s[24:25]
	s_and_saveexec_b64 s[24:25], s[28:29]
	s_cbranch_execz .LBB381_69
; %bb.68:
	v_sub_f32_e32 v30, v34, v33
	s_mov_b32 s27, 0x3fb8aa3b
	v_mul_f32_e32 v31, 0x3fb8aa3b, v30
	v_fma_f32 v32, v30, s27, -v31
	v_rndne_f32_e32 v34, v31
	v_fmac_f32_e32 v32, 0x32a5705f, v30
	v_sub_f32_e32 v31, v31, v34
	v_add_f32_e32 v31, v31, v32
	v_exp_f32_e32 v31, v31
	v_cvt_i32_f32_e32 v32, v34
	s_mov_b32 s27, 0xc2ce8ed0
	v_cmp_ngt_f32_e32 vcc, s27, v30
	s_mov_b32 s27, 0x42b17218
	v_ldexp_f32 v31, v31, v32
	v_cndmask_b32_e32 v31, 0, v31, vcc
	v_mov_b32_e32 v32, 0x7f800000
	v_cmp_nlt_f32_e32 vcc, s27, v30
	v_cndmask_b32_e32 v65, v32, v31, vcc
	v_add_f32_e32 v32, 1.0, v65
	v_add_f32_e32 v30, -1.0, v32
	v_sub_f32_e32 v31, v30, v32
	v_add_f32_e32 v31, 1.0, v31
	v_sub_f32_e32 v30, v65, v30
	v_add_f32_e32 v34, v30, v31
	v_frexp_mant_f32_e32 v35, v32
	s_mov_b32 s27, 0x3f2aaaab
	v_cvt_f64_f32_e32 v[30:31], v32
	v_frexp_exp_i32_f64_e32 v30, v[30:31]
	v_cmp_gt_f32_e32 vcc, s27, v35
	v_subbrev_co_u32_e32 v68, vcc, 0, v30, vcc
	v_sub_u32_e32 v30, 0, v68
	v_ldexp_f32 v31, v32, v30
	v_add_f32_e32 v32, -1.0, v31
	v_add_f32_e32 v35, 1.0, v31
	v_ldexp_f32 v30, v34, v30
	v_add_f32_e32 v34, 1.0, v32
	v_add_f32_e32 v36, -1.0, v35
	v_sub_f32_e32 v34, v31, v34
	v_sub_f32_e32 v31, v31, v36
	v_add_f32_e32 v34, v30, v34
	v_add_f32_e32 v30, v30, v31
	;; [unrolled: 1-line block ×3, first 2 shown]
	v_rcp_f32_e32 v71, v69
	v_sub_f32_e32 v31, v35, v69
	v_add_f32_e32 v70, v30, v31
	v_add_f32_e32 v31, v32, v34
	v_sub_f32_e32 v30, v32, v31
	v_mul_f32_e32 v80, v31, v71
	v_add_f32_e32 v32, v34, v30
	v_mul_f32_e32 v34, v69, v80
	v_fma_f32 v36, v80, v69, -v34
	v_fmac_f32_e32 v36, v80, v70
	v_add_f32_e32 v30, v34, v36
	v_sub_f32_e32 v35, v31, v30
	v_pk_add_f32 v[66:67], v[30:31], v[34:35] neg_lo:[0,1] neg_hi:[0,1]
	v_mov_b32_e32 v37, v30
	v_pk_add_f32 v[30:31], v[66:67], v[36:37] neg_lo:[0,1] neg_hi:[0,1]
	v_add_f32_e32 v31, v32, v31
	v_add_f32_e32 v30, v30, v31
	v_add_f32_e32 v31, v35, v30
	v_mul_f32_e32 v32, v71, v31
	v_mul_f32_e32 v34, v69, v32
	v_fma_f32 v36, v32, v69, -v34
	v_fmac_f32_e32 v36, v32, v70
	v_sub_f32_e32 v35, v35, v31
	v_add_f32_e32 v69, v30, v35
	v_add_f32_e32 v30, v34, v36
	v_sub_f32_e32 v35, v31, v30
	v_pk_add_f32 v[66:67], v[30:31], v[34:35] neg_lo:[0,1] neg_hi:[0,1]
	v_mov_b32_e32 v37, v30
	v_pk_add_f32 v[30:31], v[66:67], v[36:37] neg_lo:[0,1] neg_hi:[0,1]
	v_add_f32_e32 v31, v69, v31
	v_add_f32_e32 v30, v30, v31
	;; [unrolled: 1-line block ×4, first 2 shown]
	v_sub_f32_e32 v31, v35, v80
	v_mul_f32_e32 v30, v71, v30
	v_sub_f32_e32 v31, v32, v31
	v_add_f32_e32 v30, v31, v30
	v_add_f32_e32 v32, v35, v30
	v_mul_f32_e32 v36, v32, v32
	v_mov_b32_e32 v34, 0x3ecc95a3
	v_fmac_f32_e32 v34, 0x3e9b6dac, v36
	v_mov_b32_e32 v31, 0x3f2aaada
	v_fmac_f32_e32 v31, v36, v34
	v_cvt_f32_i32_e32 v34, v68
	v_sub_f32_e32 v35, v32, v35
	v_sub_f32_e32 v30, v30, v35
	v_ldexp_f32 v66, v30, 1
	v_mul_f32_e32 v35, v32, v36
	v_mov_b32_e32 v30, 0x3f317218
	s_mov_b32 s27, 0x3f317218
	v_pk_mul_f32 v[30:31], v[34:35], v[30:31]
	v_fma_f32 v36, v34, s27, -v30
	v_ldexp_f32 v37, v32, 1
	v_fmac_f32_e32 v36, 0xb102e308, v34
	v_pk_add_f32 v[34:35], v[30:31], v[36:37]
	v_sub_f32_e32 v32, v35, v37
	v_sub_f32_e32 v32, v31, v32
	v_add_f32_e32 v67, v66, v32
	v_mov_b32_e32 v66, v30
	v_pk_add_f32 v[30:31], v[34:35], v[30:31] neg_lo:[0,1] neg_hi:[0,1]
	v_pk_add_f32 v[68:69], v[34:35], v[66:67]
	v_mov_b32_e32 v31, v69
	v_mov_b32_e32 v37, v34
	v_pk_add_f32 v[70:71], v[36:37], v[30:31] neg_lo:[0,1] neg_hi:[0,1]
	v_pk_add_f32 v[30:31], v[36:37], v[30:31]
	v_mov_b32_e32 v32, v31
	v_pk_add_f32 v[36:37], v[32:33], v[34:35] neg_lo:[0,1] neg_hi:[0,1]
	v_mov_b32_e32 v37, v36
	v_pk_add_f32 v[80:81], v[68:69], v[36:37] neg_lo:[0,1] neg_hi:[0,1]
	v_mov_b32_e32 v30, v69
	v_mov_b32_e32 v68, v35
	;; [unrolled: 1-line block ×4, first 2 shown]
	v_pk_add_f32 v[30:31], v[30:31], v[68:69] neg_lo:[0,1] neg_hi:[0,1]
	v_mov_b32_e32 v36, v67
	v_mov_b32_e32 v37, v34
	v_pk_add_f32 v[30:31], v[36:37], v[30:31] neg_lo:[0,1] neg_hi:[0,1]
	v_mov_b32_e32 v80, v70
	v_pk_add_f32 v[34:35], v[80:81], v[30:31]
	v_mov_b32_e32 v36, v35
	v_pk_add_f32 v[36:37], v[34:35], v[36:37]
	v_pk_add_f32 v[66:67], v[32:33], v[36:37]
	v_mov_b32_e32 v35, v66
	v_pk_add_f32 v[68:69], v[34:35], v[70:71] neg_lo:[0,1] neg_hi:[0,1]
	v_mov_b32_e32 v31, v36
	v_sub_f32_e32 v32, v34, v68
	v_pk_add_f32 v[30:31], v[30:31], v[68:69] neg_lo:[0,1] neg_hi:[0,1]
	v_sub_f32_e32 v32, v70, v32
	s_mov_b32 s28, 0x7f800000
	v_add_f32_e32 v30, v30, v32
	s_mov_b32 s27, 0x33800000
	v_add_f32_e32 v30, v30, v31
	v_cmp_eq_f32_e32 vcc, s28, v65
	v_cmp_lt_f32_e64 s[28:29], |v65|, s27
	v_add_f32_e32 v30, v66, v30
	s_or_b64 vcc, vcc, s[28:29]
	v_cndmask_b32_e32 v30, v30, v65, vcc
	v_add_f32_e32 v30, v33, v30
	v_cvt_f16_f32_e32 v31, v30
	v_cvt_f32_f16_e32 v32, v31
	v_mov_b32_e32 v30, v31
.LBB381_69:
	s_or_b64 exec, exec, s[24:25]
	v_cvt_f32_f16_e32 v65, v16
	v_max_f32_e32 v33, v32, v32
	v_cmp_u_f16_e32 vcc, v31, v31
	v_cmp_u_f16_e64 s[24:25], v16, v16
	v_min_f32_e32 v34, v33, v65
	v_max_f32_e32 v33, v33, v65
	v_cndmask_b32_e32 v34, v34, v32, vcc
	v_cndmask_b32_e32 v33, v33, v32, vcc
	v_cndmask_b32_e64 v34, v34, v65, s[24:25]
	v_cndmask_b32_e64 v33, v33, v65, s[24:25]
	v_cmp_neq_f32_e32 vcc, v34, v33
	v_cmp_class_f32_e64 s[26:27], v34, s26
	s_or_b64 s[28:29], vcc, s[26:27]
	s_and_saveexec_b64 s[26:27], s[28:29]
	s_cbranch_execz .LBB381_71
; %bb.70:
	v_sub_f32_e32 v30, v34, v33
	s_mov_b32 s28, 0x3fb8aa3b
	v_mul_f32_e32 v31, 0x3fb8aa3b, v30
	v_fma_f32 v32, v30, s28, -v31
	v_rndne_f32_e32 v34, v31
	v_fmac_f32_e32 v32, 0x32a5705f, v30
	v_sub_f32_e32 v31, v31, v34
	v_add_f32_e32 v31, v31, v32
	v_exp_f32_e32 v31, v31
	v_cvt_i32_f32_e32 v32, v34
	s_mov_b32 s28, 0xc2ce8ed0
	v_cmp_ngt_f32_e32 vcc, s28, v30
	s_mov_b32 s28, 0x42b17218
	v_ldexp_f32 v31, v31, v32
	v_cndmask_b32_e32 v31, 0, v31, vcc
	v_mov_b32_e32 v32, 0x7f800000
	v_cmp_nlt_f32_e32 vcc, s28, v30
	v_cndmask_b32_e32 v82, v32, v31, vcc
	v_add_f32_e32 v32, 1.0, v82
	v_add_f32_e32 v30, -1.0, v32
	v_sub_f32_e32 v31, v30, v32
	v_add_f32_e32 v31, 1.0, v31
	v_sub_f32_e32 v30, v82, v30
	v_add_f32_e32 v34, v30, v31
	v_frexp_mant_f32_e32 v35, v32
	s_mov_b32 s28, 0x3f2aaaab
	v_cvt_f64_f32_e32 v[30:31], v32
	v_frexp_exp_i32_f64_e32 v30, v[30:31]
	v_cmp_gt_f32_e32 vcc, s28, v35
	v_subbrev_co_u32_e32 v68, vcc, 0, v30, vcc
	v_sub_u32_e32 v30, 0, v68
	v_ldexp_f32 v31, v32, v30
	v_add_f32_e32 v32, -1.0, v31
	v_add_f32_e32 v35, 1.0, v31
	v_ldexp_f32 v30, v34, v30
	v_add_f32_e32 v34, 1.0, v32
	v_add_f32_e32 v36, -1.0, v35
	v_sub_f32_e32 v34, v31, v34
	v_sub_f32_e32 v31, v31, v36
	v_add_f32_e32 v34, v30, v34
	v_add_f32_e32 v30, v30, v31
	;; [unrolled: 1-line block ×3, first 2 shown]
	v_rcp_f32_e32 v71, v69
	v_sub_f32_e32 v31, v35, v69
	v_add_f32_e32 v70, v30, v31
	v_add_f32_e32 v31, v32, v34
	v_sub_f32_e32 v30, v32, v31
	v_mul_f32_e32 v80, v31, v71
	v_add_f32_e32 v32, v34, v30
	v_mul_f32_e32 v34, v69, v80
	v_fma_f32 v36, v80, v69, -v34
	v_fmac_f32_e32 v36, v80, v70
	v_add_f32_e32 v30, v34, v36
	v_sub_f32_e32 v35, v31, v30
	v_pk_add_f32 v[66:67], v[30:31], v[34:35] neg_lo:[0,1] neg_hi:[0,1]
	v_mov_b32_e32 v37, v30
	v_pk_add_f32 v[30:31], v[66:67], v[36:37] neg_lo:[0,1] neg_hi:[0,1]
	v_add_f32_e32 v31, v32, v31
	v_add_f32_e32 v30, v30, v31
	;; [unrolled: 1-line block ×3, first 2 shown]
	v_mul_f32_e32 v32, v71, v31
	v_mul_f32_e32 v34, v69, v32
	v_fma_f32 v36, v32, v69, -v34
	v_fmac_f32_e32 v36, v32, v70
	v_sub_f32_e32 v35, v35, v31
	v_add_f32_e32 v69, v30, v35
	v_add_f32_e32 v30, v34, v36
	v_sub_f32_e32 v35, v31, v30
	v_pk_add_f32 v[66:67], v[30:31], v[34:35] neg_lo:[0,1] neg_hi:[0,1]
	v_mov_b32_e32 v37, v30
	v_pk_add_f32 v[30:31], v[66:67], v[36:37] neg_lo:[0,1] neg_hi:[0,1]
	v_add_f32_e32 v31, v69, v31
	v_add_f32_e32 v30, v30, v31
	;; [unrolled: 1-line block ×4, first 2 shown]
	v_sub_f32_e32 v31, v35, v80
	v_mul_f32_e32 v30, v71, v30
	v_sub_f32_e32 v31, v32, v31
	v_add_f32_e32 v30, v31, v30
	v_add_f32_e32 v32, v35, v30
	v_mul_f32_e32 v36, v32, v32
	v_mov_b32_e32 v34, 0x3ecc95a3
	v_fmac_f32_e32 v34, 0x3e9b6dac, v36
	v_mov_b32_e32 v31, 0x3f2aaada
	v_fmac_f32_e32 v31, v36, v34
	v_cvt_f32_i32_e32 v34, v68
	v_sub_f32_e32 v35, v32, v35
	v_sub_f32_e32 v30, v30, v35
	v_ldexp_f32 v66, v30, 1
	v_mul_f32_e32 v35, v32, v36
	v_mov_b32_e32 v30, 0x3f317218
	s_mov_b32 s28, 0x3f317218
	v_pk_mul_f32 v[30:31], v[34:35], v[30:31]
	v_fma_f32 v36, v34, s28, -v30
	v_ldexp_f32 v37, v32, 1
	v_fmac_f32_e32 v36, 0xb102e308, v34
	v_pk_add_f32 v[34:35], v[30:31], v[36:37]
	v_sub_f32_e32 v32, v35, v37
	v_sub_f32_e32 v32, v31, v32
	v_add_f32_e32 v67, v66, v32
	v_mov_b32_e32 v66, v30
	v_pk_add_f32 v[30:31], v[34:35], v[30:31] neg_lo:[0,1] neg_hi:[0,1]
	v_pk_add_f32 v[68:69], v[34:35], v[66:67]
	v_mov_b32_e32 v31, v69
	v_mov_b32_e32 v37, v34
	v_pk_add_f32 v[70:71], v[36:37], v[30:31] neg_lo:[0,1] neg_hi:[0,1]
	v_pk_add_f32 v[30:31], v[36:37], v[30:31]
	v_mov_b32_e32 v32, v31
	v_pk_add_f32 v[36:37], v[32:33], v[34:35] neg_lo:[0,1] neg_hi:[0,1]
	v_mov_b32_e32 v37, v36
	v_pk_add_f32 v[80:81], v[68:69], v[36:37] neg_lo:[0,1] neg_hi:[0,1]
	v_mov_b32_e32 v30, v69
	v_mov_b32_e32 v68, v35
	v_mov_b32_e32 v69, v36
	v_mov_b32_e32 v71, v31
	v_pk_add_f32 v[30:31], v[30:31], v[68:69] neg_lo:[0,1] neg_hi:[0,1]
	v_mov_b32_e32 v36, v67
	v_mov_b32_e32 v37, v34
	v_pk_add_f32 v[30:31], v[36:37], v[30:31] neg_lo:[0,1] neg_hi:[0,1]
	v_mov_b32_e32 v80, v70
	v_pk_add_f32 v[34:35], v[80:81], v[30:31]
	v_mov_b32_e32 v36, v35
	v_pk_add_f32 v[36:37], v[34:35], v[36:37]
	v_pk_add_f32 v[66:67], v[32:33], v[36:37]
	v_mov_b32_e32 v35, v66
	v_pk_add_f32 v[68:69], v[34:35], v[70:71] neg_lo:[0,1] neg_hi:[0,1]
	v_mov_b32_e32 v31, v36
	v_sub_f32_e32 v32, v34, v68
	v_pk_add_f32 v[30:31], v[30:31], v[68:69] neg_lo:[0,1] neg_hi:[0,1]
	v_sub_f32_e32 v32, v70, v32
	s_mov_b32 s29, 0x7f800000
	v_add_f32_e32 v30, v30, v32
	s_mov_b32 s28, 0x33800000
	v_add_f32_e32 v30, v30, v31
	v_cmp_eq_f32_e32 vcc, s29, v82
	v_cmp_lt_f32_e64 s[28:29], |v82|, s28
	v_add_f32_e32 v30, v66, v30
	s_or_b64 vcc, vcc, s[28:29]
	v_cndmask_b32_e32 v30, v30, v82, vcc
	v_add_f32_e32 v30, v33, v30
	v_cvt_f16_f32_e32 v31, v30
	v_cvt_f32_f16_e32 v32, v31
	v_mov_b32_e32 v30, v31
.LBB381_71:
	s_or_b64 exec, exec, s[26:27]
	v_cvt_f32_f16_sdwa v66, v16 dst_sel:DWORD dst_unused:UNUSED_PAD src0_sel:WORD_1
	v_max_f32_e32 v33, v32, v32
	v_cmp_u_f16_e32 vcc, v31, v31
	v_cmp_u_f16_sdwa s[26:27], v16, v16 src0_sel:WORD_1 src1_sel:WORD_1
	v_min_f32_e32 v34, v33, v66
	v_max_f32_e32 v33, v33, v66
	v_cndmask_b32_e32 v34, v34, v32, vcc
	v_cndmask_b32_e32 v33, v33, v32, vcc
	v_cndmask_b32_e64 v34, v34, v66, s[26:27]
	v_cndmask_b32_e64 v33, v33, v66, s[26:27]
	s_movk_i32 s30, 0x1f8
	v_cmp_neq_f32_e32 vcc, v34, v33
	v_cmp_class_f32_e64 s[28:29], v34, s30
	s_or_b64 vcc, vcc, s[28:29]
	s_and_saveexec_b64 s[28:29], vcc
	s_cbranch_execz .LBB381_73
; %bb.72:
	v_sub_f32_e32 v30, v34, v33
	s_mov_b32 s31, 0x3fb8aa3b
	v_mul_f32_e32 v31, 0x3fb8aa3b, v30
	v_fma_f32 v32, v30, s31, -v31
	v_rndne_f32_e32 v34, v31
	v_fmac_f32_e32 v32, 0x32a5705f, v30
	v_sub_f32_e32 v31, v31, v34
	v_add_f32_e32 v31, v31, v32
	v_exp_f32_e32 v31, v31
	v_cvt_i32_f32_e32 v32, v34
	s_mov_b32 s31, 0xc2ce8ed0
	v_cmp_ngt_f32_e32 vcc, s31, v30
	s_mov_b32 s31, 0x42b17218
	v_ldexp_f32 v31, v31, v32
	v_cndmask_b32_e32 v31, 0, v31, vcc
	v_mov_b32_e32 v32, 0x7f800000
	v_cmp_nlt_f32_e32 vcc, s31, v30
	v_cndmask_b32_e32 v67, v32, v31, vcc
	v_add_f32_e32 v32, 1.0, v67
	v_add_f32_e32 v30, -1.0, v32
	v_sub_f32_e32 v31, v30, v32
	v_add_f32_e32 v31, 1.0, v31
	v_sub_f32_e32 v30, v67, v30
	v_add_f32_e32 v34, v30, v31
	v_frexp_mant_f32_e32 v35, v32
	s_mov_b32 s31, 0x3f2aaaab
	v_cvt_f64_f32_e32 v[30:31], v32
	v_frexp_exp_i32_f64_e32 v30, v[30:31]
	v_cmp_gt_f32_e32 vcc, s31, v35
	v_subbrev_co_u32_e32 v70, vcc, 0, v30, vcc
	v_sub_u32_e32 v30, 0, v70
	v_ldexp_f32 v31, v32, v30
	v_add_f32_e32 v32, -1.0, v31
	v_add_f32_e32 v35, 1.0, v31
	v_ldexp_f32 v30, v34, v30
	v_add_f32_e32 v34, 1.0, v32
	v_add_f32_e32 v36, -1.0, v35
	v_sub_f32_e32 v34, v31, v34
	v_sub_f32_e32 v31, v31, v36
	v_add_f32_e32 v34, v30, v34
	v_add_f32_e32 v30, v30, v31
	;; [unrolled: 1-line block ×3, first 2 shown]
	v_rcp_f32_e32 v81, v71
	v_sub_f32_e32 v31, v35, v71
	v_add_f32_e32 v80, v30, v31
	v_add_f32_e32 v31, v32, v34
	v_sub_f32_e32 v30, v32, v31
	v_mul_f32_e32 v82, v31, v81
	v_add_f32_e32 v32, v34, v30
	v_mul_f32_e32 v34, v71, v82
	v_fma_f32 v36, v82, v71, -v34
	v_fmac_f32_e32 v36, v82, v80
	v_add_f32_e32 v30, v34, v36
	v_sub_f32_e32 v35, v31, v30
	v_pk_add_f32 v[68:69], v[30:31], v[34:35] neg_lo:[0,1] neg_hi:[0,1]
	v_mov_b32_e32 v37, v30
	v_pk_add_f32 v[30:31], v[68:69], v[36:37] neg_lo:[0,1] neg_hi:[0,1]
	v_add_f32_e32 v31, v32, v31
	v_add_f32_e32 v30, v30, v31
	;; [unrolled: 1-line block ×3, first 2 shown]
	v_mul_f32_e32 v32, v81, v31
	v_mul_f32_e32 v34, v71, v32
	v_fma_f32 v36, v32, v71, -v34
	v_fmac_f32_e32 v36, v32, v80
	v_sub_f32_e32 v35, v35, v31
	v_add_f32_e32 v71, v30, v35
	v_add_f32_e32 v30, v34, v36
	v_sub_f32_e32 v35, v31, v30
	v_pk_add_f32 v[68:69], v[30:31], v[34:35] neg_lo:[0,1] neg_hi:[0,1]
	v_mov_b32_e32 v37, v30
	v_pk_add_f32 v[30:31], v[68:69], v[36:37] neg_lo:[0,1] neg_hi:[0,1]
	v_add_f32_e32 v31, v71, v31
	v_add_f32_e32 v30, v30, v31
	;; [unrolled: 1-line block ×4, first 2 shown]
	v_sub_f32_e32 v31, v35, v82
	v_mul_f32_e32 v30, v81, v30
	v_sub_f32_e32 v31, v32, v31
	v_add_f32_e32 v30, v31, v30
	v_add_f32_e32 v32, v35, v30
	v_mul_f32_e32 v36, v32, v32
	v_mov_b32_e32 v34, 0x3ecc95a3
	v_fmac_f32_e32 v34, 0x3e9b6dac, v36
	v_mov_b32_e32 v31, 0x3f2aaada
	v_fmac_f32_e32 v31, v36, v34
	v_cvt_f32_i32_e32 v34, v70
	v_sub_f32_e32 v35, v32, v35
	v_sub_f32_e32 v30, v30, v35
	v_ldexp_f32 v68, v30, 1
	v_mul_f32_e32 v35, v32, v36
	v_mov_b32_e32 v30, 0x3f317218
	s_mov_b32 s31, 0x3f317218
	v_pk_mul_f32 v[30:31], v[34:35], v[30:31]
	v_fma_f32 v36, v34, s31, -v30
	v_ldexp_f32 v37, v32, 1
	v_fmac_f32_e32 v36, 0xb102e308, v34
	v_pk_add_f32 v[34:35], v[30:31], v[36:37]
	v_sub_f32_e32 v32, v35, v37
	v_sub_f32_e32 v32, v31, v32
	v_add_f32_e32 v69, v68, v32
	v_mov_b32_e32 v68, v30
	v_pk_add_f32 v[30:31], v[34:35], v[30:31] neg_lo:[0,1] neg_hi:[0,1]
	v_pk_add_f32 v[70:71], v[34:35], v[68:69]
	v_mov_b32_e32 v31, v71
	v_mov_b32_e32 v37, v34
	v_pk_add_f32 v[80:81], v[36:37], v[30:31] neg_lo:[0,1] neg_hi:[0,1]
	v_pk_add_f32 v[30:31], v[36:37], v[30:31]
	v_mov_b32_e32 v32, v31
	v_pk_add_f32 v[36:37], v[32:33], v[34:35] neg_lo:[0,1] neg_hi:[0,1]
	v_mov_b32_e32 v37, v36
	v_pk_add_f32 v[82:83], v[70:71], v[36:37] neg_lo:[0,1] neg_hi:[0,1]
	v_mov_b32_e32 v30, v71
	v_mov_b32_e32 v70, v35
	v_mov_b32_e32 v71, v36
	v_mov_b32_e32 v81, v31
	v_pk_add_f32 v[30:31], v[30:31], v[70:71] neg_lo:[0,1] neg_hi:[0,1]
	v_mov_b32_e32 v36, v69
	v_mov_b32_e32 v37, v34
	v_pk_add_f32 v[30:31], v[36:37], v[30:31] neg_lo:[0,1] neg_hi:[0,1]
	v_mov_b32_e32 v82, v80
	v_pk_add_f32 v[34:35], v[82:83], v[30:31]
	v_mov_b32_e32 v36, v35
	v_pk_add_f32 v[36:37], v[34:35], v[36:37]
	v_pk_add_f32 v[68:69], v[32:33], v[36:37]
	v_mov_b32_e32 v35, v68
	v_pk_add_f32 v[70:71], v[34:35], v[80:81] neg_lo:[0,1] neg_hi:[0,1]
	v_mov_b32_e32 v31, v36
	v_sub_f32_e32 v32, v34, v70
	v_pk_add_f32 v[30:31], v[30:31], v[70:71] neg_lo:[0,1] neg_hi:[0,1]
	v_sub_f32_e32 v32, v80, v32
	s_mov_b32 s34, 0x7f800000
	v_add_f32_e32 v30, v30, v32
	s_mov_b32 s31, 0x33800000
	v_add_f32_e32 v30, v30, v31
	v_cmp_eq_f32_e32 vcc, s34, v67
	v_cmp_lt_f32_e64 s[34:35], |v67|, s31
	v_add_f32_e32 v30, v68, v30
	s_or_b64 vcc, vcc, s[34:35]
	v_cndmask_b32_e32 v30, v30, v67, vcc
	v_add_f32_e32 v30, v33, v30
	v_cvt_f16_f32_e32 v31, v30
	v_cvt_f32_f16_e32 v32, v31
	v_mov_b32_e32 v30, v31
.LBB381_73:
	s_or_b64 exec, exec, s[28:29]
	v_cvt_f32_f16_e32 v67, v17
	v_max_f32_e32 v33, v32, v32
	v_cmp_u_f16_e32 vcc, v31, v31
	v_cmp_u_f16_e64 s[28:29], v17, v17
	v_min_f32_e32 v34, v33, v67
	v_max_f32_e32 v33, v33, v67
	v_cndmask_b32_e32 v34, v34, v32, vcc
	v_cndmask_b32_e32 v33, v33, v32, vcc
	v_cndmask_b32_e64 v34, v34, v67, s[28:29]
	v_cndmask_b32_e64 v33, v33, v67, s[28:29]
	v_cmp_neq_f32_e32 vcc, v34, v33
	v_cmp_class_f32_e64 s[30:31], v34, s30
	s_or_b64 vcc, vcc, s[30:31]
	s_and_saveexec_b64 s[30:31], vcc
	s_cbranch_execz .LBB381_75
; %bb.74:
	v_sub_f32_e32 v30, v34, v33
	s_mov_b32 s34, 0x3fb8aa3b
	v_mul_f32_e32 v31, 0x3fb8aa3b, v30
	v_fma_f32 v32, v30, s34, -v31
	v_rndne_f32_e32 v34, v31
	v_fmac_f32_e32 v32, 0x32a5705f, v30
	v_sub_f32_e32 v31, v31, v34
	v_add_f32_e32 v31, v31, v32
	v_exp_f32_e32 v31, v31
	v_cvt_i32_f32_e32 v32, v34
	s_mov_b32 s34, 0xc2ce8ed0
	v_cmp_ngt_f32_e32 vcc, s34, v30
	s_mov_b32 s34, 0x42b17218
	v_ldexp_f32 v31, v31, v32
	v_cndmask_b32_e32 v31, 0, v31, vcc
	v_mov_b32_e32 v32, 0x7f800000
	v_cmp_nlt_f32_e32 vcc, s34, v30
	v_cndmask_b32_e32 v84, v32, v31, vcc
	v_add_f32_e32 v32, 1.0, v84
	v_add_f32_e32 v30, -1.0, v32
	v_sub_f32_e32 v31, v30, v32
	v_add_f32_e32 v31, 1.0, v31
	v_sub_f32_e32 v30, v84, v30
	v_add_f32_e32 v34, v30, v31
	v_frexp_mant_f32_e32 v35, v32
	s_mov_b32 s34, 0x3f2aaaab
	v_cvt_f64_f32_e32 v[30:31], v32
	v_frexp_exp_i32_f64_e32 v30, v[30:31]
	v_cmp_gt_f32_e32 vcc, s34, v35
	v_subbrev_co_u32_e32 v70, vcc, 0, v30, vcc
	v_sub_u32_e32 v30, 0, v70
	v_ldexp_f32 v31, v32, v30
	v_add_f32_e32 v32, -1.0, v31
	v_add_f32_e32 v35, 1.0, v31
	v_ldexp_f32 v30, v34, v30
	v_add_f32_e32 v34, 1.0, v32
	v_add_f32_e32 v36, -1.0, v35
	v_sub_f32_e32 v34, v31, v34
	v_sub_f32_e32 v31, v31, v36
	v_add_f32_e32 v34, v30, v34
	v_add_f32_e32 v30, v30, v31
	;; [unrolled: 1-line block ×3, first 2 shown]
	v_rcp_f32_e32 v81, v71
	v_sub_f32_e32 v31, v35, v71
	v_add_f32_e32 v80, v30, v31
	v_add_f32_e32 v31, v32, v34
	v_sub_f32_e32 v30, v32, v31
	v_mul_f32_e32 v82, v31, v81
	v_add_f32_e32 v32, v34, v30
	v_mul_f32_e32 v34, v71, v82
	v_fma_f32 v36, v82, v71, -v34
	v_fmac_f32_e32 v36, v82, v80
	v_add_f32_e32 v30, v34, v36
	v_sub_f32_e32 v35, v31, v30
	v_pk_add_f32 v[68:69], v[30:31], v[34:35] neg_lo:[0,1] neg_hi:[0,1]
	v_mov_b32_e32 v37, v30
	v_pk_add_f32 v[30:31], v[68:69], v[36:37] neg_lo:[0,1] neg_hi:[0,1]
	v_add_f32_e32 v31, v32, v31
	v_add_f32_e32 v30, v30, v31
	v_add_f32_e32 v31, v35, v30
	v_mul_f32_e32 v32, v81, v31
	v_mul_f32_e32 v34, v71, v32
	v_fma_f32 v36, v32, v71, -v34
	v_fmac_f32_e32 v36, v32, v80
	v_sub_f32_e32 v35, v35, v31
	v_add_f32_e32 v71, v30, v35
	v_add_f32_e32 v30, v34, v36
	v_sub_f32_e32 v35, v31, v30
	v_pk_add_f32 v[68:69], v[30:31], v[34:35] neg_lo:[0,1] neg_hi:[0,1]
	v_mov_b32_e32 v37, v30
	v_pk_add_f32 v[30:31], v[68:69], v[36:37] neg_lo:[0,1] neg_hi:[0,1]
	v_add_f32_e32 v31, v71, v31
	v_add_f32_e32 v30, v30, v31
	;; [unrolled: 1-line block ×4, first 2 shown]
	v_sub_f32_e32 v31, v35, v82
	v_mul_f32_e32 v30, v81, v30
	v_sub_f32_e32 v31, v32, v31
	v_add_f32_e32 v30, v31, v30
	v_add_f32_e32 v32, v35, v30
	v_mul_f32_e32 v36, v32, v32
	v_mov_b32_e32 v34, 0x3ecc95a3
	v_fmac_f32_e32 v34, 0x3e9b6dac, v36
	v_mov_b32_e32 v31, 0x3f2aaada
	v_fmac_f32_e32 v31, v36, v34
	v_cvt_f32_i32_e32 v34, v70
	v_sub_f32_e32 v35, v32, v35
	v_sub_f32_e32 v30, v30, v35
	v_ldexp_f32 v68, v30, 1
	v_mul_f32_e32 v35, v32, v36
	v_mov_b32_e32 v30, 0x3f317218
	s_mov_b32 s34, 0x3f317218
	v_pk_mul_f32 v[30:31], v[34:35], v[30:31]
	v_fma_f32 v36, v34, s34, -v30
	v_ldexp_f32 v37, v32, 1
	v_fmac_f32_e32 v36, 0xb102e308, v34
	v_pk_add_f32 v[34:35], v[30:31], v[36:37]
	v_sub_f32_e32 v32, v35, v37
	v_sub_f32_e32 v32, v31, v32
	v_add_f32_e32 v69, v68, v32
	v_mov_b32_e32 v68, v30
	v_pk_add_f32 v[30:31], v[34:35], v[30:31] neg_lo:[0,1] neg_hi:[0,1]
	v_pk_add_f32 v[70:71], v[34:35], v[68:69]
	v_mov_b32_e32 v31, v71
	v_mov_b32_e32 v37, v34
	v_pk_add_f32 v[80:81], v[36:37], v[30:31] neg_lo:[0,1] neg_hi:[0,1]
	v_pk_add_f32 v[30:31], v[36:37], v[30:31]
	v_mov_b32_e32 v32, v31
	v_pk_add_f32 v[36:37], v[32:33], v[34:35] neg_lo:[0,1] neg_hi:[0,1]
	v_mov_b32_e32 v37, v36
	v_pk_add_f32 v[82:83], v[70:71], v[36:37] neg_lo:[0,1] neg_hi:[0,1]
	v_mov_b32_e32 v30, v71
	v_mov_b32_e32 v70, v35
	;; [unrolled: 1-line block ×4, first 2 shown]
	v_pk_add_f32 v[30:31], v[30:31], v[70:71] neg_lo:[0,1] neg_hi:[0,1]
	v_mov_b32_e32 v36, v69
	v_mov_b32_e32 v37, v34
	v_pk_add_f32 v[30:31], v[36:37], v[30:31] neg_lo:[0,1] neg_hi:[0,1]
	v_mov_b32_e32 v82, v80
	v_pk_add_f32 v[34:35], v[82:83], v[30:31]
	v_mov_b32_e32 v36, v35
	v_pk_add_f32 v[36:37], v[34:35], v[36:37]
	v_pk_add_f32 v[68:69], v[32:33], v[36:37]
	v_mov_b32_e32 v35, v68
	v_pk_add_f32 v[70:71], v[34:35], v[80:81] neg_lo:[0,1] neg_hi:[0,1]
	v_mov_b32_e32 v31, v36
	v_sub_f32_e32 v32, v34, v70
	v_pk_add_f32 v[30:31], v[30:31], v[70:71] neg_lo:[0,1] neg_hi:[0,1]
	v_sub_f32_e32 v32, v80, v32
	s_mov_b32 s35, 0x7f800000
	v_add_f32_e32 v30, v30, v32
	s_mov_b32 s34, 0x33800000
	v_add_f32_e32 v30, v30, v31
	v_cmp_eq_f32_e32 vcc, s35, v84
	v_cmp_lt_f32_e64 s[34:35], |v84|, s34
	v_add_f32_e32 v30, v68, v30
	s_or_b64 vcc, vcc, s[34:35]
	v_cndmask_b32_e32 v30, v30, v84, vcc
	v_add_f32_e32 v30, v33, v30
	v_cvt_f16_f32_e32 v31, v30
	v_cvt_f32_f16_e32 v32, v31
	v_mov_b32_e32 v30, v31
.LBB381_75:
	s_or_b64 exec, exec, s[30:31]
	v_cvt_f32_f16_sdwa v68, v17 dst_sel:DWORD dst_unused:UNUSED_PAD src0_sel:WORD_1
	v_max_f32_e32 v33, v32, v32
	v_cmp_u_f16_e32 vcc, v31, v31
	v_cmp_u_f16_sdwa s[30:31], v17, v17 src0_sel:WORD_1 src1_sel:WORD_1
	v_min_f32_e32 v34, v33, v68
	v_max_f32_e32 v33, v33, v68
	v_cndmask_b32_e32 v34, v34, v32, vcc
	v_cndmask_b32_e32 v33, v33, v32, vcc
	v_cndmask_b32_e64 v34, v34, v68, s[30:31]
	v_cndmask_b32_e64 v33, v33, v68, s[30:31]
	s_movk_i32 s36, 0x1f8
	v_cmp_neq_f32_e32 vcc, v34, v33
	v_cmp_class_f32_e64 s[34:35], v34, s36
	s_or_b64 vcc, vcc, s[34:35]
	s_and_saveexec_b64 s[34:35], vcc
	s_cbranch_execz .LBB381_77
; %bb.76:
	v_sub_f32_e32 v30, v34, v33
	s_mov_b32 s37, 0x3fb8aa3b
	v_mul_f32_e32 v31, 0x3fb8aa3b, v30
	v_fma_f32 v32, v30, s37, -v31
	v_rndne_f32_e32 v34, v31
	v_fmac_f32_e32 v32, 0x32a5705f, v30
	v_sub_f32_e32 v31, v31, v34
	v_add_f32_e32 v31, v31, v32
	v_exp_f32_e32 v31, v31
	v_cvt_i32_f32_e32 v32, v34
	s_mov_b32 s37, 0xc2ce8ed0
	v_cmp_ngt_f32_e32 vcc, s37, v30
	s_mov_b32 s37, 0x42b17218
	v_ldexp_f32 v31, v31, v32
	v_cndmask_b32_e32 v31, 0, v31, vcc
	v_mov_b32_e32 v32, 0x7f800000
	v_cmp_nlt_f32_e32 vcc, s37, v30
	v_cndmask_b32_e32 v69, v32, v31, vcc
	v_add_f32_e32 v32, 1.0, v69
	v_add_f32_e32 v30, -1.0, v32
	v_sub_f32_e32 v31, v30, v32
	v_add_f32_e32 v31, 1.0, v31
	v_sub_f32_e32 v30, v69, v30
	v_add_f32_e32 v34, v30, v31
	v_frexp_mant_f32_e32 v35, v32
	s_mov_b32 s37, 0x3f2aaaab
	v_cvt_f64_f32_e32 v[30:31], v32
	v_frexp_exp_i32_f64_e32 v30, v[30:31]
	v_cmp_gt_f32_e32 vcc, s37, v35
	v_subbrev_co_u32_e32 v80, vcc, 0, v30, vcc
	v_sub_u32_e32 v30, 0, v80
	v_ldexp_f32 v31, v32, v30
	v_add_f32_e32 v32, -1.0, v31
	v_add_f32_e32 v35, 1.0, v31
	v_ldexp_f32 v30, v34, v30
	v_add_f32_e32 v34, 1.0, v32
	v_add_f32_e32 v36, -1.0, v35
	v_sub_f32_e32 v34, v31, v34
	v_sub_f32_e32 v31, v31, v36
	v_add_f32_e32 v34, v30, v34
	v_add_f32_e32 v30, v30, v31
	;; [unrolled: 1-line block ×3, first 2 shown]
	v_rcp_f32_e32 v83, v81
	v_sub_f32_e32 v31, v35, v81
	v_add_f32_e32 v82, v30, v31
	v_add_f32_e32 v31, v32, v34
	v_sub_f32_e32 v30, v32, v31
	v_mul_f32_e32 v84, v31, v83
	v_add_f32_e32 v32, v34, v30
	v_mul_f32_e32 v34, v81, v84
	v_fma_f32 v36, v84, v81, -v34
	v_fmac_f32_e32 v36, v84, v82
	v_add_f32_e32 v30, v34, v36
	v_sub_f32_e32 v35, v31, v30
	v_pk_add_f32 v[70:71], v[30:31], v[34:35] neg_lo:[0,1] neg_hi:[0,1]
	v_mov_b32_e32 v37, v30
	v_pk_add_f32 v[30:31], v[70:71], v[36:37] neg_lo:[0,1] neg_hi:[0,1]
	v_add_f32_e32 v31, v32, v31
	v_add_f32_e32 v30, v30, v31
	;; [unrolled: 1-line block ×3, first 2 shown]
	v_mul_f32_e32 v32, v83, v31
	v_mul_f32_e32 v34, v81, v32
	v_fma_f32 v36, v32, v81, -v34
	v_fmac_f32_e32 v36, v32, v82
	v_sub_f32_e32 v35, v35, v31
	v_add_f32_e32 v81, v30, v35
	v_add_f32_e32 v30, v34, v36
	v_sub_f32_e32 v35, v31, v30
	v_pk_add_f32 v[70:71], v[30:31], v[34:35] neg_lo:[0,1] neg_hi:[0,1]
	v_mov_b32_e32 v37, v30
	v_pk_add_f32 v[30:31], v[70:71], v[36:37] neg_lo:[0,1] neg_hi:[0,1]
	v_add_f32_e32 v31, v81, v31
	v_add_f32_e32 v30, v30, v31
	v_add_f32_e32 v30, v35, v30
	v_add_f32_e32 v35, v84, v32
	v_sub_f32_e32 v31, v35, v84
	v_mul_f32_e32 v30, v83, v30
	v_sub_f32_e32 v31, v32, v31
	v_add_f32_e32 v30, v31, v30
	v_add_f32_e32 v32, v35, v30
	v_mul_f32_e32 v36, v32, v32
	v_mov_b32_e32 v34, 0x3ecc95a3
	v_fmac_f32_e32 v34, 0x3e9b6dac, v36
	v_mov_b32_e32 v31, 0x3f2aaada
	v_fmac_f32_e32 v31, v36, v34
	v_cvt_f32_i32_e32 v34, v80
	v_sub_f32_e32 v35, v32, v35
	v_sub_f32_e32 v30, v30, v35
	v_ldexp_f32 v70, v30, 1
	v_mul_f32_e32 v35, v32, v36
	v_mov_b32_e32 v30, 0x3f317218
	s_mov_b32 s37, 0x3f317218
	v_pk_mul_f32 v[30:31], v[34:35], v[30:31]
	v_fma_f32 v36, v34, s37, -v30
	v_ldexp_f32 v37, v32, 1
	v_fmac_f32_e32 v36, 0xb102e308, v34
	v_pk_add_f32 v[34:35], v[30:31], v[36:37]
	v_sub_f32_e32 v32, v35, v37
	v_sub_f32_e32 v32, v31, v32
	v_add_f32_e32 v71, v70, v32
	v_mov_b32_e32 v70, v30
	v_pk_add_f32 v[30:31], v[34:35], v[30:31] neg_lo:[0,1] neg_hi:[0,1]
	v_pk_add_f32 v[80:81], v[34:35], v[70:71]
	v_mov_b32_e32 v31, v81
	v_mov_b32_e32 v37, v34
	v_pk_add_f32 v[82:83], v[36:37], v[30:31] neg_lo:[0,1] neg_hi:[0,1]
	v_pk_add_f32 v[30:31], v[36:37], v[30:31]
	v_mov_b32_e32 v32, v31
	v_pk_add_f32 v[36:37], v[32:33], v[34:35] neg_lo:[0,1] neg_hi:[0,1]
	v_mov_b32_e32 v37, v36
	v_pk_add_f32 v[84:85], v[80:81], v[36:37] neg_lo:[0,1] neg_hi:[0,1]
	v_mov_b32_e32 v30, v81
	v_mov_b32_e32 v80, v35
	;; [unrolled: 1-line block ×4, first 2 shown]
	v_pk_add_f32 v[30:31], v[30:31], v[80:81] neg_lo:[0,1] neg_hi:[0,1]
	v_mov_b32_e32 v36, v71
	v_mov_b32_e32 v37, v34
	v_pk_add_f32 v[30:31], v[36:37], v[30:31] neg_lo:[0,1] neg_hi:[0,1]
	v_mov_b32_e32 v84, v82
	v_pk_add_f32 v[34:35], v[84:85], v[30:31]
	v_mov_b32_e32 v36, v35
	v_pk_add_f32 v[36:37], v[34:35], v[36:37]
	v_pk_add_f32 v[70:71], v[32:33], v[36:37]
	v_mov_b32_e32 v35, v70
	v_pk_add_f32 v[80:81], v[34:35], v[82:83] neg_lo:[0,1] neg_hi:[0,1]
	v_mov_b32_e32 v31, v36
	v_sub_f32_e32 v32, v34, v80
	v_pk_add_f32 v[30:31], v[30:31], v[80:81] neg_lo:[0,1] neg_hi:[0,1]
	v_sub_f32_e32 v32, v82, v32
	s_mov_b32 s38, 0x7f800000
	v_add_f32_e32 v30, v30, v32
	s_mov_b32 s37, 0x33800000
	v_add_f32_e32 v30, v30, v31
	v_cmp_eq_f32_e32 vcc, s38, v69
	v_cmp_lt_f32_e64 s[38:39], |v69|, s37
	v_add_f32_e32 v30, v70, v30
	s_or_b64 vcc, vcc, s[38:39]
	v_cndmask_b32_e32 v30, v30, v69, vcc
	v_add_f32_e32 v30, v33, v30
	v_cvt_f16_f32_e32 v31, v30
	v_cvt_f32_f16_e32 v32, v31
	v_mov_b32_e32 v30, v31
.LBB381_77:
	s_or_b64 exec, exec, s[34:35]
	v_cvt_f32_f16_e32 v69, v18
	v_max_f32_e32 v33, v32, v32
	v_cmp_u_f16_e32 vcc, v31, v31
	v_cmp_u_f16_e64 s[34:35], v18, v18
	v_min_f32_e32 v34, v33, v69
	v_max_f32_e32 v33, v33, v69
	v_cndmask_b32_e32 v34, v34, v32, vcc
	v_cndmask_b32_e32 v33, v33, v32, vcc
	v_cndmask_b32_e64 v34, v34, v69, s[34:35]
	v_cndmask_b32_e64 v33, v33, v69, s[34:35]
	v_cmp_neq_f32_e32 vcc, v34, v33
	v_cmp_class_f32_e64 s[36:37], v34, s36
	s_or_b64 vcc, vcc, s[36:37]
	s_and_saveexec_b64 s[36:37], vcc
	s_cbranch_execz .LBB381_79
; %bb.78:
	v_sub_f32_e32 v30, v34, v33
	s_mov_b32 s38, 0x3fb8aa3b
	v_mul_f32_e32 v31, 0x3fb8aa3b, v30
	v_fma_f32 v32, v30, s38, -v31
	v_rndne_f32_e32 v34, v31
	v_fmac_f32_e32 v32, 0x32a5705f, v30
	v_sub_f32_e32 v31, v31, v34
	v_add_f32_e32 v31, v31, v32
	v_exp_f32_e32 v31, v31
	v_cvt_i32_f32_e32 v32, v34
	s_mov_b32 s38, 0xc2ce8ed0
	v_cmp_ngt_f32_e32 vcc, s38, v30
	s_mov_b32 s38, 0x42b17218
	v_ldexp_f32 v31, v31, v32
	v_cndmask_b32_e32 v31, 0, v31, vcc
	v_mov_b32_e32 v32, 0x7f800000
	v_cmp_nlt_f32_e32 vcc, s38, v30
	v_cndmask_b32_e32 v86, v32, v31, vcc
	v_add_f32_e32 v32, 1.0, v86
	v_add_f32_e32 v30, -1.0, v32
	v_sub_f32_e32 v31, v30, v32
	v_add_f32_e32 v31, 1.0, v31
	v_sub_f32_e32 v30, v86, v30
	v_add_f32_e32 v34, v30, v31
	v_frexp_mant_f32_e32 v35, v32
	s_mov_b32 s38, 0x3f2aaaab
	v_cvt_f64_f32_e32 v[30:31], v32
	v_frexp_exp_i32_f64_e32 v30, v[30:31]
	v_cmp_gt_f32_e32 vcc, s38, v35
	v_subbrev_co_u32_e32 v80, vcc, 0, v30, vcc
	v_sub_u32_e32 v30, 0, v80
	v_ldexp_f32 v31, v32, v30
	v_add_f32_e32 v32, -1.0, v31
	v_add_f32_e32 v35, 1.0, v31
	v_ldexp_f32 v30, v34, v30
	v_add_f32_e32 v34, 1.0, v32
	v_add_f32_e32 v36, -1.0, v35
	v_sub_f32_e32 v34, v31, v34
	v_sub_f32_e32 v31, v31, v36
	v_add_f32_e32 v34, v30, v34
	v_add_f32_e32 v30, v30, v31
	;; [unrolled: 1-line block ×3, first 2 shown]
	v_rcp_f32_e32 v83, v81
	v_sub_f32_e32 v31, v35, v81
	v_add_f32_e32 v82, v30, v31
	v_add_f32_e32 v31, v32, v34
	v_sub_f32_e32 v30, v32, v31
	v_mul_f32_e32 v84, v31, v83
	v_add_f32_e32 v32, v34, v30
	v_mul_f32_e32 v34, v81, v84
	v_fma_f32 v36, v84, v81, -v34
	v_fmac_f32_e32 v36, v84, v82
	v_add_f32_e32 v30, v34, v36
	v_sub_f32_e32 v35, v31, v30
	v_pk_add_f32 v[70:71], v[30:31], v[34:35] neg_lo:[0,1] neg_hi:[0,1]
	v_mov_b32_e32 v37, v30
	v_pk_add_f32 v[30:31], v[70:71], v[36:37] neg_lo:[0,1] neg_hi:[0,1]
	v_add_f32_e32 v31, v32, v31
	v_add_f32_e32 v30, v30, v31
	;; [unrolled: 1-line block ×3, first 2 shown]
	v_mul_f32_e32 v32, v83, v31
	v_mul_f32_e32 v34, v81, v32
	v_fma_f32 v36, v32, v81, -v34
	v_fmac_f32_e32 v36, v32, v82
	v_sub_f32_e32 v35, v35, v31
	v_add_f32_e32 v81, v30, v35
	v_add_f32_e32 v30, v34, v36
	v_sub_f32_e32 v35, v31, v30
	v_pk_add_f32 v[70:71], v[30:31], v[34:35] neg_lo:[0,1] neg_hi:[0,1]
	v_mov_b32_e32 v37, v30
	v_pk_add_f32 v[30:31], v[70:71], v[36:37] neg_lo:[0,1] neg_hi:[0,1]
	v_add_f32_e32 v31, v81, v31
	v_add_f32_e32 v30, v30, v31
	;; [unrolled: 1-line block ×4, first 2 shown]
	v_sub_f32_e32 v31, v35, v84
	v_mul_f32_e32 v30, v83, v30
	v_sub_f32_e32 v31, v32, v31
	v_add_f32_e32 v30, v31, v30
	v_add_f32_e32 v32, v35, v30
	v_mul_f32_e32 v36, v32, v32
	v_mov_b32_e32 v34, 0x3ecc95a3
	v_fmac_f32_e32 v34, 0x3e9b6dac, v36
	v_mov_b32_e32 v31, 0x3f2aaada
	v_fmac_f32_e32 v31, v36, v34
	v_cvt_f32_i32_e32 v34, v80
	v_sub_f32_e32 v35, v32, v35
	v_sub_f32_e32 v30, v30, v35
	v_ldexp_f32 v70, v30, 1
	v_mul_f32_e32 v35, v32, v36
	v_mov_b32_e32 v30, 0x3f317218
	s_mov_b32 s38, 0x3f317218
	v_pk_mul_f32 v[30:31], v[34:35], v[30:31]
	v_fma_f32 v36, v34, s38, -v30
	v_ldexp_f32 v37, v32, 1
	v_fmac_f32_e32 v36, 0xb102e308, v34
	v_pk_add_f32 v[34:35], v[30:31], v[36:37]
	v_sub_f32_e32 v32, v35, v37
	v_sub_f32_e32 v32, v31, v32
	v_add_f32_e32 v71, v70, v32
	v_mov_b32_e32 v70, v30
	v_pk_add_f32 v[30:31], v[34:35], v[30:31] neg_lo:[0,1] neg_hi:[0,1]
	v_pk_add_f32 v[80:81], v[34:35], v[70:71]
	v_mov_b32_e32 v31, v81
	v_mov_b32_e32 v37, v34
	v_pk_add_f32 v[82:83], v[36:37], v[30:31] neg_lo:[0,1] neg_hi:[0,1]
	v_pk_add_f32 v[30:31], v[36:37], v[30:31]
	v_mov_b32_e32 v32, v31
	v_pk_add_f32 v[36:37], v[32:33], v[34:35] neg_lo:[0,1] neg_hi:[0,1]
	v_mov_b32_e32 v37, v36
	v_pk_add_f32 v[84:85], v[80:81], v[36:37] neg_lo:[0,1] neg_hi:[0,1]
	v_mov_b32_e32 v30, v81
	v_mov_b32_e32 v80, v35
	v_mov_b32_e32 v81, v36
	v_mov_b32_e32 v83, v31
	v_pk_add_f32 v[30:31], v[30:31], v[80:81] neg_lo:[0,1] neg_hi:[0,1]
	v_mov_b32_e32 v36, v71
	v_mov_b32_e32 v37, v34
	v_pk_add_f32 v[30:31], v[36:37], v[30:31] neg_lo:[0,1] neg_hi:[0,1]
	v_mov_b32_e32 v84, v82
	v_pk_add_f32 v[34:35], v[84:85], v[30:31]
	v_mov_b32_e32 v36, v35
	v_pk_add_f32 v[36:37], v[34:35], v[36:37]
	v_pk_add_f32 v[70:71], v[32:33], v[36:37]
	v_mov_b32_e32 v35, v70
	v_pk_add_f32 v[80:81], v[34:35], v[82:83] neg_lo:[0,1] neg_hi:[0,1]
	v_mov_b32_e32 v31, v36
	v_sub_f32_e32 v32, v34, v80
	v_pk_add_f32 v[30:31], v[30:31], v[80:81] neg_lo:[0,1] neg_hi:[0,1]
	v_sub_f32_e32 v32, v82, v32
	s_mov_b32 s39, 0x7f800000
	v_add_f32_e32 v30, v30, v32
	s_mov_b32 s38, 0x33800000
	v_add_f32_e32 v30, v30, v31
	v_cmp_eq_f32_e32 vcc, s39, v86
	v_cmp_lt_f32_e64 s[38:39], |v86|, s38
	v_add_f32_e32 v30, v70, v30
	s_or_b64 vcc, vcc, s[38:39]
	v_cndmask_b32_e32 v30, v30, v86, vcc
	v_add_f32_e32 v30, v33, v30
	v_cvt_f16_f32_e32 v31, v30
	v_cvt_f32_f16_e32 v32, v31
	v_mov_b32_e32 v30, v31
.LBB381_79:
	s_or_b64 exec, exec, s[36:37]
	v_cvt_f32_f16_sdwa v70, v18 dst_sel:DWORD dst_unused:UNUSED_PAD src0_sel:WORD_1
	v_max_f32_e32 v33, v32, v32
	v_cmp_u_f16_e32 vcc, v31, v31
	v_cmp_u_f16_sdwa s[36:37], v18, v18 src0_sel:WORD_1 src1_sel:WORD_1
	v_min_f32_e32 v34, v33, v70
	v_max_f32_e32 v33, v33, v70
	v_cndmask_b32_e32 v34, v34, v32, vcc
	v_cndmask_b32_e32 v33, v33, v32, vcc
	v_cndmask_b32_e64 v34, v34, v70, s[36:37]
	v_cndmask_b32_e64 v33, v33, v70, s[36:37]
	s_movk_i32 s40, 0x1f8
	v_cmp_neq_f32_e32 vcc, v34, v33
	v_cmp_class_f32_e64 s[38:39], v34, s40
	s_or_b64 vcc, vcc, s[38:39]
	s_and_saveexec_b64 s[38:39], vcc
	s_cbranch_execz .LBB381_81
; %bb.80:
	v_sub_f32_e32 v30, v34, v33
	s_mov_b32 s41, 0x3fb8aa3b
	v_mul_f32_e32 v31, 0x3fb8aa3b, v30
	v_fma_f32 v32, v30, s41, -v31
	v_rndne_f32_e32 v34, v31
	v_fmac_f32_e32 v32, 0x32a5705f, v30
	v_sub_f32_e32 v31, v31, v34
	v_add_f32_e32 v31, v31, v32
	v_exp_f32_e32 v31, v31
	v_cvt_i32_f32_e32 v32, v34
	s_mov_b32 s41, 0xc2ce8ed0
	v_cmp_ngt_f32_e32 vcc, s41, v30
	s_mov_b32 s41, 0x42b17218
	v_ldexp_f32 v31, v31, v32
	v_cndmask_b32_e32 v31, 0, v31, vcc
	v_mov_b32_e32 v32, 0x7f800000
	v_cmp_nlt_f32_e32 vcc, s41, v30
	v_cndmask_b32_e32 v71, v32, v31, vcc
	v_add_f32_e32 v32, 1.0, v71
	v_add_f32_e32 v30, -1.0, v32
	v_sub_f32_e32 v31, v30, v32
	v_add_f32_e32 v31, 1.0, v31
	v_sub_f32_e32 v30, v71, v30
	v_add_f32_e32 v34, v30, v31
	v_frexp_mant_f32_e32 v35, v32
	s_mov_b32 s41, 0x3f2aaaab
	v_cvt_f64_f32_e32 v[30:31], v32
	v_frexp_exp_i32_f64_e32 v30, v[30:31]
	v_cmp_gt_f32_e32 vcc, s41, v35
	v_subbrev_co_u32_e32 v82, vcc, 0, v30, vcc
	v_sub_u32_e32 v30, 0, v82
	v_ldexp_f32 v31, v32, v30
	v_add_f32_e32 v32, -1.0, v31
	v_add_f32_e32 v35, 1.0, v31
	v_ldexp_f32 v30, v34, v30
	v_add_f32_e32 v34, 1.0, v32
	v_add_f32_e32 v36, -1.0, v35
	v_sub_f32_e32 v34, v31, v34
	v_sub_f32_e32 v31, v31, v36
	v_add_f32_e32 v34, v30, v34
	v_add_f32_e32 v30, v30, v31
	;; [unrolled: 1-line block ×3, first 2 shown]
	v_rcp_f32_e32 v85, v83
	v_sub_f32_e32 v31, v35, v83
	v_add_f32_e32 v84, v30, v31
	v_add_f32_e32 v31, v32, v34
	v_sub_f32_e32 v30, v32, v31
	v_mul_f32_e32 v86, v31, v85
	v_add_f32_e32 v32, v34, v30
	v_mul_f32_e32 v34, v83, v86
	v_fma_f32 v36, v86, v83, -v34
	v_fmac_f32_e32 v36, v86, v84
	v_add_f32_e32 v30, v34, v36
	v_sub_f32_e32 v35, v31, v30
	v_pk_add_f32 v[80:81], v[30:31], v[34:35] neg_lo:[0,1] neg_hi:[0,1]
	v_mov_b32_e32 v37, v30
	v_pk_add_f32 v[30:31], v[80:81], v[36:37] neg_lo:[0,1] neg_hi:[0,1]
	v_add_f32_e32 v31, v32, v31
	v_add_f32_e32 v30, v30, v31
	;; [unrolled: 1-line block ×3, first 2 shown]
	v_mul_f32_e32 v32, v85, v31
	v_mul_f32_e32 v34, v83, v32
	v_fma_f32 v36, v32, v83, -v34
	v_fmac_f32_e32 v36, v32, v84
	v_sub_f32_e32 v35, v35, v31
	v_add_f32_e32 v83, v30, v35
	v_add_f32_e32 v30, v34, v36
	v_sub_f32_e32 v35, v31, v30
	v_pk_add_f32 v[80:81], v[30:31], v[34:35] neg_lo:[0,1] neg_hi:[0,1]
	v_mov_b32_e32 v37, v30
	v_pk_add_f32 v[30:31], v[80:81], v[36:37] neg_lo:[0,1] neg_hi:[0,1]
	v_add_f32_e32 v31, v83, v31
	v_add_f32_e32 v30, v30, v31
	;; [unrolled: 1-line block ×4, first 2 shown]
	v_sub_f32_e32 v31, v35, v86
	v_mul_f32_e32 v30, v85, v30
	v_sub_f32_e32 v31, v32, v31
	v_add_f32_e32 v30, v31, v30
	v_add_f32_e32 v32, v35, v30
	v_mul_f32_e32 v36, v32, v32
	v_mov_b32_e32 v34, 0x3ecc95a3
	v_fmac_f32_e32 v34, 0x3e9b6dac, v36
	v_mov_b32_e32 v31, 0x3f2aaada
	v_fmac_f32_e32 v31, v36, v34
	v_cvt_f32_i32_e32 v34, v82
	v_sub_f32_e32 v35, v32, v35
	v_sub_f32_e32 v30, v30, v35
	v_ldexp_f32 v80, v30, 1
	v_mul_f32_e32 v35, v32, v36
	v_mov_b32_e32 v30, 0x3f317218
	s_mov_b32 s41, 0x3f317218
	v_pk_mul_f32 v[30:31], v[34:35], v[30:31]
	v_fma_f32 v36, v34, s41, -v30
	v_ldexp_f32 v37, v32, 1
	v_fmac_f32_e32 v36, 0xb102e308, v34
	v_pk_add_f32 v[34:35], v[30:31], v[36:37]
	v_sub_f32_e32 v32, v35, v37
	v_sub_f32_e32 v32, v31, v32
	v_add_f32_e32 v81, v80, v32
	v_mov_b32_e32 v80, v30
	v_pk_add_f32 v[30:31], v[34:35], v[30:31] neg_lo:[0,1] neg_hi:[0,1]
	v_pk_add_f32 v[82:83], v[34:35], v[80:81]
	v_mov_b32_e32 v31, v83
	v_mov_b32_e32 v37, v34
	v_pk_add_f32 v[84:85], v[36:37], v[30:31] neg_lo:[0,1] neg_hi:[0,1]
	v_pk_add_f32 v[30:31], v[36:37], v[30:31]
	v_mov_b32_e32 v32, v31
	v_pk_add_f32 v[36:37], v[32:33], v[34:35] neg_lo:[0,1] neg_hi:[0,1]
	v_mov_b32_e32 v37, v36
	v_pk_add_f32 v[86:87], v[82:83], v[36:37] neg_lo:[0,1] neg_hi:[0,1]
	v_mov_b32_e32 v30, v83
	v_mov_b32_e32 v82, v35
	;; [unrolled: 1-line block ×4, first 2 shown]
	v_pk_add_f32 v[30:31], v[30:31], v[82:83] neg_lo:[0,1] neg_hi:[0,1]
	v_mov_b32_e32 v36, v81
	v_mov_b32_e32 v37, v34
	v_pk_add_f32 v[30:31], v[36:37], v[30:31] neg_lo:[0,1] neg_hi:[0,1]
	v_mov_b32_e32 v86, v84
	v_pk_add_f32 v[34:35], v[86:87], v[30:31]
	v_mov_b32_e32 v36, v35
	v_pk_add_f32 v[36:37], v[34:35], v[36:37]
	v_pk_add_f32 v[80:81], v[32:33], v[36:37]
	v_mov_b32_e32 v35, v80
	v_pk_add_f32 v[82:83], v[34:35], v[84:85] neg_lo:[0,1] neg_hi:[0,1]
	v_mov_b32_e32 v31, v36
	v_sub_f32_e32 v32, v34, v82
	v_pk_add_f32 v[30:31], v[30:31], v[82:83] neg_lo:[0,1] neg_hi:[0,1]
	v_sub_f32_e32 v32, v84, v32
	s_mov_b32 s42, 0x7f800000
	v_add_f32_e32 v30, v30, v32
	s_mov_b32 s41, 0x33800000
	v_add_f32_e32 v30, v30, v31
	v_cmp_eq_f32_e32 vcc, s42, v71
	v_cmp_lt_f32_e64 s[42:43], |v71|, s41
	v_add_f32_e32 v30, v80, v30
	s_or_b64 vcc, vcc, s[42:43]
	v_cndmask_b32_e32 v30, v30, v71, vcc
	v_add_f32_e32 v30, v33, v30
	v_cvt_f16_f32_e32 v31, v30
	v_cvt_f32_f16_e32 v32, v31
	v_mov_b32_e32 v30, v31
.LBB381_81:
	s_or_b64 exec, exec, s[38:39]
	v_cvt_f32_f16_e32 v71, v19
	v_max_f32_e32 v33, v32, v32
	v_cmp_u_f16_e32 vcc, v31, v31
	v_cmp_u_f16_e64 s[38:39], v19, v19
	v_min_f32_e32 v34, v33, v71
	v_max_f32_e32 v33, v33, v71
	v_cndmask_b32_e32 v34, v34, v32, vcc
	v_cndmask_b32_e32 v33, v33, v32, vcc
	v_cndmask_b32_e64 v34, v34, v71, s[38:39]
	v_cndmask_b32_e64 v33, v33, v71, s[38:39]
	v_cmp_neq_f32_e32 vcc, v34, v33
	v_cmp_class_f32_e64 s[40:41], v34, s40
	s_or_b64 vcc, vcc, s[40:41]
	s_and_saveexec_b64 s[40:41], vcc
	s_cbranch_execz .LBB381_83
; %bb.82:
	v_sub_f32_e32 v30, v34, v33
	s_mov_b32 s42, 0x3fb8aa3b
	v_mul_f32_e32 v31, 0x3fb8aa3b, v30
	v_fma_f32 v32, v30, s42, -v31
	v_rndne_f32_e32 v34, v31
	v_fmac_f32_e32 v32, 0x32a5705f, v30
	v_sub_f32_e32 v31, v31, v34
	v_add_f32_e32 v31, v31, v32
	v_exp_f32_e32 v31, v31
	v_cvt_i32_f32_e32 v32, v34
	s_mov_b32 s42, 0xc2ce8ed0
	v_cmp_ngt_f32_e32 vcc, s42, v30
	s_mov_b32 s42, 0x42b17218
	v_ldexp_f32 v31, v31, v32
	v_cndmask_b32_e32 v31, 0, v31, vcc
	v_mov_b32_e32 v32, 0x7f800000
	v_cmp_nlt_f32_e32 vcc, s42, v30
	v_cndmask_b32_e32 v96, v32, v31, vcc
	v_add_f32_e32 v32, 1.0, v96
	v_add_f32_e32 v30, -1.0, v32
	v_sub_f32_e32 v31, v30, v32
	v_add_f32_e32 v31, 1.0, v31
	v_sub_f32_e32 v30, v96, v30
	v_add_f32_e32 v34, v30, v31
	v_frexp_mant_f32_e32 v35, v32
	s_mov_b32 s42, 0x3f2aaaab
	v_cvt_f64_f32_e32 v[30:31], v32
	v_frexp_exp_i32_f64_e32 v30, v[30:31]
	v_cmp_gt_f32_e32 vcc, s42, v35
	v_subbrev_co_u32_e32 v82, vcc, 0, v30, vcc
	v_sub_u32_e32 v30, 0, v82
	v_ldexp_f32 v31, v32, v30
	v_add_f32_e32 v32, -1.0, v31
	v_add_f32_e32 v35, 1.0, v31
	v_ldexp_f32 v30, v34, v30
	v_add_f32_e32 v34, 1.0, v32
	v_add_f32_e32 v36, -1.0, v35
	v_sub_f32_e32 v34, v31, v34
	v_sub_f32_e32 v31, v31, v36
	v_add_f32_e32 v34, v30, v34
	v_add_f32_e32 v30, v30, v31
	;; [unrolled: 1-line block ×3, first 2 shown]
	v_rcp_f32_e32 v85, v83
	v_sub_f32_e32 v31, v35, v83
	v_add_f32_e32 v84, v30, v31
	v_add_f32_e32 v31, v32, v34
	v_sub_f32_e32 v30, v32, v31
	v_mul_f32_e32 v86, v31, v85
	v_add_f32_e32 v32, v34, v30
	v_mul_f32_e32 v34, v83, v86
	v_fma_f32 v36, v86, v83, -v34
	v_fmac_f32_e32 v36, v86, v84
	v_add_f32_e32 v30, v34, v36
	v_sub_f32_e32 v35, v31, v30
	v_pk_add_f32 v[80:81], v[30:31], v[34:35] neg_lo:[0,1] neg_hi:[0,1]
	v_mov_b32_e32 v37, v30
	v_pk_add_f32 v[30:31], v[80:81], v[36:37] neg_lo:[0,1] neg_hi:[0,1]
	v_add_f32_e32 v31, v32, v31
	v_add_f32_e32 v30, v30, v31
	;; [unrolled: 1-line block ×3, first 2 shown]
	v_mul_f32_e32 v32, v85, v31
	v_mul_f32_e32 v34, v83, v32
	v_fma_f32 v36, v32, v83, -v34
	v_fmac_f32_e32 v36, v32, v84
	v_sub_f32_e32 v35, v35, v31
	v_add_f32_e32 v83, v30, v35
	v_add_f32_e32 v30, v34, v36
	v_sub_f32_e32 v35, v31, v30
	v_pk_add_f32 v[80:81], v[30:31], v[34:35] neg_lo:[0,1] neg_hi:[0,1]
	v_mov_b32_e32 v37, v30
	v_pk_add_f32 v[30:31], v[80:81], v[36:37] neg_lo:[0,1] neg_hi:[0,1]
	v_add_f32_e32 v31, v83, v31
	v_add_f32_e32 v30, v30, v31
	v_add_f32_e32 v30, v35, v30
	v_add_f32_e32 v35, v86, v32
	v_sub_f32_e32 v31, v35, v86
	v_mul_f32_e32 v30, v85, v30
	v_sub_f32_e32 v31, v32, v31
	v_add_f32_e32 v30, v31, v30
	v_add_f32_e32 v32, v35, v30
	v_mul_f32_e32 v36, v32, v32
	v_mov_b32_e32 v34, 0x3ecc95a3
	v_fmac_f32_e32 v34, 0x3e9b6dac, v36
	v_mov_b32_e32 v31, 0x3f2aaada
	v_fmac_f32_e32 v31, v36, v34
	v_cvt_f32_i32_e32 v34, v82
	v_sub_f32_e32 v35, v32, v35
	v_sub_f32_e32 v30, v30, v35
	v_ldexp_f32 v80, v30, 1
	v_mul_f32_e32 v35, v32, v36
	v_mov_b32_e32 v30, 0x3f317218
	s_mov_b32 s42, 0x3f317218
	v_pk_mul_f32 v[30:31], v[34:35], v[30:31]
	v_fma_f32 v36, v34, s42, -v30
	v_ldexp_f32 v37, v32, 1
	v_fmac_f32_e32 v36, 0xb102e308, v34
	v_pk_add_f32 v[34:35], v[30:31], v[36:37]
	v_sub_f32_e32 v32, v35, v37
	v_sub_f32_e32 v32, v31, v32
	v_add_f32_e32 v81, v80, v32
	v_mov_b32_e32 v80, v30
	v_pk_add_f32 v[30:31], v[34:35], v[30:31] neg_lo:[0,1] neg_hi:[0,1]
	v_pk_add_f32 v[82:83], v[34:35], v[80:81]
	v_mov_b32_e32 v31, v83
	v_mov_b32_e32 v37, v34
	v_pk_add_f32 v[84:85], v[36:37], v[30:31] neg_lo:[0,1] neg_hi:[0,1]
	v_pk_add_f32 v[30:31], v[36:37], v[30:31]
	v_mov_b32_e32 v32, v31
	v_pk_add_f32 v[36:37], v[32:33], v[34:35] neg_lo:[0,1] neg_hi:[0,1]
	v_mov_b32_e32 v37, v36
	v_pk_add_f32 v[86:87], v[82:83], v[36:37] neg_lo:[0,1] neg_hi:[0,1]
	v_mov_b32_e32 v30, v83
	v_mov_b32_e32 v82, v35
	;; [unrolled: 1-line block ×4, first 2 shown]
	v_pk_add_f32 v[30:31], v[30:31], v[82:83] neg_lo:[0,1] neg_hi:[0,1]
	v_mov_b32_e32 v36, v81
	v_mov_b32_e32 v37, v34
	v_pk_add_f32 v[30:31], v[36:37], v[30:31] neg_lo:[0,1] neg_hi:[0,1]
	v_mov_b32_e32 v86, v84
	v_pk_add_f32 v[34:35], v[86:87], v[30:31]
	v_mov_b32_e32 v36, v35
	v_pk_add_f32 v[36:37], v[34:35], v[36:37]
	v_pk_add_f32 v[80:81], v[32:33], v[36:37]
	v_mov_b32_e32 v35, v80
	v_pk_add_f32 v[82:83], v[34:35], v[84:85] neg_lo:[0,1] neg_hi:[0,1]
	v_mov_b32_e32 v31, v36
	v_sub_f32_e32 v32, v34, v82
	v_pk_add_f32 v[30:31], v[30:31], v[82:83] neg_lo:[0,1] neg_hi:[0,1]
	v_sub_f32_e32 v32, v84, v32
	s_mov_b32 s43, 0x7f800000
	v_add_f32_e32 v30, v30, v32
	s_mov_b32 s42, 0x33800000
	v_add_f32_e32 v30, v30, v31
	v_cmp_eq_f32_e32 vcc, s43, v96
	v_cmp_lt_f32_e64 s[42:43], |v96|, s42
	v_add_f32_e32 v30, v80, v30
	s_or_b64 vcc, vcc, s[42:43]
	v_cndmask_b32_e32 v30, v30, v96, vcc
	v_add_f32_e32 v30, v33, v30
	v_cvt_f16_f32_e32 v31, v30
	v_cvt_f32_f16_e32 v32, v31
	v_mov_b32_e32 v30, v31
.LBB381_83:
	s_or_b64 exec, exec, s[40:41]
	v_cvt_f32_f16_sdwa v80, v19 dst_sel:DWORD dst_unused:UNUSED_PAD src0_sel:WORD_1
	v_max_f32_e32 v33, v32, v32
	v_cmp_u_f16_e32 vcc, v31, v31
	v_cmp_u_f16_sdwa s[40:41], v19, v19 src0_sel:WORD_1 src1_sel:WORD_1
	v_min_f32_e32 v34, v33, v80
	v_max_f32_e32 v33, v33, v80
	v_cndmask_b32_e32 v34, v34, v32, vcc
	v_cndmask_b32_e32 v33, v33, v32, vcc
	v_cndmask_b32_e64 v34, v34, v80, s[40:41]
	v_cndmask_b32_e64 v33, v33, v80, s[40:41]
	s_movk_i32 s44, 0x1f8
	v_cmp_neq_f32_e32 vcc, v34, v33
	v_cmp_class_f32_e64 s[42:43], v34, s44
	s_or_b64 vcc, vcc, s[42:43]
	s_and_saveexec_b64 s[42:43], vcc
	s_cbranch_execz .LBB381_85
; %bb.84:
	v_sub_f32_e32 v30, v34, v33
	s_mov_b32 s45, 0x3fb8aa3b
	v_mul_f32_e32 v31, 0x3fb8aa3b, v30
	v_fma_f32 v32, v30, s45, -v31
	v_rndne_f32_e32 v34, v31
	v_fmac_f32_e32 v32, 0x32a5705f, v30
	v_sub_f32_e32 v31, v31, v34
	v_add_f32_e32 v31, v31, v32
	v_exp_f32_e32 v31, v31
	v_cvt_i32_f32_e32 v32, v34
	s_mov_b32 s45, 0xc2ce8ed0
	v_cmp_ngt_f32_e32 vcc, s45, v30
	s_mov_b32 s45, 0x42b17218
	v_ldexp_f32 v31, v31, v32
	v_cndmask_b32_e32 v31, 0, v31, vcc
	v_mov_b32_e32 v32, 0x7f800000
	v_cmp_nlt_f32_e32 vcc, s45, v30
	v_cndmask_b32_e32 v81, v32, v31, vcc
	v_add_f32_e32 v32, 1.0, v81
	v_add_f32_e32 v30, -1.0, v32
	v_sub_f32_e32 v31, v30, v32
	v_add_f32_e32 v31, 1.0, v31
	v_sub_f32_e32 v30, v81, v30
	v_add_f32_e32 v34, v30, v31
	v_frexp_mant_f32_e32 v35, v32
	s_mov_b32 s45, 0x3f2aaaab
	v_cvt_f64_f32_e32 v[30:31], v32
	v_frexp_exp_i32_f64_e32 v30, v[30:31]
	v_cmp_gt_f32_e32 vcc, s45, v35
	v_subbrev_co_u32_e32 v84, vcc, 0, v30, vcc
	v_sub_u32_e32 v30, 0, v84
	v_ldexp_f32 v31, v32, v30
	v_add_f32_e32 v32, -1.0, v31
	v_add_f32_e32 v35, 1.0, v31
	v_ldexp_f32 v30, v34, v30
	v_add_f32_e32 v34, 1.0, v32
	v_add_f32_e32 v36, -1.0, v35
	v_sub_f32_e32 v34, v31, v34
	v_sub_f32_e32 v31, v31, v36
	v_add_f32_e32 v34, v30, v34
	v_add_f32_e32 v30, v30, v31
	;; [unrolled: 1-line block ×3, first 2 shown]
	v_rcp_f32_e32 v87, v85
	v_sub_f32_e32 v31, v35, v85
	v_add_f32_e32 v86, v30, v31
	v_add_f32_e32 v31, v32, v34
	v_sub_f32_e32 v30, v32, v31
	v_mul_f32_e32 v96, v31, v87
	v_add_f32_e32 v32, v34, v30
	v_mul_f32_e32 v34, v85, v96
	v_fma_f32 v36, v96, v85, -v34
	v_fmac_f32_e32 v36, v96, v86
	v_add_f32_e32 v30, v34, v36
	v_sub_f32_e32 v35, v31, v30
	v_pk_add_f32 v[82:83], v[30:31], v[34:35] neg_lo:[0,1] neg_hi:[0,1]
	v_mov_b32_e32 v37, v30
	v_pk_add_f32 v[30:31], v[82:83], v[36:37] neg_lo:[0,1] neg_hi:[0,1]
	v_add_f32_e32 v31, v32, v31
	v_add_f32_e32 v30, v30, v31
	;; [unrolled: 1-line block ×3, first 2 shown]
	v_mul_f32_e32 v32, v87, v31
	v_mul_f32_e32 v34, v85, v32
	v_fma_f32 v36, v32, v85, -v34
	v_fmac_f32_e32 v36, v32, v86
	v_sub_f32_e32 v35, v35, v31
	v_add_f32_e32 v85, v30, v35
	v_add_f32_e32 v30, v34, v36
	v_sub_f32_e32 v35, v31, v30
	v_pk_add_f32 v[82:83], v[30:31], v[34:35] neg_lo:[0,1] neg_hi:[0,1]
	v_mov_b32_e32 v37, v30
	v_pk_add_f32 v[30:31], v[82:83], v[36:37] neg_lo:[0,1] neg_hi:[0,1]
	v_add_f32_e32 v31, v85, v31
	v_add_f32_e32 v30, v30, v31
	;; [unrolled: 1-line block ×4, first 2 shown]
	v_sub_f32_e32 v31, v35, v96
	v_mul_f32_e32 v30, v87, v30
	v_sub_f32_e32 v31, v32, v31
	v_add_f32_e32 v30, v31, v30
	v_add_f32_e32 v32, v35, v30
	v_mul_f32_e32 v36, v32, v32
	v_mov_b32_e32 v34, 0x3ecc95a3
	v_fmac_f32_e32 v34, 0x3e9b6dac, v36
	v_mov_b32_e32 v31, 0x3f2aaada
	v_fmac_f32_e32 v31, v36, v34
	v_cvt_f32_i32_e32 v34, v84
	v_sub_f32_e32 v35, v32, v35
	v_sub_f32_e32 v30, v30, v35
	v_ldexp_f32 v82, v30, 1
	v_mul_f32_e32 v35, v32, v36
	v_mov_b32_e32 v30, 0x3f317218
	s_mov_b32 s45, 0x3f317218
	v_pk_mul_f32 v[30:31], v[34:35], v[30:31]
	v_fma_f32 v36, v34, s45, -v30
	v_ldexp_f32 v37, v32, 1
	v_fmac_f32_e32 v36, 0xb102e308, v34
	v_pk_add_f32 v[34:35], v[30:31], v[36:37]
	v_sub_f32_e32 v32, v35, v37
	v_sub_f32_e32 v32, v31, v32
	v_add_f32_e32 v83, v82, v32
	v_mov_b32_e32 v82, v30
	v_pk_add_f32 v[30:31], v[34:35], v[30:31] neg_lo:[0,1] neg_hi:[0,1]
	v_pk_add_f32 v[84:85], v[34:35], v[82:83]
	v_mov_b32_e32 v31, v85
	v_mov_b32_e32 v37, v34
	v_pk_add_f32 v[86:87], v[36:37], v[30:31] neg_lo:[0,1] neg_hi:[0,1]
	v_pk_add_f32 v[30:31], v[36:37], v[30:31]
	v_mov_b32_e32 v32, v31
	v_pk_add_f32 v[36:37], v[32:33], v[34:35] neg_lo:[0,1] neg_hi:[0,1]
	v_mov_b32_e32 v37, v36
	v_pk_add_f32 v[98:99], v[84:85], v[36:37] neg_lo:[0,1] neg_hi:[0,1]
	v_mov_b32_e32 v30, v85
	v_mov_b32_e32 v84, v35
	;; [unrolled: 1-line block ×4, first 2 shown]
	v_pk_add_f32 v[30:31], v[30:31], v[84:85] neg_lo:[0,1] neg_hi:[0,1]
	v_mov_b32_e32 v36, v83
	v_mov_b32_e32 v37, v34
	v_pk_add_f32 v[30:31], v[36:37], v[30:31] neg_lo:[0,1] neg_hi:[0,1]
	v_mov_b32_e32 v98, v86
	v_pk_add_f32 v[34:35], v[98:99], v[30:31]
	v_mov_b32_e32 v36, v35
	v_pk_add_f32 v[36:37], v[34:35], v[36:37]
	v_pk_add_f32 v[82:83], v[32:33], v[36:37]
	v_mov_b32_e32 v35, v82
	v_pk_add_f32 v[84:85], v[34:35], v[86:87] neg_lo:[0,1] neg_hi:[0,1]
	v_mov_b32_e32 v31, v36
	v_sub_f32_e32 v32, v34, v84
	v_pk_add_f32 v[30:31], v[30:31], v[84:85] neg_lo:[0,1] neg_hi:[0,1]
	v_sub_f32_e32 v32, v86, v32
	s_mov_b32 s46, 0x7f800000
	v_add_f32_e32 v30, v30, v32
	s_mov_b32 s45, 0x33800000
	v_add_f32_e32 v30, v30, v31
	v_cmp_eq_f32_e32 vcc, s46, v81
	v_cmp_lt_f32_e64 s[46:47], |v81|, s45
	v_add_f32_e32 v30, v82, v30
	s_or_b64 vcc, vcc, s[46:47]
	v_cndmask_b32_e32 v30, v30, v81, vcc
	v_add_f32_e32 v30, v33, v30
	v_cvt_f16_f32_e32 v31, v30
	v_cvt_f32_f16_e32 v32, v31
	v_mov_b32_e32 v30, v31
.LBB381_85:
	s_or_b64 exec, exec, s[42:43]
	v_cvt_f32_f16_e32 v81, v12
	v_max_f32_e32 v33, v32, v32
	v_cmp_u_f16_e32 vcc, v31, v31
	v_cmp_u_f16_e64 s[42:43], v12, v12
	v_min_f32_e32 v34, v33, v81
	v_max_f32_e32 v33, v33, v81
	v_cndmask_b32_e32 v34, v34, v32, vcc
	v_cndmask_b32_e32 v33, v33, v32, vcc
	v_cndmask_b32_e64 v34, v34, v81, s[42:43]
	v_cndmask_b32_e64 v33, v33, v81, s[42:43]
	v_cmp_neq_f32_e32 vcc, v34, v33
	v_cmp_class_f32_e64 s[44:45], v34, s44
	s_or_b64 vcc, vcc, s[44:45]
	s_and_saveexec_b64 s[44:45], vcc
	s_cbranch_execz .LBB381_87
; %bb.86:
	v_sub_f32_e32 v30, v34, v33
	s_mov_b32 s46, 0x3fb8aa3b
	v_mul_f32_e32 v31, 0x3fb8aa3b, v30
	v_fma_f32 v32, v30, s46, -v31
	v_rndne_f32_e32 v34, v31
	v_fmac_f32_e32 v32, 0x32a5705f, v30
	v_sub_f32_e32 v31, v31, v34
	v_add_f32_e32 v31, v31, v32
	v_exp_f32_e32 v31, v31
	v_cvt_i32_f32_e32 v32, v34
	s_mov_b32 s46, 0xc2ce8ed0
	v_cmp_ngt_f32_e32 vcc, s46, v30
	s_mov_b32 s46, 0x42b17218
	v_ldexp_f32 v31, v31, v32
	v_cndmask_b32_e32 v31, 0, v31, vcc
	v_mov_b32_e32 v32, 0x7f800000
	v_cmp_nlt_f32_e32 vcc, s46, v30
	v_cndmask_b32_e32 v96, v32, v31, vcc
	v_add_f32_e32 v32, 1.0, v96
	v_add_f32_e32 v30, -1.0, v32
	v_sub_f32_e32 v31, v30, v32
	v_add_f32_e32 v31, 1.0, v31
	v_sub_f32_e32 v30, v96, v30
	v_add_f32_e32 v34, v30, v31
	v_frexp_mant_f32_e32 v35, v32
	s_mov_b32 s46, 0x3f2aaaab
	v_cvt_f64_f32_e32 v[30:31], v32
	v_frexp_exp_i32_f64_e32 v30, v[30:31]
	v_cmp_gt_f32_e32 vcc, s46, v35
	v_subbrev_co_u32_e32 v84, vcc, 0, v30, vcc
	v_sub_u32_e32 v30, 0, v84
	v_ldexp_f32 v31, v32, v30
	v_add_f32_e32 v32, -1.0, v31
	v_add_f32_e32 v35, 1.0, v31
	v_ldexp_f32 v30, v34, v30
	v_add_f32_e32 v34, 1.0, v32
	v_add_f32_e32 v36, -1.0, v35
	v_sub_f32_e32 v34, v31, v34
	v_sub_f32_e32 v31, v31, v36
	v_add_f32_e32 v34, v30, v34
	v_add_f32_e32 v30, v30, v31
	;; [unrolled: 1-line block ×3, first 2 shown]
	v_rcp_f32_e32 v87, v85
	v_sub_f32_e32 v31, v35, v85
	v_add_f32_e32 v86, v30, v31
	v_add_f32_e32 v31, v32, v34
	v_sub_f32_e32 v30, v32, v31
	v_mul_f32_e32 v98, v31, v87
	v_add_f32_e32 v32, v34, v30
	v_mul_f32_e32 v34, v85, v98
	v_fma_f32 v36, v98, v85, -v34
	v_fmac_f32_e32 v36, v98, v86
	v_add_f32_e32 v30, v34, v36
	v_sub_f32_e32 v35, v31, v30
	v_pk_add_f32 v[82:83], v[30:31], v[34:35] neg_lo:[0,1] neg_hi:[0,1]
	v_mov_b32_e32 v37, v30
	v_pk_add_f32 v[30:31], v[82:83], v[36:37] neg_lo:[0,1] neg_hi:[0,1]
	v_add_f32_e32 v31, v32, v31
	v_add_f32_e32 v30, v30, v31
	;; [unrolled: 1-line block ×3, first 2 shown]
	v_mul_f32_e32 v32, v87, v31
	v_mul_f32_e32 v34, v85, v32
	v_fma_f32 v36, v32, v85, -v34
	v_fmac_f32_e32 v36, v32, v86
	v_sub_f32_e32 v35, v35, v31
	v_add_f32_e32 v85, v30, v35
	v_add_f32_e32 v30, v34, v36
	v_sub_f32_e32 v35, v31, v30
	v_pk_add_f32 v[82:83], v[30:31], v[34:35] neg_lo:[0,1] neg_hi:[0,1]
	v_mov_b32_e32 v37, v30
	v_pk_add_f32 v[30:31], v[82:83], v[36:37] neg_lo:[0,1] neg_hi:[0,1]
	v_add_f32_e32 v31, v85, v31
	v_add_f32_e32 v30, v30, v31
	;; [unrolled: 1-line block ×4, first 2 shown]
	v_sub_f32_e32 v31, v35, v98
	v_mul_f32_e32 v30, v87, v30
	v_sub_f32_e32 v31, v32, v31
	v_add_f32_e32 v30, v31, v30
	v_add_f32_e32 v32, v35, v30
	v_mul_f32_e32 v36, v32, v32
	v_mov_b32_e32 v34, 0x3ecc95a3
	v_fmac_f32_e32 v34, 0x3e9b6dac, v36
	v_mov_b32_e32 v31, 0x3f2aaada
	v_fmac_f32_e32 v31, v36, v34
	v_cvt_f32_i32_e32 v34, v84
	v_sub_f32_e32 v35, v32, v35
	v_sub_f32_e32 v30, v30, v35
	v_ldexp_f32 v82, v30, 1
	v_mul_f32_e32 v35, v32, v36
	v_mov_b32_e32 v30, 0x3f317218
	s_mov_b32 s46, 0x3f317218
	v_pk_mul_f32 v[30:31], v[34:35], v[30:31]
	v_fma_f32 v36, v34, s46, -v30
	v_ldexp_f32 v37, v32, 1
	v_fmac_f32_e32 v36, 0xb102e308, v34
	v_pk_add_f32 v[34:35], v[30:31], v[36:37]
	v_sub_f32_e32 v32, v35, v37
	v_sub_f32_e32 v32, v31, v32
	v_add_f32_e32 v83, v82, v32
	v_mov_b32_e32 v82, v30
	v_pk_add_f32 v[30:31], v[34:35], v[30:31] neg_lo:[0,1] neg_hi:[0,1]
	v_pk_add_f32 v[84:85], v[34:35], v[82:83]
	v_mov_b32_e32 v31, v85
	v_mov_b32_e32 v37, v34
	v_pk_add_f32 v[86:87], v[36:37], v[30:31] neg_lo:[0,1] neg_hi:[0,1]
	v_pk_add_f32 v[30:31], v[36:37], v[30:31]
	v_mov_b32_e32 v32, v31
	v_pk_add_f32 v[36:37], v[32:33], v[34:35] neg_lo:[0,1] neg_hi:[0,1]
	v_mov_b32_e32 v37, v36
	v_pk_add_f32 v[98:99], v[84:85], v[36:37] neg_lo:[0,1] neg_hi:[0,1]
	v_mov_b32_e32 v30, v85
	v_mov_b32_e32 v84, v35
	v_mov_b32_e32 v85, v36
	v_mov_b32_e32 v87, v31
	v_pk_add_f32 v[30:31], v[30:31], v[84:85] neg_lo:[0,1] neg_hi:[0,1]
	v_mov_b32_e32 v36, v83
	v_mov_b32_e32 v37, v34
	v_pk_add_f32 v[30:31], v[36:37], v[30:31] neg_lo:[0,1] neg_hi:[0,1]
	v_mov_b32_e32 v98, v86
	v_pk_add_f32 v[34:35], v[98:99], v[30:31]
	v_mov_b32_e32 v36, v35
	v_pk_add_f32 v[36:37], v[34:35], v[36:37]
	v_pk_add_f32 v[82:83], v[32:33], v[36:37]
	v_mov_b32_e32 v35, v82
	v_pk_add_f32 v[84:85], v[34:35], v[86:87] neg_lo:[0,1] neg_hi:[0,1]
	v_mov_b32_e32 v31, v36
	v_sub_f32_e32 v32, v34, v84
	v_pk_add_f32 v[30:31], v[30:31], v[84:85] neg_lo:[0,1] neg_hi:[0,1]
	v_sub_f32_e32 v32, v86, v32
	s_mov_b32 s47, 0x7f800000
	v_add_f32_e32 v30, v30, v32
	s_mov_b32 s46, 0x33800000
	v_add_f32_e32 v30, v30, v31
	v_cmp_eq_f32_e32 vcc, s47, v96
	v_cmp_lt_f32_e64 s[46:47], |v96|, s46
	v_add_f32_e32 v30, v82, v30
	s_or_b64 vcc, vcc, s[46:47]
	v_cndmask_b32_e32 v30, v30, v96, vcc
	v_add_f32_e32 v30, v33, v30
	v_cvt_f16_f32_e32 v31, v30
	v_cvt_f32_f16_e32 v32, v31
	v_mov_b32_e32 v30, v31
.LBB381_87:
	s_or_b64 exec, exec, s[44:45]
	v_cvt_f32_f16_sdwa v82, v12 dst_sel:DWORD dst_unused:UNUSED_PAD src0_sel:WORD_1
	v_max_f32_e32 v33, v32, v32
	v_cmp_u_f16_e32 vcc, v31, v31
	v_cmp_u_f16_sdwa s[44:45], v12, v12 src0_sel:WORD_1 src1_sel:WORD_1
	v_min_f32_e32 v34, v33, v82
	v_max_f32_e32 v33, v33, v82
	v_cndmask_b32_e32 v34, v34, v32, vcc
	v_cndmask_b32_e32 v33, v33, v32, vcc
	v_cndmask_b32_e64 v34, v34, v82, s[44:45]
	v_cndmask_b32_e64 v33, v33, v82, s[44:45]
	s_movk_i32 s48, 0x1f8
	v_cmp_neq_f32_e32 vcc, v34, v33
	v_cmp_class_f32_e64 s[46:47], v34, s48
	s_or_b64 vcc, vcc, s[46:47]
	s_and_saveexec_b64 s[46:47], vcc
	s_cbranch_execz .LBB381_89
; %bb.88:
	v_sub_f32_e32 v30, v34, v33
	s_mov_b32 s49, 0x3fb8aa3b
	v_mul_f32_e32 v31, 0x3fb8aa3b, v30
	v_fma_f32 v32, v30, s49, -v31
	v_rndne_f32_e32 v34, v31
	v_fmac_f32_e32 v32, 0x32a5705f, v30
	v_sub_f32_e32 v31, v31, v34
	v_add_f32_e32 v31, v31, v32
	v_exp_f32_e32 v31, v31
	v_cvt_i32_f32_e32 v32, v34
	s_mov_b32 s49, 0xc2ce8ed0
	v_cmp_ngt_f32_e32 vcc, s49, v30
	s_mov_b32 s49, 0x42b17218
	v_ldexp_f32 v31, v31, v32
	v_cndmask_b32_e32 v31, 0, v31, vcc
	v_mov_b32_e32 v32, 0x7f800000
	v_cmp_nlt_f32_e32 vcc, s49, v30
	v_cndmask_b32_e32 v83, v32, v31, vcc
	v_add_f32_e32 v32, 1.0, v83
	v_add_f32_e32 v30, -1.0, v32
	v_sub_f32_e32 v31, v30, v32
	v_add_f32_e32 v31, 1.0, v31
	v_sub_f32_e32 v30, v83, v30
	v_add_f32_e32 v34, v30, v31
	v_frexp_mant_f32_e32 v35, v32
	s_mov_b32 s49, 0x3f2aaaab
	v_cvt_f64_f32_e32 v[30:31], v32
	v_frexp_exp_i32_f64_e32 v30, v[30:31]
	v_cmp_gt_f32_e32 vcc, s49, v35
	v_subbrev_co_u32_e32 v86, vcc, 0, v30, vcc
	v_sub_u32_e32 v30, 0, v86
	v_ldexp_f32 v31, v32, v30
	v_add_f32_e32 v32, -1.0, v31
	v_add_f32_e32 v35, 1.0, v31
	v_ldexp_f32 v30, v34, v30
	v_add_f32_e32 v34, 1.0, v32
	v_add_f32_e32 v36, -1.0, v35
	v_sub_f32_e32 v34, v31, v34
	v_sub_f32_e32 v31, v31, v36
	v_add_f32_e32 v34, v30, v34
	v_add_f32_e32 v30, v30, v31
	;; [unrolled: 1-line block ×3, first 2 shown]
	v_rcp_f32_e32 v98, v87
	v_sub_f32_e32 v31, v35, v87
	v_add_f32_e32 v96, v30, v31
	v_add_f32_e32 v31, v32, v34
	v_sub_f32_e32 v30, v32, v31
	v_mul_f32_e32 v99, v31, v98
	v_add_f32_e32 v32, v34, v30
	v_mul_f32_e32 v34, v87, v99
	v_fma_f32 v36, v99, v87, -v34
	v_fmac_f32_e32 v36, v99, v96
	v_add_f32_e32 v30, v34, v36
	v_sub_f32_e32 v35, v31, v30
	v_pk_add_f32 v[84:85], v[30:31], v[34:35] neg_lo:[0,1] neg_hi:[0,1]
	v_mov_b32_e32 v37, v30
	v_pk_add_f32 v[30:31], v[84:85], v[36:37] neg_lo:[0,1] neg_hi:[0,1]
	v_add_f32_e32 v31, v32, v31
	v_add_f32_e32 v30, v30, v31
	;; [unrolled: 1-line block ×3, first 2 shown]
	v_mul_f32_e32 v32, v98, v31
	v_mul_f32_e32 v34, v87, v32
	v_fma_f32 v36, v32, v87, -v34
	v_fmac_f32_e32 v36, v32, v96
	v_sub_f32_e32 v35, v35, v31
	v_add_f32_e32 v87, v30, v35
	v_add_f32_e32 v30, v34, v36
	v_sub_f32_e32 v35, v31, v30
	v_pk_add_f32 v[84:85], v[30:31], v[34:35] neg_lo:[0,1] neg_hi:[0,1]
	v_mov_b32_e32 v37, v30
	v_pk_add_f32 v[30:31], v[84:85], v[36:37] neg_lo:[0,1] neg_hi:[0,1]
	v_add_f32_e32 v31, v87, v31
	v_add_f32_e32 v30, v30, v31
	;; [unrolled: 1-line block ×4, first 2 shown]
	v_sub_f32_e32 v31, v35, v99
	v_mul_f32_e32 v30, v98, v30
	v_sub_f32_e32 v31, v32, v31
	v_add_f32_e32 v30, v31, v30
	v_add_f32_e32 v32, v35, v30
	v_mul_f32_e32 v36, v32, v32
	v_mov_b32_e32 v34, 0x3ecc95a3
	v_fmac_f32_e32 v34, 0x3e9b6dac, v36
	v_mov_b32_e32 v31, 0x3f2aaada
	v_fmac_f32_e32 v31, v36, v34
	v_cvt_f32_i32_e32 v34, v86
	v_sub_f32_e32 v35, v32, v35
	v_sub_f32_e32 v30, v30, v35
	v_ldexp_f32 v84, v30, 1
	v_mul_f32_e32 v35, v32, v36
	v_mov_b32_e32 v30, 0x3f317218
	s_mov_b32 s49, 0x3f317218
	v_pk_mul_f32 v[30:31], v[34:35], v[30:31]
	v_fma_f32 v36, v34, s49, -v30
	v_ldexp_f32 v37, v32, 1
	v_fmac_f32_e32 v36, 0xb102e308, v34
	v_pk_add_f32 v[34:35], v[30:31], v[36:37]
	v_sub_f32_e32 v32, v35, v37
	v_sub_f32_e32 v32, v31, v32
	v_add_f32_e32 v85, v84, v32
	v_mov_b32_e32 v84, v30
	v_pk_add_f32 v[30:31], v[34:35], v[30:31] neg_lo:[0,1] neg_hi:[0,1]
	v_pk_add_f32 v[86:87], v[34:35], v[84:85]
	v_mov_b32_e32 v31, v87
	v_mov_b32_e32 v37, v34
	v_pk_add_f32 v[98:99], v[36:37], v[30:31] neg_lo:[0,1] neg_hi:[0,1]
	v_pk_add_f32 v[30:31], v[36:37], v[30:31]
	v_mov_b32_e32 v32, v31
	v_pk_add_f32 v[36:37], v[32:33], v[34:35] neg_lo:[0,1] neg_hi:[0,1]
	v_mov_b32_e32 v37, v36
	v_pk_add_f32 v[100:101], v[86:87], v[36:37] neg_lo:[0,1] neg_hi:[0,1]
	v_mov_b32_e32 v30, v87
	v_mov_b32_e32 v86, v35
	;; [unrolled: 1-line block ×4, first 2 shown]
	v_pk_add_f32 v[30:31], v[30:31], v[86:87] neg_lo:[0,1] neg_hi:[0,1]
	v_mov_b32_e32 v36, v85
	v_mov_b32_e32 v37, v34
	v_pk_add_f32 v[30:31], v[36:37], v[30:31] neg_lo:[0,1] neg_hi:[0,1]
	v_mov_b32_e32 v100, v98
	v_pk_add_f32 v[34:35], v[100:101], v[30:31]
	v_mov_b32_e32 v36, v35
	v_pk_add_f32 v[36:37], v[34:35], v[36:37]
	v_pk_add_f32 v[84:85], v[32:33], v[36:37]
	v_mov_b32_e32 v35, v84
	v_pk_add_f32 v[86:87], v[34:35], v[98:99] neg_lo:[0,1] neg_hi:[0,1]
	v_mov_b32_e32 v31, v36
	v_sub_f32_e32 v32, v34, v86
	v_pk_add_f32 v[30:31], v[30:31], v[86:87] neg_lo:[0,1] neg_hi:[0,1]
	v_sub_f32_e32 v32, v98, v32
	s_mov_b32 s50, 0x7f800000
	v_add_f32_e32 v30, v30, v32
	s_mov_b32 s49, 0x33800000
	v_add_f32_e32 v30, v30, v31
	v_cmp_eq_f32_e32 vcc, s50, v83
	v_cmp_lt_f32_e64 s[50:51], |v83|, s49
	v_add_f32_e32 v30, v84, v30
	s_or_b64 vcc, vcc, s[50:51]
	v_cndmask_b32_e32 v30, v30, v83, vcc
	v_add_f32_e32 v30, v33, v30
	v_cvt_f16_f32_e32 v31, v30
	v_cvt_f32_f16_e32 v32, v31
	v_mov_b32_e32 v30, v31
.LBB381_89:
	s_or_b64 exec, exec, s[46:47]
	v_cvt_f32_f16_e32 v83, v13
	v_max_f32_e32 v33, v32, v32
	v_cmp_u_f16_e32 vcc, v31, v31
	v_cmp_u_f16_e64 s[46:47], v13, v13
	v_min_f32_e32 v34, v33, v83
	v_max_f32_e32 v33, v33, v83
	v_cndmask_b32_e32 v34, v34, v32, vcc
	v_cndmask_b32_e32 v33, v33, v32, vcc
	v_cndmask_b32_e64 v34, v34, v83, s[46:47]
	v_cndmask_b32_e64 v33, v33, v83, s[46:47]
	v_cmp_neq_f32_e32 vcc, v34, v33
	v_cmp_class_f32_e64 s[48:49], v34, s48
	s_or_b64 vcc, vcc, s[48:49]
	s_and_saveexec_b64 s[48:49], vcc
	s_cbranch_execz .LBB381_91
; %bb.90:
	v_sub_f32_e32 v30, v34, v33
	s_mov_b32 s50, 0x3fb8aa3b
	v_mul_f32_e32 v31, 0x3fb8aa3b, v30
	v_fma_f32 v32, v30, s50, -v31
	v_rndne_f32_e32 v34, v31
	v_fmac_f32_e32 v32, 0x32a5705f, v30
	v_sub_f32_e32 v31, v31, v34
	v_add_f32_e32 v31, v31, v32
	v_exp_f32_e32 v31, v31
	v_cvt_i32_f32_e32 v32, v34
	s_mov_b32 s50, 0xc2ce8ed0
	v_cmp_ngt_f32_e32 vcc, s50, v30
	s_mov_b32 s50, 0x42b17218
	v_ldexp_f32 v31, v31, v32
	v_cndmask_b32_e32 v31, 0, v31, vcc
	v_mov_b32_e32 v32, 0x7f800000
	v_cmp_nlt_f32_e32 vcc, s50, v30
	v_cndmask_b32_e32 v96, v32, v31, vcc
	v_add_f32_e32 v32, 1.0, v96
	v_add_f32_e32 v30, -1.0, v32
	v_sub_f32_e32 v31, v30, v32
	v_add_f32_e32 v31, 1.0, v31
	v_sub_f32_e32 v30, v96, v30
	v_add_f32_e32 v34, v30, v31
	v_frexp_mant_f32_e32 v35, v32
	s_mov_b32 s50, 0x3f2aaaab
	v_cvt_f64_f32_e32 v[30:31], v32
	v_frexp_exp_i32_f64_e32 v30, v[30:31]
	v_cmp_gt_f32_e32 vcc, s50, v35
	v_subbrev_co_u32_e32 v86, vcc, 0, v30, vcc
	v_sub_u32_e32 v30, 0, v86
	v_ldexp_f32 v31, v32, v30
	v_add_f32_e32 v32, -1.0, v31
	v_add_f32_e32 v35, 1.0, v31
	v_ldexp_f32 v30, v34, v30
	v_add_f32_e32 v34, 1.0, v32
	v_add_f32_e32 v36, -1.0, v35
	v_sub_f32_e32 v34, v31, v34
	v_sub_f32_e32 v31, v31, v36
	v_add_f32_e32 v34, v30, v34
	v_add_f32_e32 v30, v30, v31
	;; [unrolled: 1-line block ×3, first 2 shown]
	v_rcp_f32_e32 v99, v87
	v_sub_f32_e32 v31, v35, v87
	v_add_f32_e32 v98, v30, v31
	v_add_f32_e32 v31, v32, v34
	v_sub_f32_e32 v30, v32, v31
	v_mul_f32_e32 v100, v31, v99
	v_add_f32_e32 v32, v34, v30
	v_mul_f32_e32 v34, v87, v100
	v_fma_f32 v36, v100, v87, -v34
	v_fmac_f32_e32 v36, v100, v98
	v_add_f32_e32 v30, v34, v36
	v_sub_f32_e32 v35, v31, v30
	v_pk_add_f32 v[84:85], v[30:31], v[34:35] neg_lo:[0,1] neg_hi:[0,1]
	v_mov_b32_e32 v37, v30
	v_pk_add_f32 v[30:31], v[84:85], v[36:37] neg_lo:[0,1] neg_hi:[0,1]
	v_add_f32_e32 v31, v32, v31
	v_add_f32_e32 v30, v30, v31
	;; [unrolled: 1-line block ×3, first 2 shown]
	v_mul_f32_e32 v32, v99, v31
	v_mul_f32_e32 v34, v87, v32
	v_fma_f32 v36, v32, v87, -v34
	v_fmac_f32_e32 v36, v32, v98
	v_sub_f32_e32 v35, v35, v31
	v_add_f32_e32 v87, v30, v35
	v_add_f32_e32 v30, v34, v36
	v_sub_f32_e32 v35, v31, v30
	v_pk_add_f32 v[84:85], v[30:31], v[34:35] neg_lo:[0,1] neg_hi:[0,1]
	v_mov_b32_e32 v37, v30
	v_pk_add_f32 v[30:31], v[84:85], v[36:37] neg_lo:[0,1] neg_hi:[0,1]
	v_add_f32_e32 v31, v87, v31
	v_add_f32_e32 v30, v30, v31
	;; [unrolled: 1-line block ×4, first 2 shown]
	v_sub_f32_e32 v31, v35, v100
	v_mul_f32_e32 v30, v99, v30
	v_sub_f32_e32 v31, v32, v31
	v_add_f32_e32 v30, v31, v30
	v_add_f32_e32 v32, v35, v30
	v_mul_f32_e32 v36, v32, v32
	v_mov_b32_e32 v34, 0x3ecc95a3
	v_fmac_f32_e32 v34, 0x3e9b6dac, v36
	v_mov_b32_e32 v31, 0x3f2aaada
	v_fmac_f32_e32 v31, v36, v34
	v_cvt_f32_i32_e32 v34, v86
	v_sub_f32_e32 v35, v32, v35
	v_sub_f32_e32 v30, v30, v35
	v_ldexp_f32 v84, v30, 1
	v_mul_f32_e32 v35, v32, v36
	v_mov_b32_e32 v30, 0x3f317218
	s_mov_b32 s50, 0x3f317218
	v_pk_mul_f32 v[30:31], v[34:35], v[30:31]
	v_fma_f32 v36, v34, s50, -v30
	v_ldexp_f32 v37, v32, 1
	v_fmac_f32_e32 v36, 0xb102e308, v34
	v_pk_add_f32 v[34:35], v[30:31], v[36:37]
	v_sub_f32_e32 v32, v35, v37
	v_sub_f32_e32 v32, v31, v32
	v_add_f32_e32 v85, v84, v32
	v_mov_b32_e32 v84, v30
	v_pk_add_f32 v[30:31], v[34:35], v[30:31] neg_lo:[0,1] neg_hi:[0,1]
	v_pk_add_f32 v[86:87], v[34:35], v[84:85]
	v_mov_b32_e32 v31, v87
	v_mov_b32_e32 v37, v34
	v_pk_add_f32 v[98:99], v[36:37], v[30:31] neg_lo:[0,1] neg_hi:[0,1]
	v_pk_add_f32 v[30:31], v[36:37], v[30:31]
	v_mov_b32_e32 v32, v31
	v_pk_add_f32 v[36:37], v[32:33], v[34:35] neg_lo:[0,1] neg_hi:[0,1]
	v_mov_b32_e32 v37, v36
	v_pk_add_f32 v[100:101], v[86:87], v[36:37] neg_lo:[0,1] neg_hi:[0,1]
	v_mov_b32_e32 v30, v87
	v_mov_b32_e32 v86, v35
	;; [unrolled: 1-line block ×4, first 2 shown]
	v_pk_add_f32 v[30:31], v[30:31], v[86:87] neg_lo:[0,1] neg_hi:[0,1]
	v_mov_b32_e32 v36, v85
	v_mov_b32_e32 v37, v34
	v_pk_add_f32 v[30:31], v[36:37], v[30:31] neg_lo:[0,1] neg_hi:[0,1]
	v_mov_b32_e32 v100, v98
	v_pk_add_f32 v[34:35], v[100:101], v[30:31]
	v_mov_b32_e32 v36, v35
	v_pk_add_f32 v[36:37], v[34:35], v[36:37]
	v_pk_add_f32 v[84:85], v[32:33], v[36:37]
	v_mov_b32_e32 v35, v84
	v_pk_add_f32 v[86:87], v[34:35], v[98:99] neg_lo:[0,1] neg_hi:[0,1]
	v_mov_b32_e32 v31, v36
	v_sub_f32_e32 v32, v34, v86
	v_pk_add_f32 v[30:31], v[30:31], v[86:87] neg_lo:[0,1] neg_hi:[0,1]
	v_sub_f32_e32 v32, v98, v32
	s_mov_b32 s51, 0x7f800000
	v_add_f32_e32 v30, v30, v32
	s_mov_b32 s50, 0x33800000
	v_add_f32_e32 v30, v30, v31
	v_cmp_eq_f32_e32 vcc, s51, v96
	v_cmp_lt_f32_e64 s[50:51], |v96|, s50
	v_add_f32_e32 v30, v84, v30
	s_or_b64 vcc, vcc, s[50:51]
	v_cndmask_b32_e32 v30, v30, v96, vcc
	v_add_f32_e32 v30, v33, v30
	v_cvt_f16_f32_e32 v31, v30
	v_cvt_f32_f16_e32 v32, v31
	v_mov_b32_e32 v30, v31
.LBB381_91:
	s_or_b64 exec, exec, s[48:49]
	v_cvt_f32_f16_sdwa v84, v13 dst_sel:DWORD dst_unused:UNUSED_PAD src0_sel:WORD_1
	v_max_f32_e32 v33, v32, v32
	v_cmp_u_f16_e32 vcc, v31, v31
	v_cmp_u_f16_sdwa s[48:49], v13, v13 src0_sel:WORD_1 src1_sel:WORD_1
	v_min_f32_e32 v34, v33, v84
	v_max_f32_e32 v33, v33, v84
	v_cndmask_b32_e32 v34, v34, v32, vcc
	v_cndmask_b32_e32 v33, v33, v32, vcc
	v_cndmask_b32_e64 v34, v34, v84, s[48:49]
	v_cndmask_b32_e64 v33, v33, v84, s[48:49]
	s_movk_i32 s52, 0x1f8
	v_cmp_neq_f32_e32 vcc, v34, v33
	v_cmp_class_f32_e64 s[50:51], v34, s52
	s_or_b64 vcc, vcc, s[50:51]
	s_and_saveexec_b64 s[50:51], vcc
	s_cbranch_execz .LBB381_93
; %bb.92:
	v_sub_f32_e32 v30, v34, v33
	s_mov_b32 s53, 0x3fb8aa3b
	v_mul_f32_e32 v31, 0x3fb8aa3b, v30
	v_fma_f32 v32, v30, s53, -v31
	v_rndne_f32_e32 v34, v31
	v_fmac_f32_e32 v32, 0x32a5705f, v30
	v_sub_f32_e32 v31, v31, v34
	v_add_f32_e32 v31, v31, v32
	v_exp_f32_e32 v31, v31
	v_cvt_i32_f32_e32 v32, v34
	s_mov_b32 s53, 0xc2ce8ed0
	v_cmp_ngt_f32_e32 vcc, s53, v30
	s_mov_b32 s53, 0x42b17218
	v_ldexp_f32 v31, v31, v32
	v_cndmask_b32_e32 v31, 0, v31, vcc
	v_mov_b32_e32 v32, 0x7f800000
	v_cmp_nlt_f32_e32 vcc, s53, v30
	v_cndmask_b32_e32 v85, v32, v31, vcc
	v_add_f32_e32 v32, 1.0, v85
	v_add_f32_e32 v30, -1.0, v32
	v_sub_f32_e32 v31, v30, v32
	v_add_f32_e32 v31, 1.0, v31
	v_sub_f32_e32 v30, v85, v30
	v_add_f32_e32 v34, v30, v31
	v_frexp_mant_f32_e32 v35, v32
	s_mov_b32 s53, 0x3f2aaaab
	v_cvt_f64_f32_e32 v[30:31], v32
	v_frexp_exp_i32_f64_e32 v30, v[30:31]
	v_cmp_gt_f32_e32 vcc, s53, v35
	v_subbrev_co_u32_e32 v96, vcc, 0, v30, vcc
	v_sub_u32_e32 v30, 0, v96
	v_ldexp_f32 v31, v32, v30
	v_add_f32_e32 v32, -1.0, v31
	v_add_f32_e32 v35, 1.0, v31
	v_ldexp_f32 v30, v34, v30
	v_add_f32_e32 v34, 1.0, v32
	v_add_f32_e32 v36, -1.0, v35
	v_sub_f32_e32 v34, v31, v34
	v_sub_f32_e32 v31, v31, v36
	v_add_f32_e32 v34, v30, v34
	v_add_f32_e32 v30, v30, v31
	;; [unrolled: 1-line block ×3, first 2 shown]
	v_rcp_f32_e32 v100, v98
	v_sub_f32_e32 v31, v35, v98
	v_add_f32_e32 v99, v30, v31
	v_add_f32_e32 v31, v32, v34
	v_sub_f32_e32 v30, v32, v31
	v_mul_f32_e32 v101, v31, v100
	v_add_f32_e32 v32, v34, v30
	v_mul_f32_e32 v34, v98, v101
	v_fma_f32 v36, v101, v98, -v34
	v_fmac_f32_e32 v36, v101, v99
	v_add_f32_e32 v30, v34, v36
	v_sub_f32_e32 v35, v31, v30
	v_pk_add_f32 v[86:87], v[30:31], v[34:35] neg_lo:[0,1] neg_hi:[0,1]
	v_mov_b32_e32 v37, v30
	v_pk_add_f32 v[30:31], v[86:87], v[36:37] neg_lo:[0,1] neg_hi:[0,1]
	v_add_f32_e32 v31, v32, v31
	v_add_f32_e32 v30, v30, v31
	v_add_f32_e32 v31, v35, v30
	v_mul_f32_e32 v32, v100, v31
	v_mul_f32_e32 v34, v98, v32
	v_fma_f32 v36, v32, v98, -v34
	v_fmac_f32_e32 v36, v32, v99
	v_sub_f32_e32 v35, v35, v31
	v_add_f32_e32 v98, v30, v35
	v_add_f32_e32 v30, v34, v36
	v_sub_f32_e32 v35, v31, v30
	v_pk_add_f32 v[86:87], v[30:31], v[34:35] neg_lo:[0,1] neg_hi:[0,1]
	v_mov_b32_e32 v37, v30
	v_pk_add_f32 v[30:31], v[86:87], v[36:37] neg_lo:[0,1] neg_hi:[0,1]
	v_add_f32_e32 v31, v98, v31
	v_add_f32_e32 v30, v30, v31
	;; [unrolled: 1-line block ×4, first 2 shown]
	v_sub_f32_e32 v31, v35, v101
	v_mul_f32_e32 v30, v100, v30
	v_sub_f32_e32 v31, v32, v31
	v_add_f32_e32 v30, v31, v30
	v_add_f32_e32 v32, v35, v30
	v_mul_f32_e32 v36, v32, v32
	v_mov_b32_e32 v34, 0x3ecc95a3
	v_fmac_f32_e32 v34, 0x3e9b6dac, v36
	v_mov_b32_e32 v31, 0x3f2aaada
	v_fmac_f32_e32 v31, v36, v34
	v_cvt_f32_i32_e32 v34, v96
	v_sub_f32_e32 v35, v32, v35
	v_sub_f32_e32 v30, v30, v35
	v_ldexp_f32 v86, v30, 1
	v_mul_f32_e32 v35, v32, v36
	v_mov_b32_e32 v30, 0x3f317218
	s_mov_b32 s53, 0x3f317218
	v_pk_mul_f32 v[30:31], v[34:35], v[30:31]
	v_fma_f32 v36, v34, s53, -v30
	v_ldexp_f32 v37, v32, 1
	v_fmac_f32_e32 v36, 0xb102e308, v34
	v_pk_add_f32 v[34:35], v[30:31], v[36:37]
	v_sub_f32_e32 v32, v35, v37
	v_sub_f32_e32 v32, v31, v32
	v_add_f32_e32 v87, v86, v32
	v_mov_b32_e32 v86, v30
	v_pk_add_f32 v[30:31], v[34:35], v[30:31] neg_lo:[0,1] neg_hi:[0,1]
	v_pk_add_f32 v[98:99], v[34:35], v[86:87]
	v_mov_b32_e32 v31, v99
	v_mov_b32_e32 v37, v34
	v_pk_add_f32 v[100:101], v[36:37], v[30:31] neg_lo:[0,1] neg_hi:[0,1]
	v_pk_add_f32 v[30:31], v[36:37], v[30:31]
	v_mov_b32_e32 v32, v31
	v_pk_add_f32 v[36:37], v[32:33], v[34:35] neg_lo:[0,1] neg_hi:[0,1]
	v_mov_b32_e32 v37, v36
	v_pk_add_f32 v[102:103], v[98:99], v[36:37] neg_lo:[0,1] neg_hi:[0,1]
	v_mov_b32_e32 v30, v99
	v_mov_b32_e32 v98, v35
	;; [unrolled: 1-line block ×4, first 2 shown]
	v_pk_add_f32 v[30:31], v[30:31], v[98:99] neg_lo:[0,1] neg_hi:[0,1]
	v_mov_b32_e32 v36, v87
	v_mov_b32_e32 v37, v34
	v_pk_add_f32 v[30:31], v[36:37], v[30:31] neg_lo:[0,1] neg_hi:[0,1]
	v_mov_b32_e32 v102, v100
	v_pk_add_f32 v[34:35], v[102:103], v[30:31]
	v_mov_b32_e32 v36, v35
	v_pk_add_f32 v[36:37], v[34:35], v[36:37]
	v_pk_add_f32 v[86:87], v[32:33], v[36:37]
	v_mov_b32_e32 v35, v86
	v_pk_add_f32 v[98:99], v[34:35], v[100:101] neg_lo:[0,1] neg_hi:[0,1]
	v_mov_b32_e32 v31, v36
	v_sub_f32_e32 v32, v34, v98
	v_pk_add_f32 v[30:31], v[30:31], v[98:99] neg_lo:[0,1] neg_hi:[0,1]
	v_sub_f32_e32 v32, v100, v32
	s_mov_b32 s54, 0x7f800000
	v_add_f32_e32 v30, v30, v32
	s_mov_b32 s53, 0x33800000
	v_add_f32_e32 v30, v30, v31
	v_cmp_eq_f32_e32 vcc, s54, v85
	v_cmp_lt_f32_e64 s[54:55], |v85|, s53
	v_add_f32_e32 v30, v86, v30
	s_or_b64 vcc, vcc, s[54:55]
	v_cndmask_b32_e32 v30, v30, v85, vcc
	v_add_f32_e32 v30, v33, v30
	v_cvt_f16_f32_e32 v31, v30
	v_cvt_f32_f16_e32 v32, v31
	v_mov_b32_e32 v30, v31
.LBB381_93:
	s_or_b64 exec, exec, s[50:51]
	v_cvt_f32_f16_e32 v85, v14
	v_max_f32_e32 v33, v32, v32
	v_cmp_u_f16_e32 vcc, v31, v31
	v_cmp_u_f16_e64 s[50:51], v14, v14
	v_min_f32_e32 v34, v33, v85
	v_max_f32_e32 v33, v33, v85
	v_cndmask_b32_e32 v34, v34, v32, vcc
	v_cndmask_b32_e32 v33, v33, v32, vcc
	v_cndmask_b32_e64 v34, v34, v85, s[50:51]
	v_cndmask_b32_e64 v33, v33, v85, s[50:51]
	v_cmp_neq_f32_e32 vcc, v34, v33
	v_cmp_class_f32_e64 s[52:53], v34, s52
	s_or_b64 vcc, vcc, s[52:53]
	s_and_saveexec_b64 s[52:53], vcc
	s_cbranch_execz .LBB381_95
; %bb.94:
	v_sub_f32_e32 v30, v34, v33
	s_mov_b32 s54, 0x3fb8aa3b
	v_mul_f32_e32 v31, 0x3fb8aa3b, v30
	v_fma_f32 v32, v30, s54, -v31
	v_rndne_f32_e32 v34, v31
	v_fmac_f32_e32 v32, 0x32a5705f, v30
	v_sub_f32_e32 v31, v31, v34
	v_add_f32_e32 v31, v31, v32
	v_exp_f32_e32 v31, v31
	v_cvt_i32_f32_e32 v32, v34
	s_mov_b32 s54, 0xc2ce8ed0
	v_cmp_ngt_f32_e32 vcc, s54, v30
	s_mov_b32 s54, 0x42b17218
	v_ldexp_f32 v31, v31, v32
	v_cndmask_b32_e32 v31, 0, v31, vcc
	v_mov_b32_e32 v32, 0x7f800000
	v_cmp_nlt_f32_e32 vcc, s54, v30
	v_cndmask_b32_e32 v96, v32, v31, vcc
	v_add_f32_e32 v32, 1.0, v96
	v_add_f32_e32 v30, -1.0, v32
	v_sub_f32_e32 v31, v30, v32
	v_add_f32_e32 v31, 1.0, v31
	v_sub_f32_e32 v30, v96, v30
	v_add_f32_e32 v34, v30, v31
	v_frexp_mant_f32_e32 v35, v32
	s_mov_b32 s54, 0x3f2aaaab
	v_cvt_f64_f32_e32 v[30:31], v32
	v_frexp_exp_i32_f64_e32 v30, v[30:31]
	v_cmp_gt_f32_e32 vcc, s54, v35
	v_subbrev_co_u32_e32 v98, vcc, 0, v30, vcc
	v_sub_u32_e32 v30, 0, v98
	v_ldexp_f32 v31, v32, v30
	v_add_f32_e32 v32, -1.0, v31
	v_add_f32_e32 v35, 1.0, v31
	v_ldexp_f32 v30, v34, v30
	v_add_f32_e32 v34, 1.0, v32
	v_add_f32_e32 v36, -1.0, v35
	v_sub_f32_e32 v34, v31, v34
	v_sub_f32_e32 v31, v31, v36
	v_add_f32_e32 v34, v30, v34
	v_add_f32_e32 v30, v30, v31
	;; [unrolled: 1-line block ×3, first 2 shown]
	v_rcp_f32_e32 v101, v99
	v_sub_f32_e32 v31, v35, v99
	v_add_f32_e32 v100, v30, v31
	v_add_f32_e32 v31, v32, v34
	v_sub_f32_e32 v30, v32, v31
	v_mul_f32_e32 v102, v31, v101
	v_add_f32_e32 v32, v34, v30
	v_mul_f32_e32 v34, v99, v102
	v_fma_f32 v36, v102, v99, -v34
	v_fmac_f32_e32 v36, v102, v100
	v_add_f32_e32 v30, v34, v36
	v_sub_f32_e32 v35, v31, v30
	v_pk_add_f32 v[86:87], v[30:31], v[34:35] neg_lo:[0,1] neg_hi:[0,1]
	v_mov_b32_e32 v37, v30
	v_pk_add_f32 v[30:31], v[86:87], v[36:37] neg_lo:[0,1] neg_hi:[0,1]
	v_add_f32_e32 v31, v32, v31
	v_add_f32_e32 v30, v30, v31
	;; [unrolled: 1-line block ×3, first 2 shown]
	v_mul_f32_e32 v32, v101, v31
	v_mul_f32_e32 v34, v99, v32
	v_fma_f32 v36, v32, v99, -v34
	v_fmac_f32_e32 v36, v32, v100
	v_sub_f32_e32 v35, v35, v31
	v_add_f32_e32 v99, v30, v35
	v_add_f32_e32 v30, v34, v36
	v_sub_f32_e32 v35, v31, v30
	v_pk_add_f32 v[86:87], v[30:31], v[34:35] neg_lo:[0,1] neg_hi:[0,1]
	v_mov_b32_e32 v37, v30
	v_pk_add_f32 v[30:31], v[86:87], v[36:37] neg_lo:[0,1] neg_hi:[0,1]
	v_add_f32_e32 v31, v99, v31
	v_add_f32_e32 v30, v30, v31
	;; [unrolled: 1-line block ×4, first 2 shown]
	v_sub_f32_e32 v31, v35, v102
	v_mul_f32_e32 v30, v101, v30
	v_sub_f32_e32 v31, v32, v31
	v_add_f32_e32 v30, v31, v30
	v_add_f32_e32 v32, v35, v30
	v_mul_f32_e32 v36, v32, v32
	v_mov_b32_e32 v34, 0x3ecc95a3
	v_fmac_f32_e32 v34, 0x3e9b6dac, v36
	v_mov_b32_e32 v31, 0x3f2aaada
	v_fmac_f32_e32 v31, v36, v34
	v_cvt_f32_i32_e32 v34, v98
	v_sub_f32_e32 v35, v32, v35
	v_sub_f32_e32 v30, v30, v35
	v_ldexp_f32 v86, v30, 1
	v_mul_f32_e32 v35, v32, v36
	v_mov_b32_e32 v30, 0x3f317218
	s_mov_b32 s54, 0x3f317218
	v_pk_mul_f32 v[30:31], v[34:35], v[30:31]
	v_fma_f32 v36, v34, s54, -v30
	v_ldexp_f32 v37, v32, 1
	v_fmac_f32_e32 v36, 0xb102e308, v34
	v_pk_add_f32 v[34:35], v[30:31], v[36:37]
	v_sub_f32_e32 v32, v35, v37
	v_sub_f32_e32 v32, v31, v32
	v_add_f32_e32 v87, v86, v32
	v_mov_b32_e32 v86, v30
	v_pk_add_f32 v[30:31], v[34:35], v[30:31] neg_lo:[0,1] neg_hi:[0,1]
	v_pk_add_f32 v[98:99], v[34:35], v[86:87]
	v_mov_b32_e32 v31, v99
	v_mov_b32_e32 v37, v34
	v_pk_add_f32 v[100:101], v[36:37], v[30:31] neg_lo:[0,1] neg_hi:[0,1]
	v_pk_add_f32 v[30:31], v[36:37], v[30:31]
	v_mov_b32_e32 v32, v31
	v_pk_add_f32 v[36:37], v[32:33], v[34:35] neg_lo:[0,1] neg_hi:[0,1]
	v_mov_b32_e32 v37, v36
	v_pk_add_f32 v[102:103], v[98:99], v[36:37] neg_lo:[0,1] neg_hi:[0,1]
	v_mov_b32_e32 v30, v99
	v_mov_b32_e32 v98, v35
	;; [unrolled: 1-line block ×4, first 2 shown]
	v_pk_add_f32 v[30:31], v[30:31], v[98:99] neg_lo:[0,1] neg_hi:[0,1]
	v_mov_b32_e32 v36, v87
	v_mov_b32_e32 v37, v34
	v_pk_add_f32 v[30:31], v[36:37], v[30:31] neg_lo:[0,1] neg_hi:[0,1]
	v_mov_b32_e32 v102, v100
	v_pk_add_f32 v[34:35], v[102:103], v[30:31]
	v_mov_b32_e32 v36, v35
	v_pk_add_f32 v[36:37], v[34:35], v[36:37]
	v_pk_add_f32 v[86:87], v[32:33], v[36:37]
	v_mov_b32_e32 v35, v86
	v_pk_add_f32 v[98:99], v[34:35], v[100:101] neg_lo:[0,1] neg_hi:[0,1]
	v_mov_b32_e32 v31, v36
	v_sub_f32_e32 v32, v34, v98
	v_pk_add_f32 v[30:31], v[30:31], v[98:99] neg_lo:[0,1] neg_hi:[0,1]
	v_sub_f32_e32 v32, v100, v32
	s_mov_b32 s55, 0x7f800000
	v_add_f32_e32 v30, v30, v32
	s_mov_b32 s54, 0x33800000
	v_add_f32_e32 v30, v30, v31
	v_cmp_eq_f32_e32 vcc, s55, v96
	v_cmp_lt_f32_e64 s[54:55], |v96|, s54
	v_add_f32_e32 v30, v86, v30
	s_or_b64 vcc, vcc, s[54:55]
	v_cndmask_b32_e32 v30, v30, v96, vcc
	v_add_f32_e32 v30, v33, v30
	v_cvt_f16_f32_e32 v31, v30
	v_cvt_f32_f16_e32 v32, v31
	v_mov_b32_e32 v30, v31
.LBB381_95:
	s_or_b64 exec, exec, s[52:53]
	v_cvt_f32_f16_sdwa v86, v14 dst_sel:DWORD dst_unused:UNUSED_PAD src0_sel:WORD_1
	v_max_f32_e32 v33, v32, v32
	v_cmp_u_f16_e32 vcc, v31, v31
	v_cmp_u_f16_sdwa s[52:53], v14, v14 src0_sel:WORD_1 src1_sel:WORD_1
	v_min_f32_e32 v34, v33, v86
	v_max_f32_e32 v33, v33, v86
	v_cndmask_b32_e32 v34, v34, v32, vcc
	v_cndmask_b32_e32 v33, v33, v32, vcc
	v_cndmask_b32_e64 v34, v34, v86, s[52:53]
	v_cndmask_b32_e64 v33, v33, v86, s[52:53]
	s_movk_i32 s56, 0x1f8
	v_cmp_neq_f32_e32 vcc, v34, v33
	v_cmp_class_f32_e64 s[54:55], v34, s56
	s_or_b64 vcc, vcc, s[54:55]
	s_and_saveexec_b64 s[54:55], vcc
	s_cbranch_execz .LBB381_97
; %bb.96:
	v_sub_f32_e32 v30, v34, v33
	s_mov_b32 s57, 0x3fb8aa3b
	v_mul_f32_e32 v31, 0x3fb8aa3b, v30
	v_fma_f32 v32, v30, s57, -v31
	v_rndne_f32_e32 v34, v31
	v_fmac_f32_e32 v32, 0x32a5705f, v30
	v_sub_f32_e32 v31, v31, v34
	v_add_f32_e32 v31, v31, v32
	v_exp_f32_e32 v31, v31
	v_cvt_i32_f32_e32 v32, v34
	s_mov_b32 s57, 0xc2ce8ed0
	v_cmp_ngt_f32_e32 vcc, s57, v30
	s_mov_b32 s57, 0x42b17218
	v_ldexp_f32 v31, v31, v32
	v_cndmask_b32_e32 v31, 0, v31, vcc
	v_mov_b32_e32 v32, 0x7f800000
	v_cmp_nlt_f32_e32 vcc, s57, v30
	v_cndmask_b32_e32 v87, v32, v31, vcc
	v_add_f32_e32 v32, 1.0, v87
	v_add_f32_e32 v30, -1.0, v32
	v_sub_f32_e32 v31, v30, v32
	v_add_f32_e32 v31, 1.0, v31
	v_sub_f32_e32 v30, v87, v30
	v_add_f32_e32 v34, v30, v31
	v_frexp_mant_f32_e32 v35, v32
	s_mov_b32 s57, 0x3f2aaaab
	v_cvt_f64_f32_e32 v[30:31], v32
	v_frexp_exp_i32_f64_e32 v30, v[30:31]
	v_cmp_gt_f32_e32 vcc, s57, v35
	v_subbrev_co_u32_e32 v96, vcc, 0, v30, vcc
	v_sub_u32_e32 v30, 0, v96
	v_ldexp_f32 v31, v32, v30
	v_add_f32_e32 v32, -1.0, v31
	v_add_f32_e32 v35, 1.0, v31
	v_ldexp_f32 v30, v34, v30
	v_add_f32_e32 v34, 1.0, v32
	v_add_f32_e32 v36, -1.0, v35
	v_sub_f32_e32 v34, v31, v34
	v_sub_f32_e32 v31, v31, v36
	v_add_f32_e32 v34, v30, v34
	v_add_f32_e32 v30, v30, v31
	;; [unrolled: 1-line block ×3, first 2 shown]
	v_rcp_f32_e32 v102, v100
	v_sub_f32_e32 v31, v35, v100
	v_add_f32_e32 v101, v30, v31
	v_add_f32_e32 v31, v32, v34
	v_sub_f32_e32 v30, v32, v31
	v_mul_f32_e32 v103, v31, v102
	v_add_f32_e32 v32, v34, v30
	v_mul_f32_e32 v34, v100, v103
	v_fma_f32 v36, v103, v100, -v34
	v_fmac_f32_e32 v36, v103, v101
	v_add_f32_e32 v30, v34, v36
	v_sub_f32_e32 v35, v31, v30
	v_pk_add_f32 v[98:99], v[30:31], v[34:35] neg_lo:[0,1] neg_hi:[0,1]
	v_mov_b32_e32 v37, v30
	v_pk_add_f32 v[30:31], v[98:99], v[36:37] neg_lo:[0,1] neg_hi:[0,1]
	v_add_f32_e32 v31, v32, v31
	v_add_f32_e32 v30, v30, v31
	v_add_f32_e32 v31, v35, v30
	v_mul_f32_e32 v32, v102, v31
	v_mul_f32_e32 v34, v100, v32
	v_fma_f32 v36, v32, v100, -v34
	v_fmac_f32_e32 v36, v32, v101
	v_sub_f32_e32 v35, v35, v31
	v_add_f32_e32 v100, v30, v35
	v_add_f32_e32 v30, v34, v36
	v_sub_f32_e32 v35, v31, v30
	v_pk_add_f32 v[98:99], v[30:31], v[34:35] neg_lo:[0,1] neg_hi:[0,1]
	v_mov_b32_e32 v37, v30
	v_pk_add_f32 v[30:31], v[98:99], v[36:37] neg_lo:[0,1] neg_hi:[0,1]
	v_add_f32_e32 v31, v100, v31
	v_add_f32_e32 v30, v30, v31
	v_add_f32_e32 v30, v35, v30
	v_add_f32_e32 v35, v103, v32
	v_sub_f32_e32 v31, v35, v103
	v_mul_f32_e32 v30, v102, v30
	v_sub_f32_e32 v31, v32, v31
	v_add_f32_e32 v30, v31, v30
	v_add_f32_e32 v32, v35, v30
	v_mul_f32_e32 v36, v32, v32
	v_mov_b32_e32 v34, 0x3ecc95a3
	v_fmac_f32_e32 v34, 0x3e9b6dac, v36
	v_mov_b32_e32 v31, 0x3f2aaada
	v_fmac_f32_e32 v31, v36, v34
	v_cvt_f32_i32_e32 v34, v96
	v_sub_f32_e32 v35, v32, v35
	v_sub_f32_e32 v30, v30, v35
	v_ldexp_f32 v96, v30, 1
	v_mul_f32_e32 v35, v32, v36
	v_mov_b32_e32 v30, 0x3f317218
	s_mov_b32 s57, 0x3f317218
	v_pk_mul_f32 v[30:31], v[34:35], v[30:31]
	v_fma_f32 v36, v34, s57, -v30
	v_ldexp_f32 v37, v32, 1
	v_fmac_f32_e32 v36, 0xb102e308, v34
	v_pk_add_f32 v[34:35], v[30:31], v[36:37]
	v_sub_f32_e32 v32, v35, v37
	v_sub_f32_e32 v32, v31, v32
	v_add_f32_e32 v99, v96, v32
	v_mov_b32_e32 v98, v30
	v_pk_add_f32 v[30:31], v[34:35], v[30:31] neg_lo:[0,1] neg_hi:[0,1]
	v_pk_add_f32 v[100:101], v[34:35], v[98:99]
	v_mov_b32_e32 v31, v101
	v_mov_b32_e32 v37, v34
	v_pk_add_f32 v[102:103], v[36:37], v[30:31] neg_lo:[0,1] neg_hi:[0,1]
	v_pk_add_f32 v[30:31], v[36:37], v[30:31]
	v_mov_b32_e32 v32, v31
	v_pk_add_f32 v[36:37], v[32:33], v[34:35] neg_lo:[0,1] neg_hi:[0,1]
	v_mov_b32_e32 v37, v36
	v_pk_add_f32 v[112:113], v[100:101], v[36:37] neg_lo:[0,1] neg_hi:[0,1]
	v_mov_b32_e32 v30, v101
	v_mov_b32_e32 v100, v35
	;; [unrolled: 1-line block ×4, first 2 shown]
	v_pk_add_f32 v[30:31], v[30:31], v[100:101] neg_lo:[0,1] neg_hi:[0,1]
	v_mov_b32_e32 v36, v99
	v_mov_b32_e32 v37, v34
	v_pk_add_f32 v[30:31], v[36:37], v[30:31] neg_lo:[0,1] neg_hi:[0,1]
	v_mov_b32_e32 v112, v102
	v_pk_add_f32 v[34:35], v[112:113], v[30:31]
	v_mov_b32_e32 v36, v35
	v_pk_add_f32 v[36:37], v[34:35], v[36:37]
	v_pk_add_f32 v[98:99], v[32:33], v[36:37]
	v_mov_b32_e32 v35, v98
	v_pk_add_f32 v[100:101], v[34:35], v[102:103] neg_lo:[0,1] neg_hi:[0,1]
	v_mov_b32_e32 v31, v36
	v_sub_f32_e32 v32, v34, v100
	v_pk_add_f32 v[30:31], v[30:31], v[100:101] neg_lo:[0,1] neg_hi:[0,1]
	v_sub_f32_e32 v32, v102, v32
	s_mov_b32 s60, 0x7f800000
	v_add_f32_e32 v30, v30, v32
	s_mov_b32 s57, 0x33800000
	v_add_f32_e32 v30, v30, v31
	v_cmp_eq_f32_e32 vcc, s60, v87
	v_cmp_lt_f32_e64 s[60:61], |v87|, s57
	v_add_f32_e32 v30, v98, v30
	s_or_b64 vcc, vcc, s[60:61]
	v_cndmask_b32_e32 v30, v30, v87, vcc
	v_add_f32_e32 v30, v33, v30
	v_cvt_f16_f32_e32 v31, v30
	v_cvt_f32_f16_e32 v32, v31
	v_mov_b32_e32 v30, v31
.LBB381_97:
	s_or_b64 exec, exec, s[54:55]
	v_cvt_f32_f16_e32 v87, v15
	v_max_f32_e32 v33, v32, v32
	v_cmp_u_f16_e32 vcc, v31, v31
	v_cmp_u_f16_e64 s[54:55], v15, v15
	v_min_f32_e32 v34, v33, v87
	v_max_f32_e32 v33, v33, v87
	v_cndmask_b32_e32 v34, v34, v32, vcc
	v_cndmask_b32_e32 v33, v33, v32, vcc
	v_cndmask_b32_e64 v34, v34, v87, s[54:55]
	v_cndmask_b32_e64 v33, v33, v87, s[54:55]
	v_cmp_neq_f32_e32 vcc, v34, v33
	v_cmp_class_f32_e64 s[56:57], v34, s56
	s_or_b64 vcc, vcc, s[56:57]
	s_and_saveexec_b64 s[56:57], vcc
	s_cbranch_execz .LBB381_99
; %bb.98:
	v_sub_f32_e32 v30, v34, v33
	s_mov_b32 s60, 0x3fb8aa3b
	v_mul_f32_e32 v31, 0x3fb8aa3b, v30
	v_fma_f32 v32, v30, s60, -v31
	v_rndne_f32_e32 v34, v31
	v_fmac_f32_e32 v32, 0x32a5705f, v30
	v_sub_f32_e32 v31, v31, v34
	v_add_f32_e32 v31, v31, v32
	v_exp_f32_e32 v31, v31
	v_cvt_i32_f32_e32 v32, v34
	s_mov_b32 s60, 0xc2ce8ed0
	v_cmp_ngt_f32_e32 vcc, s60, v30
	s_mov_b32 s60, 0x42b17218
	v_ldexp_f32 v31, v31, v32
	v_cndmask_b32_e32 v31, 0, v31, vcc
	v_mov_b32_e32 v32, 0x7f800000
	v_cmp_nlt_f32_e32 vcc, s60, v30
	v_cndmask_b32_e32 v96, v32, v31, vcc
	v_add_f32_e32 v32, 1.0, v96
	v_add_f32_e32 v30, -1.0, v32
	v_sub_f32_e32 v31, v30, v32
	v_add_f32_e32 v31, 1.0, v31
	v_sub_f32_e32 v30, v96, v30
	v_add_f32_e32 v34, v30, v31
	v_frexp_mant_f32_e32 v35, v32
	s_mov_b32 s60, 0x3f2aaaab
	v_cvt_f64_f32_e32 v[30:31], v32
	v_frexp_exp_i32_f64_e32 v30, v[30:31]
	v_cmp_gt_f32_e32 vcc, s60, v35
	v_subbrev_co_u32_e32 v100, vcc, 0, v30, vcc
	v_sub_u32_e32 v30, 0, v100
	v_ldexp_f32 v31, v32, v30
	v_add_f32_e32 v32, -1.0, v31
	v_add_f32_e32 v35, 1.0, v31
	v_ldexp_f32 v30, v34, v30
	v_add_f32_e32 v34, 1.0, v32
	v_add_f32_e32 v36, -1.0, v35
	v_sub_f32_e32 v34, v31, v34
	v_sub_f32_e32 v31, v31, v36
	v_add_f32_e32 v34, v30, v34
	v_add_f32_e32 v30, v30, v31
	v_add_f32_e32 v101, v35, v30
	v_rcp_f32_e32 v103, v101
	v_sub_f32_e32 v31, v35, v101
	v_add_f32_e32 v102, v30, v31
	v_add_f32_e32 v31, v32, v34
	v_sub_f32_e32 v30, v32, v31
	v_mul_f32_e32 v112, v31, v103
	v_add_f32_e32 v32, v34, v30
	v_mul_f32_e32 v34, v101, v112
	v_fma_f32 v36, v112, v101, -v34
	v_fmac_f32_e32 v36, v112, v102
	v_add_f32_e32 v30, v34, v36
	v_sub_f32_e32 v35, v31, v30
	v_pk_add_f32 v[98:99], v[30:31], v[34:35] neg_lo:[0,1] neg_hi:[0,1]
	v_mov_b32_e32 v37, v30
	v_pk_add_f32 v[30:31], v[98:99], v[36:37] neg_lo:[0,1] neg_hi:[0,1]
	v_add_f32_e32 v31, v32, v31
	v_add_f32_e32 v30, v30, v31
	;; [unrolled: 1-line block ×3, first 2 shown]
	v_mul_f32_e32 v32, v103, v31
	v_mul_f32_e32 v34, v101, v32
	v_fma_f32 v36, v32, v101, -v34
	v_fmac_f32_e32 v36, v32, v102
	v_sub_f32_e32 v35, v35, v31
	v_add_f32_e32 v101, v30, v35
	v_add_f32_e32 v30, v34, v36
	v_sub_f32_e32 v35, v31, v30
	v_pk_add_f32 v[98:99], v[30:31], v[34:35] neg_lo:[0,1] neg_hi:[0,1]
	v_mov_b32_e32 v37, v30
	v_pk_add_f32 v[30:31], v[98:99], v[36:37] neg_lo:[0,1] neg_hi:[0,1]
	v_add_f32_e32 v31, v101, v31
	v_add_f32_e32 v30, v30, v31
	;; [unrolled: 1-line block ×4, first 2 shown]
	v_sub_f32_e32 v31, v35, v112
	v_mul_f32_e32 v30, v103, v30
	v_sub_f32_e32 v31, v32, v31
	v_add_f32_e32 v30, v31, v30
	v_add_f32_e32 v32, v35, v30
	v_mul_f32_e32 v36, v32, v32
	v_mov_b32_e32 v34, 0x3ecc95a3
	v_fmac_f32_e32 v34, 0x3e9b6dac, v36
	v_mov_b32_e32 v31, 0x3f2aaada
	v_fmac_f32_e32 v31, v36, v34
	v_cvt_f32_i32_e32 v34, v100
	v_sub_f32_e32 v35, v32, v35
	v_sub_f32_e32 v30, v30, v35
	v_ldexp_f32 v98, v30, 1
	v_mul_f32_e32 v35, v32, v36
	v_mov_b32_e32 v30, 0x3f317218
	s_mov_b32 s60, 0x3f317218
	v_pk_mul_f32 v[30:31], v[34:35], v[30:31]
	v_fma_f32 v36, v34, s60, -v30
	v_ldexp_f32 v37, v32, 1
	v_fmac_f32_e32 v36, 0xb102e308, v34
	v_pk_add_f32 v[34:35], v[30:31], v[36:37]
	v_sub_f32_e32 v32, v35, v37
	v_sub_f32_e32 v32, v31, v32
	v_add_f32_e32 v99, v98, v32
	v_mov_b32_e32 v98, v30
	v_pk_add_f32 v[30:31], v[34:35], v[30:31] neg_lo:[0,1] neg_hi:[0,1]
	v_pk_add_f32 v[100:101], v[34:35], v[98:99]
	v_mov_b32_e32 v31, v101
	v_mov_b32_e32 v37, v34
	v_pk_add_f32 v[102:103], v[36:37], v[30:31] neg_lo:[0,1] neg_hi:[0,1]
	v_pk_add_f32 v[30:31], v[36:37], v[30:31]
	v_mov_b32_e32 v32, v31
	v_pk_add_f32 v[36:37], v[32:33], v[34:35] neg_lo:[0,1] neg_hi:[0,1]
	v_mov_b32_e32 v37, v36
	v_pk_add_f32 v[112:113], v[100:101], v[36:37] neg_lo:[0,1] neg_hi:[0,1]
	v_mov_b32_e32 v30, v101
	v_mov_b32_e32 v100, v35
	;; [unrolled: 1-line block ×4, first 2 shown]
	v_pk_add_f32 v[30:31], v[30:31], v[100:101] neg_lo:[0,1] neg_hi:[0,1]
	v_mov_b32_e32 v36, v99
	v_mov_b32_e32 v37, v34
	v_pk_add_f32 v[30:31], v[36:37], v[30:31] neg_lo:[0,1] neg_hi:[0,1]
	v_mov_b32_e32 v112, v102
	v_pk_add_f32 v[34:35], v[112:113], v[30:31]
	v_mov_b32_e32 v36, v35
	v_pk_add_f32 v[36:37], v[34:35], v[36:37]
	v_pk_add_f32 v[98:99], v[32:33], v[36:37]
	v_mov_b32_e32 v35, v98
	v_pk_add_f32 v[100:101], v[34:35], v[102:103] neg_lo:[0,1] neg_hi:[0,1]
	v_mov_b32_e32 v31, v36
	v_sub_f32_e32 v32, v34, v100
	v_pk_add_f32 v[30:31], v[30:31], v[100:101] neg_lo:[0,1] neg_hi:[0,1]
	v_sub_f32_e32 v32, v102, v32
	s_mov_b32 s61, 0x7f800000
	v_add_f32_e32 v30, v30, v32
	s_mov_b32 s60, 0x33800000
	v_add_f32_e32 v30, v30, v31
	v_cmp_eq_f32_e32 vcc, s61, v96
	v_cmp_lt_f32_e64 s[60:61], |v96|, s60
	v_add_f32_e32 v30, v98, v30
	s_or_b64 vcc, vcc, s[60:61]
	v_cndmask_b32_e32 v30, v30, v96, vcc
	v_add_f32_e32 v30, v33, v30
	v_cvt_f16_f32_e32 v31, v30
	v_cvt_f32_f16_e32 v32, v31
	v_mov_b32_e32 v30, v31
.LBB381_99:
	s_or_b64 exec, exec, s[56:57]
	v_cvt_f32_f16_sdwa v96, v15 dst_sel:DWORD dst_unused:UNUSED_PAD src0_sel:WORD_1
	v_max_f32_e32 v34, v32, v32
	v_cmp_u_f16_e32 vcc, v31, v31
	v_cmp_u_f16_sdwa s[56:57], v15, v15 src0_sel:WORD_1 src1_sel:WORD_1
	v_min_f32_e32 v33, v34, v96
	v_cndmask_b32_e32 v31, v33, v32, vcc
	v_cndmask_b32_e64 v33, v31, v96, s[56:57]
	v_max_f32_e32 v31, v34, v96
	v_cndmask_b32_e32 v31, v31, v32, vcc
	v_cndmask_b32_e64 v31, v31, v96, s[56:57]
	s_movk_i32 s60, 0x1f8
	v_cmp_neq_f32_e32 vcc, v33, v31
	v_cmp_class_f32_e64 s[60:61], v33, s60
	s_or_b64 vcc, vcc, s[60:61]
	s_and_saveexec_b64 s[60:61], vcc
	s_cbranch_execz .LBB381_101
; %bb.100:
	v_sub_f32_e32 v30, v33, v31
	s_mov_b32 s62, 0x3fb8aa3b
	v_mul_f32_e32 v32, 0x3fb8aa3b, v30
	v_fma_f32 v33, v30, s62, -v32
	v_rndne_f32_e32 v34, v32
	v_fmac_f32_e32 v33, 0x32a5705f, v30
	v_sub_f32_e32 v32, v32, v34
	v_add_f32_e32 v32, v32, v33
	v_exp_f32_e32 v32, v32
	v_cvt_i32_f32_e32 v33, v34
	s_mov_b32 s62, 0xc2ce8ed0
	v_cmp_ngt_f32_e32 vcc, s62, v30
	s_mov_b32 s62, 0x42b17218
	v_ldexp_f32 v32, v32, v33
	v_cndmask_b32_e32 v32, 0, v32, vcc
	v_mov_b32_e32 v33, 0x7f800000
	v_cmp_nlt_f32_e32 vcc, s62, v30
	v_cndmask_b32_e32 v114, v33, v32, vcc
	v_add_f32_e32 v30, 1.0, v114
	v_add_f32_e32 v32, -1.0, v30
	v_sub_f32_e32 v33, v32, v30
	v_add_f32_e32 v33, 1.0, v33
	v_sub_f32_e32 v32, v114, v32
	v_add_f32_e32 v34, v32, v33
	v_frexp_mant_f32_e32 v35, v30
	s_mov_b32 s62, 0x3f2aaaab
	v_cvt_f64_f32_e32 v[32:33], v30
	v_frexp_exp_i32_f64_e32 v32, v[32:33]
	v_cmp_gt_f32_e32 vcc, s62, v35
	v_subbrev_co_u32_e32 v100, vcc, 0, v32, vcc
	v_sub_u32_e32 v32, 0, v100
	v_ldexp_f32 v30, v30, v32
	v_ldexp_f32 v32, v34, v32
	v_add_f32_e32 v34, -1.0, v30
	v_add_f32_e32 v33, 1.0, v34
	v_sub_f32_e32 v33, v30, v33
	v_add_f32_e32 v35, v32, v33
	v_add_f32_e32 v33, 1.0, v30
	v_add_f32_e32 v36, -1.0, v33
	v_sub_f32_e32 v30, v30, v36
	v_add_f32_e32 v30, v32, v30
	v_add_f32_e32 v101, v33, v30
	v_rcp_f32_e32 v102, v101
	v_sub_f32_e32 v32, v33, v101
	v_add_f32_e32 v33, v34, v35
	v_add_f32_e32 v30, v30, v32
	v_mul_f32_e32 v112, v33, v102
	v_sub_f32_e32 v32, v34, v33
	v_mul_f32_e32 v34, v101, v112
	v_fma_f32 v36, v112, v101, -v34
	v_fmac_f32_e32 v36, v112, v30
	v_add_f32_e32 v103, v35, v32
	v_add_f32_e32 v32, v34, v36
	v_sub_f32_e32 v35, v33, v32
	v_pk_add_f32 v[98:99], v[32:33], v[34:35] neg_lo:[0,1] neg_hi:[0,1]
	v_mov_b32_e32 v37, v32
	v_pk_add_f32 v[32:33], v[98:99], v[36:37] neg_lo:[0,1] neg_hi:[0,1]
	v_add_f32_e32 v33, v103, v33
	v_add_f32_e32 v32, v32, v33
	;; [unrolled: 1-line block ×3, first 2 shown]
	v_mul_f32_e32 v103, v102, v33
	v_mul_f32_e32 v34, v101, v103
	v_fma_f32 v36, v103, v101, -v34
	v_fmac_f32_e32 v36, v103, v30
	v_sub_f32_e32 v30, v35, v33
	v_add_f32_e32 v30, v32, v30
	v_add_f32_e32 v32, v34, v36
	v_sub_f32_e32 v35, v33, v32
	v_pk_add_f32 v[98:99], v[32:33], v[34:35] neg_lo:[0,1] neg_hi:[0,1]
	v_mov_b32_e32 v37, v32
	v_pk_add_f32 v[32:33], v[98:99], v[36:37] neg_lo:[0,1] neg_hi:[0,1]
	v_add_f32_e32 v30, v30, v33
	v_add_f32_e32 v30, v32, v30
	;; [unrolled: 1-line block ×4, first 2 shown]
	v_sub_f32_e32 v33, v32, v112
	v_mul_f32_e32 v30, v102, v30
	v_sub_f32_e32 v33, v103, v33
	v_add_f32_e32 v30, v33, v30
	v_add_f32_e32 v35, v32, v30
	v_mul_f32_e32 v36, v35, v35
	v_mov_b32_e32 v34, 0x3ecc95a3
	v_fmac_f32_e32 v34, 0x3e9b6dac, v36
	v_mov_b32_e32 v33, 0x3f2aaada
	v_fmac_f32_e32 v33, v36, v34
	v_cvt_f32_i32_e32 v34, v100
	v_sub_f32_e32 v32, v35, v32
	v_sub_f32_e32 v30, v30, v32
	v_ldexp_f32 v37, v35, 1
	v_mul_f32_e32 v35, v35, v36
	v_mov_b32_e32 v32, 0x3f317218
	s_mov_b32 s62, 0x3f317218
	v_pk_mul_f32 v[32:33], v[34:35], v[32:33]
	v_fma_f32 v36, v34, s62, -v32
	v_fmac_f32_e32 v36, 0xb102e308, v34
	v_pk_add_f32 v[34:35], v[32:33], v[36:37]
	v_sub_f32_e32 v37, v35, v37
	v_ldexp_f32 v30, v30, 1
	v_sub_f32_e32 v37, v33, v37
	v_add_f32_e32 v99, v30, v37
	v_mov_b32_e32 v98, v32
	v_pk_add_f32 v[32:33], v[34:35], v[32:33] neg_lo:[0,1] neg_hi:[0,1]
	v_pk_add_f32 v[100:101], v[34:35], v[98:99]
	v_mov_b32_e32 v33, v101
	v_mov_b32_e32 v37, v34
	v_pk_add_f32 v[102:103], v[36:37], v[32:33] neg_lo:[0,1] neg_hi:[0,1]
	v_pk_add_f32 v[32:33], v[36:37], v[32:33]
	v_mov_b32_e32 v30, v33
	v_pk_add_f32 v[36:37], v[30:31], v[34:35] neg_lo:[0,1] neg_hi:[0,1]
	v_mov_b32_e32 v37, v36
	v_pk_add_f32 v[112:113], v[100:101], v[36:37] neg_lo:[0,1] neg_hi:[0,1]
	v_mov_b32_e32 v32, v101
	v_mov_b32_e32 v100, v35
	;; [unrolled: 1-line block ×4, first 2 shown]
	v_pk_add_f32 v[32:33], v[32:33], v[100:101] neg_lo:[0,1] neg_hi:[0,1]
	v_mov_b32_e32 v36, v99
	v_mov_b32_e32 v37, v34
	v_pk_add_f32 v[32:33], v[36:37], v[32:33] neg_lo:[0,1] neg_hi:[0,1]
	v_mov_b32_e32 v112, v102
	v_pk_add_f32 v[34:35], v[112:113], v[32:33]
	v_mov_b32_e32 v36, v35
	v_pk_add_f32 v[36:37], v[34:35], v[36:37]
	v_pk_add_f32 v[98:99], v[30:31], v[36:37]
	v_mov_b32_e32 v35, v98
	v_pk_add_f32 v[100:101], v[34:35], v[102:103] neg_lo:[0,1] neg_hi:[0,1]
	v_mov_b32_e32 v33, v36
	v_sub_f32_e32 v30, v34, v100
	v_pk_add_f32 v[32:33], v[32:33], v[100:101] neg_lo:[0,1] neg_hi:[0,1]
	v_sub_f32_e32 v30, v102, v30
	s_mov_b32 s63, 0x7f800000
	v_add_f32_e32 v30, v32, v30
	s_mov_b32 s62, 0x33800000
	v_add_f32_e32 v30, v30, v33
	v_cmp_eq_f32_e32 vcc, s63, v114
	v_cmp_lt_f32_e64 s[62:63], |v114|, s62
	v_add_f32_e32 v30, v98, v30
	s_or_b64 vcc, vcc, s[62:63]
	v_cndmask_b32_e32 v30, v30, v114, vcc
	v_add_f32_e32 v30, v31, v30
	v_cvt_f16_f32_e32 v30, v30
.LBB381_101:
	s_or_b64 exec, exec, s[60:61]
	v_mbcnt_lo_u32_b32 v31, -1, 0
	v_mbcnt_hi_u32_b32 v31, -1, v31
	v_and_b32_e32 v32, 15, v31
	v_and_b32_e32 v33, 0xffff, v30
	v_cmp_ne_u32_e32 vcc, 0, v32
	s_nop 0
	v_mov_b32_dpp v34, v33 row_shr:1 row_mask:0xf bank_mask:0xf
	s_and_saveexec_b64 s[62:63], vcc
	s_cbranch_execz .LBB381_105
; %bb.102:
	v_cvt_f32_f16_e32 v35, v34
	v_cvt_f32_f16_e32 v36, v30
	v_cmp_u_f16_e32 vcc, v34, v34
	v_cmp_u_f16_e64 s[60:61], v30, v30
	v_min_f32_e32 v33, v35, v36
	v_max_f32_e32 v30, v35, v36
	v_cndmask_b32_e32 v33, v33, v35, vcc
	v_cndmask_b32_e32 v30, v30, v35, vcc
	v_cndmask_b32_e64 v33, v33, v36, s[60:61]
	v_cndmask_b32_e64 v30, v30, v36, s[60:61]
	s_movk_i32 s60, 0x1f8
	v_cmp_neq_f32_e32 vcc, v33, v30
	v_cmp_class_f32_e64 s[60:61], v33, s60
	s_or_b64 vcc, vcc, s[60:61]
	s_and_saveexec_b64 s[60:61], vcc
	s_cbranch_execz .LBB381_104
; %bb.103:
	v_sub_f32_e32 v33, v33, v30
	s_mov_b32 s64, 0x3fb8aa3b
	v_mul_f32_e32 v34, 0x3fb8aa3b, v33
	v_fma_f32 v35, v33, s64, -v34
	v_rndne_f32_e32 v36, v34
	v_fmac_f32_e32 v35, 0x32a5705f, v33
	v_sub_f32_e32 v34, v34, v36
	v_add_f32_e32 v34, v34, v35
	v_exp_f32_e32 v34, v34
	v_cvt_i32_f32_e32 v35, v36
	s_mov_b32 s64, 0xc2ce8ed0
	v_cmp_ngt_f32_e32 vcc, s64, v33
	s_mov_b32 s64, 0x42b17218
	v_ldexp_f32 v34, v34, v35
	v_cndmask_b32_e32 v34, 0, v34, vcc
	v_mov_b32_e32 v35, 0x7f800000
	v_cmp_nlt_f32_e32 vcc, s64, v33
	v_cndmask_b32_e32 v118, v35, v34, vcc
	v_add_f32_e32 v33, 1.0, v118
	v_add_f32_e32 v34, -1.0, v33
	v_sub_f32_e32 v35, v34, v33
	v_add_f32_e32 v35, 1.0, v35
	v_sub_f32_e32 v34, v118, v34
	v_add_f32_e32 v36, v34, v35
	v_frexp_mant_f32_e32 v37, v33
	s_mov_b32 s64, 0x3f2aaaab
	v_cvt_f64_f32_e32 v[34:35], v33
	v_frexp_exp_i32_f64_e32 v34, v[34:35]
	v_cmp_gt_f32_e32 vcc, s64, v37
	v_subbrev_co_u32_e32 v102, vcc, 0, v34, vcc
	v_sub_u32_e32 v34, 0, v102
	v_ldexp_f32 v33, v33, v34
	v_ldexp_f32 v34, v36, v34
	v_add_f32_e32 v36, -1.0, v33
	v_add_f32_e32 v35, 1.0, v36
	v_sub_f32_e32 v35, v33, v35
	v_add_f32_e32 v37, v34, v35
	v_add_f32_e32 v35, 1.0, v33
	v_add_f32_e32 v98, -1.0, v35
	v_sub_f32_e32 v33, v33, v98
	v_add_f32_e32 v33, v34, v33
	v_add_f32_e32 v103, v35, v33
	v_rcp_f32_e32 v112, v103
	v_sub_f32_e32 v34, v35, v103
	v_add_f32_e32 v35, v36, v37
	v_add_f32_e32 v33, v33, v34
	v_mul_f32_e32 v114, v35, v112
	v_sub_f32_e32 v34, v36, v35
	v_mul_f32_e32 v36, v103, v114
	v_fma_f32 v98, v114, v103, -v36
	v_fmac_f32_e32 v98, v114, v33
	v_add_f32_e32 v113, v37, v34
	v_add_f32_e32 v34, v36, v98
	v_sub_f32_e32 v37, v35, v34
	v_pk_add_f32 v[100:101], v[34:35], v[36:37] neg_lo:[0,1] neg_hi:[0,1]
	v_mov_b32_e32 v99, v34
	v_pk_add_f32 v[34:35], v[100:101], v[98:99] neg_lo:[0,1] neg_hi:[0,1]
	v_add_f32_e32 v35, v113, v35
	v_add_f32_e32 v34, v34, v35
	;; [unrolled: 1-line block ×3, first 2 shown]
	v_mul_f32_e32 v113, v112, v35
	v_mul_f32_e32 v36, v103, v113
	v_fma_f32 v98, v113, v103, -v36
	v_fmac_f32_e32 v98, v113, v33
	v_sub_f32_e32 v33, v37, v35
	v_add_f32_e32 v33, v34, v33
	v_add_f32_e32 v34, v36, v98
	v_sub_f32_e32 v37, v35, v34
	v_pk_add_f32 v[100:101], v[34:35], v[36:37] neg_lo:[0,1] neg_hi:[0,1]
	v_mov_b32_e32 v99, v34
	v_pk_add_f32 v[34:35], v[100:101], v[98:99] neg_lo:[0,1] neg_hi:[0,1]
	v_add_f32_e32 v33, v33, v35
	v_add_f32_e32 v33, v34, v33
	;; [unrolled: 1-line block ×4, first 2 shown]
	v_sub_f32_e32 v35, v34, v114
	v_mul_f32_e32 v33, v112, v33
	v_sub_f32_e32 v35, v113, v35
	v_add_f32_e32 v33, v35, v33
	v_add_f32_e32 v37, v34, v33
	v_mul_f32_e32 v98, v37, v37
	v_mov_b32_e32 v36, 0x3ecc95a3
	v_fmac_f32_e32 v36, 0x3e9b6dac, v98
	v_mov_b32_e32 v35, 0x3f2aaada
	v_fmac_f32_e32 v35, v98, v36
	v_cvt_f32_i32_e32 v36, v102
	v_sub_f32_e32 v34, v37, v34
	v_sub_f32_e32 v33, v33, v34
	v_ldexp_f32 v99, v37, 1
	v_mul_f32_e32 v37, v37, v98
	v_mov_b32_e32 v34, 0x3f317218
	s_mov_b32 s64, 0x3f317218
	v_pk_mul_f32 v[34:35], v[36:37], v[34:35]
	v_fma_f32 v98, v36, s64, -v34
	v_fmac_f32_e32 v98, 0xb102e308, v36
	v_pk_add_f32 v[36:37], v[34:35], v[98:99]
	v_sub_f32_e32 v99, v37, v99
	v_ldexp_f32 v33, v33, 1
	v_sub_f32_e32 v99, v35, v99
	v_add_f32_e32 v101, v33, v99
	v_mov_b32_e32 v100, v34
	v_pk_add_f32 v[34:35], v[36:37], v[34:35] neg_lo:[0,1] neg_hi:[0,1]
	v_pk_add_f32 v[102:103], v[36:37], v[100:101]
	v_mov_b32_e32 v35, v103
	v_mov_b32_e32 v99, v36
	v_pk_add_f32 v[112:113], v[98:99], v[34:35] neg_lo:[0,1] neg_hi:[0,1]
	v_pk_add_f32 v[34:35], v[98:99], v[34:35]
	v_mov_b32_e32 v98, v35
	v_pk_add_f32 v[114:115], v[98:99], v[36:37] neg_lo:[0,1] neg_hi:[0,1]
	v_mov_b32_e32 v33, v114
	v_pk_add_f32 v[116:117], v[102:103], v[32:33] neg_lo:[0,1] neg_hi:[0,1]
	v_mov_b32_e32 v34, v103
	v_mov_b32_e32 v102, v37
	;; [unrolled: 1-line block ×4, first 2 shown]
	v_pk_add_f32 v[34:35], v[34:35], v[102:103] neg_lo:[0,1] neg_hi:[0,1]
	v_mov_b32_e32 v100, v101
	v_mov_b32_e32 v101, v36
	v_pk_add_f32 v[34:35], v[100:101], v[34:35] neg_lo:[0,1] neg_hi:[0,1]
	v_mov_b32_e32 v116, v112
	v_pk_add_f32 v[36:37], v[116:117], v[34:35]
	v_mov_b32_e32 v100, v37
	v_pk_add_f32 v[100:101], v[36:37], v[100:101]
	v_pk_add_f32 v[98:99], v[98:99], v[100:101]
	v_mov_b32_e32 v37, v98
	v_pk_add_f32 v[102:103], v[36:37], v[112:113] neg_lo:[0,1] neg_hi:[0,1]
	v_mov_b32_e32 v35, v100
	v_sub_f32_e32 v33, v36, v102
	v_pk_add_f32 v[34:35], v[34:35], v[102:103] neg_lo:[0,1] neg_hi:[0,1]
	v_sub_f32_e32 v33, v112, v33
	s_mov_b32 s65, 0x7f800000
	v_add_f32_e32 v33, v34, v33
	s_mov_b32 s64, 0x33800000
	v_add_f32_e32 v33, v33, v35
	v_cmp_eq_f32_e32 vcc, s65, v118
	v_cmp_lt_f32_e64 s[64:65], |v118|, s64
	v_add_f32_e32 v33, v98, v33
	s_or_b64 vcc, vcc, s[64:65]
	v_cndmask_b32_e32 v33, v33, v118, vcc
	v_add_f32_e32 v30, v30, v33
	v_cvt_f16_f32_e32 v34, v30
.LBB381_104:
	s_or_b64 exec, exec, s[60:61]
	v_and_b32_e32 v33, 0xffff, v34
	v_mov_b32_e32 v30, v34
.LBB381_105:
	s_or_b64 exec, exec, s[62:63]
	v_mov_b32_dpp v34, v33 row_shr:2 row_mask:0xf bank_mask:0xf
	v_cmp_lt_u32_e32 vcc, 1, v32
	s_and_saveexec_b64 s[62:63], vcc
	s_cbranch_execz .LBB381_109
; %bb.106:
	v_cvt_f32_f16_e32 v35, v34
	v_cvt_f32_f16_e32 v36, v30
	v_cmp_u_f16_e32 vcc, v34, v34
	v_cmp_u_f16_e64 s[60:61], v30, v30
	v_min_f32_e32 v33, v35, v36
	v_max_f32_e32 v30, v35, v36
	v_cndmask_b32_e32 v33, v33, v35, vcc
	v_cndmask_b32_e32 v30, v30, v35, vcc
	v_cndmask_b32_e64 v33, v33, v36, s[60:61]
	v_cndmask_b32_e64 v30, v30, v36, s[60:61]
	s_movk_i32 s60, 0x1f8
	v_cmp_neq_f32_e32 vcc, v33, v30
	v_cmp_class_f32_e64 s[60:61], v33, s60
	s_or_b64 vcc, vcc, s[60:61]
	s_and_saveexec_b64 s[60:61], vcc
	s_cbranch_execz .LBB381_108
; %bb.107:
	v_sub_f32_e32 v33, v33, v30
	s_mov_b32 s64, 0x3fb8aa3b
	v_mul_f32_e32 v34, 0x3fb8aa3b, v33
	v_fma_f32 v35, v33, s64, -v34
	v_rndne_f32_e32 v36, v34
	v_fmac_f32_e32 v35, 0x32a5705f, v33
	v_sub_f32_e32 v34, v34, v36
	v_add_f32_e32 v34, v34, v35
	v_exp_f32_e32 v34, v34
	v_cvt_i32_f32_e32 v35, v36
	s_mov_b32 s64, 0xc2ce8ed0
	v_cmp_ngt_f32_e32 vcc, s64, v33
	s_mov_b32 s64, 0x42b17218
	v_ldexp_f32 v34, v34, v35
	v_cndmask_b32_e32 v34, 0, v34, vcc
	v_mov_b32_e32 v35, 0x7f800000
	v_cmp_nlt_f32_e32 vcc, s64, v33
	v_cndmask_b32_e32 v118, v35, v34, vcc
	v_add_f32_e32 v33, 1.0, v118
	v_add_f32_e32 v34, -1.0, v33
	v_sub_f32_e32 v35, v34, v33
	v_add_f32_e32 v35, 1.0, v35
	v_sub_f32_e32 v34, v118, v34
	v_add_f32_e32 v36, v34, v35
	v_frexp_mant_f32_e32 v37, v33
	s_mov_b32 s64, 0x3f2aaaab
	v_cvt_f64_f32_e32 v[34:35], v33
	v_frexp_exp_i32_f64_e32 v34, v[34:35]
	v_cmp_gt_f32_e32 vcc, s64, v37
	v_subbrev_co_u32_e32 v102, vcc, 0, v34, vcc
	v_sub_u32_e32 v34, 0, v102
	v_ldexp_f32 v33, v33, v34
	v_ldexp_f32 v34, v36, v34
	v_add_f32_e32 v36, -1.0, v33
	v_add_f32_e32 v35, 1.0, v36
	v_sub_f32_e32 v35, v33, v35
	v_add_f32_e32 v37, v34, v35
	v_add_f32_e32 v35, 1.0, v33
	v_add_f32_e32 v98, -1.0, v35
	v_sub_f32_e32 v33, v33, v98
	v_add_f32_e32 v33, v34, v33
	v_add_f32_e32 v103, v35, v33
	v_rcp_f32_e32 v112, v103
	v_sub_f32_e32 v34, v35, v103
	v_add_f32_e32 v35, v36, v37
	v_add_f32_e32 v33, v33, v34
	v_mul_f32_e32 v114, v35, v112
	v_sub_f32_e32 v34, v36, v35
	v_mul_f32_e32 v36, v103, v114
	v_fma_f32 v98, v114, v103, -v36
	v_fmac_f32_e32 v98, v114, v33
	v_add_f32_e32 v113, v37, v34
	v_add_f32_e32 v34, v36, v98
	v_sub_f32_e32 v37, v35, v34
	v_pk_add_f32 v[100:101], v[34:35], v[36:37] neg_lo:[0,1] neg_hi:[0,1]
	v_mov_b32_e32 v99, v34
	v_pk_add_f32 v[34:35], v[100:101], v[98:99] neg_lo:[0,1] neg_hi:[0,1]
	v_add_f32_e32 v35, v113, v35
	v_add_f32_e32 v34, v34, v35
	;; [unrolled: 1-line block ×3, first 2 shown]
	v_mul_f32_e32 v113, v112, v35
	v_mul_f32_e32 v36, v103, v113
	v_fma_f32 v98, v113, v103, -v36
	v_fmac_f32_e32 v98, v113, v33
	v_sub_f32_e32 v33, v37, v35
	v_add_f32_e32 v33, v34, v33
	v_add_f32_e32 v34, v36, v98
	v_sub_f32_e32 v37, v35, v34
	v_pk_add_f32 v[100:101], v[34:35], v[36:37] neg_lo:[0,1] neg_hi:[0,1]
	v_mov_b32_e32 v99, v34
	v_pk_add_f32 v[34:35], v[100:101], v[98:99] neg_lo:[0,1] neg_hi:[0,1]
	v_add_f32_e32 v33, v33, v35
	v_add_f32_e32 v33, v34, v33
	;; [unrolled: 1-line block ×4, first 2 shown]
	v_sub_f32_e32 v35, v34, v114
	v_mul_f32_e32 v33, v112, v33
	v_sub_f32_e32 v35, v113, v35
	v_add_f32_e32 v33, v35, v33
	v_add_f32_e32 v37, v34, v33
	v_mul_f32_e32 v98, v37, v37
	v_mov_b32_e32 v36, 0x3ecc95a3
	v_fmac_f32_e32 v36, 0x3e9b6dac, v98
	v_mov_b32_e32 v35, 0x3f2aaada
	v_fmac_f32_e32 v35, v98, v36
	v_cvt_f32_i32_e32 v36, v102
	v_sub_f32_e32 v34, v37, v34
	v_sub_f32_e32 v33, v33, v34
	v_ldexp_f32 v99, v37, 1
	v_mul_f32_e32 v37, v37, v98
	v_mov_b32_e32 v34, 0x3f317218
	s_mov_b32 s64, 0x3f317218
	v_pk_mul_f32 v[34:35], v[36:37], v[34:35]
	v_fma_f32 v98, v36, s64, -v34
	v_fmac_f32_e32 v98, 0xb102e308, v36
	v_pk_add_f32 v[36:37], v[34:35], v[98:99]
	v_sub_f32_e32 v99, v37, v99
	v_ldexp_f32 v33, v33, 1
	v_sub_f32_e32 v99, v35, v99
	v_add_f32_e32 v101, v33, v99
	v_mov_b32_e32 v100, v34
	v_pk_add_f32 v[34:35], v[36:37], v[34:35] neg_lo:[0,1] neg_hi:[0,1]
	v_pk_add_f32 v[102:103], v[36:37], v[100:101]
	v_mov_b32_e32 v35, v103
	v_mov_b32_e32 v99, v36
	v_pk_add_f32 v[112:113], v[98:99], v[34:35] neg_lo:[0,1] neg_hi:[0,1]
	v_pk_add_f32 v[34:35], v[98:99], v[34:35]
	v_mov_b32_e32 v98, v35
	v_pk_add_f32 v[114:115], v[98:99], v[36:37] neg_lo:[0,1] neg_hi:[0,1]
	v_mov_b32_e32 v33, v114
	v_pk_add_f32 v[116:117], v[102:103], v[32:33] neg_lo:[0,1] neg_hi:[0,1]
	v_mov_b32_e32 v34, v103
	v_mov_b32_e32 v102, v37
	;; [unrolled: 1-line block ×4, first 2 shown]
	v_pk_add_f32 v[34:35], v[34:35], v[102:103] neg_lo:[0,1] neg_hi:[0,1]
	v_mov_b32_e32 v100, v101
	v_mov_b32_e32 v101, v36
	v_pk_add_f32 v[34:35], v[100:101], v[34:35] neg_lo:[0,1] neg_hi:[0,1]
	v_mov_b32_e32 v116, v112
	v_pk_add_f32 v[36:37], v[116:117], v[34:35]
	v_mov_b32_e32 v100, v37
	v_pk_add_f32 v[100:101], v[36:37], v[100:101]
	v_pk_add_f32 v[98:99], v[98:99], v[100:101]
	v_mov_b32_e32 v37, v98
	v_pk_add_f32 v[102:103], v[36:37], v[112:113] neg_lo:[0,1] neg_hi:[0,1]
	v_mov_b32_e32 v35, v100
	v_sub_f32_e32 v33, v36, v102
	v_pk_add_f32 v[34:35], v[34:35], v[102:103] neg_lo:[0,1] neg_hi:[0,1]
	v_sub_f32_e32 v33, v112, v33
	s_mov_b32 s65, 0x7f800000
	v_add_f32_e32 v33, v34, v33
	s_mov_b32 s64, 0x33800000
	v_add_f32_e32 v33, v33, v35
	v_cmp_eq_f32_e32 vcc, s65, v118
	v_cmp_lt_f32_e64 s[64:65], |v118|, s64
	v_add_f32_e32 v33, v98, v33
	s_or_b64 vcc, vcc, s[64:65]
	v_cndmask_b32_e32 v33, v33, v118, vcc
	v_add_f32_e32 v30, v30, v33
	v_cvt_f16_f32_e32 v34, v30
.LBB381_108:
	s_or_b64 exec, exec, s[60:61]
	v_and_b32_e32 v33, 0xffff, v34
	v_mov_b32_e32 v30, v34
.LBB381_109:
	s_or_b64 exec, exec, s[62:63]
	v_mov_b32_dpp v34, v33 row_shr:4 row_mask:0xf bank_mask:0xf
	v_cmp_lt_u32_e32 vcc, 3, v32
	s_and_saveexec_b64 s[62:63], vcc
	s_cbranch_execz .LBB381_113
; %bb.110:
	v_cvt_f32_f16_e32 v35, v34
	v_cvt_f32_f16_e32 v36, v30
	v_cmp_u_f16_e32 vcc, v34, v34
	v_cmp_u_f16_e64 s[60:61], v30, v30
	v_min_f32_e32 v33, v35, v36
	v_max_f32_e32 v30, v35, v36
	v_cndmask_b32_e32 v33, v33, v35, vcc
	v_cndmask_b32_e32 v30, v30, v35, vcc
	v_cndmask_b32_e64 v33, v33, v36, s[60:61]
	v_cndmask_b32_e64 v30, v30, v36, s[60:61]
	s_movk_i32 s60, 0x1f8
	v_cmp_neq_f32_e32 vcc, v33, v30
	v_cmp_class_f32_e64 s[60:61], v33, s60
	s_or_b64 vcc, vcc, s[60:61]
	s_and_saveexec_b64 s[60:61], vcc
	s_cbranch_execz .LBB381_112
; %bb.111:
	v_sub_f32_e32 v33, v33, v30
	s_mov_b32 s64, 0x3fb8aa3b
	v_mul_f32_e32 v34, 0x3fb8aa3b, v33
	v_fma_f32 v35, v33, s64, -v34
	v_rndne_f32_e32 v36, v34
	v_fmac_f32_e32 v35, 0x32a5705f, v33
	v_sub_f32_e32 v34, v34, v36
	v_add_f32_e32 v34, v34, v35
	v_exp_f32_e32 v34, v34
	v_cvt_i32_f32_e32 v35, v36
	s_mov_b32 s64, 0xc2ce8ed0
	v_cmp_ngt_f32_e32 vcc, s64, v33
	s_mov_b32 s64, 0x42b17218
	v_ldexp_f32 v34, v34, v35
	v_cndmask_b32_e32 v34, 0, v34, vcc
	v_mov_b32_e32 v35, 0x7f800000
	v_cmp_nlt_f32_e32 vcc, s64, v33
	v_cndmask_b32_e32 v118, v35, v34, vcc
	v_add_f32_e32 v33, 1.0, v118
	v_add_f32_e32 v34, -1.0, v33
	v_sub_f32_e32 v35, v34, v33
	v_add_f32_e32 v35, 1.0, v35
	v_sub_f32_e32 v34, v118, v34
	v_add_f32_e32 v36, v34, v35
	v_frexp_mant_f32_e32 v37, v33
	s_mov_b32 s64, 0x3f2aaaab
	v_cvt_f64_f32_e32 v[34:35], v33
	v_frexp_exp_i32_f64_e32 v34, v[34:35]
	v_cmp_gt_f32_e32 vcc, s64, v37
	v_subbrev_co_u32_e32 v102, vcc, 0, v34, vcc
	v_sub_u32_e32 v34, 0, v102
	v_ldexp_f32 v33, v33, v34
	v_ldexp_f32 v34, v36, v34
	v_add_f32_e32 v36, -1.0, v33
	v_add_f32_e32 v35, 1.0, v36
	v_sub_f32_e32 v35, v33, v35
	v_add_f32_e32 v37, v34, v35
	v_add_f32_e32 v35, 1.0, v33
	v_add_f32_e32 v98, -1.0, v35
	v_sub_f32_e32 v33, v33, v98
	v_add_f32_e32 v33, v34, v33
	v_add_f32_e32 v103, v35, v33
	v_rcp_f32_e32 v112, v103
	v_sub_f32_e32 v34, v35, v103
	v_add_f32_e32 v35, v36, v37
	v_add_f32_e32 v33, v33, v34
	v_mul_f32_e32 v114, v35, v112
	v_sub_f32_e32 v34, v36, v35
	v_mul_f32_e32 v36, v103, v114
	v_fma_f32 v98, v114, v103, -v36
	v_fmac_f32_e32 v98, v114, v33
	v_add_f32_e32 v113, v37, v34
	v_add_f32_e32 v34, v36, v98
	v_sub_f32_e32 v37, v35, v34
	v_pk_add_f32 v[100:101], v[34:35], v[36:37] neg_lo:[0,1] neg_hi:[0,1]
	v_mov_b32_e32 v99, v34
	v_pk_add_f32 v[34:35], v[100:101], v[98:99] neg_lo:[0,1] neg_hi:[0,1]
	v_add_f32_e32 v35, v113, v35
	v_add_f32_e32 v34, v34, v35
	;; [unrolled: 1-line block ×3, first 2 shown]
	v_mul_f32_e32 v113, v112, v35
	v_mul_f32_e32 v36, v103, v113
	v_fma_f32 v98, v113, v103, -v36
	v_fmac_f32_e32 v98, v113, v33
	v_sub_f32_e32 v33, v37, v35
	v_add_f32_e32 v33, v34, v33
	v_add_f32_e32 v34, v36, v98
	v_sub_f32_e32 v37, v35, v34
	v_pk_add_f32 v[100:101], v[34:35], v[36:37] neg_lo:[0,1] neg_hi:[0,1]
	v_mov_b32_e32 v99, v34
	v_pk_add_f32 v[34:35], v[100:101], v[98:99] neg_lo:[0,1] neg_hi:[0,1]
	v_add_f32_e32 v33, v33, v35
	v_add_f32_e32 v33, v34, v33
	;; [unrolled: 1-line block ×4, first 2 shown]
	v_sub_f32_e32 v35, v34, v114
	v_mul_f32_e32 v33, v112, v33
	v_sub_f32_e32 v35, v113, v35
	v_add_f32_e32 v33, v35, v33
	v_add_f32_e32 v37, v34, v33
	v_mul_f32_e32 v98, v37, v37
	v_mov_b32_e32 v36, 0x3ecc95a3
	v_fmac_f32_e32 v36, 0x3e9b6dac, v98
	v_mov_b32_e32 v35, 0x3f2aaada
	v_fmac_f32_e32 v35, v98, v36
	v_cvt_f32_i32_e32 v36, v102
	v_sub_f32_e32 v34, v37, v34
	v_sub_f32_e32 v33, v33, v34
	v_ldexp_f32 v99, v37, 1
	v_mul_f32_e32 v37, v37, v98
	v_mov_b32_e32 v34, 0x3f317218
	s_mov_b32 s64, 0x3f317218
	v_pk_mul_f32 v[34:35], v[36:37], v[34:35]
	v_fma_f32 v98, v36, s64, -v34
	v_fmac_f32_e32 v98, 0xb102e308, v36
	v_pk_add_f32 v[36:37], v[34:35], v[98:99]
	v_sub_f32_e32 v99, v37, v99
	v_ldexp_f32 v33, v33, 1
	v_sub_f32_e32 v99, v35, v99
	v_add_f32_e32 v101, v33, v99
	v_mov_b32_e32 v100, v34
	v_pk_add_f32 v[34:35], v[36:37], v[34:35] neg_lo:[0,1] neg_hi:[0,1]
	v_pk_add_f32 v[102:103], v[36:37], v[100:101]
	v_mov_b32_e32 v35, v103
	v_mov_b32_e32 v99, v36
	v_pk_add_f32 v[112:113], v[98:99], v[34:35] neg_lo:[0,1] neg_hi:[0,1]
	v_pk_add_f32 v[34:35], v[98:99], v[34:35]
	v_mov_b32_e32 v98, v35
	v_pk_add_f32 v[114:115], v[98:99], v[36:37] neg_lo:[0,1] neg_hi:[0,1]
	v_mov_b32_e32 v33, v114
	v_pk_add_f32 v[116:117], v[102:103], v[32:33] neg_lo:[0,1] neg_hi:[0,1]
	v_mov_b32_e32 v34, v103
	v_mov_b32_e32 v102, v37
	;; [unrolled: 1-line block ×4, first 2 shown]
	v_pk_add_f32 v[34:35], v[34:35], v[102:103] neg_lo:[0,1] neg_hi:[0,1]
	v_mov_b32_e32 v100, v101
	v_mov_b32_e32 v101, v36
	v_pk_add_f32 v[34:35], v[100:101], v[34:35] neg_lo:[0,1] neg_hi:[0,1]
	v_mov_b32_e32 v116, v112
	v_pk_add_f32 v[36:37], v[116:117], v[34:35]
	v_mov_b32_e32 v100, v37
	v_pk_add_f32 v[100:101], v[36:37], v[100:101]
	v_pk_add_f32 v[98:99], v[98:99], v[100:101]
	v_mov_b32_e32 v37, v98
	v_pk_add_f32 v[102:103], v[36:37], v[112:113] neg_lo:[0,1] neg_hi:[0,1]
	v_mov_b32_e32 v35, v100
	v_sub_f32_e32 v33, v36, v102
	v_pk_add_f32 v[34:35], v[34:35], v[102:103] neg_lo:[0,1] neg_hi:[0,1]
	v_sub_f32_e32 v33, v112, v33
	s_mov_b32 s65, 0x7f800000
	v_add_f32_e32 v33, v34, v33
	s_mov_b32 s64, 0x33800000
	v_add_f32_e32 v33, v33, v35
	v_cmp_eq_f32_e32 vcc, s65, v118
	v_cmp_lt_f32_e64 s[64:65], |v118|, s64
	v_add_f32_e32 v33, v98, v33
	s_or_b64 vcc, vcc, s[64:65]
	v_cndmask_b32_e32 v33, v33, v118, vcc
	v_add_f32_e32 v30, v30, v33
	v_cvt_f16_f32_e32 v34, v30
.LBB381_112:
	s_or_b64 exec, exec, s[60:61]
	v_and_b32_e32 v33, 0xffff, v34
	v_mov_b32_e32 v30, v34
.LBB381_113:
	s_or_b64 exec, exec, s[62:63]
	v_mov_b32_dpp v34, v33 row_shr:8 row_mask:0xf bank_mask:0xf
	v_cmp_lt_u32_e32 vcc, 7, v32
	s_and_saveexec_b64 s[62:63], vcc
	s_cbranch_execz .LBB381_117
; %bb.114:
	v_cvt_f32_f16_e32 v33, v34
	v_cvt_f32_f16_e32 v35, v30
	v_cmp_u_f16_e32 vcc, v34, v34
	v_cmp_u_f16_e64 s[60:61], v30, v30
	v_min_f32_e32 v32, v33, v35
	v_max_f32_e32 v30, v33, v35
	v_cndmask_b32_e32 v32, v32, v33, vcc
	v_cndmask_b32_e32 v30, v30, v33, vcc
	v_cndmask_b32_e64 v32, v32, v35, s[60:61]
	v_cndmask_b32_e64 v30, v30, v35, s[60:61]
	s_movk_i32 s60, 0x1f8
	v_cmp_neq_f32_e32 vcc, v32, v30
	v_cmp_class_f32_e64 s[60:61], v32, s60
	s_or_b64 vcc, vcc, s[60:61]
	s_and_saveexec_b64 s[60:61], vcc
	s_cbranch_execz .LBB381_116
; %bb.115:
	v_sub_f32_e32 v32, v32, v30
	s_mov_b32 s64, 0x3fb8aa3b
	v_mul_f32_e32 v33, 0x3fb8aa3b, v32
	v_fma_f32 v34, v32, s64, -v33
	v_rndne_f32_e32 v35, v33
	v_fmac_f32_e32 v34, 0x32a5705f, v32
	v_sub_f32_e32 v33, v33, v35
	v_add_f32_e32 v33, v33, v34
	v_exp_f32_e32 v33, v33
	v_cvt_i32_f32_e32 v34, v35
	s_mov_b32 s64, 0xc2ce8ed0
	v_cmp_ngt_f32_e32 vcc, s64, v32
	s_mov_b32 s64, 0x42b17218
	v_ldexp_f32 v33, v33, v34
	v_cndmask_b32_e32 v33, 0, v33, vcc
	v_mov_b32_e32 v34, 0x7f800000
	v_cmp_nlt_f32_e32 vcc, s64, v32
	v_cndmask_b32_e32 v116, v34, v33, vcc
	v_add_f32_e32 v34, 1.0, v116
	v_add_f32_e32 v32, -1.0, v34
	v_sub_f32_e32 v33, v32, v34
	v_add_f32_e32 v33, 1.0, v33
	v_sub_f32_e32 v32, v116, v32
	v_add_f32_e32 v35, v32, v33
	v_frexp_mant_f32_e32 v36, v34
	s_mov_b32 s64, 0x3f2aaaab
	v_cvt_f64_f32_e32 v[32:33], v34
	v_frexp_exp_i32_f64_e32 v32, v[32:33]
	v_cmp_gt_f32_e32 vcc, s64, v36
	v_subbrev_co_u32_e32 v100, vcc, 0, v32, vcc
	v_sub_u32_e32 v32, 0, v100
	v_ldexp_f32 v33, v34, v32
	v_add_f32_e32 v34, -1.0, v33
	v_add_f32_e32 v36, 1.0, v33
	v_ldexp_f32 v32, v35, v32
	v_add_f32_e32 v35, 1.0, v34
	v_add_f32_e32 v37, -1.0, v36
	v_sub_f32_e32 v35, v33, v35
	v_sub_f32_e32 v33, v33, v37
	v_add_f32_e32 v35, v32, v35
	v_add_f32_e32 v32, v32, v33
	;; [unrolled: 1-line block ×3, first 2 shown]
	v_rcp_f32_e32 v103, v101
	v_sub_f32_e32 v33, v36, v101
	v_add_f32_e32 v102, v32, v33
	v_add_f32_e32 v33, v34, v35
	v_mul_f32_e32 v113, v33, v103
	v_sub_f32_e32 v32, v34, v33
	v_mul_f32_e32 v34, v101, v113
	v_fma_f32 v36, v113, v101, -v34
	v_fmac_f32_e32 v36, v113, v102
	v_add_f32_e32 v112, v35, v32
	v_add_f32_e32 v32, v34, v36
	v_sub_f32_e32 v35, v33, v32
	v_pk_add_f32 v[98:99], v[32:33], v[34:35] neg_lo:[0,1] neg_hi:[0,1]
	v_mov_b32_e32 v37, v32
	v_pk_add_f32 v[32:33], v[98:99], v[36:37] neg_lo:[0,1] neg_hi:[0,1]
	v_add_f32_e32 v33, v112, v33
	v_add_f32_e32 v32, v32, v33
	;; [unrolled: 1-line block ×3, first 2 shown]
	v_mul_f32_e32 v112, v103, v33
	v_mul_f32_e32 v34, v101, v112
	v_fma_f32 v36, v112, v101, -v34
	v_fmac_f32_e32 v36, v112, v102
	v_sub_f32_e32 v35, v35, v33
	v_add_f32_e32 v101, v32, v35
	v_add_f32_e32 v32, v34, v36
	v_sub_f32_e32 v35, v33, v32
	v_pk_add_f32 v[98:99], v[32:33], v[34:35] neg_lo:[0,1] neg_hi:[0,1]
	v_mov_b32_e32 v37, v32
	v_pk_add_f32 v[32:33], v[98:99], v[36:37] neg_lo:[0,1] neg_hi:[0,1]
	v_add_f32_e32 v33, v101, v33
	v_add_f32_e32 v32, v32, v33
	;; [unrolled: 1-line block ×4, first 2 shown]
	v_sub_f32_e32 v33, v35, v113
	v_mul_f32_e32 v32, v103, v32
	v_sub_f32_e32 v33, v112, v33
	v_add_f32_e32 v32, v33, v32
	v_add_f32_e32 v36, v35, v32
	v_mul_f32_e32 v98, v36, v36
	v_mov_b32_e32 v34, 0x3ecc95a3
	v_fmac_f32_e32 v34, 0x3e9b6dac, v98
	v_mov_b32_e32 v33, 0x3f2aaada
	v_fmac_f32_e32 v33, v98, v34
	v_cvt_f32_i32_e32 v34, v100
	v_sub_f32_e32 v35, v36, v35
	v_sub_f32_e32 v32, v32, v35
	v_ldexp_f32 v99, v32, 1
	v_mul_f32_e32 v35, v36, v98
	v_mov_b32_e32 v32, 0x3f317218
	s_mov_b32 s64, 0x3f317218
	v_pk_mul_f32 v[32:33], v[34:35], v[32:33]
	v_ldexp_f32 v37, v36, 1
	v_fma_f32 v36, v34, s64, -v32
	v_fmac_f32_e32 v36, 0xb102e308, v34
	v_pk_add_f32 v[34:35], v[32:33], v[36:37]
	v_sub_f32_e32 v37, v35, v37
	v_sub_f32_e32 v37, v33, v37
	v_add_f32_e32 v99, v99, v37
	v_mov_b32_e32 v98, v32
	v_pk_add_f32 v[32:33], v[34:35], v[32:33] neg_lo:[0,1] neg_hi:[0,1]
	v_pk_add_f32 v[100:101], v[34:35], v[98:99]
	v_mov_b32_e32 v33, v101
	v_mov_b32_e32 v37, v34
	v_pk_add_f32 v[102:103], v[36:37], v[32:33] neg_lo:[0,1] neg_hi:[0,1]
	v_pk_add_f32 v[32:33], v[36:37], v[32:33]
	v_mov_b32_e32 v36, v33
	v_pk_add_f32 v[112:113], v[36:37], v[34:35] neg_lo:[0,1] neg_hi:[0,1]
	v_mov_b32_e32 v37, v112
	v_pk_add_f32 v[114:115], v[100:101], v[36:37] neg_lo:[0,1] neg_hi:[0,1]
	v_mov_b32_e32 v32, v101
	v_mov_b32_e32 v100, v35
	;; [unrolled: 1-line block ×4, first 2 shown]
	v_pk_add_f32 v[32:33], v[32:33], v[100:101] neg_lo:[0,1] neg_hi:[0,1]
	v_mov_b32_e32 v98, v99
	v_mov_b32_e32 v99, v34
	v_pk_add_f32 v[32:33], v[98:99], v[32:33] neg_lo:[0,1] neg_hi:[0,1]
	v_mov_b32_e32 v114, v102
	v_pk_add_f32 v[34:35], v[114:115], v[32:33]
	v_mov_b32_e32 v98, v35
	v_pk_add_f32 v[98:99], v[34:35], v[98:99]
	v_pk_add_f32 v[36:37], v[36:37], v[98:99]
	v_mov_b32_e32 v35, v36
	v_pk_add_f32 v[100:101], v[34:35], v[102:103] neg_lo:[0,1] neg_hi:[0,1]
	v_mov_b32_e32 v33, v98
	v_sub_f32_e32 v34, v34, v100
	v_pk_add_f32 v[32:33], v[32:33], v[100:101] neg_lo:[0,1] neg_hi:[0,1]
	v_sub_f32_e32 v34, v102, v34
	s_mov_b32 s65, 0x7f800000
	v_add_f32_e32 v32, v32, v34
	s_mov_b32 s64, 0x33800000
	v_add_f32_e32 v32, v32, v33
	v_cmp_eq_f32_e32 vcc, s65, v116
	v_cmp_lt_f32_e64 s[64:65], |v116|, s64
	v_add_f32_e32 v32, v36, v32
	s_or_b64 vcc, vcc, s[64:65]
	v_cndmask_b32_e32 v32, v32, v116, vcc
	v_add_f32_e32 v30, v30, v32
	v_cvt_f16_f32_e32 v34, v30
.LBB381_116:
	s_or_b64 exec, exec, s[60:61]
	v_and_b32_e32 v33, 0xffff, v34
	v_mov_b32_e32 v30, v34
.LBB381_117:
	s_or_b64 exec, exec, s[62:63]
	v_and_b32_e32 v34, 16, v31
	v_mov_b32_dpp v32, v33 row_bcast:15 row_mask:0xf bank_mask:0xf
	v_cmp_ne_u32_e32 vcc, 0, v34
	s_and_saveexec_b64 s[62:63], vcc
	s_cbranch_execz .LBB381_121
; %bb.118:
	v_cvt_f32_f16_e32 v34, v32
	v_cvt_f32_f16_e32 v35, v30
	v_cmp_u_f16_e32 vcc, v32, v32
	v_cmp_u_f16_e64 s[60:61], v30, v30
	v_min_f32_e32 v33, v34, v35
	v_max_f32_e32 v30, v34, v35
	v_cndmask_b32_e32 v33, v33, v34, vcc
	v_cndmask_b32_e32 v30, v30, v34, vcc
	v_cndmask_b32_e64 v33, v33, v35, s[60:61]
	v_cndmask_b32_e64 v30, v30, v35, s[60:61]
	s_movk_i32 s60, 0x1f8
	v_cmp_neq_f32_e32 vcc, v33, v30
	v_cmp_class_f32_e64 s[60:61], v33, s60
	s_or_b64 vcc, vcc, s[60:61]
	s_and_saveexec_b64 s[60:61], vcc
	s_cbranch_execz .LBB381_120
; %bb.119:
	v_sub_f32_e32 v32, v33, v30
	s_mov_b32 s64, 0x3fb8aa3b
	v_mul_f32_e32 v33, 0x3fb8aa3b, v32
	v_fma_f32 v34, v32, s64, -v33
	v_rndne_f32_e32 v35, v33
	v_fmac_f32_e32 v34, 0x32a5705f, v32
	v_sub_f32_e32 v33, v33, v35
	v_add_f32_e32 v33, v33, v34
	v_exp_f32_e32 v33, v33
	v_cvt_i32_f32_e32 v34, v35
	s_mov_b32 s64, 0xc2ce8ed0
	v_cmp_ngt_f32_e32 vcc, s64, v32
	s_mov_b32 s64, 0x42b17218
	v_ldexp_f32 v33, v33, v34
	v_cndmask_b32_e32 v33, 0, v33, vcc
	v_mov_b32_e32 v34, 0x7f800000
	v_cmp_nlt_f32_e32 vcc, s64, v32
	v_cndmask_b32_e32 v116, v34, v33, vcc
	v_add_f32_e32 v34, 1.0, v116
	v_add_f32_e32 v32, -1.0, v34
	v_sub_f32_e32 v33, v32, v34
	v_add_f32_e32 v33, 1.0, v33
	v_sub_f32_e32 v32, v116, v32
	v_add_f32_e32 v35, v32, v33
	v_frexp_mant_f32_e32 v36, v34
	s_mov_b32 s64, 0x3f2aaaab
	v_cvt_f64_f32_e32 v[32:33], v34
	v_frexp_exp_i32_f64_e32 v32, v[32:33]
	v_cmp_gt_f32_e32 vcc, s64, v36
	v_subbrev_co_u32_e32 v100, vcc, 0, v32, vcc
	v_sub_u32_e32 v32, 0, v100
	v_ldexp_f32 v33, v34, v32
	v_add_f32_e32 v34, -1.0, v33
	v_add_f32_e32 v36, 1.0, v33
	v_ldexp_f32 v32, v35, v32
	v_add_f32_e32 v35, 1.0, v34
	v_add_f32_e32 v37, -1.0, v36
	v_sub_f32_e32 v35, v33, v35
	v_sub_f32_e32 v33, v33, v37
	v_add_f32_e32 v35, v32, v35
	v_add_f32_e32 v32, v32, v33
	;; [unrolled: 1-line block ×3, first 2 shown]
	v_rcp_f32_e32 v103, v101
	v_sub_f32_e32 v33, v36, v101
	v_add_f32_e32 v102, v32, v33
	v_add_f32_e32 v33, v34, v35
	v_mul_f32_e32 v113, v33, v103
	v_sub_f32_e32 v32, v34, v33
	v_mul_f32_e32 v34, v101, v113
	v_fma_f32 v36, v113, v101, -v34
	v_fmac_f32_e32 v36, v113, v102
	v_add_f32_e32 v112, v35, v32
	v_add_f32_e32 v32, v34, v36
	v_sub_f32_e32 v35, v33, v32
	v_pk_add_f32 v[98:99], v[32:33], v[34:35] neg_lo:[0,1] neg_hi:[0,1]
	v_mov_b32_e32 v37, v32
	v_pk_add_f32 v[32:33], v[98:99], v[36:37] neg_lo:[0,1] neg_hi:[0,1]
	v_add_f32_e32 v33, v112, v33
	v_add_f32_e32 v32, v32, v33
	v_add_f32_e32 v33, v35, v32
	v_mul_f32_e32 v112, v103, v33
	v_mul_f32_e32 v34, v101, v112
	v_fma_f32 v36, v112, v101, -v34
	v_fmac_f32_e32 v36, v112, v102
	v_sub_f32_e32 v35, v35, v33
	v_add_f32_e32 v101, v32, v35
	v_add_f32_e32 v32, v34, v36
	v_sub_f32_e32 v35, v33, v32
	v_pk_add_f32 v[98:99], v[32:33], v[34:35] neg_lo:[0,1] neg_hi:[0,1]
	v_mov_b32_e32 v37, v32
	v_pk_add_f32 v[32:33], v[98:99], v[36:37] neg_lo:[0,1] neg_hi:[0,1]
	v_add_f32_e32 v33, v101, v33
	v_add_f32_e32 v32, v32, v33
	;; [unrolled: 1-line block ×4, first 2 shown]
	v_sub_f32_e32 v33, v35, v113
	v_mul_f32_e32 v32, v103, v32
	v_sub_f32_e32 v33, v112, v33
	v_add_f32_e32 v32, v33, v32
	v_add_f32_e32 v36, v35, v32
	v_mul_f32_e32 v98, v36, v36
	v_mov_b32_e32 v34, 0x3ecc95a3
	v_fmac_f32_e32 v34, 0x3e9b6dac, v98
	v_mov_b32_e32 v33, 0x3f2aaada
	v_fmac_f32_e32 v33, v98, v34
	v_cvt_f32_i32_e32 v34, v100
	v_sub_f32_e32 v35, v36, v35
	v_sub_f32_e32 v32, v32, v35
	v_ldexp_f32 v99, v32, 1
	v_mul_f32_e32 v35, v36, v98
	v_mov_b32_e32 v32, 0x3f317218
	s_mov_b32 s64, 0x3f317218
	v_pk_mul_f32 v[32:33], v[34:35], v[32:33]
	v_ldexp_f32 v37, v36, 1
	v_fma_f32 v36, v34, s64, -v32
	v_fmac_f32_e32 v36, 0xb102e308, v34
	v_pk_add_f32 v[34:35], v[32:33], v[36:37]
	v_sub_f32_e32 v37, v35, v37
	v_sub_f32_e32 v37, v33, v37
	v_add_f32_e32 v99, v99, v37
	v_mov_b32_e32 v98, v32
	v_pk_add_f32 v[32:33], v[34:35], v[32:33] neg_lo:[0,1] neg_hi:[0,1]
	v_pk_add_f32 v[100:101], v[34:35], v[98:99]
	v_mov_b32_e32 v33, v101
	v_mov_b32_e32 v37, v34
	v_pk_add_f32 v[102:103], v[36:37], v[32:33] neg_lo:[0,1] neg_hi:[0,1]
	v_pk_add_f32 v[32:33], v[36:37], v[32:33]
	v_mov_b32_e32 v36, v33
	v_pk_add_f32 v[112:113], v[36:37], v[34:35] neg_lo:[0,1] neg_hi:[0,1]
	v_mov_b32_e32 v37, v112
	v_pk_add_f32 v[114:115], v[100:101], v[36:37] neg_lo:[0,1] neg_hi:[0,1]
	v_mov_b32_e32 v32, v101
	v_mov_b32_e32 v100, v35
	v_mov_b32_e32 v101, v112
	v_mov_b32_e32 v103, v33
	v_pk_add_f32 v[32:33], v[32:33], v[100:101] neg_lo:[0,1] neg_hi:[0,1]
	v_mov_b32_e32 v98, v99
	v_mov_b32_e32 v99, v34
	v_pk_add_f32 v[32:33], v[98:99], v[32:33] neg_lo:[0,1] neg_hi:[0,1]
	v_mov_b32_e32 v114, v102
	v_pk_add_f32 v[34:35], v[114:115], v[32:33]
	v_mov_b32_e32 v98, v35
	v_pk_add_f32 v[98:99], v[34:35], v[98:99]
	v_pk_add_f32 v[36:37], v[36:37], v[98:99]
	v_mov_b32_e32 v35, v36
	v_pk_add_f32 v[100:101], v[34:35], v[102:103] neg_lo:[0,1] neg_hi:[0,1]
	v_mov_b32_e32 v33, v98
	v_sub_f32_e32 v34, v34, v100
	v_pk_add_f32 v[32:33], v[32:33], v[100:101] neg_lo:[0,1] neg_hi:[0,1]
	v_sub_f32_e32 v34, v102, v34
	s_mov_b32 s65, 0x7f800000
	v_add_f32_e32 v32, v32, v34
	s_mov_b32 s64, 0x33800000
	v_add_f32_e32 v32, v32, v33
	v_cmp_eq_f32_e32 vcc, s65, v116
	v_cmp_lt_f32_e64 s[64:65], |v116|, s64
	v_add_f32_e32 v32, v36, v32
	s_or_b64 vcc, vcc, s[64:65]
	v_cndmask_b32_e32 v32, v32, v116, vcc
	v_add_f32_e32 v30, v30, v32
	v_cvt_f16_f32_e32 v32, v30
.LBB381_120:
	s_or_b64 exec, exec, s[60:61]
	v_and_b32_e32 v33, 0xffff, v32
	v_mov_b32_e32 v30, v32
.LBB381_121:
	s_or_b64 exec, exec, s[62:63]
	v_mov_b32_dpp v32, v33 row_bcast:31 row_mask:0xf bank_mask:0xf
	v_cmp_lt_u32_e32 vcc, 31, v31
	s_and_saveexec_b64 s[62:63], vcc
	s_cbranch_execz .LBB381_125
; %bb.122:
	v_cvt_f32_f16_e32 v34, v32
	v_cvt_f32_f16_e32 v35, v30
	v_cmp_u_f16_e32 vcc, v32, v32
	v_cmp_u_f16_e64 s[60:61], v30, v30
	v_min_f32_e32 v33, v34, v35
	v_max_f32_e32 v30, v34, v35
	v_cndmask_b32_e32 v33, v33, v34, vcc
	v_cndmask_b32_e32 v30, v30, v34, vcc
	v_cndmask_b32_e64 v33, v33, v35, s[60:61]
	v_cndmask_b32_e64 v30, v30, v35, s[60:61]
	s_movk_i32 s60, 0x1f8
	v_cmp_neq_f32_e32 vcc, v33, v30
	v_cmp_class_f32_e64 s[60:61], v33, s60
	s_or_b64 vcc, vcc, s[60:61]
	s_and_saveexec_b64 s[60:61], vcc
	s_cbranch_execz .LBB381_124
; %bb.123:
	v_sub_f32_e32 v32, v33, v30
	s_mov_b32 s64, 0x3fb8aa3b
	v_mul_f32_e32 v33, 0x3fb8aa3b, v32
	v_fma_f32 v34, v32, s64, -v33
	v_rndne_f32_e32 v35, v33
	v_fmac_f32_e32 v34, 0x32a5705f, v32
	v_sub_f32_e32 v33, v33, v35
	v_add_f32_e32 v33, v33, v34
	v_exp_f32_e32 v33, v33
	v_cvt_i32_f32_e32 v34, v35
	s_mov_b32 s64, 0xc2ce8ed0
	v_cmp_ngt_f32_e32 vcc, s64, v32
	s_mov_b32 s64, 0x42b17218
	v_ldexp_f32 v33, v33, v34
	v_cndmask_b32_e32 v33, 0, v33, vcc
	v_mov_b32_e32 v34, 0x7f800000
	v_cmp_nlt_f32_e32 vcc, s64, v32
	v_cndmask_b32_e32 v116, v34, v33, vcc
	v_add_f32_e32 v34, 1.0, v116
	v_add_f32_e32 v32, -1.0, v34
	v_sub_f32_e32 v33, v32, v34
	v_add_f32_e32 v33, 1.0, v33
	v_sub_f32_e32 v32, v116, v32
	v_add_f32_e32 v35, v32, v33
	v_frexp_mant_f32_e32 v36, v34
	s_mov_b32 s64, 0x3f2aaaab
	v_cvt_f64_f32_e32 v[32:33], v34
	v_frexp_exp_i32_f64_e32 v32, v[32:33]
	v_cmp_gt_f32_e32 vcc, s64, v36
	v_subbrev_co_u32_e32 v100, vcc, 0, v32, vcc
	v_sub_u32_e32 v32, 0, v100
	v_ldexp_f32 v33, v34, v32
	v_add_f32_e32 v34, -1.0, v33
	v_add_f32_e32 v36, 1.0, v33
	v_ldexp_f32 v32, v35, v32
	v_add_f32_e32 v35, 1.0, v34
	v_add_f32_e32 v37, -1.0, v36
	v_sub_f32_e32 v35, v33, v35
	v_sub_f32_e32 v33, v33, v37
	v_add_f32_e32 v35, v32, v35
	v_add_f32_e32 v32, v32, v33
	;; [unrolled: 1-line block ×3, first 2 shown]
	v_rcp_f32_e32 v103, v101
	v_sub_f32_e32 v33, v36, v101
	v_add_f32_e32 v102, v32, v33
	v_add_f32_e32 v33, v34, v35
	v_mul_f32_e32 v113, v33, v103
	v_sub_f32_e32 v32, v34, v33
	v_mul_f32_e32 v34, v101, v113
	v_fma_f32 v36, v113, v101, -v34
	v_fmac_f32_e32 v36, v113, v102
	v_add_f32_e32 v112, v35, v32
	v_add_f32_e32 v32, v34, v36
	v_sub_f32_e32 v35, v33, v32
	v_pk_add_f32 v[98:99], v[32:33], v[34:35] neg_lo:[0,1] neg_hi:[0,1]
	v_mov_b32_e32 v37, v32
	v_pk_add_f32 v[32:33], v[98:99], v[36:37] neg_lo:[0,1] neg_hi:[0,1]
	v_add_f32_e32 v33, v112, v33
	v_add_f32_e32 v32, v32, v33
	;; [unrolled: 1-line block ×3, first 2 shown]
	v_mul_f32_e32 v112, v103, v33
	v_mul_f32_e32 v34, v101, v112
	v_fma_f32 v36, v112, v101, -v34
	v_fmac_f32_e32 v36, v112, v102
	v_sub_f32_e32 v35, v35, v33
	v_add_f32_e32 v101, v32, v35
	v_add_f32_e32 v32, v34, v36
	v_sub_f32_e32 v35, v33, v32
	v_pk_add_f32 v[98:99], v[32:33], v[34:35] neg_lo:[0,1] neg_hi:[0,1]
	v_mov_b32_e32 v37, v32
	v_pk_add_f32 v[32:33], v[98:99], v[36:37] neg_lo:[0,1] neg_hi:[0,1]
	v_add_f32_e32 v33, v101, v33
	v_add_f32_e32 v32, v32, v33
	;; [unrolled: 1-line block ×4, first 2 shown]
	v_sub_f32_e32 v33, v35, v113
	v_mul_f32_e32 v32, v103, v32
	v_sub_f32_e32 v33, v112, v33
	v_add_f32_e32 v32, v33, v32
	v_add_f32_e32 v36, v35, v32
	v_mul_f32_e32 v98, v36, v36
	v_mov_b32_e32 v34, 0x3ecc95a3
	v_fmac_f32_e32 v34, 0x3e9b6dac, v98
	v_mov_b32_e32 v33, 0x3f2aaada
	v_fmac_f32_e32 v33, v98, v34
	v_cvt_f32_i32_e32 v34, v100
	v_sub_f32_e32 v35, v36, v35
	v_sub_f32_e32 v32, v32, v35
	v_ldexp_f32 v99, v32, 1
	v_mul_f32_e32 v35, v36, v98
	v_mov_b32_e32 v32, 0x3f317218
	s_mov_b32 s64, 0x3f317218
	v_pk_mul_f32 v[32:33], v[34:35], v[32:33]
	v_ldexp_f32 v37, v36, 1
	v_fma_f32 v36, v34, s64, -v32
	v_fmac_f32_e32 v36, 0xb102e308, v34
	v_pk_add_f32 v[34:35], v[32:33], v[36:37]
	v_sub_f32_e32 v37, v35, v37
	v_sub_f32_e32 v37, v33, v37
	v_add_f32_e32 v99, v99, v37
	v_mov_b32_e32 v98, v32
	v_pk_add_f32 v[32:33], v[34:35], v[32:33] neg_lo:[0,1] neg_hi:[0,1]
	v_pk_add_f32 v[100:101], v[34:35], v[98:99]
	v_mov_b32_e32 v33, v101
	v_mov_b32_e32 v37, v34
	v_pk_add_f32 v[102:103], v[36:37], v[32:33] neg_lo:[0,1] neg_hi:[0,1]
	v_pk_add_f32 v[32:33], v[36:37], v[32:33]
	v_mov_b32_e32 v36, v33
	v_pk_add_f32 v[112:113], v[36:37], v[34:35] neg_lo:[0,1] neg_hi:[0,1]
	v_mov_b32_e32 v37, v112
	v_pk_add_f32 v[114:115], v[100:101], v[36:37] neg_lo:[0,1] neg_hi:[0,1]
	v_mov_b32_e32 v32, v101
	v_mov_b32_e32 v100, v35
	;; [unrolled: 1-line block ×4, first 2 shown]
	v_pk_add_f32 v[32:33], v[32:33], v[100:101] neg_lo:[0,1] neg_hi:[0,1]
	v_mov_b32_e32 v98, v99
	v_mov_b32_e32 v99, v34
	v_pk_add_f32 v[32:33], v[98:99], v[32:33] neg_lo:[0,1] neg_hi:[0,1]
	v_mov_b32_e32 v114, v102
	v_pk_add_f32 v[34:35], v[114:115], v[32:33]
	v_mov_b32_e32 v98, v35
	v_pk_add_f32 v[98:99], v[34:35], v[98:99]
	v_pk_add_f32 v[36:37], v[36:37], v[98:99]
	v_mov_b32_e32 v35, v36
	v_pk_add_f32 v[100:101], v[34:35], v[102:103] neg_lo:[0,1] neg_hi:[0,1]
	v_mov_b32_e32 v33, v98
	v_sub_f32_e32 v34, v34, v100
	v_pk_add_f32 v[32:33], v[32:33], v[100:101] neg_lo:[0,1] neg_hi:[0,1]
	v_sub_f32_e32 v34, v102, v34
	s_mov_b32 s65, 0x7f800000
	v_add_f32_e32 v32, v32, v34
	s_mov_b32 s64, 0x33800000
	v_add_f32_e32 v32, v32, v33
	v_cmp_eq_f32_e32 vcc, s65, v116
	v_cmp_lt_f32_e64 s[64:65], |v116|, s64
	v_add_f32_e32 v32, v36, v32
	s_or_b64 vcc, vcc, s[64:65]
	v_cndmask_b32_e32 v32, v32, v116, vcc
	v_add_f32_e32 v30, v30, v32
	v_cvt_f16_f32_e32 v32, v30
.LBB381_124:
	s_or_b64 exec, exec, s[60:61]
	v_mov_b32_e32 v30, v32
.LBB381_125:
	s_or_b64 exec, exec, s[62:63]
	v_cmp_eq_u32_e32 vcc, 63, v28
	s_and_saveexec_b64 s[60:61], vcc
	s_cbranch_execz .LBB381_127
; %bb.126:
	v_mov_b32_e32 v32, 0
	ds_write_b16 v32, v30
.LBB381_127:
	s_or_b64 exec, exec, s[60:61]
	v_add_u32_e32 v32, -1, v31
	v_and_b32_e32 v33, 64, v31
	v_cmp_lt_i32_e32 vcc, v32, v33
	v_cndmask_b32_e32 v32, v32, v31, vcc
	v_and_b32_e32 v30, 0xffff, v30
	v_lshlrev_b32_e32 v32, 2, v32
	ds_bpermute_b32 v98, v32, v30
	v_cmp_gt_u32_e32 vcc, 64, v28
	s_waitcnt lgkmcnt(0)
	; wave barrier
	s_waitcnt lgkmcnt(0)
	s_and_saveexec_b64 s[64:65], vcc
	s_cbranch_execz .LBB381_202
; %bb.128:
	v_mov_b32_e32 v35, 0
	ds_read_u16 v99, v35
	s_mov_b32 vcc_hi, 0
	v_cmp_eq_u32_e64 s[60:61], 0, v31
	s_and_saveexec_b64 s[62:63], s[60:61]
	s_cbranch_execz .LBB381_130
; %bb.129:
	s_add_i32 vcc_lo, s68, 64
	s_lshl_b64 vcc, vcc, 2
	v_mov_b32_e32 v30, vcc_hi
	v_add_co_u32_e32 v32, vcc, vcc_lo, v24
	v_addc_co_u32_e32 v33, vcc, v25, v30, vcc
	s_waitcnt lgkmcnt(0)
	v_or_b32_e32 v30, 0x10000, v99
	flat_store_dword v[32:33], v30
.LBB381_130:
	s_or_b64 exec, exec, s[62:63]
	v_xad_u32 v30, v31, -1, s68
	v_add_u32_e32 v34, 64, v30
	v_lshlrev_b64 v[32:33], 2, v[34:35]
	v_add_co_u32_e32 v32, vcc, v24, v32
	v_addc_co_u32_e32 v33, vcc, v25, v33, vcc
	flat_load_dword v133, v[32:33] glc
	s_waitcnt vmcnt(0) lgkmcnt(0)
	v_lshrrev_b32_e32 v102, 16, v133
	v_cmp_eq_u16_sdwa s[62:63], v102, v35 src0_sel:BYTE_0 src1_sel:DWORD
	s_and_saveexec_b64 vcc, s[62:63]
	s_cbranch_execz .LBB381_136
; %bb.131:
	s_mov_b32 s66, 1
	s_mov_b64 s[62:63], 0
	v_mov_b32_e32 v34, 0
.LBB381_132:                            ; =>This Loop Header: Depth=1
                                        ;     Child Loop BB381_133 Depth 2
	s_max_u32 s67, s66, 1
.LBB381_133:                            ;   Parent Loop BB381_132 Depth=1
                                        ; =>  This Inner Loop Header: Depth=2
	s_add_i32 s67, s67, -1
	s_cmp_eq_u32 s67, 0
	s_sleep 1
	s_cbranch_scc0 .LBB381_133
; %bb.134:                              ;   in Loop: Header=BB381_132 Depth=1
	flat_load_dword v133, v[32:33] glc
	s_cmp_lt_u32 s66, 32
	s_cselect_b64 s[70:71], -1, 0
	s_cmp_lg_u64 s[70:71], 0
	s_addc_u32 s66, s66, 0
	s_waitcnt vmcnt(0) lgkmcnt(0)
	v_lshrrev_b32_e32 v102, 16, v133
	v_cmp_ne_u16_sdwa s[70:71], v102, v34 src0_sel:BYTE_0 src1_sel:DWORD
	s_or_b64 s[62:63], s[70:71], s[62:63]
	s_andn2_b64 exec, exec, s[62:63]
	s_cbranch_execnz .LBB381_132
; %bb.135:
	s_or_b64 exec, exec, s[62:63]
.LBB381_136:
	s_or_b64 exec, exec, vcc
	v_mov_b32_e32 v32, 2
	v_cmp_eq_u16_sdwa vcc, v102, v32 src0_sel:BYTE_0 src1_sel:DWORD
	v_lshlrev_b64 v[32:33], v31, -1
	v_and_b32_e32 v100, 63, v31
	v_and_b32_e32 v34, vcc_hi, v33
	v_and_b32_e32 v37, vcc_lo, v32
	v_cmp_ne_u32_e32 vcc, 63, v100
	v_addc_co_u32_e32 v36, vcc, 0, v31, vcc
	v_and_b32_e32 v35, 0xffff, v133
	v_lshlrev_b32_e32 v101, 2, v36
	v_or_b32_e32 v34, 0x80000000, v34
	ds_bpermute_b32 v36, v101, v35
	v_ffbl_b32_e32 v34, v34
	v_add_u32_e32 v34, 32, v34
	v_ffbl_b32_e32 v37, v37
	v_min_u32_e32 v34, v37, v34
	v_cmp_lt_u32_e32 vcc, v100, v34
	s_and_saveexec_b64 s[66:67], vcc
	s_cbranch_execz .LBB381_140
; %bb.137:
	s_waitcnt lgkmcnt(0)
	v_cvt_f32_f16_e32 v35, v36
	v_cvt_f32_f16_e32 v103, v133
	v_cmp_u_f16_e32 vcc, v36, v36
	v_cmp_u_f16_e64 s[62:63], v133, v133
	v_min_f32_e32 v37, v35, v103
	v_max_f32_e32 v112, v35, v103
	v_cndmask_b32_e32 v37, v37, v35, vcc
	v_cndmask_b32_e32 v35, v112, v35, vcc
	v_cndmask_b32_e64 v37, v37, v103, s[62:63]
	v_cndmask_b32_e64 v35, v35, v103, s[62:63]
	s_movk_i32 s62, 0x1f8
	v_cmp_neq_f32_e32 vcc, v37, v35
	v_cmp_class_f32_e64 s[62:63], v37, s62
	s_or_b64 vcc, vcc, s[62:63]
	s_and_saveexec_b64 s[62:63], vcc
	s_cbranch_execz .LBB381_139
; %bb.138:
	v_sub_f32_e32 v36, v37, v35
	s_mov_b32 s69, 0x3fb8aa3b
	v_mul_f32_e32 v37, 0x3fb8aa3b, v36
	v_fma_f32 v103, v36, s69, -v37
	v_rndne_f32_e32 v112, v37
	v_fmac_f32_e32 v103, 0x32a5705f, v36
	v_sub_f32_e32 v37, v37, v112
	v_add_f32_e32 v37, v37, v103
	v_exp_f32_e32 v37, v37
	v_cvt_i32_f32_e32 v103, v112
	s_mov_b32 s69, 0xc2ce8ed0
	v_cmp_ngt_f32_e32 vcc, s69, v36
	s_mov_b32 s69, 0x42b17218
	v_ldexp_f32 v37, v37, v103
	v_cndmask_b32_e32 v37, 0, v37, vcc
	v_mov_b32_e32 v103, 0x7f800000
	v_cmp_nlt_f32_e32 vcc, s69, v36
	v_cndmask_b32_e32 v134, v103, v37, vcc
	v_add_f32_e32 v103, 1.0, v134
	v_add_f32_e32 v36, -1.0, v103
	v_sub_f32_e32 v37, v36, v103
	v_add_f32_e32 v37, 1.0, v37
	v_sub_f32_e32 v36, v134, v36
	v_add_f32_e32 v112, v36, v37
	v_frexp_mant_f32_e32 v113, v103
	s_mov_b32 s69, 0x3f2aaaab
	v_cvt_f64_f32_e32 v[36:37], v103
	v_frexp_exp_i32_f64_e32 v36, v[36:37]
	v_cmp_gt_f32_e32 vcc, s69, v113
	v_subbrev_co_u32_e32 v118, vcc, 0, v36, vcc
	v_sub_u32_e32 v36, 0, v118
	v_ldexp_f32 v37, v103, v36
	v_add_f32_e32 v103, -1.0, v37
	v_add_f32_e32 v113, 1.0, v37
	v_ldexp_f32 v36, v112, v36
	v_add_f32_e32 v112, 1.0, v103
	v_add_f32_e32 v114, -1.0, v113
	v_sub_f32_e32 v112, v37, v112
	v_sub_f32_e32 v37, v37, v114
	v_add_f32_e32 v112, v36, v112
	v_add_f32_e32 v36, v36, v37
	;; [unrolled: 1-line block ×3, first 2 shown]
	v_rcp_f32_e32 v129, v119
	v_sub_f32_e32 v37, v113, v119
	v_add_f32_e32 v128, v36, v37
	v_add_f32_e32 v37, v103, v112
	v_sub_f32_e32 v36, v103, v37
	v_mul_f32_e32 v130, v37, v129
	v_add_f32_e32 v103, v112, v36
	v_mul_f32_e32 v112, v119, v130
	v_fma_f32 v114, v130, v119, -v112
	v_fmac_f32_e32 v114, v130, v128
	v_add_f32_e32 v36, v112, v114
	v_sub_f32_e32 v113, v37, v36
	v_pk_add_f32 v[116:117], v[36:37], v[112:113] neg_lo:[0,1] neg_hi:[0,1]
	v_mov_b32_e32 v115, v36
	v_pk_add_f32 v[36:37], v[116:117], v[114:115] neg_lo:[0,1] neg_hi:[0,1]
	v_add_f32_e32 v37, v103, v37
	v_add_f32_e32 v36, v36, v37
	v_add_f32_e32 v37, v113, v36
	v_mul_f32_e32 v103, v129, v37
	v_mul_f32_e32 v112, v119, v103
	v_fma_f32 v114, v103, v119, -v112
	v_fmac_f32_e32 v114, v103, v128
	v_sub_f32_e32 v113, v113, v37
	v_add_f32_e32 v119, v36, v113
	v_add_f32_e32 v36, v112, v114
	v_sub_f32_e32 v113, v37, v36
	v_pk_add_f32 v[116:117], v[36:37], v[112:113] neg_lo:[0,1] neg_hi:[0,1]
	v_mov_b32_e32 v115, v36
	v_pk_add_f32 v[36:37], v[116:117], v[114:115] neg_lo:[0,1] neg_hi:[0,1]
	v_add_f32_e32 v37, v119, v37
	v_add_f32_e32 v36, v36, v37
	v_add_f32_e32 v36, v113, v36
	v_add_f32_e32 v113, v130, v103
	v_sub_f32_e32 v37, v113, v130
	v_mul_f32_e32 v36, v129, v36
	v_sub_f32_e32 v37, v103, v37
	v_add_f32_e32 v36, v37, v36
	v_add_f32_e32 v103, v113, v36
	v_mul_f32_e32 v114, v103, v103
	v_mov_b32_e32 v112, 0x3ecc95a3
	v_fmac_f32_e32 v112, 0x3e9b6dac, v114
	v_mov_b32_e32 v37, 0x3f2aaada
	v_fmac_f32_e32 v37, v114, v112
	v_cvt_f32_i32_e32 v112, v118
	v_sub_f32_e32 v113, v103, v113
	v_sub_f32_e32 v36, v36, v113
	v_ldexp_f32 v116, v36, 1
	v_mul_f32_e32 v113, v103, v114
	v_mov_b32_e32 v36, 0x3f317218
	s_mov_b32 s69, 0x3f317218
	v_pk_mul_f32 v[36:37], v[112:113], v[36:37]
	v_fma_f32 v114, v112, s69, -v36
	v_ldexp_f32 v115, v103, 1
	v_fmac_f32_e32 v114, 0xb102e308, v112
	v_pk_add_f32 v[112:113], v[36:37], v[114:115]
	v_sub_f32_e32 v103, v113, v115
	v_sub_f32_e32 v103, v37, v103
	v_add_f32_e32 v117, v116, v103
	v_mov_b32_e32 v116, v36
	v_pk_add_f32 v[36:37], v[112:113], v[36:37] neg_lo:[0,1] neg_hi:[0,1]
	v_pk_add_f32 v[118:119], v[112:113], v[116:117]
	v_mov_b32_e32 v37, v119
	v_mov_b32_e32 v115, v112
	v_pk_add_f32 v[128:129], v[114:115], v[36:37] neg_lo:[0,1] neg_hi:[0,1]
	v_pk_add_f32 v[36:37], v[114:115], v[36:37]
	v_mov_b32_e32 v114, v37
	v_pk_add_f32 v[130:131], v[114:115], v[112:113] neg_lo:[0,1] neg_hi:[0,1]
	v_mov_b32_e32 v103, v130
	v_pk_add_f32 v[132:133], v[118:119], v[102:103] neg_lo:[0,1] neg_hi:[0,1]
	v_mov_b32_e32 v36, v119
	v_mov_b32_e32 v118, v113
	;; [unrolled: 1-line block ×4, first 2 shown]
	v_pk_add_f32 v[36:37], v[36:37], v[118:119] neg_lo:[0,1] neg_hi:[0,1]
	v_mov_b32_e32 v116, v117
	v_mov_b32_e32 v117, v112
	v_pk_add_f32 v[36:37], v[116:117], v[36:37] neg_lo:[0,1] neg_hi:[0,1]
	v_mov_b32_e32 v132, v128
	v_pk_add_f32 v[112:113], v[132:133], v[36:37]
	v_mov_b32_e32 v116, v113
	v_pk_add_f32 v[116:117], v[112:113], v[116:117]
	v_pk_add_f32 v[114:115], v[114:115], v[116:117]
	v_mov_b32_e32 v113, v114
	v_pk_add_f32 v[118:119], v[112:113], v[128:129] neg_lo:[0,1] neg_hi:[0,1]
	v_mov_b32_e32 v37, v116
	v_sub_f32_e32 v103, v112, v118
	v_pk_add_f32 v[36:37], v[36:37], v[118:119] neg_lo:[0,1] neg_hi:[0,1]
	v_sub_f32_e32 v103, v128, v103
	s_mov_b32 s70, 0x7f800000
	v_add_f32_e32 v36, v36, v103
	s_mov_b32 s69, 0x33800000
	v_add_f32_e32 v36, v36, v37
	v_cmp_eq_f32_e32 vcc, s70, v134
	v_cmp_lt_f32_e64 s[70:71], |v134|, s69
	v_add_f32_e32 v36, v114, v36
	s_or_b64 vcc, vcc, s[70:71]
	v_cndmask_b32_e32 v36, v36, v134, vcc
	v_add_f32_e32 v35, v35, v36
	v_cvt_f16_f32_e32 v36, v35
.LBB381_139:
	s_or_b64 exec, exec, s[62:63]
	v_and_b32_e32 v35, 0xffff, v36
	v_mov_b32_e32 v133, v36
.LBB381_140:
	s_or_b64 exec, exec, s[66:67]
	v_cmp_gt_u32_e32 vcc, 62, v100
	s_waitcnt lgkmcnt(0)
	v_cndmask_b32_e64 v36, 0, 1, vcc
	v_lshlrev_b32_e32 v36, 1, v36
	v_add_lshl_u32 v103, v36, v31, 2
	ds_bpermute_b32 v36, v103, v35
	v_add_u32_e32 v112, 2, v100
	v_cmp_le_u32_e32 vcc, v112, v34
	s_and_saveexec_b64 s[66:67], vcc
	s_cbranch_execz .LBB381_144
; %bb.141:
	s_waitcnt lgkmcnt(0)
	v_cvt_f32_f16_e32 v35, v36
	v_cvt_f32_f16_e32 v113, v133
	v_cmp_u_f16_e32 vcc, v36, v36
	v_cmp_u_f16_e64 s[62:63], v133, v133
	v_min_f32_e32 v37, v35, v113
	v_max_f32_e32 v114, v35, v113
	v_cndmask_b32_e32 v37, v37, v35, vcc
	v_cndmask_b32_e32 v35, v114, v35, vcc
	v_cndmask_b32_e64 v37, v37, v113, s[62:63]
	v_cndmask_b32_e64 v35, v35, v113, s[62:63]
	s_movk_i32 s62, 0x1f8
	v_cmp_neq_f32_e32 vcc, v37, v35
	v_cmp_class_f32_e64 s[62:63], v37, s62
	s_or_b64 vcc, vcc, s[62:63]
	s_and_saveexec_b64 s[62:63], vcc
	s_cbranch_execz .LBB381_143
; %bb.142:
	v_sub_f32_e32 v36, v37, v35
	s_mov_b32 s69, 0x3fb8aa3b
	v_mul_f32_e32 v37, 0x3fb8aa3b, v36
	v_fma_f32 v113, v36, s69, -v37
	v_rndne_f32_e32 v114, v37
	v_fmac_f32_e32 v113, 0x32a5705f, v36
	v_sub_f32_e32 v37, v37, v114
	v_add_f32_e32 v37, v37, v113
	v_exp_f32_e32 v37, v37
	v_cvt_i32_f32_e32 v113, v114
	s_mov_b32 s69, 0xc2ce8ed0
	v_cmp_ngt_f32_e32 vcc, s69, v36
	s_mov_b32 s69, 0x42b17218
	v_ldexp_f32 v37, v37, v113
	v_cndmask_b32_e32 v37, 0, v37, vcc
	v_mov_b32_e32 v113, 0x7f800000
	v_cmp_nlt_f32_e32 vcc, s69, v36
	v_cndmask_b32_e32 v144, v113, v37, vcc
	v_add_f32_e32 v113, 1.0, v144
	v_add_f32_e32 v36, -1.0, v113
	v_sub_f32_e32 v37, v36, v113
	v_add_f32_e32 v37, 1.0, v37
	v_sub_f32_e32 v36, v144, v36
	v_add_f32_e32 v114, v36, v37
	v_frexp_mant_f32_e32 v115, v113
	s_mov_b32 s69, 0x3f2aaaab
	v_cvt_f64_f32_e32 v[36:37], v113
	v_frexp_exp_i32_f64_e32 v36, v[36:37]
	v_cmp_gt_f32_e32 vcc, s69, v115
	v_subbrev_co_u32_e32 v128, vcc, 0, v36, vcc
	v_sub_u32_e32 v36, 0, v128
	v_ldexp_f32 v37, v113, v36
	v_add_f32_e32 v113, -1.0, v37
	v_add_f32_e32 v115, 1.0, v37
	v_ldexp_f32 v36, v114, v36
	v_add_f32_e32 v114, 1.0, v113
	v_add_f32_e32 v116, -1.0, v115
	v_sub_f32_e32 v114, v37, v114
	v_sub_f32_e32 v37, v37, v116
	v_add_f32_e32 v114, v36, v114
	v_add_f32_e32 v36, v36, v37
	;; [unrolled: 1-line block ×3, first 2 shown]
	v_rcp_f32_e32 v131, v129
	v_sub_f32_e32 v37, v115, v129
	v_add_f32_e32 v130, v36, v37
	v_add_f32_e32 v37, v113, v114
	v_sub_f32_e32 v36, v113, v37
	v_mul_f32_e32 v132, v37, v131
	v_add_f32_e32 v113, v114, v36
	v_mul_f32_e32 v114, v129, v132
	v_fma_f32 v116, v132, v129, -v114
	v_fmac_f32_e32 v116, v132, v130
	v_add_f32_e32 v36, v114, v116
	v_sub_f32_e32 v115, v37, v36
	v_pk_add_f32 v[118:119], v[36:37], v[114:115] neg_lo:[0,1] neg_hi:[0,1]
	v_mov_b32_e32 v117, v36
	v_pk_add_f32 v[36:37], v[118:119], v[116:117] neg_lo:[0,1] neg_hi:[0,1]
	v_add_f32_e32 v37, v113, v37
	v_add_f32_e32 v36, v36, v37
	;; [unrolled: 1-line block ×3, first 2 shown]
	v_mul_f32_e32 v113, v131, v37
	v_mul_f32_e32 v114, v129, v113
	v_fma_f32 v116, v113, v129, -v114
	v_fmac_f32_e32 v116, v113, v130
	v_sub_f32_e32 v115, v115, v37
	v_add_f32_e32 v129, v36, v115
	v_add_f32_e32 v36, v114, v116
	v_sub_f32_e32 v115, v37, v36
	v_pk_add_f32 v[118:119], v[36:37], v[114:115] neg_lo:[0,1] neg_hi:[0,1]
	v_mov_b32_e32 v117, v36
	v_pk_add_f32 v[36:37], v[118:119], v[116:117] neg_lo:[0,1] neg_hi:[0,1]
	v_add_f32_e32 v37, v129, v37
	v_add_f32_e32 v36, v36, v37
	;; [unrolled: 1-line block ×4, first 2 shown]
	v_sub_f32_e32 v37, v115, v132
	v_mul_f32_e32 v36, v131, v36
	v_sub_f32_e32 v37, v113, v37
	v_add_f32_e32 v36, v37, v36
	v_add_f32_e32 v113, v115, v36
	v_mul_f32_e32 v116, v113, v113
	v_mov_b32_e32 v114, 0x3ecc95a3
	v_fmac_f32_e32 v114, 0x3e9b6dac, v116
	v_mov_b32_e32 v37, 0x3f2aaada
	v_fmac_f32_e32 v37, v116, v114
	v_cvt_f32_i32_e32 v114, v128
	v_sub_f32_e32 v115, v113, v115
	v_sub_f32_e32 v36, v36, v115
	v_ldexp_f32 v118, v36, 1
	v_mul_f32_e32 v115, v113, v116
	v_mov_b32_e32 v36, 0x3f317218
	s_mov_b32 s69, 0x3f317218
	v_pk_mul_f32 v[36:37], v[114:115], v[36:37]
	v_fma_f32 v116, v114, s69, -v36
	v_ldexp_f32 v117, v113, 1
	v_fmac_f32_e32 v116, 0xb102e308, v114
	v_pk_add_f32 v[114:115], v[36:37], v[116:117]
	v_sub_f32_e32 v113, v115, v117
	v_sub_f32_e32 v113, v37, v113
	v_add_f32_e32 v119, v118, v113
	v_mov_b32_e32 v118, v36
	v_pk_add_f32 v[36:37], v[114:115], v[36:37] neg_lo:[0,1] neg_hi:[0,1]
	v_pk_add_f32 v[128:129], v[114:115], v[118:119]
	v_mov_b32_e32 v37, v129
	v_mov_b32_e32 v117, v114
	v_pk_add_f32 v[130:131], v[116:117], v[36:37] neg_lo:[0,1] neg_hi:[0,1]
	v_pk_add_f32 v[36:37], v[116:117], v[36:37]
	v_mov_b32_e32 v116, v37
	v_pk_add_f32 v[132:133], v[116:117], v[114:115] neg_lo:[0,1] neg_hi:[0,1]
	v_mov_b32_e32 v113, v132
	v_pk_add_f32 v[134:135], v[128:129], v[112:113] neg_lo:[0,1] neg_hi:[0,1]
	v_mov_b32_e32 v36, v129
	v_mov_b32_e32 v128, v115
	;; [unrolled: 1-line block ×4, first 2 shown]
	v_pk_add_f32 v[36:37], v[36:37], v[128:129] neg_lo:[0,1] neg_hi:[0,1]
	v_mov_b32_e32 v118, v119
	v_mov_b32_e32 v119, v114
	v_pk_add_f32 v[36:37], v[118:119], v[36:37] neg_lo:[0,1] neg_hi:[0,1]
	v_mov_b32_e32 v134, v130
	v_pk_add_f32 v[114:115], v[134:135], v[36:37]
	v_mov_b32_e32 v118, v115
	v_pk_add_f32 v[118:119], v[114:115], v[118:119]
	v_pk_add_f32 v[116:117], v[116:117], v[118:119]
	v_mov_b32_e32 v115, v116
	v_pk_add_f32 v[128:129], v[114:115], v[130:131] neg_lo:[0,1] neg_hi:[0,1]
	v_mov_b32_e32 v37, v118
	v_sub_f32_e32 v113, v114, v128
	v_pk_add_f32 v[36:37], v[36:37], v[128:129] neg_lo:[0,1] neg_hi:[0,1]
	v_sub_f32_e32 v113, v130, v113
	s_mov_b32 s70, 0x7f800000
	v_add_f32_e32 v36, v36, v113
	s_mov_b32 s69, 0x33800000
	v_add_f32_e32 v36, v36, v37
	v_cmp_eq_f32_e32 vcc, s70, v144
	v_cmp_lt_f32_e64 s[70:71], |v144|, s69
	v_add_f32_e32 v36, v116, v36
	s_or_b64 vcc, vcc, s[70:71]
	v_cndmask_b32_e32 v36, v36, v144, vcc
	v_add_f32_e32 v35, v35, v36
	v_cvt_f16_f32_e32 v36, v35
.LBB381_143:
	s_or_b64 exec, exec, s[62:63]
	v_and_b32_e32 v35, 0xffff, v36
	v_mov_b32_e32 v133, v36
.LBB381_144:
	s_or_b64 exec, exec, s[66:67]
	v_cmp_gt_u32_e32 vcc, 60, v100
	s_waitcnt lgkmcnt(0)
	v_cndmask_b32_e64 v36, 0, 1, vcc
	v_lshlrev_b32_e32 v36, 2, v36
	v_add_lshl_u32 v113, v36, v31, 2
	ds_bpermute_b32 v36, v113, v35
	v_add_u32_e32 v114, 4, v100
	v_cmp_le_u32_e32 vcc, v114, v34
	s_and_saveexec_b64 s[66:67], vcc
	s_cbranch_execz .LBB381_148
; %bb.145:
	s_waitcnt lgkmcnt(0)
	v_cvt_f32_f16_e32 v35, v36
	v_cvt_f32_f16_e32 v115, v133
	v_cmp_u_f16_e32 vcc, v36, v36
	v_cmp_u_f16_e64 s[62:63], v133, v133
	v_min_f32_e32 v37, v35, v115
	v_max_f32_e32 v116, v35, v115
	v_cndmask_b32_e32 v37, v37, v35, vcc
	v_cndmask_b32_e32 v35, v116, v35, vcc
	v_cndmask_b32_e64 v37, v37, v115, s[62:63]
	v_cndmask_b32_e64 v35, v35, v115, s[62:63]
	s_movk_i32 s62, 0x1f8
	v_cmp_neq_f32_e32 vcc, v37, v35
	v_cmp_class_f32_e64 s[62:63], v37, s62
	s_or_b64 vcc, vcc, s[62:63]
	s_and_saveexec_b64 s[62:63], vcc
	s_cbranch_execz .LBB381_147
; %bb.146:
	v_sub_f32_e32 v36, v37, v35
	s_mov_b32 s69, 0x3fb8aa3b
	v_mul_f32_e32 v37, 0x3fb8aa3b, v36
	v_fma_f32 v115, v36, s69, -v37
	v_rndne_f32_e32 v116, v37
	v_fmac_f32_e32 v115, 0x32a5705f, v36
	v_sub_f32_e32 v37, v37, v116
	v_add_f32_e32 v37, v37, v115
	v_exp_f32_e32 v37, v37
	v_cvt_i32_f32_e32 v115, v116
	s_mov_b32 s69, 0xc2ce8ed0
	v_cmp_ngt_f32_e32 vcc, s69, v36
	s_mov_b32 s69, 0x42b17218
	v_ldexp_f32 v37, v37, v115
	v_cndmask_b32_e32 v37, 0, v37, vcc
	v_mov_b32_e32 v115, 0x7f800000
	v_cmp_nlt_f32_e32 vcc, s69, v36
	v_cndmask_b32_e32 v146, v115, v37, vcc
	v_add_f32_e32 v115, 1.0, v146
	v_add_f32_e32 v36, -1.0, v115
	v_sub_f32_e32 v37, v36, v115
	v_add_f32_e32 v37, 1.0, v37
	v_sub_f32_e32 v36, v146, v36
	v_add_f32_e32 v116, v36, v37
	v_frexp_mant_f32_e32 v117, v115
	s_mov_b32 s69, 0x3f2aaaab
	v_cvt_f64_f32_e32 v[36:37], v115
	v_frexp_exp_i32_f64_e32 v36, v[36:37]
	v_cmp_gt_f32_e32 vcc, s69, v117
	v_subbrev_co_u32_e32 v130, vcc, 0, v36, vcc
	v_sub_u32_e32 v36, 0, v130
	v_ldexp_f32 v37, v115, v36
	v_add_f32_e32 v115, -1.0, v37
	v_add_f32_e32 v117, 1.0, v37
	v_ldexp_f32 v36, v116, v36
	v_add_f32_e32 v116, 1.0, v115
	v_add_f32_e32 v118, -1.0, v117
	v_sub_f32_e32 v116, v37, v116
	v_sub_f32_e32 v37, v37, v118
	v_add_f32_e32 v116, v36, v116
	v_add_f32_e32 v36, v36, v37
	v_add_f32_e32 v131, v117, v36
	v_rcp_f32_e32 v133, v131
	v_sub_f32_e32 v37, v117, v131
	v_add_f32_e32 v132, v36, v37
	v_add_f32_e32 v37, v115, v116
	v_sub_f32_e32 v36, v115, v37
	v_mul_f32_e32 v134, v37, v133
	v_add_f32_e32 v115, v116, v36
	v_mul_f32_e32 v116, v131, v134
	v_fma_f32 v118, v134, v131, -v116
	v_fmac_f32_e32 v118, v134, v132
	v_add_f32_e32 v36, v116, v118
	v_sub_f32_e32 v117, v37, v36
	v_pk_add_f32 v[128:129], v[36:37], v[116:117] neg_lo:[0,1] neg_hi:[0,1]
	v_mov_b32_e32 v119, v36
	v_pk_add_f32 v[36:37], v[128:129], v[118:119] neg_lo:[0,1] neg_hi:[0,1]
	v_add_f32_e32 v37, v115, v37
	v_add_f32_e32 v36, v36, v37
	;; [unrolled: 1-line block ×3, first 2 shown]
	v_mul_f32_e32 v115, v133, v37
	v_mul_f32_e32 v116, v131, v115
	v_fma_f32 v118, v115, v131, -v116
	v_fmac_f32_e32 v118, v115, v132
	v_sub_f32_e32 v117, v117, v37
	v_add_f32_e32 v131, v36, v117
	v_add_f32_e32 v36, v116, v118
	v_sub_f32_e32 v117, v37, v36
	v_pk_add_f32 v[128:129], v[36:37], v[116:117] neg_lo:[0,1] neg_hi:[0,1]
	v_mov_b32_e32 v119, v36
	v_pk_add_f32 v[36:37], v[128:129], v[118:119] neg_lo:[0,1] neg_hi:[0,1]
	v_add_f32_e32 v37, v131, v37
	v_add_f32_e32 v36, v36, v37
	;; [unrolled: 1-line block ×4, first 2 shown]
	v_sub_f32_e32 v37, v117, v134
	v_mul_f32_e32 v36, v133, v36
	v_sub_f32_e32 v37, v115, v37
	v_add_f32_e32 v36, v37, v36
	v_add_f32_e32 v115, v117, v36
	v_mul_f32_e32 v118, v115, v115
	v_mov_b32_e32 v116, 0x3ecc95a3
	v_fmac_f32_e32 v116, 0x3e9b6dac, v118
	v_mov_b32_e32 v37, 0x3f2aaada
	v_fmac_f32_e32 v37, v118, v116
	v_cvt_f32_i32_e32 v116, v130
	v_sub_f32_e32 v117, v115, v117
	v_sub_f32_e32 v36, v36, v117
	v_ldexp_f32 v128, v36, 1
	v_mul_f32_e32 v117, v115, v118
	v_mov_b32_e32 v36, 0x3f317218
	s_mov_b32 s69, 0x3f317218
	v_pk_mul_f32 v[36:37], v[116:117], v[36:37]
	v_fma_f32 v118, v116, s69, -v36
	v_ldexp_f32 v119, v115, 1
	v_fmac_f32_e32 v118, 0xb102e308, v116
	v_pk_add_f32 v[116:117], v[36:37], v[118:119]
	v_sub_f32_e32 v115, v117, v119
	v_sub_f32_e32 v115, v37, v115
	v_add_f32_e32 v129, v128, v115
	v_mov_b32_e32 v128, v36
	v_pk_add_f32 v[36:37], v[116:117], v[36:37] neg_lo:[0,1] neg_hi:[0,1]
	v_pk_add_f32 v[130:131], v[116:117], v[128:129]
	v_mov_b32_e32 v37, v131
	v_mov_b32_e32 v119, v116
	v_pk_add_f32 v[132:133], v[118:119], v[36:37] neg_lo:[0,1] neg_hi:[0,1]
	v_pk_add_f32 v[36:37], v[118:119], v[36:37]
	v_mov_b32_e32 v118, v37
	v_pk_add_f32 v[134:135], v[118:119], v[116:117] neg_lo:[0,1] neg_hi:[0,1]
	v_mov_b32_e32 v115, v134
	v_pk_add_f32 v[144:145], v[130:131], v[114:115] neg_lo:[0,1] neg_hi:[0,1]
	v_mov_b32_e32 v36, v131
	v_mov_b32_e32 v130, v117
	;; [unrolled: 1-line block ×4, first 2 shown]
	v_pk_add_f32 v[36:37], v[36:37], v[130:131] neg_lo:[0,1] neg_hi:[0,1]
	v_mov_b32_e32 v128, v129
	v_mov_b32_e32 v129, v116
	v_pk_add_f32 v[36:37], v[128:129], v[36:37] neg_lo:[0,1] neg_hi:[0,1]
	v_mov_b32_e32 v144, v132
	v_pk_add_f32 v[116:117], v[144:145], v[36:37]
	v_mov_b32_e32 v128, v117
	v_pk_add_f32 v[128:129], v[116:117], v[128:129]
	v_pk_add_f32 v[118:119], v[118:119], v[128:129]
	v_mov_b32_e32 v117, v118
	v_pk_add_f32 v[130:131], v[116:117], v[132:133] neg_lo:[0,1] neg_hi:[0,1]
	v_mov_b32_e32 v37, v128
	v_sub_f32_e32 v115, v116, v130
	v_pk_add_f32 v[36:37], v[36:37], v[130:131] neg_lo:[0,1] neg_hi:[0,1]
	v_sub_f32_e32 v115, v132, v115
	s_mov_b32 s70, 0x7f800000
	v_add_f32_e32 v36, v36, v115
	s_mov_b32 s69, 0x33800000
	v_add_f32_e32 v36, v36, v37
	v_cmp_eq_f32_e32 vcc, s70, v146
	v_cmp_lt_f32_e64 s[70:71], |v146|, s69
	v_add_f32_e32 v36, v118, v36
	s_or_b64 vcc, vcc, s[70:71]
	v_cndmask_b32_e32 v36, v36, v146, vcc
	v_add_f32_e32 v35, v35, v36
	v_cvt_f16_f32_e32 v36, v35
.LBB381_147:
	s_or_b64 exec, exec, s[62:63]
	v_and_b32_e32 v35, 0xffff, v36
	v_mov_b32_e32 v133, v36
.LBB381_148:
	s_or_b64 exec, exec, s[66:67]
	v_cmp_gt_u32_e32 vcc, 56, v100
	s_waitcnt lgkmcnt(0)
	v_cndmask_b32_e64 v36, 0, 1, vcc
	v_lshlrev_b32_e32 v36, 3, v36
	v_add_lshl_u32 v115, v36, v31, 2
	ds_bpermute_b32 v36, v115, v35
	v_add_u32_e32 v116, 8, v100
	v_cmp_le_u32_e32 vcc, v116, v34
	s_and_saveexec_b64 s[66:67], vcc
	s_cbranch_execz .LBB381_152
; %bb.149:
	s_waitcnt lgkmcnt(0)
	v_cvt_f32_f16_e32 v35, v36
	v_cvt_f32_f16_e32 v117, v133
	v_cmp_u_f16_e32 vcc, v36, v36
	v_cmp_u_f16_e64 s[62:63], v133, v133
	v_min_f32_e32 v37, v35, v117
	v_max_f32_e32 v118, v35, v117
	v_cndmask_b32_e32 v37, v37, v35, vcc
	v_cndmask_b32_e32 v35, v118, v35, vcc
	v_cndmask_b32_e64 v37, v37, v117, s[62:63]
	v_cndmask_b32_e64 v35, v35, v117, s[62:63]
	s_movk_i32 s62, 0x1f8
	v_cmp_neq_f32_e32 vcc, v37, v35
	v_cmp_class_f32_e64 s[62:63], v37, s62
	s_or_b64 vcc, vcc, s[62:63]
	s_and_saveexec_b64 s[62:63], vcc
	s_cbranch_execz .LBB381_151
; %bb.150:
	v_sub_f32_e32 v36, v37, v35
	s_mov_b32 s69, 0x3fb8aa3b
	v_mul_f32_e32 v37, 0x3fb8aa3b, v36
	v_fma_f32 v117, v36, s69, -v37
	v_rndne_f32_e32 v118, v37
	v_fmac_f32_e32 v117, 0x32a5705f, v36
	v_sub_f32_e32 v37, v37, v118
	v_add_f32_e32 v37, v37, v117
	v_exp_f32_e32 v37, v37
	v_cvt_i32_f32_e32 v117, v118
	s_mov_b32 s69, 0xc2ce8ed0
	v_cmp_ngt_f32_e32 vcc, s69, v36
	s_mov_b32 s69, 0x42b17218
	v_ldexp_f32 v37, v37, v117
	v_cndmask_b32_e32 v37, 0, v37, vcc
	v_mov_b32_e32 v117, 0x7f800000
	v_cmp_nlt_f32_e32 vcc, s69, v36
	v_cndmask_b32_e32 v148, v117, v37, vcc
	v_add_f32_e32 v117, 1.0, v148
	v_add_f32_e32 v36, -1.0, v117
	v_sub_f32_e32 v37, v36, v117
	v_add_f32_e32 v37, 1.0, v37
	v_sub_f32_e32 v36, v148, v36
	v_add_f32_e32 v118, v36, v37
	v_frexp_mant_f32_e32 v119, v117
	s_mov_b32 s69, 0x3f2aaaab
	v_cvt_f64_f32_e32 v[36:37], v117
	v_frexp_exp_i32_f64_e32 v36, v[36:37]
	v_cmp_gt_f32_e32 vcc, s69, v119
	v_subbrev_co_u32_e32 v132, vcc, 0, v36, vcc
	v_sub_u32_e32 v36, 0, v132
	v_ldexp_f32 v37, v117, v36
	v_add_f32_e32 v117, -1.0, v37
	v_add_f32_e32 v119, 1.0, v37
	v_ldexp_f32 v36, v118, v36
	v_add_f32_e32 v118, 1.0, v117
	v_add_f32_e32 v128, -1.0, v119
	v_sub_f32_e32 v118, v37, v118
	v_sub_f32_e32 v37, v37, v128
	v_add_f32_e32 v118, v36, v118
	v_add_f32_e32 v36, v36, v37
	v_add_f32_e32 v133, v119, v36
	v_rcp_f32_e32 v135, v133
	v_sub_f32_e32 v37, v119, v133
	v_add_f32_e32 v134, v36, v37
	v_add_f32_e32 v37, v117, v118
	v_sub_f32_e32 v36, v117, v37
	v_mul_f32_e32 v144, v37, v135
	v_add_f32_e32 v117, v118, v36
	v_mul_f32_e32 v118, v133, v144
	v_fma_f32 v128, v144, v133, -v118
	v_fmac_f32_e32 v128, v144, v134
	v_add_f32_e32 v36, v118, v128
	v_sub_f32_e32 v119, v37, v36
	v_pk_add_f32 v[130:131], v[36:37], v[118:119] neg_lo:[0,1] neg_hi:[0,1]
	v_mov_b32_e32 v129, v36
	v_pk_add_f32 v[36:37], v[130:131], v[128:129] neg_lo:[0,1] neg_hi:[0,1]
	v_add_f32_e32 v37, v117, v37
	v_add_f32_e32 v36, v36, v37
	;; [unrolled: 1-line block ×3, first 2 shown]
	v_mul_f32_e32 v117, v135, v37
	v_mul_f32_e32 v118, v133, v117
	v_fma_f32 v128, v117, v133, -v118
	v_fmac_f32_e32 v128, v117, v134
	v_sub_f32_e32 v119, v119, v37
	v_add_f32_e32 v133, v36, v119
	v_add_f32_e32 v36, v118, v128
	v_sub_f32_e32 v119, v37, v36
	v_pk_add_f32 v[130:131], v[36:37], v[118:119] neg_lo:[0,1] neg_hi:[0,1]
	v_mov_b32_e32 v129, v36
	v_pk_add_f32 v[36:37], v[130:131], v[128:129] neg_lo:[0,1] neg_hi:[0,1]
	v_add_f32_e32 v37, v133, v37
	v_add_f32_e32 v36, v36, v37
	;; [unrolled: 1-line block ×4, first 2 shown]
	v_sub_f32_e32 v37, v119, v144
	v_mul_f32_e32 v36, v135, v36
	v_sub_f32_e32 v37, v117, v37
	v_add_f32_e32 v36, v37, v36
	v_add_f32_e32 v117, v119, v36
	v_mul_f32_e32 v128, v117, v117
	v_mov_b32_e32 v118, 0x3ecc95a3
	v_fmac_f32_e32 v118, 0x3e9b6dac, v128
	v_mov_b32_e32 v37, 0x3f2aaada
	v_fmac_f32_e32 v37, v128, v118
	v_cvt_f32_i32_e32 v118, v132
	v_sub_f32_e32 v119, v117, v119
	v_sub_f32_e32 v36, v36, v119
	v_ldexp_f32 v130, v36, 1
	v_mul_f32_e32 v119, v117, v128
	v_mov_b32_e32 v36, 0x3f317218
	s_mov_b32 s69, 0x3f317218
	v_pk_mul_f32 v[36:37], v[118:119], v[36:37]
	v_fma_f32 v128, v118, s69, -v36
	v_ldexp_f32 v129, v117, 1
	v_fmac_f32_e32 v128, 0xb102e308, v118
	v_pk_add_f32 v[118:119], v[36:37], v[128:129]
	v_sub_f32_e32 v117, v119, v129
	v_sub_f32_e32 v117, v37, v117
	v_add_f32_e32 v131, v130, v117
	v_mov_b32_e32 v130, v36
	v_pk_add_f32 v[36:37], v[118:119], v[36:37] neg_lo:[0,1] neg_hi:[0,1]
	v_pk_add_f32 v[132:133], v[118:119], v[130:131]
	v_mov_b32_e32 v37, v133
	v_mov_b32_e32 v129, v118
	v_pk_add_f32 v[134:135], v[128:129], v[36:37] neg_lo:[0,1] neg_hi:[0,1]
	v_pk_add_f32 v[36:37], v[128:129], v[36:37]
	v_mov_b32_e32 v128, v37
	v_pk_add_f32 v[144:145], v[128:129], v[118:119] neg_lo:[0,1] neg_hi:[0,1]
	v_mov_b32_e32 v117, v144
	v_pk_add_f32 v[146:147], v[132:133], v[116:117] neg_lo:[0,1] neg_hi:[0,1]
	v_mov_b32_e32 v36, v133
	v_mov_b32_e32 v132, v119
	;; [unrolled: 1-line block ×4, first 2 shown]
	v_pk_add_f32 v[36:37], v[36:37], v[132:133] neg_lo:[0,1] neg_hi:[0,1]
	v_mov_b32_e32 v130, v131
	v_mov_b32_e32 v131, v118
	v_pk_add_f32 v[36:37], v[130:131], v[36:37] neg_lo:[0,1] neg_hi:[0,1]
	v_mov_b32_e32 v146, v134
	v_pk_add_f32 v[118:119], v[146:147], v[36:37]
	v_mov_b32_e32 v130, v119
	v_pk_add_f32 v[130:131], v[118:119], v[130:131]
	v_pk_add_f32 v[128:129], v[128:129], v[130:131]
	v_mov_b32_e32 v119, v128
	v_pk_add_f32 v[132:133], v[118:119], v[134:135] neg_lo:[0,1] neg_hi:[0,1]
	v_mov_b32_e32 v37, v130
	v_sub_f32_e32 v117, v118, v132
	v_pk_add_f32 v[36:37], v[36:37], v[132:133] neg_lo:[0,1] neg_hi:[0,1]
	v_sub_f32_e32 v117, v134, v117
	s_mov_b32 s70, 0x7f800000
	v_add_f32_e32 v36, v36, v117
	s_mov_b32 s69, 0x33800000
	v_add_f32_e32 v36, v36, v37
	v_cmp_eq_f32_e32 vcc, s70, v148
	v_cmp_lt_f32_e64 s[70:71], |v148|, s69
	v_add_f32_e32 v36, v128, v36
	s_or_b64 vcc, vcc, s[70:71]
	v_cndmask_b32_e32 v36, v36, v148, vcc
	v_add_f32_e32 v35, v35, v36
	v_cvt_f16_f32_e32 v36, v35
.LBB381_151:
	s_or_b64 exec, exec, s[62:63]
	v_and_b32_e32 v35, 0xffff, v36
	v_mov_b32_e32 v133, v36
.LBB381_152:
	s_or_b64 exec, exec, s[66:67]
	v_cmp_gt_u32_e32 vcc, 48, v100
	s_waitcnt lgkmcnt(0)
	v_cndmask_b32_e64 v36, 0, 1, vcc
	v_lshlrev_b32_e32 v36, 4, v36
	v_add_lshl_u32 v117, v36, v31, 2
	ds_bpermute_b32 v36, v117, v35
	v_add_u32_e32 v118, 16, v100
	v_cmp_le_u32_e32 vcc, v118, v34
	s_and_saveexec_b64 s[66:67], vcc
	s_cbranch_execz .LBB381_156
; %bb.153:
	s_waitcnt lgkmcnt(0)
	v_cvt_f32_f16_e32 v35, v36
	v_cvt_f32_f16_e32 v119, v133
	v_cmp_u_f16_e32 vcc, v36, v36
	v_cmp_u_f16_e64 s[62:63], v133, v133
	v_min_f32_e32 v37, v35, v119
	v_max_f32_e32 v128, v35, v119
	v_cndmask_b32_e32 v37, v37, v35, vcc
	v_cndmask_b32_e32 v35, v128, v35, vcc
	v_cndmask_b32_e64 v37, v37, v119, s[62:63]
	v_cndmask_b32_e64 v35, v35, v119, s[62:63]
	s_movk_i32 s62, 0x1f8
	v_cmp_neq_f32_e32 vcc, v37, v35
	v_cmp_class_f32_e64 s[62:63], v37, s62
	s_or_b64 vcc, vcc, s[62:63]
	s_and_saveexec_b64 s[62:63], vcc
	s_cbranch_execz .LBB381_155
; %bb.154:
	v_sub_f32_e32 v36, v37, v35
	s_mov_b32 s69, 0x3fb8aa3b
	v_mul_f32_e32 v37, 0x3fb8aa3b, v36
	v_fma_f32 v119, v36, s69, -v37
	v_rndne_f32_e32 v128, v37
	v_fmac_f32_e32 v119, 0x32a5705f, v36
	v_sub_f32_e32 v37, v37, v128
	v_add_f32_e32 v37, v37, v119
	v_exp_f32_e32 v37, v37
	v_cvt_i32_f32_e32 v119, v128
	s_mov_b32 s69, 0xc2ce8ed0
	v_cmp_ngt_f32_e32 vcc, s69, v36
	s_mov_b32 s69, 0x42b17218
	v_ldexp_f32 v37, v37, v119
	v_cndmask_b32_e32 v37, 0, v37, vcc
	v_mov_b32_e32 v119, 0x7f800000
	v_cmp_nlt_f32_e32 vcc, s69, v36
	v_cndmask_b32_e32 v150, v119, v37, vcc
	v_add_f32_e32 v119, 1.0, v150
	v_add_f32_e32 v36, -1.0, v119
	v_sub_f32_e32 v37, v36, v119
	v_add_f32_e32 v37, 1.0, v37
	v_sub_f32_e32 v36, v150, v36
	v_add_f32_e32 v128, v36, v37
	v_frexp_mant_f32_e32 v129, v119
	s_mov_b32 s69, 0x3f2aaaab
	v_cvt_f64_f32_e32 v[36:37], v119
	v_frexp_exp_i32_f64_e32 v36, v[36:37]
	v_cmp_gt_f32_e32 vcc, s69, v129
	v_subbrev_co_u32_e32 v134, vcc, 0, v36, vcc
	v_sub_u32_e32 v36, 0, v134
	v_ldexp_f32 v37, v119, v36
	v_add_f32_e32 v119, -1.0, v37
	v_add_f32_e32 v129, 1.0, v37
	v_ldexp_f32 v36, v128, v36
	v_add_f32_e32 v128, 1.0, v119
	v_add_f32_e32 v130, -1.0, v129
	v_sub_f32_e32 v128, v37, v128
	v_sub_f32_e32 v37, v37, v130
	v_add_f32_e32 v128, v36, v128
	v_add_f32_e32 v36, v36, v37
	;; [unrolled: 1-line block ×3, first 2 shown]
	v_rcp_f32_e32 v145, v135
	v_sub_f32_e32 v37, v129, v135
	v_add_f32_e32 v144, v36, v37
	v_add_f32_e32 v37, v119, v128
	v_sub_f32_e32 v36, v119, v37
	v_mul_f32_e32 v146, v37, v145
	v_add_f32_e32 v119, v128, v36
	v_mul_f32_e32 v128, v135, v146
	v_fma_f32 v130, v146, v135, -v128
	v_fmac_f32_e32 v130, v146, v144
	v_add_f32_e32 v36, v128, v130
	v_sub_f32_e32 v129, v37, v36
	v_pk_add_f32 v[132:133], v[36:37], v[128:129] neg_lo:[0,1] neg_hi:[0,1]
	v_mov_b32_e32 v131, v36
	v_pk_add_f32 v[36:37], v[132:133], v[130:131] neg_lo:[0,1] neg_hi:[0,1]
	v_add_f32_e32 v37, v119, v37
	v_add_f32_e32 v36, v36, v37
	;; [unrolled: 1-line block ×3, first 2 shown]
	v_mul_f32_e32 v119, v145, v37
	v_mul_f32_e32 v128, v135, v119
	v_fma_f32 v130, v119, v135, -v128
	v_fmac_f32_e32 v130, v119, v144
	v_sub_f32_e32 v129, v129, v37
	v_add_f32_e32 v135, v36, v129
	v_add_f32_e32 v36, v128, v130
	v_sub_f32_e32 v129, v37, v36
	v_pk_add_f32 v[132:133], v[36:37], v[128:129] neg_lo:[0,1] neg_hi:[0,1]
	v_mov_b32_e32 v131, v36
	v_pk_add_f32 v[36:37], v[132:133], v[130:131] neg_lo:[0,1] neg_hi:[0,1]
	v_add_f32_e32 v37, v135, v37
	v_add_f32_e32 v36, v36, v37
	;; [unrolled: 1-line block ×4, first 2 shown]
	v_sub_f32_e32 v37, v129, v146
	v_mul_f32_e32 v36, v145, v36
	v_sub_f32_e32 v37, v119, v37
	v_add_f32_e32 v36, v37, v36
	v_add_f32_e32 v119, v129, v36
	v_mul_f32_e32 v130, v119, v119
	v_mov_b32_e32 v128, 0x3ecc95a3
	v_fmac_f32_e32 v128, 0x3e9b6dac, v130
	v_mov_b32_e32 v37, 0x3f2aaada
	v_fmac_f32_e32 v37, v130, v128
	v_cvt_f32_i32_e32 v128, v134
	v_sub_f32_e32 v129, v119, v129
	v_sub_f32_e32 v36, v36, v129
	v_ldexp_f32 v132, v36, 1
	v_mul_f32_e32 v129, v119, v130
	v_mov_b32_e32 v36, 0x3f317218
	s_mov_b32 s69, 0x3f317218
	v_pk_mul_f32 v[36:37], v[128:129], v[36:37]
	v_fma_f32 v130, v128, s69, -v36
	v_ldexp_f32 v131, v119, 1
	v_fmac_f32_e32 v130, 0xb102e308, v128
	v_pk_add_f32 v[128:129], v[36:37], v[130:131]
	v_sub_f32_e32 v119, v129, v131
	v_sub_f32_e32 v119, v37, v119
	v_add_f32_e32 v133, v132, v119
	v_mov_b32_e32 v132, v36
	v_pk_add_f32 v[36:37], v[128:129], v[36:37] neg_lo:[0,1] neg_hi:[0,1]
	v_pk_add_f32 v[134:135], v[128:129], v[132:133]
	v_mov_b32_e32 v37, v135
	v_mov_b32_e32 v131, v128
	v_pk_add_f32 v[144:145], v[130:131], v[36:37] neg_lo:[0,1] neg_hi:[0,1]
	v_pk_add_f32 v[36:37], v[130:131], v[36:37]
	v_mov_b32_e32 v130, v37
	v_pk_add_f32 v[146:147], v[130:131], v[128:129] neg_lo:[0,1] neg_hi:[0,1]
	v_mov_b32_e32 v119, v146
	v_pk_add_f32 v[148:149], v[134:135], v[118:119] neg_lo:[0,1] neg_hi:[0,1]
	v_mov_b32_e32 v36, v135
	v_mov_b32_e32 v134, v129
	;; [unrolled: 1-line block ×4, first 2 shown]
	v_pk_add_f32 v[36:37], v[36:37], v[134:135] neg_lo:[0,1] neg_hi:[0,1]
	v_mov_b32_e32 v132, v133
	v_mov_b32_e32 v133, v128
	v_pk_add_f32 v[36:37], v[132:133], v[36:37] neg_lo:[0,1] neg_hi:[0,1]
	v_mov_b32_e32 v148, v144
	v_pk_add_f32 v[128:129], v[148:149], v[36:37]
	v_mov_b32_e32 v132, v129
	v_pk_add_f32 v[132:133], v[128:129], v[132:133]
	v_pk_add_f32 v[130:131], v[130:131], v[132:133]
	v_mov_b32_e32 v129, v130
	v_pk_add_f32 v[134:135], v[128:129], v[144:145] neg_lo:[0,1] neg_hi:[0,1]
	v_mov_b32_e32 v37, v132
	v_sub_f32_e32 v119, v128, v134
	v_pk_add_f32 v[36:37], v[36:37], v[134:135] neg_lo:[0,1] neg_hi:[0,1]
	v_sub_f32_e32 v119, v144, v119
	s_mov_b32 s70, 0x7f800000
	v_add_f32_e32 v36, v36, v119
	s_mov_b32 s69, 0x33800000
	v_add_f32_e32 v36, v36, v37
	v_cmp_eq_f32_e32 vcc, s70, v150
	v_cmp_lt_f32_e64 s[70:71], |v150|, s69
	v_add_f32_e32 v36, v130, v36
	s_or_b64 vcc, vcc, s[70:71]
	v_cndmask_b32_e32 v36, v36, v150, vcc
	v_add_f32_e32 v35, v35, v36
	v_cvt_f16_f32_e32 v36, v35
.LBB381_155:
	s_or_b64 exec, exec, s[62:63]
	v_and_b32_e32 v35, 0xffff, v36
	v_mov_b32_e32 v133, v36
.LBB381_156:
	s_or_b64 exec, exec, s[66:67]
	v_cmp_gt_u32_e32 vcc, 32, v100
	s_waitcnt lgkmcnt(0)
	v_cndmask_b32_e64 v36, 0, 1, vcc
	v_lshlrev_b32_e32 v36, 5, v36
	v_add_lshl_u32 v119, v36, v31, 2
	ds_bpermute_b32 v35, v119, v35
	v_add_u32_e32 v128, 32, v100
	v_cmp_le_u32_e32 vcc, v128, v34
	s_and_saveexec_b64 s[66:67], vcc
	s_cbranch_execz .LBB381_160
; %bb.157:
	s_waitcnt lgkmcnt(0)
	v_cvt_f32_f16_e32 v31, v35
	v_cvt_f32_f16_e32 v36, v133
	v_cmp_u_f16_e32 vcc, v35, v35
	v_cmp_u_f16_e64 s[62:63], v133, v133
	v_min_f32_e32 v34, v31, v36
	v_max_f32_e32 v37, v31, v36
	v_cndmask_b32_e32 v34, v34, v31, vcc
	v_cndmask_b32_e32 v31, v37, v31, vcc
	v_cndmask_b32_e64 v34, v34, v36, s[62:63]
	v_cndmask_b32_e64 v31, v31, v36, s[62:63]
	s_movk_i32 s62, 0x1f8
	v_cmp_neq_f32_e32 vcc, v34, v31
	v_cmp_class_f32_e64 s[62:63], v34, s62
	s_or_b64 vcc, vcc, s[62:63]
	s_and_saveexec_b64 s[62:63], vcc
	s_cbranch_execz .LBB381_159
; %bb.158:
	v_sub_f32_e32 v34, v34, v31
	s_mov_b32 s69, 0x3fb8aa3b
	v_mul_f32_e32 v35, 0x3fb8aa3b, v34
	v_fma_f32 v36, v34, s69, -v35
	v_rndne_f32_e32 v37, v35
	v_fmac_f32_e32 v36, 0x32a5705f, v34
	v_sub_f32_e32 v35, v35, v37
	v_add_f32_e32 v35, v35, v36
	v_exp_f32_e32 v35, v35
	v_cvt_i32_f32_e32 v36, v37
	s_mov_b32 s69, 0xc2ce8ed0
	v_cmp_ngt_f32_e32 vcc, s69, v34
	s_mov_b32 s69, 0x42b17218
	v_ldexp_f32 v35, v35, v36
	v_cndmask_b32_e32 v35, 0, v35, vcc
	v_mov_b32_e32 v36, 0x7f800000
	v_cmp_nlt_f32_e32 vcc, s69, v34
	v_cndmask_b32_e32 v150, v36, v35, vcc
	v_add_f32_e32 v36, 1.0, v150
	v_add_f32_e32 v34, -1.0, v36
	v_sub_f32_e32 v35, v34, v36
	v_add_f32_e32 v35, 1.0, v35
	v_sub_f32_e32 v34, v150, v34
	v_add_f32_e32 v37, v34, v35
	v_frexp_mant_f32_e32 v129, v36
	s_mov_b32 s69, 0x3f2aaaab
	v_cvt_f64_f32_e32 v[34:35], v36
	v_frexp_exp_i32_f64_e32 v34, v[34:35]
	v_cmp_gt_f32_e32 vcc, s69, v129
	v_subbrev_co_u32_e32 v129, vcc, 0, v34, vcc
	v_sub_u32_e32 v34, 0, v129
	v_ldexp_f32 v35, v36, v34
	v_add_f32_e32 v36, -1.0, v35
	v_add_f32_e32 v130, 1.0, v35
	v_ldexp_f32 v34, v37, v34
	v_add_f32_e32 v37, 1.0, v36
	v_add_f32_e32 v131, -1.0, v130
	v_sub_f32_e32 v37, v35, v37
	v_sub_f32_e32 v35, v35, v131
	v_add_f32_e32 v37, v34, v37
	v_add_f32_e32 v34, v34, v35
	v_add_f32_e32 v134, v130, v34
	v_rcp_f32_e32 v144, v134
	v_sub_f32_e32 v35, v130, v134
	v_add_f32_e32 v135, v34, v35
	v_add_f32_e32 v35, v36, v37
	v_mul_f32_e32 v146, v35, v144
	v_sub_f32_e32 v34, v36, v35
	v_mul_f32_e32 v36, v134, v146
	v_fma_f32 v130, v146, v134, -v36
	v_fmac_f32_e32 v130, v146, v135
	v_add_f32_e32 v145, v37, v34
	v_add_f32_e32 v34, v36, v130
	v_sub_f32_e32 v37, v35, v34
	v_pk_add_f32 v[132:133], v[34:35], v[36:37] neg_lo:[0,1] neg_hi:[0,1]
	v_mov_b32_e32 v131, v34
	v_pk_add_f32 v[34:35], v[132:133], v[130:131] neg_lo:[0,1] neg_hi:[0,1]
	v_add_f32_e32 v35, v145, v35
	v_add_f32_e32 v34, v34, v35
	;; [unrolled: 1-line block ×3, first 2 shown]
	v_mul_f32_e32 v145, v144, v35
	v_mul_f32_e32 v36, v134, v145
	v_fma_f32 v130, v145, v134, -v36
	v_fmac_f32_e32 v130, v145, v135
	v_sub_f32_e32 v37, v37, v35
	v_add_f32_e32 v134, v34, v37
	v_add_f32_e32 v34, v36, v130
	v_sub_f32_e32 v37, v35, v34
	v_pk_add_f32 v[132:133], v[34:35], v[36:37] neg_lo:[0,1] neg_hi:[0,1]
	v_mov_b32_e32 v131, v34
	v_pk_add_f32 v[34:35], v[132:133], v[130:131] neg_lo:[0,1] neg_hi:[0,1]
	v_add_f32_e32 v35, v134, v35
	v_add_f32_e32 v34, v34, v35
	;; [unrolled: 1-line block ×4, first 2 shown]
	v_sub_f32_e32 v35, v37, v146
	v_mul_f32_e32 v34, v144, v34
	v_sub_f32_e32 v35, v145, v35
	v_add_f32_e32 v34, v35, v34
	v_add_f32_e32 v130, v37, v34
	v_mul_f32_e32 v132, v130, v130
	v_mov_b32_e32 v36, 0x3ecc95a3
	v_fmac_f32_e32 v36, 0x3e9b6dac, v132
	v_mov_b32_e32 v35, 0x3f2aaada
	v_fmac_f32_e32 v35, v132, v36
	v_cvt_f32_i32_e32 v36, v129
	v_sub_f32_e32 v37, v130, v37
	v_sub_f32_e32 v34, v34, v37
	v_ldexp_f32 v129, v34, 1
	v_mul_f32_e32 v37, v130, v132
	v_mov_b32_e32 v34, 0x3f317218
	s_mov_b32 s69, 0x3f317218
	v_pk_mul_f32 v[34:35], v[36:37], v[34:35]
	v_ldexp_f32 v131, v130, 1
	v_fma_f32 v130, v36, s69, -v34
	v_fmac_f32_e32 v130, 0xb102e308, v36
	v_pk_add_f32 v[36:37], v[34:35], v[130:131]
	v_sub_f32_e32 v131, v37, v131
	v_sub_f32_e32 v131, v35, v131
	v_add_f32_e32 v133, v129, v131
	v_mov_b32_e32 v132, v34
	v_pk_add_f32 v[34:35], v[36:37], v[34:35] neg_lo:[0,1] neg_hi:[0,1]
	v_pk_add_f32 v[134:135], v[36:37], v[132:133]
	v_mov_b32_e32 v35, v135
	v_mov_b32_e32 v131, v36
	v_pk_add_f32 v[144:145], v[130:131], v[34:35] neg_lo:[0,1] neg_hi:[0,1]
	v_pk_add_f32 v[34:35], v[130:131], v[34:35]
	v_mov_b32_e32 v130, v35
	v_pk_add_f32 v[146:147], v[130:131], v[36:37] neg_lo:[0,1] neg_hi:[0,1]
	v_mov_b32_e32 v129, v146
	v_pk_add_f32 v[148:149], v[134:135], v[128:129] neg_lo:[0,1] neg_hi:[0,1]
	v_mov_b32_e32 v34, v135
	v_mov_b32_e32 v134, v37
	;; [unrolled: 1-line block ×4, first 2 shown]
	v_pk_add_f32 v[34:35], v[34:35], v[134:135] neg_lo:[0,1] neg_hi:[0,1]
	v_mov_b32_e32 v132, v133
	v_mov_b32_e32 v133, v36
	v_pk_add_f32 v[34:35], v[132:133], v[34:35] neg_lo:[0,1] neg_hi:[0,1]
	v_mov_b32_e32 v148, v144
	v_pk_add_f32 v[36:37], v[148:149], v[34:35]
	v_mov_b32_e32 v132, v37
	v_pk_add_f32 v[132:133], v[36:37], v[132:133]
	v_pk_add_f32 v[130:131], v[130:131], v[132:133]
	v_mov_b32_e32 v37, v130
	v_pk_add_f32 v[134:135], v[36:37], v[144:145] neg_lo:[0,1] neg_hi:[0,1]
	v_mov_b32_e32 v35, v132
	v_sub_f32_e32 v36, v36, v134
	v_pk_add_f32 v[34:35], v[34:35], v[134:135] neg_lo:[0,1] neg_hi:[0,1]
	v_sub_f32_e32 v36, v144, v36
	s_mov_b32 s70, 0x7f800000
	v_add_f32_e32 v34, v34, v36
	s_mov_b32 s69, 0x33800000
	v_add_f32_e32 v34, v34, v35
	v_cmp_eq_f32_e32 vcc, s70, v150
	v_cmp_lt_f32_e64 s[70:71], |v150|, s69
	v_add_f32_e32 v34, v130, v34
	s_or_b64 vcc, vcc, s[70:71]
	v_cndmask_b32_e32 v34, v34, v150, vcc
	v_add_f32_e32 v31, v31, v34
	v_cvt_f16_f32_e32 v35, v31
.LBB381_159:
	s_or_b64 exec, exec, s[62:63]
	v_mov_b32_e32 v133, v35
.LBB381_160:
	s_or_b64 exec, exec, s[66:67]
	v_mov_b32_e32 v31, 0
	s_movk_i32 s69, 0x1f8
	s_mov_b32 s70, 0x3fb8aa3b
	s_mov_b32 s71, 0xc2ce8ed0
	;; [unrolled: 1-line block ×5, first 2 shown]
	v_mov_b32_e32 v130, 0x3f2aaada
	s_mov_b32 s75, 0x3f317218
	s_mov_b32 s76, 0x33800000
	v_mov_b32_e32 v131, 2
	v_mov_b32_e32 v132, 0x7f800000
	;; [unrolled: 1-line block ×3, first 2 shown]
	s_branch .LBB381_162
.LBB381_161:                            ;   in Loop: Header=BB381_162 Depth=1
	s_or_b64 exec, exec, s[62:63]
	v_subrev_u32_e32 v30, 64, v30
.LBB381_162:                            ; =>This Loop Header: Depth=1
                                        ;     Child Loop BB381_165 Depth 2
                                        ;       Child Loop BB381_166 Depth 3
	v_cmp_ne_u16_sdwa vcc, v102, v131 src0_sel:BYTE_0 src1_sel:DWORD
	s_waitcnt lgkmcnt(0)
	v_cndmask_b32_e64 v35, 0, 1, vcc
	;;#ASMSTART
	;;#ASMEND
	v_cmp_ne_u32_e32 vcc, 0, v35
	s_cmp_lg_u64 vcc, exec
	v_mov_b32_e32 v129, v133
	s_cbranch_scc1 .LBB381_195
; %bb.163:                              ;   in Loop: Header=BB381_162 Depth=1
	v_lshlrev_b64 v[36:37], 2, v[30:31]
	v_add_co_u32_e32 v36, vcc, v24, v36
	v_addc_co_u32_e32 v37, vcc, v25, v37, vcc
	flat_load_dword v133, v[36:37] glc
	s_waitcnt vmcnt(0) lgkmcnt(0)
	v_lshrrev_b32_e32 v102, 16, v133
	v_cmp_eq_u16_sdwa s[62:63], v102, v31 src0_sel:BYTE_0 src1_sel:DWORD
	s_and_saveexec_b64 vcc, s[62:63]
	s_cbranch_execz .LBB381_169
; %bb.164:                              ;   in Loop: Header=BB381_162 Depth=1
	s_mov_b32 s66, 1
	s_mov_b64 s[62:63], 0
.LBB381_165:                            ;   Parent Loop BB381_162 Depth=1
                                        ; =>  This Loop Header: Depth=2
                                        ;       Child Loop BB381_166 Depth 3
	s_max_u32 s67, s66, 1
.LBB381_166:                            ;   Parent Loop BB381_162 Depth=1
                                        ;     Parent Loop BB381_165 Depth=2
                                        ; =>    This Inner Loop Header: Depth=3
	s_add_i32 s67, s67, -1
	s_cmp_eq_u32 s67, 0
	s_sleep 1
	s_cbranch_scc0 .LBB381_166
; %bb.167:                              ;   in Loop: Header=BB381_165 Depth=2
	flat_load_dword v133, v[36:37] glc
	s_cmp_lt_u32 s66, 32
	s_cselect_b64 s[78:79], -1, 0
	s_cmp_lg_u64 s[78:79], 0
	s_addc_u32 s66, s66, 0
	s_waitcnt vmcnt(0) lgkmcnt(0)
	v_lshrrev_b32_e32 v102, 16, v133
	v_cmp_ne_u16_sdwa s[78:79], v102, v31 src0_sel:BYTE_0 src1_sel:DWORD
	s_or_b64 s[62:63], s[78:79], s[62:63]
	s_andn2_b64 exec, exec, s[62:63]
	s_cbranch_execnz .LBB381_165
; %bb.168:                              ;   in Loop: Header=BB381_162 Depth=1
	s_or_b64 exec, exec, s[62:63]
.LBB381_169:                            ;   in Loop: Header=BB381_162 Depth=1
	s_or_b64 exec, exec, vcc
	v_cmp_eq_u16_sdwa vcc, v102, v131 src0_sel:BYTE_0 src1_sel:DWORD
	v_and_b32_e32 v35, vcc_hi, v33
	v_or_b32_e32 v35, 0x80000000, v35
	v_ffbl_b32_e32 v37, v35
	v_and_b32_e32 v35, 0xffff, v133
	ds_bpermute_b32 v134, v101, v35
	v_and_b32_e32 v36, vcc_lo, v32
	v_add_u32_e32 v37, 32, v37
	v_ffbl_b32_e32 v36, v36
	v_min_u32_e32 v36, v36, v37
	v_cmp_lt_u32_e32 vcc, v100, v36
	s_and_saveexec_b64 s[66:67], vcc
	s_cbranch_execz .LBB381_173
; %bb.170:                              ;   in Loop: Header=BB381_162 Depth=1
	s_waitcnt lgkmcnt(0)
	v_cvt_f32_f16_e32 v37, v134
	v_cvt_f32_f16_e32 v135, v133
	v_cmp_u_f16_e32 vcc, v134, v134
	v_cmp_u_f16_e64 s[62:63], v133, v133
	v_min_f32_e32 v35, v37, v135
	v_max_f32_e32 v133, v37, v135
	v_cndmask_b32_e32 v35, v35, v37, vcc
	v_cndmask_b32_e32 v37, v133, v37, vcc
	v_cndmask_b32_e64 v35, v35, v135, s[62:63]
	v_cndmask_b32_e64 v37, v37, v135, s[62:63]
	v_cmp_neq_f32_e32 vcc, v35, v37
	v_cmp_class_f32_e64 s[62:63], v35, s69
	s_or_b64 vcc, vcc, s[62:63]
	s_and_saveexec_b64 s[62:63], vcc
	s_cbranch_execz .LBB381_172
; %bb.171:                              ;   in Loop: Header=BB381_162 Depth=1
	v_sub_f32_e32 v35, v35, v37
	v_mul_f32_e32 v133, 0x3fb8aa3b, v35
	v_fma_f32 v134, v35, s70, -v133
	v_rndne_f32_e32 v135, v133
	v_fmac_f32_e32 v134, 0x32a5705f, v35
	v_sub_f32_e32 v133, v133, v135
	v_add_f32_e32 v133, v133, v134
	v_cvt_i32_f32_e32 v134, v135
	v_exp_f32_e32 v133, v133
	v_cmp_ngt_f32_e32 vcc, s71, v35
	v_ldexp_f32 v133, v133, v134
	v_cndmask_b32_e32 v133, 0, v133, vcc
	v_cmp_nlt_f32_e32 vcc, s72, v35
	v_cndmask_b32_e32 v133, v132, v133, vcc
	v_add_f32_e32 v35, 1.0, v133
	v_add_f32_e32 v134, -1.0, v35
	v_sub_f32_e32 v135, v134, v35
	v_add_f32_e32 v135, 1.0, v135
	v_sub_f32_e32 v134, v133, v134
	v_add_f32_e32 v144, v134, v135
	v_frexp_mant_f32_e32 v145, v35
	v_cvt_f64_f32_e32 v[134:135], v35
	v_frexp_exp_i32_f64_e32 v134, v[134:135]
	v_cmp_gt_f32_e32 vcc, s74, v145
	v_subbrev_co_u32_e32 v150, vcc, 0, v134, vcc
	v_sub_u32_e32 v134, 0, v150
	v_ldexp_f32 v35, v35, v134
	v_ldexp_f32 v134, v144, v134
	v_add_f32_e32 v144, -1.0, v35
	v_add_f32_e32 v135, 1.0, v144
	v_sub_f32_e32 v135, v35, v135
	v_add_f32_e32 v145, v134, v135
	v_add_f32_e32 v135, 1.0, v35
	v_add_f32_e32 v146, -1.0, v135
	v_sub_f32_e32 v35, v35, v146
	v_add_f32_e32 v35, v134, v35
	v_add_f32_e32 v151, v135, v35
	v_rcp_f32_e32 v160, v151
	v_sub_f32_e32 v134, v135, v151
	v_add_f32_e32 v135, v144, v145
	v_add_f32_e32 v35, v35, v134
	v_mul_f32_e32 v162, v135, v160
	v_sub_f32_e32 v134, v144, v135
	v_mul_f32_e32 v144, v151, v162
	v_fma_f32 v146, v162, v151, -v144
	v_fmac_f32_e32 v146, v162, v35
	v_add_f32_e32 v161, v145, v134
	v_add_f32_e32 v134, v144, v146
	v_sub_f32_e32 v145, v135, v134
	v_pk_add_f32 v[148:149], v[134:135], v[144:145] neg_lo:[0,1] neg_hi:[0,1]
	v_mov_b32_e32 v147, v134
	v_pk_add_f32 v[134:135], v[148:149], v[146:147] neg_lo:[0,1] neg_hi:[0,1]
	v_add_f32_e32 v135, v161, v135
	v_add_f32_e32 v134, v134, v135
	;; [unrolled: 1-line block ×3, first 2 shown]
	v_mul_f32_e32 v161, v160, v135
	v_mul_f32_e32 v144, v151, v161
	v_fma_f32 v146, v161, v151, -v144
	v_fmac_f32_e32 v146, v161, v35
	v_sub_f32_e32 v35, v145, v135
	v_add_f32_e32 v35, v134, v35
	v_add_f32_e32 v134, v144, v146
	v_sub_f32_e32 v145, v135, v134
	v_pk_add_f32 v[148:149], v[134:135], v[144:145] neg_lo:[0,1] neg_hi:[0,1]
	v_mov_b32_e32 v147, v134
	v_pk_add_f32 v[134:135], v[148:149], v[146:147] neg_lo:[0,1] neg_hi:[0,1]
	v_add_f32_e32 v35, v35, v135
	v_add_f32_e32 v35, v134, v35
	;; [unrolled: 1-line block ×4, first 2 shown]
	v_sub_f32_e32 v134, v135, v162
	v_mul_f32_e32 v35, v160, v35
	v_sub_f32_e32 v134, v161, v134
	v_add_f32_e32 v144, v134, v35
	v_add_f32_e32 v146, v135, v144
	v_cvt_f32_i32_e32 v134, v150
	v_mul_f32_e32 v147, v146, v146
	v_mov_b32_e32 v35, 0x3ecc95a3
	v_sub_f32_e32 v135, v146, v135
	v_fmac_f32_e32 v35, 0x3e9b6dac, v147
	v_sub_f32_e32 v135, v144, v135
	v_fma_f32 v35, v147, v35, v130
	v_ldexp_f32 v148, v135, 1
	v_mul_f32_e32 v135, v146, v147
	v_ldexp_f32 v145, v146, 1
	v_pk_mul_f32 v[146:147], v[134:135], v[34:35]
	v_fma_f32 v144, v134, s75, -v146
	v_fmac_f32_e32 v144, 0xb102e308, v134
	v_pk_add_f32 v[134:135], v[146:147], v[144:145]
	v_sub_f32_e32 v35, v135, v145
	v_sub_f32_e32 v35, v147, v35
	v_add_f32_e32 v149, v148, v35
	v_mov_b32_e32 v148, v146
	v_pk_add_f32 v[146:147], v[134:135], v[146:147] neg_lo:[0,1] neg_hi:[0,1]
	v_pk_add_f32 v[150:151], v[134:135], v[148:149]
	v_mov_b32_e32 v147, v151
	v_mov_b32_e32 v145, v134
	v_pk_add_f32 v[160:161], v[144:145], v[146:147] neg_lo:[0,1] neg_hi:[0,1]
	v_pk_add_f32 v[144:145], v[144:145], v[146:147]
	v_mov_b32_e32 v146, v145
	v_pk_add_f32 v[162:163], v[146:147], v[134:135] neg_lo:[0,1] neg_hi:[0,1]
	v_mov_b32_e32 v35, v162
	v_pk_add_f32 v[164:165], v[150:151], v[34:35] neg_lo:[0,1] neg_hi:[0,1]
	v_mov_b32_e32 v144, v151
	v_mov_b32_e32 v150, v135
	;; [unrolled: 1-line block ×4, first 2 shown]
	v_pk_add_f32 v[144:145], v[144:145], v[150:151] neg_lo:[0,1] neg_hi:[0,1]
	v_mov_b32_e32 v148, v149
	v_mov_b32_e32 v149, v134
	v_pk_add_f32 v[134:135], v[148:149], v[144:145] neg_lo:[0,1] neg_hi:[0,1]
	v_mov_b32_e32 v164, v160
	v_pk_add_f32 v[144:145], v[164:165], v[134:135]
	v_mov_b32_e32 v148, v145
	v_pk_add_f32 v[148:149], v[144:145], v[148:149]
	v_pk_add_f32 v[146:147], v[146:147], v[148:149]
	v_mov_b32_e32 v145, v146
	v_pk_add_f32 v[150:151], v[144:145], v[160:161] neg_lo:[0,1] neg_hi:[0,1]
	v_mov_b32_e32 v135, v148
	v_sub_f32_e32 v35, v144, v150
	v_pk_add_f32 v[134:135], v[134:135], v[150:151] neg_lo:[0,1] neg_hi:[0,1]
	v_sub_f32_e32 v35, v160, v35
	v_add_f32_e32 v35, v134, v35
	v_add_f32_e32 v35, v35, v135
	v_cmp_eq_f32_e32 vcc, s73, v133
	v_cmp_lt_f32_e64 s[78:79], |v133|, s76
	v_add_f32_e32 v35, v146, v35
	s_or_b64 vcc, vcc, s[78:79]
	v_cndmask_b32_e32 v35, v35, v133, vcc
	v_add_f32_e32 v35, v37, v35
	v_cvt_f16_f32_e32 v134, v35
.LBB381_172:                            ;   in Loop: Header=BB381_162 Depth=1
	s_or_b64 exec, exec, s[62:63]
	v_and_b32_e32 v35, 0xffff, v134
	v_mov_b32_e32 v133, v134
.LBB381_173:                            ;   in Loop: Header=BB381_162 Depth=1
	s_or_b64 exec, exec, s[66:67]
	s_waitcnt lgkmcnt(0)
	ds_bpermute_b32 v134, v103, v35
	v_cmp_le_u32_e32 vcc, v112, v36
	s_and_saveexec_b64 s[66:67], vcc
	s_cbranch_execz .LBB381_177
; %bb.174:                              ;   in Loop: Header=BB381_162 Depth=1
	s_waitcnt lgkmcnt(0)
	v_cvt_f32_f16_e32 v37, v134
	v_cvt_f32_f16_e32 v135, v133
	v_cmp_u_f16_e32 vcc, v134, v134
	v_cmp_u_f16_e64 s[62:63], v133, v133
	v_min_f32_e32 v35, v37, v135
	v_max_f32_e32 v133, v37, v135
	v_cndmask_b32_e32 v35, v35, v37, vcc
	v_cndmask_b32_e32 v37, v133, v37, vcc
	v_cndmask_b32_e64 v35, v35, v135, s[62:63]
	v_cndmask_b32_e64 v37, v37, v135, s[62:63]
	v_cmp_neq_f32_e32 vcc, v35, v37
	v_cmp_class_f32_e64 s[62:63], v35, s69
	s_or_b64 vcc, vcc, s[62:63]
	s_and_saveexec_b64 s[62:63], vcc
	s_cbranch_execz .LBB381_176
; %bb.175:                              ;   in Loop: Header=BB381_162 Depth=1
	v_sub_f32_e32 v35, v35, v37
	v_mul_f32_e32 v133, 0x3fb8aa3b, v35
	v_fma_f32 v134, v35, s70, -v133
	v_rndne_f32_e32 v135, v133
	v_fmac_f32_e32 v134, 0x32a5705f, v35
	v_sub_f32_e32 v133, v133, v135
	v_add_f32_e32 v133, v133, v134
	v_cvt_i32_f32_e32 v134, v135
	v_exp_f32_e32 v133, v133
	v_cmp_ngt_f32_e32 vcc, s71, v35
	v_ldexp_f32 v133, v133, v134
	v_cndmask_b32_e32 v133, 0, v133, vcc
	v_cmp_nlt_f32_e32 vcc, s72, v35
	v_cndmask_b32_e32 v133, v132, v133, vcc
	v_add_f32_e32 v35, 1.0, v133
	v_add_f32_e32 v134, -1.0, v35
	v_sub_f32_e32 v135, v134, v35
	v_add_f32_e32 v135, 1.0, v135
	v_sub_f32_e32 v134, v133, v134
	v_add_f32_e32 v144, v134, v135
	v_frexp_mant_f32_e32 v145, v35
	v_cvt_f64_f32_e32 v[134:135], v35
	v_frexp_exp_i32_f64_e32 v134, v[134:135]
	v_cmp_gt_f32_e32 vcc, s74, v145
	v_subbrev_co_u32_e32 v150, vcc, 0, v134, vcc
	v_sub_u32_e32 v134, 0, v150
	v_ldexp_f32 v35, v35, v134
	v_ldexp_f32 v134, v144, v134
	v_add_f32_e32 v144, -1.0, v35
	v_add_f32_e32 v135, 1.0, v144
	v_sub_f32_e32 v135, v35, v135
	v_add_f32_e32 v145, v134, v135
	v_add_f32_e32 v135, 1.0, v35
	v_add_f32_e32 v146, -1.0, v135
	v_sub_f32_e32 v35, v35, v146
	v_add_f32_e32 v35, v134, v35
	v_add_f32_e32 v151, v135, v35
	v_rcp_f32_e32 v160, v151
	v_sub_f32_e32 v134, v135, v151
	v_add_f32_e32 v135, v144, v145
	v_add_f32_e32 v35, v35, v134
	v_mul_f32_e32 v162, v135, v160
	v_sub_f32_e32 v134, v144, v135
	v_mul_f32_e32 v144, v151, v162
	v_fma_f32 v146, v162, v151, -v144
	v_fmac_f32_e32 v146, v162, v35
	v_add_f32_e32 v161, v145, v134
	v_add_f32_e32 v134, v144, v146
	v_sub_f32_e32 v145, v135, v134
	v_pk_add_f32 v[148:149], v[134:135], v[144:145] neg_lo:[0,1] neg_hi:[0,1]
	v_mov_b32_e32 v147, v134
	v_pk_add_f32 v[134:135], v[148:149], v[146:147] neg_lo:[0,1] neg_hi:[0,1]
	v_add_f32_e32 v135, v161, v135
	v_add_f32_e32 v134, v134, v135
	;; [unrolled: 1-line block ×3, first 2 shown]
	v_mul_f32_e32 v161, v160, v135
	v_mul_f32_e32 v144, v151, v161
	v_fma_f32 v146, v161, v151, -v144
	v_fmac_f32_e32 v146, v161, v35
	v_sub_f32_e32 v35, v145, v135
	v_add_f32_e32 v35, v134, v35
	v_add_f32_e32 v134, v144, v146
	v_sub_f32_e32 v145, v135, v134
	v_pk_add_f32 v[148:149], v[134:135], v[144:145] neg_lo:[0,1] neg_hi:[0,1]
	v_mov_b32_e32 v147, v134
	v_pk_add_f32 v[134:135], v[148:149], v[146:147] neg_lo:[0,1] neg_hi:[0,1]
	v_add_f32_e32 v35, v35, v135
	v_add_f32_e32 v35, v134, v35
	;; [unrolled: 1-line block ×4, first 2 shown]
	v_sub_f32_e32 v134, v135, v162
	v_mul_f32_e32 v35, v160, v35
	v_sub_f32_e32 v134, v161, v134
	v_add_f32_e32 v144, v134, v35
	v_add_f32_e32 v146, v135, v144
	v_cvt_f32_i32_e32 v134, v150
	v_mul_f32_e32 v147, v146, v146
	v_mov_b32_e32 v35, 0x3ecc95a3
	v_sub_f32_e32 v135, v146, v135
	v_fmac_f32_e32 v35, 0x3e9b6dac, v147
	v_sub_f32_e32 v135, v144, v135
	v_fma_f32 v35, v147, v35, v130
	v_ldexp_f32 v148, v135, 1
	v_mul_f32_e32 v135, v146, v147
	v_ldexp_f32 v145, v146, 1
	v_pk_mul_f32 v[146:147], v[134:135], v[34:35]
	v_fma_f32 v144, v134, s75, -v146
	v_fmac_f32_e32 v144, 0xb102e308, v134
	v_pk_add_f32 v[134:135], v[146:147], v[144:145]
	v_sub_f32_e32 v35, v135, v145
	v_sub_f32_e32 v35, v147, v35
	v_add_f32_e32 v149, v148, v35
	v_mov_b32_e32 v148, v146
	v_pk_add_f32 v[146:147], v[134:135], v[146:147] neg_lo:[0,1] neg_hi:[0,1]
	v_pk_add_f32 v[150:151], v[134:135], v[148:149]
	v_mov_b32_e32 v147, v151
	v_mov_b32_e32 v145, v134
	v_pk_add_f32 v[160:161], v[144:145], v[146:147] neg_lo:[0,1] neg_hi:[0,1]
	v_pk_add_f32 v[144:145], v[144:145], v[146:147]
	v_mov_b32_e32 v146, v145
	v_pk_add_f32 v[162:163], v[146:147], v[134:135] neg_lo:[0,1] neg_hi:[0,1]
	v_mov_b32_e32 v35, v162
	v_pk_add_f32 v[164:165], v[150:151], v[34:35] neg_lo:[0,1] neg_hi:[0,1]
	v_mov_b32_e32 v144, v151
	v_mov_b32_e32 v150, v135
	v_mov_b32_e32 v151, v162
	v_mov_b32_e32 v161, v145
	v_pk_add_f32 v[144:145], v[144:145], v[150:151] neg_lo:[0,1] neg_hi:[0,1]
	v_mov_b32_e32 v148, v149
	v_mov_b32_e32 v149, v134
	v_pk_add_f32 v[134:135], v[148:149], v[144:145] neg_lo:[0,1] neg_hi:[0,1]
	v_mov_b32_e32 v164, v160
	v_pk_add_f32 v[144:145], v[164:165], v[134:135]
	v_mov_b32_e32 v148, v145
	v_pk_add_f32 v[148:149], v[144:145], v[148:149]
	v_pk_add_f32 v[146:147], v[146:147], v[148:149]
	v_mov_b32_e32 v145, v146
	v_pk_add_f32 v[150:151], v[144:145], v[160:161] neg_lo:[0,1] neg_hi:[0,1]
	v_mov_b32_e32 v135, v148
	v_sub_f32_e32 v35, v144, v150
	v_pk_add_f32 v[134:135], v[134:135], v[150:151] neg_lo:[0,1] neg_hi:[0,1]
	v_sub_f32_e32 v35, v160, v35
	v_add_f32_e32 v35, v134, v35
	v_add_f32_e32 v35, v35, v135
	v_cmp_eq_f32_e32 vcc, s73, v133
	v_cmp_lt_f32_e64 s[78:79], |v133|, s76
	v_add_f32_e32 v35, v146, v35
	s_or_b64 vcc, vcc, s[78:79]
	v_cndmask_b32_e32 v35, v35, v133, vcc
	v_add_f32_e32 v35, v37, v35
	v_cvt_f16_f32_e32 v134, v35
.LBB381_176:                            ;   in Loop: Header=BB381_162 Depth=1
	s_or_b64 exec, exec, s[62:63]
	v_and_b32_e32 v35, 0xffff, v134
	v_mov_b32_e32 v133, v134
.LBB381_177:                            ;   in Loop: Header=BB381_162 Depth=1
	s_or_b64 exec, exec, s[66:67]
	s_waitcnt lgkmcnt(0)
	ds_bpermute_b32 v134, v113, v35
	v_cmp_le_u32_e32 vcc, v114, v36
	s_and_saveexec_b64 s[66:67], vcc
	s_cbranch_execz .LBB381_181
; %bb.178:                              ;   in Loop: Header=BB381_162 Depth=1
	s_waitcnt lgkmcnt(0)
	v_cvt_f32_f16_e32 v37, v134
	v_cvt_f32_f16_e32 v135, v133
	v_cmp_u_f16_e32 vcc, v134, v134
	v_cmp_u_f16_e64 s[62:63], v133, v133
	v_min_f32_e32 v35, v37, v135
	v_max_f32_e32 v133, v37, v135
	v_cndmask_b32_e32 v35, v35, v37, vcc
	v_cndmask_b32_e32 v37, v133, v37, vcc
	v_cndmask_b32_e64 v35, v35, v135, s[62:63]
	v_cndmask_b32_e64 v37, v37, v135, s[62:63]
	v_cmp_neq_f32_e32 vcc, v35, v37
	v_cmp_class_f32_e64 s[62:63], v35, s69
	s_or_b64 vcc, vcc, s[62:63]
	s_and_saveexec_b64 s[62:63], vcc
	s_cbranch_execz .LBB381_180
; %bb.179:                              ;   in Loop: Header=BB381_162 Depth=1
	v_sub_f32_e32 v35, v35, v37
	v_mul_f32_e32 v133, 0x3fb8aa3b, v35
	v_fma_f32 v134, v35, s70, -v133
	v_rndne_f32_e32 v135, v133
	v_fmac_f32_e32 v134, 0x32a5705f, v35
	v_sub_f32_e32 v133, v133, v135
	v_add_f32_e32 v133, v133, v134
	v_cvt_i32_f32_e32 v134, v135
	v_exp_f32_e32 v133, v133
	v_cmp_ngt_f32_e32 vcc, s71, v35
	v_ldexp_f32 v133, v133, v134
	v_cndmask_b32_e32 v133, 0, v133, vcc
	v_cmp_nlt_f32_e32 vcc, s72, v35
	v_cndmask_b32_e32 v133, v132, v133, vcc
	v_add_f32_e32 v35, 1.0, v133
	v_add_f32_e32 v134, -1.0, v35
	v_sub_f32_e32 v135, v134, v35
	v_add_f32_e32 v135, 1.0, v135
	v_sub_f32_e32 v134, v133, v134
	v_add_f32_e32 v144, v134, v135
	v_frexp_mant_f32_e32 v145, v35
	v_cvt_f64_f32_e32 v[134:135], v35
	v_frexp_exp_i32_f64_e32 v134, v[134:135]
	v_cmp_gt_f32_e32 vcc, s74, v145
	v_subbrev_co_u32_e32 v150, vcc, 0, v134, vcc
	v_sub_u32_e32 v134, 0, v150
	v_ldexp_f32 v35, v35, v134
	v_ldexp_f32 v134, v144, v134
	v_add_f32_e32 v144, -1.0, v35
	v_add_f32_e32 v135, 1.0, v144
	v_sub_f32_e32 v135, v35, v135
	v_add_f32_e32 v145, v134, v135
	v_add_f32_e32 v135, 1.0, v35
	v_add_f32_e32 v146, -1.0, v135
	v_sub_f32_e32 v35, v35, v146
	v_add_f32_e32 v35, v134, v35
	v_add_f32_e32 v151, v135, v35
	v_rcp_f32_e32 v160, v151
	v_sub_f32_e32 v134, v135, v151
	v_add_f32_e32 v135, v144, v145
	v_add_f32_e32 v35, v35, v134
	v_mul_f32_e32 v162, v135, v160
	v_sub_f32_e32 v134, v144, v135
	v_mul_f32_e32 v144, v151, v162
	v_fma_f32 v146, v162, v151, -v144
	v_fmac_f32_e32 v146, v162, v35
	v_add_f32_e32 v161, v145, v134
	v_add_f32_e32 v134, v144, v146
	v_sub_f32_e32 v145, v135, v134
	v_pk_add_f32 v[148:149], v[134:135], v[144:145] neg_lo:[0,1] neg_hi:[0,1]
	v_mov_b32_e32 v147, v134
	v_pk_add_f32 v[134:135], v[148:149], v[146:147] neg_lo:[0,1] neg_hi:[0,1]
	v_add_f32_e32 v135, v161, v135
	v_add_f32_e32 v134, v134, v135
	;; [unrolled: 1-line block ×3, first 2 shown]
	v_mul_f32_e32 v161, v160, v135
	v_mul_f32_e32 v144, v151, v161
	v_fma_f32 v146, v161, v151, -v144
	v_fmac_f32_e32 v146, v161, v35
	v_sub_f32_e32 v35, v145, v135
	v_add_f32_e32 v35, v134, v35
	v_add_f32_e32 v134, v144, v146
	v_sub_f32_e32 v145, v135, v134
	v_pk_add_f32 v[148:149], v[134:135], v[144:145] neg_lo:[0,1] neg_hi:[0,1]
	v_mov_b32_e32 v147, v134
	v_pk_add_f32 v[134:135], v[148:149], v[146:147] neg_lo:[0,1] neg_hi:[0,1]
	v_add_f32_e32 v35, v35, v135
	v_add_f32_e32 v35, v134, v35
	;; [unrolled: 1-line block ×4, first 2 shown]
	v_sub_f32_e32 v134, v135, v162
	v_mul_f32_e32 v35, v160, v35
	v_sub_f32_e32 v134, v161, v134
	v_add_f32_e32 v144, v134, v35
	v_add_f32_e32 v146, v135, v144
	v_cvt_f32_i32_e32 v134, v150
	v_mul_f32_e32 v147, v146, v146
	v_mov_b32_e32 v35, 0x3ecc95a3
	v_sub_f32_e32 v135, v146, v135
	v_fmac_f32_e32 v35, 0x3e9b6dac, v147
	v_sub_f32_e32 v135, v144, v135
	v_fma_f32 v35, v147, v35, v130
	v_ldexp_f32 v148, v135, 1
	v_mul_f32_e32 v135, v146, v147
	v_ldexp_f32 v145, v146, 1
	v_pk_mul_f32 v[146:147], v[134:135], v[34:35]
	v_fma_f32 v144, v134, s75, -v146
	v_fmac_f32_e32 v144, 0xb102e308, v134
	v_pk_add_f32 v[134:135], v[146:147], v[144:145]
	v_sub_f32_e32 v35, v135, v145
	v_sub_f32_e32 v35, v147, v35
	v_add_f32_e32 v149, v148, v35
	v_mov_b32_e32 v148, v146
	v_pk_add_f32 v[146:147], v[134:135], v[146:147] neg_lo:[0,1] neg_hi:[0,1]
	v_pk_add_f32 v[150:151], v[134:135], v[148:149]
	v_mov_b32_e32 v147, v151
	v_mov_b32_e32 v145, v134
	v_pk_add_f32 v[160:161], v[144:145], v[146:147] neg_lo:[0,1] neg_hi:[0,1]
	v_pk_add_f32 v[144:145], v[144:145], v[146:147]
	v_mov_b32_e32 v146, v145
	v_pk_add_f32 v[162:163], v[146:147], v[134:135] neg_lo:[0,1] neg_hi:[0,1]
	v_mov_b32_e32 v35, v162
	v_pk_add_f32 v[164:165], v[150:151], v[34:35] neg_lo:[0,1] neg_hi:[0,1]
	v_mov_b32_e32 v144, v151
	v_mov_b32_e32 v150, v135
	;; [unrolled: 1-line block ×4, first 2 shown]
	v_pk_add_f32 v[144:145], v[144:145], v[150:151] neg_lo:[0,1] neg_hi:[0,1]
	v_mov_b32_e32 v148, v149
	v_mov_b32_e32 v149, v134
	v_pk_add_f32 v[134:135], v[148:149], v[144:145] neg_lo:[0,1] neg_hi:[0,1]
	v_mov_b32_e32 v164, v160
	v_pk_add_f32 v[144:145], v[164:165], v[134:135]
	v_mov_b32_e32 v148, v145
	v_pk_add_f32 v[148:149], v[144:145], v[148:149]
	v_pk_add_f32 v[146:147], v[146:147], v[148:149]
	v_mov_b32_e32 v145, v146
	v_pk_add_f32 v[150:151], v[144:145], v[160:161] neg_lo:[0,1] neg_hi:[0,1]
	v_mov_b32_e32 v135, v148
	v_sub_f32_e32 v35, v144, v150
	v_pk_add_f32 v[134:135], v[134:135], v[150:151] neg_lo:[0,1] neg_hi:[0,1]
	v_sub_f32_e32 v35, v160, v35
	v_add_f32_e32 v35, v134, v35
	v_add_f32_e32 v35, v35, v135
	v_cmp_eq_f32_e32 vcc, s73, v133
	v_cmp_lt_f32_e64 s[78:79], |v133|, s76
	v_add_f32_e32 v35, v146, v35
	s_or_b64 vcc, vcc, s[78:79]
	v_cndmask_b32_e32 v35, v35, v133, vcc
	v_add_f32_e32 v35, v37, v35
	v_cvt_f16_f32_e32 v134, v35
.LBB381_180:                            ;   in Loop: Header=BB381_162 Depth=1
	s_or_b64 exec, exec, s[62:63]
	v_and_b32_e32 v35, 0xffff, v134
	v_mov_b32_e32 v133, v134
.LBB381_181:                            ;   in Loop: Header=BB381_162 Depth=1
	s_or_b64 exec, exec, s[66:67]
	s_waitcnt lgkmcnt(0)
	ds_bpermute_b32 v134, v115, v35
	v_cmp_le_u32_e32 vcc, v116, v36
	s_and_saveexec_b64 s[66:67], vcc
	s_cbranch_execz .LBB381_185
; %bb.182:                              ;   in Loop: Header=BB381_162 Depth=1
	s_waitcnt lgkmcnt(0)
	v_cvt_f32_f16_e32 v37, v134
	v_cvt_f32_f16_e32 v135, v133
	v_cmp_u_f16_e32 vcc, v134, v134
	v_cmp_u_f16_e64 s[62:63], v133, v133
	v_min_f32_e32 v35, v37, v135
	v_max_f32_e32 v133, v37, v135
	v_cndmask_b32_e32 v35, v35, v37, vcc
	v_cndmask_b32_e32 v37, v133, v37, vcc
	v_cndmask_b32_e64 v35, v35, v135, s[62:63]
	v_cndmask_b32_e64 v37, v37, v135, s[62:63]
	v_cmp_neq_f32_e32 vcc, v35, v37
	v_cmp_class_f32_e64 s[62:63], v35, s69
	s_or_b64 vcc, vcc, s[62:63]
	s_and_saveexec_b64 s[62:63], vcc
	s_cbranch_execz .LBB381_184
; %bb.183:                              ;   in Loop: Header=BB381_162 Depth=1
	v_sub_f32_e32 v35, v35, v37
	v_mul_f32_e32 v133, 0x3fb8aa3b, v35
	v_fma_f32 v134, v35, s70, -v133
	v_rndne_f32_e32 v135, v133
	v_fmac_f32_e32 v134, 0x32a5705f, v35
	v_sub_f32_e32 v133, v133, v135
	v_add_f32_e32 v133, v133, v134
	v_cvt_i32_f32_e32 v134, v135
	v_exp_f32_e32 v133, v133
	v_cmp_ngt_f32_e32 vcc, s71, v35
	v_ldexp_f32 v133, v133, v134
	v_cndmask_b32_e32 v133, 0, v133, vcc
	v_cmp_nlt_f32_e32 vcc, s72, v35
	v_cndmask_b32_e32 v133, v132, v133, vcc
	v_add_f32_e32 v35, 1.0, v133
	v_add_f32_e32 v134, -1.0, v35
	v_sub_f32_e32 v135, v134, v35
	v_add_f32_e32 v135, 1.0, v135
	v_sub_f32_e32 v134, v133, v134
	v_add_f32_e32 v144, v134, v135
	v_frexp_mant_f32_e32 v145, v35
	v_cvt_f64_f32_e32 v[134:135], v35
	v_frexp_exp_i32_f64_e32 v134, v[134:135]
	v_cmp_gt_f32_e32 vcc, s74, v145
	v_subbrev_co_u32_e32 v150, vcc, 0, v134, vcc
	v_sub_u32_e32 v134, 0, v150
	v_ldexp_f32 v35, v35, v134
	v_ldexp_f32 v134, v144, v134
	v_add_f32_e32 v144, -1.0, v35
	v_add_f32_e32 v135, 1.0, v144
	v_sub_f32_e32 v135, v35, v135
	v_add_f32_e32 v145, v134, v135
	v_add_f32_e32 v135, 1.0, v35
	v_add_f32_e32 v146, -1.0, v135
	v_sub_f32_e32 v35, v35, v146
	v_add_f32_e32 v35, v134, v35
	v_add_f32_e32 v151, v135, v35
	v_rcp_f32_e32 v160, v151
	v_sub_f32_e32 v134, v135, v151
	v_add_f32_e32 v135, v144, v145
	v_add_f32_e32 v35, v35, v134
	v_mul_f32_e32 v162, v135, v160
	v_sub_f32_e32 v134, v144, v135
	v_mul_f32_e32 v144, v151, v162
	v_fma_f32 v146, v162, v151, -v144
	v_fmac_f32_e32 v146, v162, v35
	v_add_f32_e32 v161, v145, v134
	v_add_f32_e32 v134, v144, v146
	v_sub_f32_e32 v145, v135, v134
	v_pk_add_f32 v[148:149], v[134:135], v[144:145] neg_lo:[0,1] neg_hi:[0,1]
	v_mov_b32_e32 v147, v134
	v_pk_add_f32 v[134:135], v[148:149], v[146:147] neg_lo:[0,1] neg_hi:[0,1]
	v_add_f32_e32 v135, v161, v135
	v_add_f32_e32 v134, v134, v135
	;; [unrolled: 1-line block ×3, first 2 shown]
	v_mul_f32_e32 v161, v160, v135
	v_mul_f32_e32 v144, v151, v161
	v_fma_f32 v146, v161, v151, -v144
	v_fmac_f32_e32 v146, v161, v35
	v_sub_f32_e32 v35, v145, v135
	v_add_f32_e32 v35, v134, v35
	v_add_f32_e32 v134, v144, v146
	v_sub_f32_e32 v145, v135, v134
	v_pk_add_f32 v[148:149], v[134:135], v[144:145] neg_lo:[0,1] neg_hi:[0,1]
	v_mov_b32_e32 v147, v134
	v_pk_add_f32 v[134:135], v[148:149], v[146:147] neg_lo:[0,1] neg_hi:[0,1]
	v_add_f32_e32 v35, v35, v135
	v_add_f32_e32 v35, v134, v35
	;; [unrolled: 1-line block ×4, first 2 shown]
	v_sub_f32_e32 v134, v135, v162
	v_mul_f32_e32 v35, v160, v35
	v_sub_f32_e32 v134, v161, v134
	v_add_f32_e32 v144, v134, v35
	v_add_f32_e32 v146, v135, v144
	v_cvt_f32_i32_e32 v134, v150
	v_mul_f32_e32 v147, v146, v146
	v_mov_b32_e32 v35, 0x3ecc95a3
	v_sub_f32_e32 v135, v146, v135
	v_fmac_f32_e32 v35, 0x3e9b6dac, v147
	v_sub_f32_e32 v135, v144, v135
	v_fma_f32 v35, v147, v35, v130
	v_ldexp_f32 v148, v135, 1
	v_mul_f32_e32 v135, v146, v147
	v_ldexp_f32 v145, v146, 1
	v_pk_mul_f32 v[146:147], v[134:135], v[34:35]
	v_fma_f32 v144, v134, s75, -v146
	v_fmac_f32_e32 v144, 0xb102e308, v134
	v_pk_add_f32 v[134:135], v[146:147], v[144:145]
	v_sub_f32_e32 v35, v135, v145
	v_sub_f32_e32 v35, v147, v35
	v_add_f32_e32 v149, v148, v35
	v_mov_b32_e32 v148, v146
	v_pk_add_f32 v[146:147], v[134:135], v[146:147] neg_lo:[0,1] neg_hi:[0,1]
	v_pk_add_f32 v[150:151], v[134:135], v[148:149]
	v_mov_b32_e32 v147, v151
	v_mov_b32_e32 v145, v134
	v_pk_add_f32 v[160:161], v[144:145], v[146:147] neg_lo:[0,1] neg_hi:[0,1]
	v_pk_add_f32 v[144:145], v[144:145], v[146:147]
	v_mov_b32_e32 v146, v145
	v_pk_add_f32 v[162:163], v[146:147], v[134:135] neg_lo:[0,1] neg_hi:[0,1]
	v_mov_b32_e32 v35, v162
	v_pk_add_f32 v[164:165], v[150:151], v[34:35] neg_lo:[0,1] neg_hi:[0,1]
	v_mov_b32_e32 v144, v151
	v_mov_b32_e32 v150, v135
	;; [unrolled: 1-line block ×4, first 2 shown]
	v_pk_add_f32 v[144:145], v[144:145], v[150:151] neg_lo:[0,1] neg_hi:[0,1]
	v_mov_b32_e32 v148, v149
	v_mov_b32_e32 v149, v134
	v_pk_add_f32 v[134:135], v[148:149], v[144:145] neg_lo:[0,1] neg_hi:[0,1]
	v_mov_b32_e32 v164, v160
	v_pk_add_f32 v[144:145], v[164:165], v[134:135]
	v_mov_b32_e32 v148, v145
	v_pk_add_f32 v[148:149], v[144:145], v[148:149]
	v_pk_add_f32 v[146:147], v[146:147], v[148:149]
	v_mov_b32_e32 v145, v146
	v_pk_add_f32 v[150:151], v[144:145], v[160:161] neg_lo:[0,1] neg_hi:[0,1]
	v_mov_b32_e32 v135, v148
	v_sub_f32_e32 v35, v144, v150
	v_pk_add_f32 v[134:135], v[134:135], v[150:151] neg_lo:[0,1] neg_hi:[0,1]
	v_sub_f32_e32 v35, v160, v35
	v_add_f32_e32 v35, v134, v35
	v_add_f32_e32 v35, v35, v135
	v_cmp_eq_f32_e32 vcc, s73, v133
	v_cmp_lt_f32_e64 s[78:79], |v133|, s76
	v_add_f32_e32 v35, v146, v35
	s_or_b64 vcc, vcc, s[78:79]
	v_cndmask_b32_e32 v35, v35, v133, vcc
	v_add_f32_e32 v35, v37, v35
	v_cvt_f16_f32_e32 v134, v35
.LBB381_184:                            ;   in Loop: Header=BB381_162 Depth=1
	s_or_b64 exec, exec, s[62:63]
	v_and_b32_e32 v35, 0xffff, v134
	v_mov_b32_e32 v133, v134
.LBB381_185:                            ;   in Loop: Header=BB381_162 Depth=1
	s_or_b64 exec, exec, s[66:67]
	s_waitcnt lgkmcnt(0)
	ds_bpermute_b32 v134, v117, v35
	v_cmp_le_u32_e32 vcc, v118, v36
	s_and_saveexec_b64 s[66:67], vcc
	s_cbranch_execz .LBB381_189
; %bb.186:                              ;   in Loop: Header=BB381_162 Depth=1
	s_waitcnt lgkmcnt(0)
	v_cvt_f32_f16_e32 v37, v134
	v_cvt_f32_f16_e32 v135, v133
	v_cmp_u_f16_e32 vcc, v134, v134
	v_cmp_u_f16_e64 s[62:63], v133, v133
	v_min_f32_e32 v35, v37, v135
	v_max_f32_e32 v133, v37, v135
	v_cndmask_b32_e32 v35, v35, v37, vcc
	v_cndmask_b32_e32 v37, v133, v37, vcc
	v_cndmask_b32_e64 v35, v35, v135, s[62:63]
	v_cndmask_b32_e64 v37, v37, v135, s[62:63]
	v_cmp_neq_f32_e32 vcc, v35, v37
	v_cmp_class_f32_e64 s[62:63], v35, s69
	s_or_b64 vcc, vcc, s[62:63]
	s_and_saveexec_b64 s[62:63], vcc
	s_cbranch_execz .LBB381_188
; %bb.187:                              ;   in Loop: Header=BB381_162 Depth=1
	v_sub_f32_e32 v35, v35, v37
	v_mul_f32_e32 v133, 0x3fb8aa3b, v35
	v_fma_f32 v134, v35, s70, -v133
	v_rndne_f32_e32 v135, v133
	v_fmac_f32_e32 v134, 0x32a5705f, v35
	v_sub_f32_e32 v133, v133, v135
	v_add_f32_e32 v133, v133, v134
	v_cvt_i32_f32_e32 v134, v135
	v_exp_f32_e32 v133, v133
	v_cmp_ngt_f32_e32 vcc, s71, v35
	v_ldexp_f32 v133, v133, v134
	v_cndmask_b32_e32 v133, 0, v133, vcc
	v_cmp_nlt_f32_e32 vcc, s72, v35
	v_cndmask_b32_e32 v133, v132, v133, vcc
	v_add_f32_e32 v35, 1.0, v133
	v_add_f32_e32 v134, -1.0, v35
	v_sub_f32_e32 v135, v134, v35
	v_add_f32_e32 v135, 1.0, v135
	v_sub_f32_e32 v134, v133, v134
	v_add_f32_e32 v144, v134, v135
	v_frexp_mant_f32_e32 v145, v35
	v_cvt_f64_f32_e32 v[134:135], v35
	v_frexp_exp_i32_f64_e32 v134, v[134:135]
	v_cmp_gt_f32_e32 vcc, s74, v145
	v_subbrev_co_u32_e32 v150, vcc, 0, v134, vcc
	v_sub_u32_e32 v134, 0, v150
	v_ldexp_f32 v35, v35, v134
	v_ldexp_f32 v134, v144, v134
	v_add_f32_e32 v144, -1.0, v35
	v_add_f32_e32 v135, 1.0, v144
	v_sub_f32_e32 v135, v35, v135
	v_add_f32_e32 v145, v134, v135
	v_add_f32_e32 v135, 1.0, v35
	v_add_f32_e32 v146, -1.0, v135
	v_sub_f32_e32 v35, v35, v146
	v_add_f32_e32 v35, v134, v35
	v_add_f32_e32 v151, v135, v35
	v_rcp_f32_e32 v160, v151
	v_sub_f32_e32 v134, v135, v151
	v_add_f32_e32 v135, v144, v145
	v_add_f32_e32 v35, v35, v134
	v_mul_f32_e32 v162, v135, v160
	v_sub_f32_e32 v134, v144, v135
	v_mul_f32_e32 v144, v151, v162
	v_fma_f32 v146, v162, v151, -v144
	v_fmac_f32_e32 v146, v162, v35
	v_add_f32_e32 v161, v145, v134
	v_add_f32_e32 v134, v144, v146
	v_sub_f32_e32 v145, v135, v134
	v_pk_add_f32 v[148:149], v[134:135], v[144:145] neg_lo:[0,1] neg_hi:[0,1]
	v_mov_b32_e32 v147, v134
	v_pk_add_f32 v[134:135], v[148:149], v[146:147] neg_lo:[0,1] neg_hi:[0,1]
	v_add_f32_e32 v135, v161, v135
	v_add_f32_e32 v134, v134, v135
	;; [unrolled: 1-line block ×3, first 2 shown]
	v_mul_f32_e32 v161, v160, v135
	v_mul_f32_e32 v144, v151, v161
	v_fma_f32 v146, v161, v151, -v144
	v_fmac_f32_e32 v146, v161, v35
	v_sub_f32_e32 v35, v145, v135
	v_add_f32_e32 v35, v134, v35
	v_add_f32_e32 v134, v144, v146
	v_sub_f32_e32 v145, v135, v134
	v_pk_add_f32 v[148:149], v[134:135], v[144:145] neg_lo:[0,1] neg_hi:[0,1]
	v_mov_b32_e32 v147, v134
	v_pk_add_f32 v[134:135], v[148:149], v[146:147] neg_lo:[0,1] neg_hi:[0,1]
	v_add_f32_e32 v35, v35, v135
	v_add_f32_e32 v35, v134, v35
	;; [unrolled: 1-line block ×4, first 2 shown]
	v_sub_f32_e32 v134, v135, v162
	v_mul_f32_e32 v35, v160, v35
	v_sub_f32_e32 v134, v161, v134
	v_add_f32_e32 v144, v134, v35
	v_add_f32_e32 v146, v135, v144
	v_cvt_f32_i32_e32 v134, v150
	v_mul_f32_e32 v147, v146, v146
	v_mov_b32_e32 v35, 0x3ecc95a3
	v_sub_f32_e32 v135, v146, v135
	v_fmac_f32_e32 v35, 0x3e9b6dac, v147
	v_sub_f32_e32 v135, v144, v135
	v_fma_f32 v35, v147, v35, v130
	v_ldexp_f32 v148, v135, 1
	v_mul_f32_e32 v135, v146, v147
	v_ldexp_f32 v145, v146, 1
	v_pk_mul_f32 v[146:147], v[134:135], v[34:35]
	v_fma_f32 v144, v134, s75, -v146
	v_fmac_f32_e32 v144, 0xb102e308, v134
	v_pk_add_f32 v[134:135], v[146:147], v[144:145]
	v_sub_f32_e32 v35, v135, v145
	v_sub_f32_e32 v35, v147, v35
	v_add_f32_e32 v149, v148, v35
	v_mov_b32_e32 v148, v146
	v_pk_add_f32 v[146:147], v[134:135], v[146:147] neg_lo:[0,1] neg_hi:[0,1]
	v_pk_add_f32 v[150:151], v[134:135], v[148:149]
	v_mov_b32_e32 v147, v151
	v_mov_b32_e32 v145, v134
	v_pk_add_f32 v[160:161], v[144:145], v[146:147] neg_lo:[0,1] neg_hi:[0,1]
	v_pk_add_f32 v[144:145], v[144:145], v[146:147]
	v_mov_b32_e32 v146, v145
	v_pk_add_f32 v[162:163], v[146:147], v[134:135] neg_lo:[0,1] neg_hi:[0,1]
	v_mov_b32_e32 v35, v162
	v_pk_add_f32 v[164:165], v[150:151], v[34:35] neg_lo:[0,1] neg_hi:[0,1]
	v_mov_b32_e32 v144, v151
	v_mov_b32_e32 v150, v135
	;; [unrolled: 1-line block ×4, first 2 shown]
	v_pk_add_f32 v[144:145], v[144:145], v[150:151] neg_lo:[0,1] neg_hi:[0,1]
	v_mov_b32_e32 v148, v149
	v_mov_b32_e32 v149, v134
	v_pk_add_f32 v[134:135], v[148:149], v[144:145] neg_lo:[0,1] neg_hi:[0,1]
	v_mov_b32_e32 v164, v160
	v_pk_add_f32 v[144:145], v[164:165], v[134:135]
	v_mov_b32_e32 v148, v145
	v_pk_add_f32 v[148:149], v[144:145], v[148:149]
	v_pk_add_f32 v[146:147], v[146:147], v[148:149]
	v_mov_b32_e32 v145, v146
	v_pk_add_f32 v[150:151], v[144:145], v[160:161] neg_lo:[0,1] neg_hi:[0,1]
	v_mov_b32_e32 v135, v148
	v_sub_f32_e32 v35, v144, v150
	v_pk_add_f32 v[134:135], v[134:135], v[150:151] neg_lo:[0,1] neg_hi:[0,1]
	v_sub_f32_e32 v35, v160, v35
	v_add_f32_e32 v35, v134, v35
	v_add_f32_e32 v35, v35, v135
	v_cmp_eq_f32_e32 vcc, s73, v133
	v_cmp_lt_f32_e64 s[78:79], |v133|, s76
	v_add_f32_e32 v35, v146, v35
	s_or_b64 vcc, vcc, s[78:79]
	v_cndmask_b32_e32 v35, v35, v133, vcc
	v_add_f32_e32 v35, v37, v35
	v_cvt_f16_f32_e32 v134, v35
.LBB381_188:                            ;   in Loop: Header=BB381_162 Depth=1
	s_or_b64 exec, exec, s[62:63]
	v_and_b32_e32 v35, 0xffff, v134
	v_mov_b32_e32 v133, v134
.LBB381_189:                            ;   in Loop: Header=BB381_162 Depth=1
	s_or_b64 exec, exec, s[66:67]
	ds_bpermute_b32 v35, v119, v35
	v_cmp_le_u32_e32 vcc, v128, v36
	s_and_saveexec_b64 s[66:67], vcc
	s_cbranch_execz .LBB381_193
; %bb.190:                              ;   in Loop: Header=BB381_162 Depth=1
	s_waitcnt lgkmcnt(0)
	v_cvt_f32_f16_e32 v36, v35
	v_cvt_f32_f16_e32 v134, v133
	v_cmp_u_f16_e32 vcc, v35, v35
	v_cmp_u_f16_e64 s[62:63], v133, v133
	v_min_f32_e32 v37, v36, v134
	v_max_f32_e32 v133, v36, v134
	v_cndmask_b32_e32 v37, v37, v36, vcc
	v_cndmask_b32_e32 v36, v133, v36, vcc
	v_cndmask_b32_e64 v37, v37, v134, s[62:63]
	v_cndmask_b32_e64 v36, v36, v134, s[62:63]
	v_cmp_neq_f32_e32 vcc, v37, v36
	v_cmp_class_f32_e64 s[62:63], v37, s69
	s_or_b64 vcc, vcc, s[62:63]
	s_and_saveexec_b64 s[62:63], vcc
	s_cbranch_execz .LBB381_192
; %bb.191:                              ;   in Loop: Header=BB381_162 Depth=1
	v_sub_f32_e32 v35, v37, v36
	v_mul_f32_e32 v37, 0x3fb8aa3b, v35
	v_fma_f32 v133, v35, s70, -v37
	v_rndne_f32_e32 v134, v37
	v_fmac_f32_e32 v133, 0x32a5705f, v35
	v_sub_f32_e32 v37, v37, v134
	v_add_f32_e32 v37, v37, v133
	v_cvt_i32_f32_e32 v133, v134
	v_exp_f32_e32 v37, v37
	v_cmp_ngt_f32_e32 vcc, s71, v35
	v_ldexp_f32 v37, v37, v133
	v_cndmask_b32_e32 v37, 0, v37, vcc
	v_cmp_nlt_f32_e32 vcc, s72, v35
	v_cndmask_b32_e32 v37, v132, v37, vcc
	v_add_f32_e32 v35, 1.0, v37
	v_add_f32_e32 v133, -1.0, v35
	v_sub_f32_e32 v134, v133, v35
	v_add_f32_e32 v134, 1.0, v134
	v_sub_f32_e32 v133, v37, v133
	v_add_f32_e32 v133, v133, v134
	v_frexp_mant_f32_e32 v144, v35
	v_cvt_f64_f32_e32 v[134:135], v35
	v_frexp_exp_i32_f64_e32 v134, v[134:135]
	v_cmp_gt_f32_e32 vcc, s74, v144
	v_subbrev_co_u32_e32 v150, vcc, 0, v134, vcc
	v_sub_u32_e32 v134, 0, v150
	v_ldexp_f32 v35, v35, v134
	v_ldexp_f32 v133, v133, v134
	v_add_f32_e32 v134, -1.0, v35
	v_add_f32_e32 v135, 1.0, v134
	v_sub_f32_e32 v135, v35, v135
	v_add_f32_e32 v144, v133, v135
	v_add_f32_e32 v135, 1.0, v35
	v_add_f32_e32 v145, -1.0, v135
	v_sub_f32_e32 v35, v35, v145
	v_add_f32_e32 v35, v133, v35
	v_add_f32_e32 v133, v135, v35
	v_rcp_f32_e32 v151, v133
	v_sub_f32_e32 v135, v135, v133
	v_add_f32_e32 v35, v35, v135
	v_add_f32_e32 v135, v134, v144
	v_sub_f32_e32 v134, v134, v135
	v_mul_f32_e32 v161, v135, v151
	v_add_f32_e32 v160, v144, v134
	v_mul_f32_e32 v144, v133, v161
	v_fma_f32 v146, v161, v133, -v144
	v_fmac_f32_e32 v146, v161, v35
	v_add_f32_e32 v134, v144, v146
	v_sub_f32_e32 v145, v135, v134
	v_pk_add_f32 v[148:149], v[134:135], v[144:145] neg_lo:[0,1] neg_hi:[0,1]
	v_mov_b32_e32 v147, v134
	v_pk_add_f32 v[134:135], v[148:149], v[146:147] neg_lo:[0,1] neg_hi:[0,1]
	v_add_f32_e32 v135, v160, v135
	v_add_f32_e32 v134, v134, v135
	;; [unrolled: 1-line block ×3, first 2 shown]
	v_mul_f32_e32 v160, v151, v135
	v_mul_f32_e32 v144, v133, v160
	v_fma_f32 v146, v160, v133, -v144
	v_fmac_f32_e32 v146, v160, v35
	v_sub_f32_e32 v35, v145, v135
	v_add_f32_e32 v35, v134, v35
	v_add_f32_e32 v134, v144, v146
	v_sub_f32_e32 v145, v135, v134
	v_pk_add_f32 v[148:149], v[134:135], v[144:145] neg_lo:[0,1] neg_hi:[0,1]
	v_mov_b32_e32 v147, v134
	v_pk_add_f32 v[134:135], v[148:149], v[146:147] neg_lo:[0,1] neg_hi:[0,1]
	v_add_f32_e32 v35, v35, v135
	v_add_f32_e32 v35, v134, v35
	;; [unrolled: 1-line block ×4, first 2 shown]
	v_sub_f32_e32 v134, v133, v161
	v_mul_f32_e32 v35, v151, v35
	v_sub_f32_e32 v134, v160, v134
	v_add_f32_e32 v135, v134, v35
	v_add_f32_e32 v144, v133, v135
	v_cvt_f32_i32_e32 v134, v150
	v_mul_f32_e32 v146, v144, v144
	v_mov_b32_e32 v35, 0x3ecc95a3
	v_fmac_f32_e32 v35, 0x3e9b6dac, v146
	v_sub_f32_e32 v133, v144, v133
	v_fma_f32 v35, v146, v35, v130
	v_sub_f32_e32 v133, v135, v133
	v_mul_f32_e32 v135, v144, v146
	v_pk_mul_f32 v[146:147], v[134:135], v[34:35]
	v_ldexp_f32 v145, v144, 1
	v_fma_f32 v144, v134, s75, -v146
	v_fmac_f32_e32 v144, 0xb102e308, v134
	v_pk_add_f32 v[134:135], v[146:147], v[144:145]
	v_sub_f32_e32 v35, v135, v145
	v_ldexp_f32 v133, v133, 1
	v_sub_f32_e32 v35, v147, v35
	v_add_f32_e32 v149, v133, v35
	v_mov_b32_e32 v148, v146
	v_pk_add_f32 v[146:147], v[134:135], v[146:147] neg_lo:[0,1] neg_hi:[0,1]
	v_pk_add_f32 v[150:151], v[134:135], v[148:149]
	v_mov_b32_e32 v147, v151
	v_mov_b32_e32 v145, v134
	v_pk_add_f32 v[160:161], v[144:145], v[146:147] neg_lo:[0,1] neg_hi:[0,1]
	v_pk_add_f32 v[144:145], v[144:145], v[146:147]
	v_mov_b32_e32 v146, v145
	v_pk_add_f32 v[162:163], v[146:147], v[134:135] neg_lo:[0,1] neg_hi:[0,1]
	v_mov_b32_e32 v35, v162
	v_pk_add_f32 v[164:165], v[150:151], v[34:35] neg_lo:[0,1] neg_hi:[0,1]
	v_mov_b32_e32 v144, v151
	v_mov_b32_e32 v150, v135
	;; [unrolled: 1-line block ×4, first 2 shown]
	v_pk_add_f32 v[144:145], v[144:145], v[150:151] neg_lo:[0,1] neg_hi:[0,1]
	v_mov_b32_e32 v148, v149
	v_mov_b32_e32 v149, v134
	v_pk_add_f32 v[134:135], v[148:149], v[144:145] neg_lo:[0,1] neg_hi:[0,1]
	v_mov_b32_e32 v164, v160
	v_pk_add_f32 v[144:145], v[164:165], v[134:135]
	v_mov_b32_e32 v148, v145
	v_pk_add_f32 v[148:149], v[144:145], v[148:149]
	v_pk_add_f32 v[146:147], v[146:147], v[148:149]
	v_mov_b32_e32 v145, v146
	v_pk_add_f32 v[150:151], v[144:145], v[160:161] neg_lo:[0,1] neg_hi:[0,1]
	v_mov_b32_e32 v135, v148
	v_sub_f32_e32 v35, v144, v150
	v_pk_add_f32 v[134:135], v[134:135], v[150:151] neg_lo:[0,1] neg_hi:[0,1]
	v_sub_f32_e32 v35, v160, v35
	v_add_f32_e32 v35, v134, v35
	v_add_f32_e32 v35, v35, v135
	v_cmp_eq_f32_e32 vcc, s73, v37
	v_cmp_lt_f32_e64 s[78:79], |v37|, s76
	v_add_f32_e32 v35, v146, v35
	s_or_b64 vcc, vcc, s[78:79]
	v_cndmask_b32_e32 v35, v35, v37, vcc
	v_add_f32_e32 v35, v36, v35
	v_cvt_f16_f32_e32 v35, v35
.LBB381_192:                            ;   in Loop: Header=BB381_162 Depth=1
	s_or_b64 exec, exec, s[62:63]
	v_mov_b32_e32 v133, v35
.LBB381_193:                            ;   in Loop: Header=BB381_162 Depth=1
	s_or_b64 exec, exec, s[66:67]
	v_cvt_f32_f16_e32 v36, v133
	v_cvt_f32_f16_e32 v37, v129
	v_cmp_u_f16_e32 vcc, v133, v133
	v_cmp_u_f16_e64 s[62:63], v129, v129
	s_waitcnt lgkmcnt(0)
	v_min_f32_e32 v35, v36, v37
	v_max_f32_e32 v134, v36, v37
	v_cndmask_b32_e32 v35, v35, v36, vcc
	v_cndmask_b32_e32 v36, v134, v36, vcc
	v_cndmask_b32_e64 v35, v35, v37, s[62:63]
	v_cndmask_b32_e64 v36, v36, v37, s[62:63]
	v_cmp_neq_f32_e32 vcc, v35, v36
	v_cmp_class_f32_e64 s[62:63], v35, s69
	s_or_b64 vcc, vcc, s[62:63]
	s_and_saveexec_b64 s[62:63], vcc
	s_xor_b64 s[62:63], exec, s[62:63]
	s_cbranch_execz .LBB381_161
; %bb.194:                              ;   in Loop: Header=BB381_162 Depth=1
	v_sub_f32_e32 v35, v35, v36
	v_mul_f32_e32 v37, 0x3fb8aa3b, v35
	v_fma_f32 v133, v35, s70, -v37
	v_rndne_f32_e32 v134, v37
	v_fmac_f32_e32 v133, 0x32a5705f, v35
	v_sub_f32_e32 v37, v37, v134
	v_add_f32_e32 v37, v37, v133
	v_cvt_i32_f32_e32 v133, v134
	v_exp_f32_e32 v37, v37
	v_cmp_ngt_f32_e32 vcc, s71, v35
	v_ldexp_f32 v37, v37, v133
	v_cndmask_b32_e32 v37, 0, v37, vcc
	v_cmp_nlt_f32_e32 vcc, s72, v35
	v_cndmask_b32_e32 v37, v132, v37, vcc
	v_add_f32_e32 v35, 1.0, v37
	v_add_f32_e32 v133, -1.0, v35
	v_sub_f32_e32 v134, v133, v35
	v_add_f32_e32 v134, 1.0, v134
	v_sub_f32_e32 v133, v37, v133
	v_add_f32_e32 v133, v133, v134
	v_frexp_mant_f32_e32 v144, v35
	v_cvt_f64_f32_e32 v[134:135], v35
	v_frexp_exp_i32_f64_e32 v134, v[134:135]
	v_cmp_gt_f32_e32 vcc, s74, v144
	v_subbrev_co_u32_e32 v134, vcc, 0, v134, vcc
	v_sub_u32_e32 v135, 0, v134
	v_ldexp_f32 v35, v35, v135
	v_ldexp_f32 v133, v133, v135
	v_add_f32_e32 v135, -1.0, v35
	v_add_f32_e32 v146, 1.0, v35
	v_add_f32_e32 v144, 1.0, v135
	v_add_f32_e32 v147, -1.0, v146
	v_sub_f32_e32 v144, v35, v144
	v_sub_f32_e32 v35, v35, v147
	v_add_f32_e32 v35, v133, v35
	v_add_f32_e32 v144, v133, v144
	;; [unrolled: 1-line block ×3, first 2 shown]
	v_rcp_f32_e32 v147, v133
	v_add_f32_e32 v145, v135, v144
	v_sub_f32_e32 v135, v135, v145
	v_add_f32_e32 v135, v144, v135
	v_sub_f32_e32 v144, v146, v133
	v_add_f32_e32 v35, v35, v144
	v_mul_f32_e32 v144, v145, v147
	v_mul_f32_e32 v146, v133, v144
	v_fma_f32 v148, v144, v133, -v146
	v_fmac_f32_e32 v148, v144, v35
	v_add_f32_e32 v149, v146, v148
	v_sub_f32_e32 v150, v145, v149
	v_sub_f32_e32 v145, v145, v150
	;; [unrolled: 1-line block ×4, first 2 shown]
	v_add_f32_e32 v135, v135, v145
	v_sub_f32_e32 v145, v146, v148
	v_add_f32_e32 v135, v145, v135
	v_add_f32_e32 v145, v150, v135
	v_mul_f32_e32 v146, v147, v145
	v_mul_f32_e32 v148, v133, v146
	v_fma_f32 v133, v146, v133, -v148
	v_fmac_f32_e32 v133, v146, v35
	v_sub_f32_e32 v35, v150, v145
	v_add_f32_e32 v35, v135, v35
	v_add_f32_e32 v135, v148, v133
	v_sub_f32_e32 v149, v145, v135
	v_sub_f32_e32 v145, v145, v149
	;; [unrolled: 1-line block ×4, first 2 shown]
	v_add_f32_e32 v35, v35, v135
	v_sub_f32_e32 v133, v148, v133
	v_add_f32_e32 v35, v133, v35
	v_add_f32_e32 v133, v144, v146
	;; [unrolled: 1-line block ×3, first 2 shown]
	v_sub_f32_e32 v135, v133, v144
	v_mul_f32_e32 v35, v147, v35
	v_sub_f32_e32 v135, v146, v135
	v_add_f32_e32 v135, v135, v35
	v_add_f32_e32 v144, v133, v135
	v_cvt_f32_i32_e32 v134, v134
	v_mul_f32_e32 v146, v144, v144
	v_mov_b32_e32 v35, 0x3ecc95a3
	v_fmac_f32_e32 v35, 0x3e9b6dac, v146
	v_sub_f32_e32 v133, v144, v133
	v_fma_f32 v35, v146, v35, v130
	v_sub_f32_e32 v133, v135, v133
	v_mul_f32_e32 v135, v144, v146
	v_pk_mul_f32 v[146:147], v[134:135], v[34:35]
	v_ldexp_f32 v145, v144, 1
	v_fma_f32 v144, v134, s75, -v146
	v_fmac_f32_e32 v144, 0xb102e308, v134
	v_pk_add_f32 v[134:135], v[146:147], v[144:145]
	v_sub_f32_e32 v35, v135, v145
	v_ldexp_f32 v133, v133, 1
	v_sub_f32_e32 v35, v147, v35
	v_add_f32_e32 v149, v133, v35
	v_mov_b32_e32 v148, v146
	v_pk_add_f32 v[146:147], v[134:135], v[146:147] neg_lo:[0,1] neg_hi:[0,1]
	v_pk_add_f32 v[150:151], v[134:135], v[148:149]
	v_mov_b32_e32 v147, v151
	v_mov_b32_e32 v145, v134
	v_pk_add_f32 v[160:161], v[144:145], v[146:147] neg_lo:[0,1] neg_hi:[0,1]
	v_pk_add_f32 v[144:145], v[144:145], v[146:147]
	v_mov_b32_e32 v146, v145
	v_pk_add_f32 v[162:163], v[146:147], v[134:135] neg_lo:[0,1] neg_hi:[0,1]
	v_mov_b32_e32 v35, v162
	v_pk_add_f32 v[164:165], v[150:151], v[34:35] neg_lo:[0,1] neg_hi:[0,1]
	v_mov_b32_e32 v144, v151
	v_mov_b32_e32 v150, v135
	;; [unrolled: 1-line block ×4, first 2 shown]
	v_pk_add_f32 v[144:145], v[144:145], v[150:151] neg_lo:[0,1] neg_hi:[0,1]
	v_mov_b32_e32 v148, v149
	v_mov_b32_e32 v149, v134
	v_pk_add_f32 v[134:135], v[148:149], v[144:145] neg_lo:[0,1] neg_hi:[0,1]
	v_mov_b32_e32 v164, v160
	v_pk_add_f32 v[144:145], v[164:165], v[134:135]
	v_mov_b32_e32 v148, v145
	v_pk_add_f32 v[148:149], v[144:145], v[148:149]
	v_pk_add_f32 v[146:147], v[146:147], v[148:149]
	v_mov_b32_e32 v145, v146
	v_pk_add_f32 v[150:151], v[144:145], v[160:161] neg_lo:[0,1] neg_hi:[0,1]
	v_mov_b32_e32 v135, v148
	v_sub_f32_e32 v35, v144, v150
	v_pk_add_f32 v[134:135], v[134:135], v[150:151] neg_lo:[0,1] neg_hi:[0,1]
	v_sub_f32_e32 v35, v160, v35
	v_add_f32_e32 v35, v134, v35
	v_add_f32_e32 v35, v35, v135
	v_cmp_eq_f32_e32 vcc, s73, v37
	v_cmp_lt_f32_e64 s[66:67], |v37|, s76
	v_add_f32_e32 v35, v146, v35
	s_or_b64 vcc, vcc, s[66:67]
	v_cndmask_b32_e32 v35, v35, v37, vcc
	v_add_f32_e32 v35, v36, v35
	v_cvt_f16_f32_e32 v133, v35
	s_branch .LBB381_161
.LBB381_195:                            ;   in Loop: Header=BB381_162 Depth=1
                                        ; implicit-def: $vgpr133
                                        ; implicit-def: $vgpr102
	s_cbranch_execz .LBB381_162
; %bb.196:
	s_and_saveexec_b64 s[62:63], s[60:61]
	s_cbranch_execz .LBB381_200
; %bb.197:
	v_cvt_f32_f16_e32 v30, v129
	v_cvt_f32_f16_e32 v31, v99
	v_cmp_u_f16_e32 vcc, v129, v129
	v_cmp_u_f16_e64 s[60:61], v99, v99
	v_min_f32_e32 v32, v30, v31
	v_max_f32_e32 v33, v30, v31
	v_cndmask_b32_e32 v32, v32, v30, vcc
	v_cndmask_b32_e32 v30, v33, v30, vcc
	v_cndmask_b32_e64 v32, v32, v31, s[60:61]
	v_cndmask_b32_e64 v30, v30, v31, s[60:61]
	s_movk_i32 s60, 0x1f8
	v_cmp_neq_f32_e32 vcc, v32, v30
	v_cmp_class_f32_e64 s[60:61], v32, s60
	s_or_b64 vcc, vcc, s[60:61]
	v_mov_b32_e32 v31, v129
	s_and_saveexec_b64 s[60:61], vcc
	s_cbranch_execz .LBB381_199
; %bb.198:
	v_sub_f32_e32 v31, v32, v30
	s_mov_b32 s66, 0x3fb8aa3b
	v_mul_f32_e32 v32, 0x3fb8aa3b, v31
	v_fma_f32 v33, v31, s66, -v32
	v_rndne_f32_e32 v34, v32
	v_fmac_f32_e32 v33, 0x32a5705f, v31
	v_sub_f32_e32 v32, v32, v34
	v_add_f32_e32 v32, v32, v33
	v_exp_f32_e32 v32, v32
	v_cvt_i32_f32_e32 v33, v34
	s_mov_b32 s66, 0xc2ce8ed0
	v_cmp_ngt_f32_e32 vcc, s66, v31
	s_mov_b32 s66, 0x42b17218
	v_ldexp_f32 v32, v32, v33
	v_cndmask_b32_e32 v32, 0, v32, vcc
	v_mov_b32_e32 v33, 0x7f800000
	v_cmp_nlt_f32_e32 vcc, s66, v31
	v_cndmask_b32_e32 v99, v33, v32, vcc
	v_add_f32_e32 v31, 1.0, v99
	v_add_f32_e32 v32, -1.0, v31
	v_sub_f32_e32 v33, v32, v31
	v_add_f32_e32 v33, 1.0, v33
	v_sub_f32_e32 v32, v99, v32
	v_add_f32_e32 v34, v32, v33
	v_frexp_mant_f32_e32 v35, v31
	s_mov_b32 s66, 0x3f2aaaab
	v_cvt_f64_f32_e32 v[32:33], v31
	v_frexp_exp_i32_f64_e32 v32, v[32:33]
	v_cmp_gt_f32_e32 vcc, s66, v35
	v_subbrev_co_u32_e32 v102, vcc, 0, v32, vcc
	v_sub_u32_e32 v32, 0, v102
	v_ldexp_f32 v31, v31, v32
	v_ldexp_f32 v32, v34, v32
	v_add_f32_e32 v34, -1.0, v31
	v_add_f32_e32 v33, 1.0, v34
	v_sub_f32_e32 v33, v31, v33
	v_add_f32_e32 v35, v32, v33
	v_add_f32_e32 v33, 1.0, v31
	v_add_f32_e32 v36, -1.0, v33
	v_sub_f32_e32 v31, v31, v36
	v_add_f32_e32 v31, v32, v31
	v_add_f32_e32 v103, v33, v31
	v_rcp_f32_e32 v112, v103
	v_sub_f32_e32 v32, v33, v103
	v_add_f32_e32 v33, v34, v35
	v_add_f32_e32 v31, v31, v32
	v_mul_f32_e32 v114, v33, v112
	v_sub_f32_e32 v32, v34, v33
	v_mul_f32_e32 v34, v103, v114
	v_fma_f32 v36, v114, v103, -v34
	v_fmac_f32_e32 v36, v114, v31
	v_add_f32_e32 v113, v35, v32
	v_add_f32_e32 v32, v34, v36
	v_sub_f32_e32 v35, v33, v32
	v_pk_add_f32 v[100:101], v[32:33], v[34:35] neg_lo:[0,1] neg_hi:[0,1]
	v_mov_b32_e32 v37, v32
	v_pk_add_f32 v[32:33], v[100:101], v[36:37] neg_lo:[0,1] neg_hi:[0,1]
	v_add_f32_e32 v33, v113, v33
	v_add_f32_e32 v32, v32, v33
	;; [unrolled: 1-line block ×3, first 2 shown]
	v_mul_f32_e32 v113, v112, v33
	v_mul_f32_e32 v34, v103, v113
	v_fma_f32 v36, v113, v103, -v34
	v_fmac_f32_e32 v36, v113, v31
	v_sub_f32_e32 v31, v35, v33
	v_add_f32_e32 v31, v32, v31
	v_add_f32_e32 v32, v34, v36
	v_sub_f32_e32 v35, v33, v32
	v_pk_add_f32 v[100:101], v[32:33], v[34:35] neg_lo:[0,1] neg_hi:[0,1]
	v_mov_b32_e32 v37, v32
	v_pk_add_f32 v[32:33], v[100:101], v[36:37] neg_lo:[0,1] neg_hi:[0,1]
	v_add_f32_e32 v31, v31, v33
	v_add_f32_e32 v31, v32, v31
	;; [unrolled: 1-line block ×4, first 2 shown]
	v_sub_f32_e32 v33, v32, v114
	v_mul_f32_e32 v31, v112, v31
	v_sub_f32_e32 v33, v113, v33
	v_add_f32_e32 v31, v33, v31
	v_add_f32_e32 v35, v32, v31
	v_mul_f32_e32 v36, v35, v35
	v_mov_b32_e32 v34, 0x3ecc95a3
	v_fmac_f32_e32 v34, 0x3e9b6dac, v36
	v_mov_b32_e32 v33, 0x3f2aaada
	v_fmac_f32_e32 v33, v36, v34
	v_cvt_f32_i32_e32 v34, v102
	v_sub_f32_e32 v32, v35, v32
	v_sub_f32_e32 v31, v31, v32
	v_ldexp_f32 v37, v35, 1
	v_mul_f32_e32 v35, v35, v36
	v_mov_b32_e32 v32, 0x3f317218
	s_mov_b32 s66, 0x3f317218
	v_pk_mul_f32 v[32:33], v[34:35], v[32:33]
	v_fma_f32 v36, v34, s66, -v32
	v_fmac_f32_e32 v36, 0xb102e308, v34
	v_pk_add_f32 v[34:35], v[32:33], v[36:37]
	v_sub_f32_e32 v37, v35, v37
	v_ldexp_f32 v31, v31, 1
	v_sub_f32_e32 v37, v33, v37
	v_add_f32_e32 v101, v31, v37
	v_mov_b32_e32 v100, v32
	v_pk_add_f32 v[32:33], v[34:35], v[32:33] neg_lo:[0,1] neg_hi:[0,1]
	v_pk_add_f32 v[102:103], v[34:35], v[100:101]
	v_mov_b32_e32 v33, v103
	v_mov_b32_e32 v37, v34
	v_pk_add_f32 v[112:113], v[36:37], v[32:33] neg_lo:[0,1] neg_hi:[0,1]
	v_pk_add_f32 v[32:33], v[36:37], v[32:33]
	v_mov_b32_e32 v36, v33
	v_pk_add_f32 v[114:115], v[36:37], v[34:35] neg_lo:[0,1] neg_hi:[0,1]
	v_mov_b32_e32 v31, v114
	v_pk_add_f32 v[116:117], v[102:103], v[30:31] neg_lo:[0,1] neg_hi:[0,1]
	v_mov_b32_e32 v32, v103
	v_mov_b32_e32 v102, v35
	;; [unrolled: 1-line block ×4, first 2 shown]
	v_pk_add_f32 v[32:33], v[32:33], v[102:103] neg_lo:[0,1] neg_hi:[0,1]
	v_mov_b32_e32 v100, v101
	v_mov_b32_e32 v101, v34
	v_pk_add_f32 v[32:33], v[100:101], v[32:33] neg_lo:[0,1] neg_hi:[0,1]
	v_mov_b32_e32 v116, v112
	v_pk_add_f32 v[34:35], v[116:117], v[32:33]
	v_mov_b32_e32 v100, v35
	v_pk_add_f32 v[100:101], v[34:35], v[100:101]
	v_pk_add_f32 v[36:37], v[36:37], v[100:101]
	v_mov_b32_e32 v35, v36
	v_pk_add_f32 v[102:103], v[34:35], v[112:113] neg_lo:[0,1] neg_hi:[0,1]
	v_mov_b32_e32 v33, v100
	v_sub_f32_e32 v31, v34, v102
	v_pk_add_f32 v[32:33], v[32:33], v[102:103] neg_lo:[0,1] neg_hi:[0,1]
	v_sub_f32_e32 v31, v112, v31
	s_mov_b32 s67, 0x7f800000
	v_add_f32_e32 v31, v32, v31
	s_mov_b32 s66, 0x33800000
	v_add_f32_e32 v31, v31, v33
	v_cmp_eq_f32_e32 vcc, s67, v99
	v_cmp_lt_f32_e64 s[66:67], |v99|, s66
	v_add_f32_e32 v31, v36, v31
	s_or_b64 vcc, vcc, s[66:67]
	v_cndmask_b32_e32 v31, v31, v99, vcc
	v_add_f32_e32 v30, v30, v31
	v_cvt_f16_f32_e32 v31, v30
.LBB381_199:
	s_or_b64 exec, exec, s[60:61]
	s_add_i32 vcc_lo, s68, 64
	s_mov_b32 vcc_hi, 0
	s_lshl_b64 vcc, vcc, 2
	v_mov_b32_e32 v30, vcc_hi
	v_add_co_u32_e32 v32, vcc, vcc_lo, v24
	v_addc_co_u32_e32 v33, vcc, v25, v30, vcc
	s_mov_b32 vcc_lo, 0x20000
	v_or_b32_sdwa v30, v31, vcc_lo dst_sel:DWORD dst_unused:UNUSED_PAD src0_sel:WORD_0 src1_sel:DWORD
	flat_store_dword v[32:33], v30
.LBB381_200:
	s_or_b64 exec, exec, s[62:63]
	s_and_b64 exec, exec, s[8:9]
	s_cbranch_execz .LBB381_202
; %bb.201:
	v_mov_b32_e32 v30, 0
	ds_write_b16 v30, v129
.LBB381_202:
	s_or_b64 exec, exec, s[64:65]
	v_mov_b32_e32 v30, 0
	s_waitcnt lgkmcnt(0)
	; wave barrier
	s_waitcnt lgkmcnt(0)
	ds_read_u16 v30, v30
	v_mov_b32_e32 v31, v20
	s_and_saveexec_b64 s[60:61], s[6:7]
	s_cbranch_execz .LBB381_206
; %bb.203:
	v_cvt_f32_f16_e32 v32, v98
	v_max_f32_e32 v31, v97, v97
	v_cmp_u_f16_e32 vcc, v98, v98
	v_min_f32_e32 v33, v32, v31
	v_max_f32_e32 v31, v32, v31
	v_cndmask_b32_e32 v33, v33, v32, vcc
	v_cndmask_b32_e32 v31, v31, v32, vcc
	v_cndmask_b32_e64 v33, v33, v97, s[58:59]
	v_cndmask_b32_e64 v31, v31, v97, s[58:59]
	s_movk_i32 s58, 0x1f8
	v_cmp_neq_f32_e32 vcc, v33, v31
	v_cmp_class_f32_e64 s[58:59], v33, s58
	s_or_b64 vcc, vcc, s[58:59]
	s_and_saveexec_b64 s[58:59], vcc
	s_cbranch_execz .LBB381_205
; %bb.204:
	v_sub_f32_e32 v32, v33, v31
	s_mov_b32 s62, 0x3fb8aa3b
	v_mul_f32_e32 v33, 0x3fb8aa3b, v32
	v_fma_f32 v34, v32, s62, -v33
	v_rndne_f32_e32 v35, v33
	v_fmac_f32_e32 v34, 0x32a5705f, v32
	v_sub_f32_e32 v33, v33, v35
	v_add_f32_e32 v33, v33, v34
	v_exp_f32_e32 v33, v33
	v_cvt_i32_f32_e32 v34, v35
	s_mov_b32 s62, 0xc2ce8ed0
	v_cmp_ngt_f32_e32 vcc, s62, v32
	s_mov_b32 s62, 0x42b17218
	v_ldexp_f32 v33, v33, v34
	v_cndmask_b32_e32 v33, 0, v33, vcc
	v_mov_b32_e32 v34, 0x7f800000
	v_cmp_nlt_f32_e32 vcc, s62, v32
	v_cndmask_b32_e32 v97, v34, v33, vcc
	v_add_f32_e32 v34, 1.0, v97
	v_add_f32_e32 v32, -1.0, v34
	v_sub_f32_e32 v33, v32, v34
	v_add_f32_e32 v33, 1.0, v33
	v_sub_f32_e32 v32, v97, v32
	v_add_f32_e32 v35, v32, v33
	v_frexp_mant_f32_e32 v36, v34
	s_mov_b32 s62, 0x3f2aaaab
	v_cvt_f64_f32_e32 v[32:33], v34
	v_frexp_exp_i32_f64_e32 v32, v[32:33]
	v_cmp_gt_f32_e32 vcc, s62, v36
	v_subbrev_co_u32_e32 v100, vcc, 0, v32, vcc
	v_sub_u32_e32 v32, 0, v100
	v_ldexp_f32 v33, v34, v32
	v_add_f32_e32 v34, -1.0, v33
	v_add_f32_e32 v36, 1.0, v33
	v_ldexp_f32 v32, v35, v32
	v_add_f32_e32 v35, 1.0, v34
	v_add_f32_e32 v37, -1.0, v36
	v_sub_f32_e32 v35, v33, v35
	v_sub_f32_e32 v33, v33, v37
	v_add_f32_e32 v35, v32, v35
	v_add_f32_e32 v32, v32, v33
	;; [unrolled: 1-line block ×3, first 2 shown]
	v_rcp_f32_e32 v103, v101
	v_sub_f32_e32 v33, v36, v101
	v_add_f32_e32 v102, v32, v33
	v_add_f32_e32 v33, v34, v35
	v_mul_f32_e32 v113, v33, v103
	v_sub_f32_e32 v32, v34, v33
	v_mul_f32_e32 v34, v101, v113
	v_fma_f32 v36, v113, v101, -v34
	v_fmac_f32_e32 v36, v113, v102
	v_add_f32_e32 v112, v35, v32
	v_add_f32_e32 v32, v34, v36
	v_sub_f32_e32 v35, v33, v32
	v_pk_add_f32 v[98:99], v[32:33], v[34:35] neg_lo:[0,1] neg_hi:[0,1]
	v_mov_b32_e32 v37, v32
	v_pk_add_f32 v[32:33], v[98:99], v[36:37] neg_lo:[0,1] neg_hi:[0,1]
	v_add_f32_e32 v33, v112, v33
	v_add_f32_e32 v32, v32, v33
	;; [unrolled: 1-line block ×3, first 2 shown]
	v_mul_f32_e32 v112, v103, v33
	v_mul_f32_e32 v34, v101, v112
	v_fma_f32 v36, v112, v101, -v34
	v_fmac_f32_e32 v36, v112, v102
	v_sub_f32_e32 v35, v35, v33
	v_add_f32_e32 v101, v32, v35
	v_add_f32_e32 v32, v34, v36
	v_sub_f32_e32 v35, v33, v32
	v_pk_add_f32 v[98:99], v[32:33], v[34:35] neg_lo:[0,1] neg_hi:[0,1]
	v_mov_b32_e32 v37, v32
	v_pk_add_f32 v[32:33], v[98:99], v[36:37] neg_lo:[0,1] neg_hi:[0,1]
	v_add_f32_e32 v33, v101, v33
	v_add_f32_e32 v32, v32, v33
	;; [unrolled: 1-line block ×4, first 2 shown]
	v_sub_f32_e32 v33, v35, v113
	v_mul_f32_e32 v32, v103, v32
	v_sub_f32_e32 v33, v112, v33
	v_add_f32_e32 v32, v33, v32
	v_add_f32_e32 v36, v35, v32
	v_mul_f32_e32 v98, v36, v36
	v_mov_b32_e32 v34, 0x3ecc95a3
	v_fmac_f32_e32 v34, 0x3e9b6dac, v98
	v_mov_b32_e32 v33, 0x3f2aaada
	v_fmac_f32_e32 v33, v98, v34
	v_cvt_f32_i32_e32 v34, v100
	v_sub_f32_e32 v35, v36, v35
	v_sub_f32_e32 v32, v32, v35
	v_ldexp_f32 v99, v32, 1
	v_mul_f32_e32 v35, v36, v98
	v_mov_b32_e32 v32, 0x3f317218
	s_mov_b32 s62, 0x3f317218
	v_pk_mul_f32 v[32:33], v[34:35], v[32:33]
	v_ldexp_f32 v37, v36, 1
	v_fma_f32 v36, v34, s62, -v32
	v_fmac_f32_e32 v36, 0xb102e308, v34
	v_pk_add_f32 v[34:35], v[32:33], v[36:37]
	v_sub_f32_e32 v37, v35, v37
	v_sub_f32_e32 v37, v33, v37
	v_add_f32_e32 v99, v99, v37
	v_mov_b32_e32 v98, v32
	v_pk_add_f32 v[32:33], v[34:35], v[32:33] neg_lo:[0,1] neg_hi:[0,1]
	v_pk_add_f32 v[100:101], v[34:35], v[98:99]
	v_mov_b32_e32 v33, v101
	v_mov_b32_e32 v37, v34
	v_pk_add_f32 v[102:103], v[36:37], v[32:33] neg_lo:[0,1] neg_hi:[0,1]
	v_pk_add_f32 v[32:33], v[36:37], v[32:33]
	v_mov_b32_e32 v36, v33
	v_pk_add_f32 v[112:113], v[36:37], v[34:35] neg_lo:[0,1] neg_hi:[0,1]
	v_mov_b32_e32 v37, v112
	v_pk_add_f32 v[114:115], v[100:101], v[36:37] neg_lo:[0,1] neg_hi:[0,1]
	v_mov_b32_e32 v32, v101
	v_mov_b32_e32 v100, v35
	;; [unrolled: 1-line block ×4, first 2 shown]
	v_pk_add_f32 v[32:33], v[32:33], v[100:101] neg_lo:[0,1] neg_hi:[0,1]
	v_mov_b32_e32 v98, v99
	v_mov_b32_e32 v99, v34
	v_pk_add_f32 v[32:33], v[98:99], v[32:33] neg_lo:[0,1] neg_hi:[0,1]
	v_mov_b32_e32 v114, v102
	v_pk_add_f32 v[34:35], v[114:115], v[32:33]
	v_mov_b32_e32 v98, v35
	v_pk_add_f32 v[98:99], v[34:35], v[98:99]
	v_pk_add_f32 v[36:37], v[36:37], v[98:99]
	v_mov_b32_e32 v35, v36
	v_pk_add_f32 v[100:101], v[34:35], v[102:103] neg_lo:[0,1] neg_hi:[0,1]
	v_mov_b32_e32 v33, v98
	v_sub_f32_e32 v34, v34, v100
	v_pk_add_f32 v[32:33], v[32:33], v[100:101] neg_lo:[0,1] neg_hi:[0,1]
	v_sub_f32_e32 v34, v102, v34
	s_mov_b32 s63, 0x7f800000
	v_add_f32_e32 v32, v32, v34
	s_mov_b32 s62, 0x33800000
	v_add_f32_e32 v32, v32, v33
	v_cmp_eq_f32_e32 vcc, s63, v97
	v_cmp_lt_f32_e64 s[62:63], |v97|, s62
	v_add_f32_e32 v32, v36, v32
	s_or_b64 vcc, vcc, s[62:63]
	v_cndmask_b32_e32 v32, v32, v97, vcc
	v_add_f32_e32 v31, v31, v32
	v_cvt_f16_f32_e32 v98, v31
	v_cvt_f32_f16_e32 v32, v98
.LBB381_205:
	s_or_b64 exec, exec, s[58:59]
	v_mov_b32_e32 v97, v32
	v_mov_b32_e32 v31, v98
.LBB381_206:
	s_or_b64 exec, exec, s[60:61]
	s_waitcnt lgkmcnt(0)
	v_cvt_f32_f16_e32 v98, v30
	v_max_f32_e32 v33, v97, v97
	v_cmp_u_f16_e32 vcc, v30, v30
	v_cmp_u_f16_e64 s[58:59], v31, v31
	v_min_f32_e32 v32, v98, v33
	v_max_f32_e32 v31, v98, v33
	v_cndmask_b32_e32 v32, v32, v98, vcc
	v_cndmask_b32_e32 v31, v31, v98, vcc
	v_cndmask_b32_e64 v32, v32, v97, s[58:59]
	v_cndmask_b32_e64 v31, v31, v97, s[58:59]
	s_movk_i32 s60, 0x1f8
	v_cmp_neq_f32_e32 vcc, v32, v31
	v_cmp_class_f32_e64 s[58:59], v32, s60
	s_or_b64 vcc, vcc, s[58:59]
	s_and_saveexec_b64 s[58:59], vcc
	s_cbranch_execz .LBB381_208
; %bb.207:
	v_sub_f32_e32 v30, v32, v31
	s_mov_b32 s61, 0x3fb8aa3b
	v_mul_f32_e32 v32, 0x3fb8aa3b, v30
	v_fma_f32 v33, v30, s61, -v32
	v_rndne_f32_e32 v34, v32
	v_fmac_f32_e32 v33, 0x32a5705f, v30
	v_sub_f32_e32 v32, v32, v34
	v_add_f32_e32 v32, v32, v33
	v_exp_f32_e32 v32, v32
	v_cvt_i32_f32_e32 v33, v34
	s_mov_b32 s61, 0xc2ce8ed0
	v_cmp_ngt_f32_e32 vcc, s61, v30
	s_mov_b32 s61, 0x42b17218
	v_ldexp_f32 v32, v32, v33
	v_cndmask_b32_e32 v32, 0, v32, vcc
	v_mov_b32_e32 v33, 0x7f800000
	v_cmp_nlt_f32_e32 vcc, s61, v30
	v_cndmask_b32_e32 v97, v33, v32, vcc
	v_add_f32_e32 v30, 1.0, v97
	v_add_f32_e32 v32, -1.0, v30
	v_sub_f32_e32 v33, v32, v30
	v_add_f32_e32 v33, 1.0, v33
	v_sub_f32_e32 v32, v97, v32
	v_add_f32_e32 v34, v32, v33
	v_frexp_mant_f32_e32 v35, v30
	s_mov_b32 s61, 0x3f2aaaab
	v_cvt_f64_f32_e32 v[32:33], v30
	v_frexp_exp_i32_f64_e32 v32, v[32:33]
	v_cmp_gt_f32_e32 vcc, s61, v35
	v_subbrev_co_u32_e32 v100, vcc, 0, v32, vcc
	v_sub_u32_e32 v32, 0, v100
	v_ldexp_f32 v30, v30, v32
	v_ldexp_f32 v32, v34, v32
	v_add_f32_e32 v34, -1.0, v30
	v_add_f32_e32 v33, 1.0, v34
	v_sub_f32_e32 v33, v30, v33
	v_add_f32_e32 v35, v32, v33
	v_add_f32_e32 v33, 1.0, v30
	v_add_f32_e32 v36, -1.0, v33
	v_sub_f32_e32 v30, v30, v36
	v_add_f32_e32 v30, v32, v30
	v_add_f32_e32 v101, v33, v30
	v_rcp_f32_e32 v102, v101
	v_sub_f32_e32 v32, v33, v101
	v_add_f32_e32 v33, v34, v35
	v_add_f32_e32 v30, v30, v32
	v_mul_f32_e32 v112, v33, v102
	v_sub_f32_e32 v32, v34, v33
	v_mul_f32_e32 v34, v101, v112
	v_fma_f32 v36, v112, v101, -v34
	v_fmac_f32_e32 v36, v112, v30
	v_add_f32_e32 v103, v35, v32
	v_add_f32_e32 v32, v34, v36
	v_sub_f32_e32 v35, v33, v32
	v_pk_add_f32 v[98:99], v[32:33], v[34:35] neg_lo:[0,1] neg_hi:[0,1]
	v_mov_b32_e32 v37, v32
	v_pk_add_f32 v[32:33], v[98:99], v[36:37] neg_lo:[0,1] neg_hi:[0,1]
	v_add_f32_e32 v33, v103, v33
	v_add_f32_e32 v32, v32, v33
	;; [unrolled: 1-line block ×3, first 2 shown]
	v_mul_f32_e32 v103, v102, v33
	v_mul_f32_e32 v34, v101, v103
	v_fma_f32 v36, v103, v101, -v34
	v_fmac_f32_e32 v36, v103, v30
	v_sub_f32_e32 v30, v35, v33
	v_add_f32_e32 v30, v32, v30
	v_add_f32_e32 v32, v34, v36
	v_sub_f32_e32 v35, v33, v32
	v_pk_add_f32 v[98:99], v[32:33], v[34:35] neg_lo:[0,1] neg_hi:[0,1]
	v_mov_b32_e32 v37, v32
	v_pk_add_f32 v[32:33], v[98:99], v[36:37] neg_lo:[0,1] neg_hi:[0,1]
	v_add_f32_e32 v30, v30, v33
	v_add_f32_e32 v30, v32, v30
	;; [unrolled: 1-line block ×4, first 2 shown]
	v_sub_f32_e32 v33, v32, v112
	v_mul_f32_e32 v30, v102, v30
	v_sub_f32_e32 v33, v103, v33
	v_add_f32_e32 v30, v33, v30
	v_add_f32_e32 v35, v32, v30
	v_mul_f32_e32 v36, v35, v35
	v_mov_b32_e32 v34, 0x3ecc95a3
	v_fmac_f32_e32 v34, 0x3e9b6dac, v36
	v_mov_b32_e32 v33, 0x3f2aaada
	v_fmac_f32_e32 v33, v36, v34
	v_cvt_f32_i32_e32 v34, v100
	v_sub_f32_e32 v32, v35, v32
	v_sub_f32_e32 v30, v30, v32
	v_ldexp_f32 v37, v35, 1
	v_mul_f32_e32 v35, v35, v36
	v_mov_b32_e32 v32, 0x3f317218
	s_mov_b32 s61, 0x3f317218
	v_pk_mul_f32 v[32:33], v[34:35], v[32:33]
	v_fma_f32 v36, v34, s61, -v32
	v_fmac_f32_e32 v36, 0xb102e308, v34
	v_pk_add_f32 v[34:35], v[32:33], v[36:37]
	v_sub_f32_e32 v37, v35, v37
	v_ldexp_f32 v30, v30, 1
	v_sub_f32_e32 v37, v33, v37
	v_add_f32_e32 v99, v30, v37
	v_mov_b32_e32 v98, v32
	v_pk_add_f32 v[32:33], v[34:35], v[32:33] neg_lo:[0,1] neg_hi:[0,1]
	v_pk_add_f32 v[100:101], v[34:35], v[98:99]
	v_mov_b32_e32 v33, v101
	v_mov_b32_e32 v37, v34
	v_pk_add_f32 v[102:103], v[36:37], v[32:33] neg_lo:[0,1] neg_hi:[0,1]
	v_pk_add_f32 v[32:33], v[36:37], v[32:33]
	v_mov_b32_e32 v30, v33
	v_pk_add_f32 v[36:37], v[30:31], v[34:35] neg_lo:[0,1] neg_hi:[0,1]
	v_mov_b32_e32 v37, v36
	v_pk_add_f32 v[112:113], v[100:101], v[36:37] neg_lo:[0,1] neg_hi:[0,1]
	v_mov_b32_e32 v32, v101
	v_mov_b32_e32 v100, v35
	;; [unrolled: 1-line block ×4, first 2 shown]
	v_pk_add_f32 v[32:33], v[32:33], v[100:101] neg_lo:[0,1] neg_hi:[0,1]
	v_mov_b32_e32 v36, v99
	v_mov_b32_e32 v37, v34
	v_pk_add_f32 v[32:33], v[36:37], v[32:33] neg_lo:[0,1] neg_hi:[0,1]
	v_mov_b32_e32 v112, v102
	v_pk_add_f32 v[34:35], v[112:113], v[32:33]
	v_mov_b32_e32 v36, v35
	v_pk_add_f32 v[36:37], v[34:35], v[36:37]
	v_pk_add_f32 v[98:99], v[30:31], v[36:37]
	v_mov_b32_e32 v35, v98
	v_pk_add_f32 v[100:101], v[34:35], v[102:103] neg_lo:[0,1] neg_hi:[0,1]
	v_mov_b32_e32 v33, v36
	v_sub_f32_e32 v30, v34, v100
	v_pk_add_f32 v[32:33], v[32:33], v[100:101] neg_lo:[0,1] neg_hi:[0,1]
	v_sub_f32_e32 v30, v102, v30
	s_mov_b32 s62, 0x7f800000
	v_add_f32_e32 v30, v32, v30
	s_mov_b32 s61, 0x33800000
	v_add_f32_e32 v30, v30, v33
	v_cmp_eq_f32_e32 vcc, s62, v97
	v_cmp_lt_f32_e64 s[62:63], |v97|, s61
	v_add_f32_e32 v30, v98, v30
	s_or_b64 vcc, vcc, s[62:63]
	v_cndmask_b32_e32 v30, v30, v97, vcc
	v_add_f32_e32 v30, v31, v30
	v_cvt_f16_f32_e32 v30, v30
	v_cvt_f32_f16_e32 v98, v30
.LBB381_208:
	s_or_b64 exec, exec, s[58:59]
	v_max_f32_e32 v31, v50, v50
	v_max_f32_e32 v32, v98, v98
	v_min_f32_e32 v33, v32, v31
	v_cmp_u_f16_e32 vcc, v30, v30
	v_max_f32_e32 v31, v32, v31
	v_cndmask_b32_e32 v33, v33, v98, vcc
	v_cndmask_b32_e32 v31, v31, v98, vcc
	v_cndmask_b32_e64 v33, v33, v50, s[10:11]
	v_cndmask_b32_e64 v32, v31, v50, s[10:11]
	v_cmp_neq_f32_e32 vcc, v33, v32
	v_cmp_class_f32_e64 s[10:11], v33, s60
	s_or_b64 vcc, vcc, s[10:11]
	v_mov_b32_e32 v99, v30
	v_mov_b32_e32 v31, v30
	s_and_saveexec_b64 s[10:11], vcc
	s_cbranch_execz .LBB381_210
; %bb.209:
	v_sub_f32_e32 v31, v33, v32
	s_mov_b32 s58, 0x3fb8aa3b
	v_mul_f32_e32 v33, 0x3fb8aa3b, v31
	v_fma_f32 v34, v31, s58, -v33
	v_rndne_f32_e32 v35, v33
	v_fmac_f32_e32 v34, 0x32a5705f, v31
	v_sub_f32_e32 v33, v33, v35
	v_add_f32_e32 v33, v33, v34
	v_exp_f32_e32 v33, v33
	v_cvt_i32_f32_e32 v34, v35
	s_mov_b32 s58, 0xc2ce8ed0
	v_cmp_ngt_f32_e32 vcc, s58, v31
	s_mov_b32 s58, 0x42b17218
	v_ldexp_f32 v33, v33, v34
	v_cndmask_b32_e32 v33, 0, v33, vcc
	v_mov_b32_e32 v34, 0x7f800000
	v_cmp_nlt_f32_e32 vcc, s58, v31
	v_cndmask_b32_e32 v33, v34, v33, vcc
	v_add_f32_e32 v31, 1.0, v33
	v_add_f32_e32 v34, -1.0, v31
	v_sub_f32_e32 v35, v34, v31
	v_add_f32_e32 v35, 1.0, v35
	v_sub_f32_e32 v34, v33, v34
	v_add_f32_e32 v36, v34, v35
	v_frexp_mant_f32_e32 v37, v31
	s_mov_b32 s58, 0x3f2aaaab
	v_cvt_f64_f32_e32 v[34:35], v31
	v_frexp_exp_i32_f64_e32 v34, v[34:35]
	v_cmp_gt_f32_e32 vcc, s58, v37
	v_subbrev_co_u32_e32 v97, vcc, 0, v34, vcc
	v_sub_u32_e32 v34, 0, v97
	v_ldexp_f32 v31, v31, v34
	v_ldexp_f32 v34, v36, v34
	v_add_f32_e32 v36, -1.0, v31
	v_add_f32_e32 v35, 1.0, v36
	v_sub_f32_e32 v35, v31, v35
	v_add_f32_e32 v37, v34, v35
	v_add_f32_e32 v35, 1.0, v31
	v_add_f32_e32 v98, -1.0, v35
	v_sub_f32_e32 v31, v31, v98
	v_add_f32_e32 v31, v34, v31
	v_add_f32_e32 v102, v35, v31
	v_rcp_f32_e32 v103, v102
	v_sub_f32_e32 v34, v35, v102
	v_add_f32_e32 v35, v36, v37
	v_add_f32_e32 v31, v31, v34
	v_mul_f32_e32 v113, v35, v103
	v_sub_f32_e32 v34, v36, v35
	v_mul_f32_e32 v36, v102, v113
	v_fma_f32 v98, v113, v102, -v36
	v_fmac_f32_e32 v98, v113, v31
	v_add_f32_e32 v112, v37, v34
	v_add_f32_e32 v34, v36, v98
	v_sub_f32_e32 v37, v35, v34
	v_pk_add_f32 v[100:101], v[34:35], v[36:37] neg_lo:[0,1] neg_hi:[0,1]
	v_mov_b32_e32 v99, v34
	v_pk_add_f32 v[34:35], v[100:101], v[98:99] neg_lo:[0,1] neg_hi:[0,1]
	v_add_f32_e32 v35, v112, v35
	v_add_f32_e32 v34, v34, v35
	;; [unrolled: 1-line block ×3, first 2 shown]
	v_mul_f32_e32 v112, v103, v35
	v_mul_f32_e32 v36, v102, v112
	v_fma_f32 v98, v112, v102, -v36
	v_fmac_f32_e32 v98, v112, v31
	v_sub_f32_e32 v31, v37, v35
	v_add_f32_e32 v31, v34, v31
	v_add_f32_e32 v34, v36, v98
	v_sub_f32_e32 v37, v35, v34
	v_pk_add_f32 v[100:101], v[34:35], v[36:37] neg_lo:[0,1] neg_hi:[0,1]
	v_mov_b32_e32 v99, v34
	v_pk_add_f32 v[34:35], v[100:101], v[98:99] neg_lo:[0,1] neg_hi:[0,1]
	v_add_f32_e32 v31, v31, v35
	v_add_f32_e32 v31, v34, v31
	;; [unrolled: 1-line block ×4, first 2 shown]
	v_sub_f32_e32 v35, v34, v113
	v_mul_f32_e32 v31, v103, v31
	v_sub_f32_e32 v35, v112, v35
	v_add_f32_e32 v31, v35, v31
	v_add_f32_e32 v37, v34, v31
	v_mul_f32_e32 v98, v37, v37
	v_mov_b32_e32 v36, 0x3ecc95a3
	v_fmac_f32_e32 v36, 0x3e9b6dac, v98
	v_mov_b32_e32 v35, 0x3f2aaada
	v_fmac_f32_e32 v35, v98, v36
	v_cvt_f32_i32_e32 v36, v97
	v_sub_f32_e32 v34, v37, v34
	v_sub_f32_e32 v31, v31, v34
	v_ldexp_f32 v99, v37, 1
	v_mul_f32_e32 v37, v37, v98
	v_mov_b32_e32 v34, 0x3f317218
	s_mov_b32 s58, 0x3f317218
	v_pk_mul_f32 v[34:35], v[36:37], v[34:35]
	v_fma_f32 v98, v36, s58, -v34
	v_fmac_f32_e32 v98, 0xb102e308, v36
	v_pk_add_f32 v[36:37], v[34:35], v[98:99]
	v_sub_f32_e32 v97, v37, v99
	v_ldexp_f32 v31, v31, 1
	v_sub_f32_e32 v97, v35, v97
	v_add_f32_e32 v101, v31, v97
	v_mov_b32_e32 v100, v34
	v_pk_add_f32 v[34:35], v[36:37], v[34:35] neg_lo:[0,1] neg_hi:[0,1]
	v_pk_add_f32 v[102:103], v[36:37], v[100:101]
	v_mov_b32_e32 v35, v103
	v_mov_b32_e32 v99, v36
	v_pk_add_f32 v[112:113], v[98:99], v[34:35] neg_lo:[0,1] neg_hi:[0,1]
	v_pk_add_f32 v[34:35], v[98:99], v[34:35]
	v_mov_b32_e32 v98, v35
	v_pk_add_f32 v[114:115], v[98:99], v[36:37] neg_lo:[0,1] neg_hi:[0,1]
	v_mov_b32_e32 v31, v114
	v_pk_add_f32 v[116:117], v[102:103], v[30:31] neg_lo:[0,1] neg_hi:[0,1]
	v_mov_b32_e32 v34, v103
	v_mov_b32_e32 v102, v37
	;; [unrolled: 1-line block ×4, first 2 shown]
	v_pk_add_f32 v[34:35], v[34:35], v[102:103] neg_lo:[0,1] neg_hi:[0,1]
	v_mov_b32_e32 v100, v101
	v_mov_b32_e32 v101, v36
	v_pk_add_f32 v[34:35], v[100:101], v[34:35] neg_lo:[0,1] neg_hi:[0,1]
	v_mov_b32_e32 v116, v112
	v_pk_add_f32 v[36:37], v[116:117], v[34:35]
	v_mov_b32_e32 v100, v37
	v_pk_add_f32 v[100:101], v[36:37], v[100:101]
	v_pk_add_f32 v[98:99], v[98:99], v[100:101]
	v_mov_b32_e32 v37, v98
	v_pk_add_f32 v[102:103], v[36:37], v[112:113] neg_lo:[0,1] neg_hi:[0,1]
	v_mov_b32_e32 v35, v100
	v_sub_f32_e32 v31, v36, v102
	v_pk_add_f32 v[34:35], v[34:35], v[102:103] neg_lo:[0,1] neg_hi:[0,1]
	v_sub_f32_e32 v31, v112, v31
	s_mov_b32 s59, 0x7f800000
	v_add_f32_e32 v31, v34, v31
	s_mov_b32 s58, 0x33800000
	v_add_f32_e32 v31, v31, v35
	v_cmp_eq_f32_e32 vcc, s59, v33
	v_cmp_lt_f32_e64 s[58:59], |v33|, s58
	v_add_f32_e32 v31, v98, v31
	s_or_b64 vcc, vcc, s[58:59]
	v_cndmask_b32_e32 v31, v31, v33, vcc
	v_add_f32_e32 v31, v32, v31
	v_cvt_f16_f32_e32 v99, v31
	v_cvt_f32_f16_e32 v98, v99
	v_mov_b32_e32 v31, v99
.LBB381_210:
	s_or_b64 exec, exec, s[10:11]
	v_max_f32_e32 v32, v51, v51
	v_max_f32_e32 v33, v98, v98
	v_min_f32_e32 v34, v33, v32
	v_cmp_u_f16_e32 vcc, v99, v99
	v_max_f32_e32 v32, v33, v32
	v_cndmask_b32_e32 v34, v34, v98, vcc
	v_cndmask_b32_e32 v32, v32, v98, vcc
	v_cndmask_b32_e64 v34, v34, v51, s[12:13]
	v_cndmask_b32_e64 v33, v32, v51, s[12:13]
	s_movk_i32 s12, 0x1f8
	v_cmp_neq_f32_e32 vcc, v34, v33
	v_cmp_class_f32_e64 s[10:11], v34, s12
	s_or_b64 vcc, vcc, s[10:11]
	v_mov_b32_e32 v32, v31
	s_and_saveexec_b64 s[10:11], vcc
	s_cbranch_execz .LBB381_212
; %bb.211:
	v_sub_f32_e32 v32, v34, v33
	s_mov_b32 s13, 0x3fb8aa3b
	v_mul_f32_e32 v34, 0x3fb8aa3b, v32
	v_fma_f32 v35, v32, s13, -v34
	v_rndne_f32_e32 v36, v34
	v_fmac_f32_e32 v35, 0x32a5705f, v32
	v_sub_f32_e32 v34, v34, v36
	v_add_f32_e32 v34, v34, v35
	v_exp_f32_e32 v34, v34
	v_cvt_i32_f32_e32 v35, v36
	s_mov_b32 s13, 0xc2ce8ed0
	v_cmp_ngt_f32_e32 vcc, s13, v32
	s_mov_b32 s13, 0x42b17218
	v_ldexp_f32 v34, v34, v35
	v_cndmask_b32_e32 v34, 0, v34, vcc
	v_mov_b32_e32 v35, 0x7f800000
	v_cmp_nlt_f32_e32 vcc, s13, v32
	v_cndmask_b32_e32 v97, v35, v34, vcc
	v_add_f32_e32 v32, 1.0, v97
	v_add_f32_e32 v34, -1.0, v32
	v_sub_f32_e32 v35, v34, v32
	v_add_f32_e32 v35, 1.0, v35
	v_sub_f32_e32 v34, v97, v34
	v_add_f32_e32 v36, v34, v35
	v_frexp_mant_f32_e32 v37, v32
	s_mov_b32 s13, 0x3f2aaaab
	v_cvt_f64_f32_e32 v[34:35], v32
	v_frexp_exp_i32_f64_e32 v34, v[34:35]
	v_cmp_gt_f32_e32 vcc, s13, v37
	v_subbrev_co_u32_e32 v51, vcc, 0, v34, vcc
	v_sub_u32_e32 v34, 0, v51
	v_ldexp_f32 v32, v32, v34
	v_ldexp_f32 v34, v36, v34
	v_add_f32_e32 v36, -1.0, v32
	v_add_f32_e32 v35, 1.0, v36
	v_sub_f32_e32 v35, v32, v35
	v_add_f32_e32 v37, v34, v35
	v_add_f32_e32 v35, 1.0, v32
	v_add_f32_e32 v98, -1.0, v35
	v_sub_f32_e32 v32, v32, v98
	v_add_f32_e32 v32, v34, v32
	v_add_f32_e32 v102, v35, v32
	v_rcp_f32_e32 v103, v102
	v_sub_f32_e32 v34, v35, v102
	v_add_f32_e32 v35, v36, v37
	v_add_f32_e32 v32, v32, v34
	v_mul_f32_e32 v113, v35, v103
	v_sub_f32_e32 v34, v36, v35
	v_mul_f32_e32 v36, v102, v113
	v_fma_f32 v98, v113, v102, -v36
	v_fmac_f32_e32 v98, v113, v32
	v_add_f32_e32 v112, v37, v34
	v_add_f32_e32 v34, v36, v98
	v_sub_f32_e32 v37, v35, v34
	v_pk_add_f32 v[100:101], v[34:35], v[36:37] neg_lo:[0,1] neg_hi:[0,1]
	v_mov_b32_e32 v99, v34
	v_pk_add_f32 v[34:35], v[100:101], v[98:99] neg_lo:[0,1] neg_hi:[0,1]
	v_add_f32_e32 v35, v112, v35
	v_add_f32_e32 v34, v34, v35
	;; [unrolled: 1-line block ×3, first 2 shown]
	v_mul_f32_e32 v112, v103, v35
	v_mul_f32_e32 v36, v102, v112
	v_fma_f32 v98, v112, v102, -v36
	v_fmac_f32_e32 v98, v112, v32
	v_sub_f32_e32 v32, v37, v35
	v_add_f32_e32 v32, v34, v32
	v_add_f32_e32 v34, v36, v98
	v_sub_f32_e32 v37, v35, v34
	v_pk_add_f32 v[100:101], v[34:35], v[36:37] neg_lo:[0,1] neg_hi:[0,1]
	v_mov_b32_e32 v99, v34
	v_pk_add_f32 v[34:35], v[100:101], v[98:99] neg_lo:[0,1] neg_hi:[0,1]
	v_add_f32_e32 v32, v32, v35
	v_add_f32_e32 v32, v34, v32
	;; [unrolled: 1-line block ×4, first 2 shown]
	v_sub_f32_e32 v35, v34, v113
	v_mul_f32_e32 v32, v103, v32
	v_sub_f32_e32 v35, v112, v35
	v_add_f32_e32 v32, v35, v32
	v_add_f32_e32 v37, v34, v32
	v_mul_f32_e32 v98, v37, v37
	v_mov_b32_e32 v36, 0x3ecc95a3
	v_fmac_f32_e32 v36, 0x3e9b6dac, v98
	v_mov_b32_e32 v35, 0x3f2aaada
	v_fmac_f32_e32 v35, v98, v36
	v_cvt_f32_i32_e32 v36, v51
	v_sub_f32_e32 v34, v37, v34
	v_sub_f32_e32 v32, v32, v34
	v_ldexp_f32 v99, v37, 1
	v_mul_f32_e32 v37, v37, v98
	v_mov_b32_e32 v34, 0x3f317218
	s_mov_b32 s13, 0x3f317218
	v_pk_mul_f32 v[34:35], v[36:37], v[34:35]
	v_fma_f32 v98, v36, s13, -v34
	v_fmac_f32_e32 v98, 0xb102e308, v36
	v_pk_add_f32 v[36:37], v[34:35], v[98:99]
	v_sub_f32_e32 v51, v37, v99
	v_ldexp_f32 v32, v32, 1
	v_sub_f32_e32 v51, v35, v51
	v_add_f32_e32 v101, v32, v51
	v_mov_b32_e32 v100, v34
	v_pk_add_f32 v[34:35], v[36:37], v[34:35] neg_lo:[0,1] neg_hi:[0,1]
	v_pk_add_f32 v[102:103], v[36:37], v[100:101]
	v_mov_b32_e32 v35, v103
	v_mov_b32_e32 v99, v36
	v_pk_add_f32 v[112:113], v[98:99], v[34:35] neg_lo:[0,1] neg_hi:[0,1]
	v_pk_add_f32 v[34:35], v[98:99], v[34:35]
	v_mov_b32_e32 v32, v35
	v_pk_add_f32 v[98:99], v[32:33], v[36:37] neg_lo:[0,1] neg_hi:[0,1]
	v_mov_b32_e32 v51, v98
	v_pk_add_f32 v[114:115], v[102:103], v[50:51] neg_lo:[0,1] neg_hi:[0,1]
	v_mov_b32_e32 v34, v103
	v_mov_b32_e32 v102, v37
	;; [unrolled: 1-line block ×4, first 2 shown]
	v_pk_add_f32 v[34:35], v[34:35], v[102:103] neg_lo:[0,1] neg_hi:[0,1]
	v_mov_b32_e32 v98, v101
	v_mov_b32_e32 v99, v36
	v_pk_add_f32 v[34:35], v[98:99], v[34:35] neg_lo:[0,1] neg_hi:[0,1]
	v_mov_b32_e32 v114, v112
	v_pk_add_f32 v[36:37], v[114:115], v[34:35]
	v_mov_b32_e32 v98, v37
	v_pk_add_f32 v[98:99], v[36:37], v[98:99]
	v_pk_add_f32 v[100:101], v[32:33], v[98:99]
	v_mov_b32_e32 v37, v100
	v_pk_add_f32 v[102:103], v[36:37], v[112:113] neg_lo:[0,1] neg_hi:[0,1]
	v_mov_b32_e32 v35, v98
	v_sub_f32_e32 v32, v36, v102
	v_pk_add_f32 v[34:35], v[34:35], v[102:103] neg_lo:[0,1] neg_hi:[0,1]
	v_sub_f32_e32 v32, v112, v32
	s_mov_b32 s58, 0x7f800000
	v_add_f32_e32 v32, v34, v32
	s_mov_b32 s13, 0x33800000
	v_add_f32_e32 v32, v32, v35
	v_cmp_eq_f32_e32 vcc, s58, v97
	v_cmp_lt_f32_e64 s[58:59], |v97|, s13
	v_add_f32_e32 v32, v100, v32
	s_or_b64 vcc, vcc, s[58:59]
	v_cndmask_b32_e32 v32, v32, v97, vcc
	v_add_f32_e32 v32, v33, v32
	v_cvt_f16_f32_e32 v99, v32
	v_cvt_f32_f16_e32 v98, v99
	v_mov_b32_e32 v32, v99
.LBB381_212:
	s_or_b64 exec, exec, s[10:11]
	v_max_f32_e32 v33, v52, v52
	v_max_f32_e32 v34, v98, v98
	v_min_f32_e32 v35, v34, v33
	v_cmp_u_f16_e32 vcc, v99, v99
	v_max_f32_e32 v33, v34, v33
	v_cndmask_b32_e32 v35, v35, v98, vcc
	v_cndmask_b32_e32 v33, v33, v98, vcc
	v_cndmask_b32_e64 v35, v35, v52, s[14:15]
	v_cndmask_b32_e64 v34, v33, v52, s[14:15]
	v_cmp_neq_f32_e32 vcc, v35, v34
	v_cmp_class_f32_e64 s[10:11], v35, s12
	s_or_b64 s[12:13], vcc, s[10:11]
	v_mov_b32_e32 v33, v32
	s_and_saveexec_b64 s[10:11], s[12:13]
	s_cbranch_execz .LBB381_214
; %bb.213:
	v_sub_f32_e32 v33, v35, v34
	s_mov_b32 s12, 0x3fb8aa3b
	v_mul_f32_e32 v35, 0x3fb8aa3b, v33
	v_fma_f32 v36, v33, s12, -v35
	v_rndne_f32_e32 v37, v35
	v_fmac_f32_e32 v36, 0x32a5705f, v33
	v_sub_f32_e32 v35, v35, v37
	v_add_f32_e32 v35, v35, v36
	v_exp_f32_e32 v35, v35
	v_cvt_i32_f32_e32 v36, v37
	s_mov_b32 s12, 0xc2ce8ed0
	v_cmp_ngt_f32_e32 vcc, s12, v33
	s_mov_b32 s12, 0x42b17218
	v_ldexp_f32 v35, v35, v36
	v_cndmask_b32_e32 v35, 0, v35, vcc
	v_mov_b32_e32 v36, 0x7f800000
	v_cmp_nlt_f32_e32 vcc, s12, v33
	v_cndmask_b32_e32 v35, v36, v35, vcc
	v_add_f32_e32 v33, 1.0, v35
	v_add_f32_e32 v36, -1.0, v33
	v_sub_f32_e32 v37, v36, v33
	v_add_f32_e32 v37, 1.0, v37
	v_sub_f32_e32 v36, v35, v36
	v_add_f32_e32 v51, v36, v37
	v_frexp_mant_f32_e32 v52, v33
	s_mov_b32 s12, 0x3f2aaaab
	v_cvt_f64_f32_e32 v[36:37], v33
	v_frexp_exp_i32_f64_e32 v36, v[36:37]
	v_cmp_gt_f32_e32 vcc, s12, v52
	v_subbrev_co_u32_e32 v52, vcc, 0, v36, vcc
	v_sub_u32_e32 v36, 0, v52
	v_ldexp_f32 v33, v33, v36
	v_ldexp_f32 v36, v51, v36
	v_add_f32_e32 v51, -1.0, v33
	v_add_f32_e32 v37, 1.0, v51
	v_sub_f32_e32 v37, v33, v37
	v_add_f32_e32 v97, v36, v37
	v_add_f32_e32 v37, 1.0, v33
	v_add_f32_e32 v98, -1.0, v37
	v_sub_f32_e32 v33, v33, v98
	v_add_f32_e32 v33, v36, v33
	v_add_f32_e32 v112, v37, v33
	v_rcp_f32_e32 v113, v112
	v_sub_f32_e32 v36, v37, v112
	v_add_f32_e32 v37, v51, v97
	v_add_f32_e32 v33, v33, v36
	v_sub_f32_e32 v36, v51, v37
	v_add_f32_e32 v51, v97, v36
	v_mul_f32_e32 v97, v37, v113
	v_mul_f32_e32 v98, v112, v97
	v_fma_f32 v100, v97, v112, -v98
	v_fmac_f32_e32 v100, v97, v33
	v_add_f32_e32 v36, v98, v100
	v_sub_f32_e32 v99, v37, v36
	v_pk_add_f32 v[102:103], v[36:37], v[98:99] neg_lo:[0,1] neg_hi:[0,1]
	v_mov_b32_e32 v101, v36
	v_pk_add_f32 v[36:37], v[102:103], v[100:101] neg_lo:[0,1] neg_hi:[0,1]
	v_add_f32_e32 v37, v51, v37
	v_add_f32_e32 v36, v36, v37
	;; [unrolled: 1-line block ×3, first 2 shown]
	v_mul_f32_e32 v51, v113, v37
	v_mul_f32_e32 v98, v112, v51
	v_fma_f32 v100, v51, v112, -v98
	v_fmac_f32_e32 v100, v51, v33
	v_sub_f32_e32 v33, v99, v37
	v_add_f32_e32 v33, v36, v33
	v_add_f32_e32 v36, v98, v100
	v_sub_f32_e32 v99, v37, v36
	v_pk_add_f32 v[102:103], v[36:37], v[98:99] neg_lo:[0,1] neg_hi:[0,1]
	v_mov_b32_e32 v101, v36
	v_pk_add_f32 v[36:37], v[102:103], v[100:101] neg_lo:[0,1] neg_hi:[0,1]
	v_add_f32_e32 v33, v33, v37
	v_add_f32_e32 v33, v36, v33
	;; [unrolled: 1-line block ×4, first 2 shown]
	v_sub_f32_e32 v37, v36, v97
	v_mul_f32_e32 v33, v113, v33
	v_sub_f32_e32 v37, v51, v37
	v_add_f32_e32 v33, v37, v33
	v_add_f32_e32 v51, v36, v33
	v_mul_f32_e32 v97, v51, v51
	v_mov_b32_e32 v98, 0x3ecc95a3
	v_fmac_f32_e32 v98, 0x3e9b6dac, v97
	v_mov_b32_e32 v37, 0x3f2aaada
	v_fmac_f32_e32 v37, v97, v98
	v_cvt_f32_i32_e32 v98, v52
	v_sub_f32_e32 v36, v51, v36
	v_sub_f32_e32 v33, v33, v36
	v_mul_f32_e32 v99, v51, v97
	v_mov_b32_e32 v36, 0x3f317218
	s_mov_b32 s12, 0x3f317218
	v_pk_mul_f32 v[36:37], v[98:99], v[36:37]
	v_fma_f32 v100, v98, s12, -v36
	v_ldexp_f32 v101, v51, 1
	v_fmac_f32_e32 v100, 0xb102e308, v98
	v_pk_add_f32 v[98:99], v[36:37], v[100:101]
	v_sub_f32_e32 v51, v99, v101
	v_ldexp_f32 v33, v33, 1
	v_sub_f32_e32 v51, v37, v51
	v_add_f32_e32 v103, v33, v51
	v_mov_b32_e32 v102, v36
	v_pk_add_f32 v[36:37], v[98:99], v[36:37] neg_lo:[0,1] neg_hi:[0,1]
	v_pk_add_f32 v[112:113], v[98:99], v[102:103]
	v_mov_b32_e32 v37, v113
	v_mov_b32_e32 v101, v98
	v_pk_add_f32 v[114:115], v[100:101], v[36:37] neg_lo:[0,1] neg_hi:[0,1]
	v_pk_add_f32 v[36:37], v[100:101], v[36:37]
	v_mov_b32_e32 v52, v37
	v_pk_add_f32 v[100:101], v[52:53], v[98:99] neg_lo:[0,1] neg_hi:[0,1]
	v_mov_b32_e32 v33, v100
	v_pk_add_f32 v[116:117], v[112:113], v[32:33] neg_lo:[0,1] neg_hi:[0,1]
	v_mov_b32_e32 v36, v113
	v_mov_b32_e32 v112, v99
	;; [unrolled: 1-line block ×4, first 2 shown]
	v_pk_add_f32 v[36:37], v[36:37], v[112:113] neg_lo:[0,1] neg_hi:[0,1]
	v_mov_b32_e32 v100, v103
	v_mov_b32_e32 v101, v98
	v_pk_add_f32 v[36:37], v[100:101], v[36:37] neg_lo:[0,1] neg_hi:[0,1]
	v_mov_b32_e32 v116, v114
	v_pk_add_f32 v[98:99], v[116:117], v[36:37]
	v_mov_b32_e32 v100, v99
	v_pk_add_f32 v[100:101], v[98:99], v[100:101]
	v_pk_add_f32 v[102:103], v[52:53], v[100:101]
	v_mov_b32_e32 v99, v102
	v_pk_add_f32 v[112:113], v[98:99], v[114:115] neg_lo:[0,1] neg_hi:[0,1]
	v_mov_b32_e32 v37, v100
	v_sub_f32_e32 v33, v98, v112
	v_pk_add_f32 v[36:37], v[36:37], v[112:113] neg_lo:[0,1] neg_hi:[0,1]
	v_sub_f32_e32 v33, v114, v33
	s_mov_b32 s13, 0x7f800000
	v_add_f32_e32 v33, v36, v33
	s_mov_b32 s12, 0x33800000
	v_add_f32_e32 v33, v33, v37
	v_cmp_eq_f32_e32 vcc, s13, v35
	v_cmp_lt_f32_e64 s[12:13], |v35|, s12
	v_add_f32_e32 v33, v102, v33
	s_or_b64 vcc, vcc, s[12:13]
	v_cndmask_b32_e32 v33, v33, v35, vcc
	v_add_f32_e32 v33, v34, v33
	v_cvt_f16_f32_e32 v99, v33
	v_cvt_f32_f16_e32 v98, v99
	v_mov_b32_e32 v33, v99
.LBB381_214:
	s_or_b64 exec, exec, s[10:11]
	v_max_f32_e32 v34, v53, v53
	v_max_f32_e32 v35, v98, v98
	v_min_f32_e32 v36, v35, v34
	v_cmp_u_f16_e32 vcc, v99, v99
	v_max_f32_e32 v34, v35, v34
	v_cndmask_b32_e32 v36, v36, v98, vcc
	v_cndmask_b32_e32 v34, v34, v98, vcc
	v_cndmask_b32_e64 v36, v36, v53, s[16:17]
	v_cndmask_b32_e64 v35, v34, v53, s[16:17]
	s_movk_i32 s12, 0x1f8
	v_cmp_neq_f32_e32 vcc, v36, v35
	v_cmp_class_f32_e64 s[10:11], v36, s12
	s_or_b64 s[14:15], vcc, s[10:11]
	v_mov_b32_e32 v34, v33
	s_and_saveexec_b64 s[10:11], s[14:15]
	s_cbranch_execz .LBB381_216
; %bb.215:
	v_sub_f32_e32 v34, v36, v35
	s_mov_b32 s13, 0x3fb8aa3b
	v_mul_f32_e32 v36, 0x3fb8aa3b, v34
	v_fma_f32 v37, v34, s13, -v36
	v_rndne_f32_e32 v51, v36
	v_fmac_f32_e32 v37, 0x32a5705f, v34
	v_sub_f32_e32 v36, v36, v51
	v_add_f32_e32 v36, v36, v37
	v_exp_f32_e32 v36, v36
	v_cvt_i32_f32_e32 v37, v51
	s_mov_b32 s13, 0xc2ce8ed0
	v_cmp_ngt_f32_e32 vcc, s13, v34
	s_mov_b32 s13, 0x42b17218
	v_ldexp_f32 v36, v36, v37
	v_cndmask_b32_e32 v36, 0, v36, vcc
	v_mov_b32_e32 v37, 0x7f800000
	v_cmp_nlt_f32_e32 vcc, s13, v34
	v_cndmask_b32_e32 v97, v37, v36, vcc
	v_add_f32_e32 v34, 1.0, v97
	v_add_f32_e32 v36, -1.0, v34
	v_sub_f32_e32 v37, v36, v34
	v_add_f32_e32 v37, 1.0, v37
	v_sub_f32_e32 v36, v97, v36
	v_add_f32_e32 v51, v36, v37
	v_frexp_mant_f32_e32 v52, v34
	s_mov_b32 s13, 0x3f2aaaab
	v_cvt_f64_f32_e32 v[36:37], v34
	v_frexp_exp_i32_f64_e32 v36, v[36:37]
	v_cmp_gt_f32_e32 vcc, s13, v52
	v_subbrev_co_u32_e32 v102, vcc, 0, v36, vcc
	v_sub_u32_e32 v36, 0, v102
	v_ldexp_f32 v34, v34, v36
	v_ldexp_f32 v36, v51, v36
	v_add_f32_e32 v51, -1.0, v34
	v_add_f32_e32 v37, 1.0, v51
	v_sub_f32_e32 v37, v34, v37
	v_add_f32_e32 v52, v36, v37
	v_add_f32_e32 v37, 1.0, v34
	v_add_f32_e32 v53, -1.0, v37
	v_sub_f32_e32 v34, v34, v53
	v_add_f32_e32 v34, v36, v34
	v_add_f32_e32 v103, v37, v34
	v_rcp_f32_e32 v112, v103
	v_sub_f32_e32 v36, v37, v103
	v_add_f32_e32 v37, v51, v52
	v_add_f32_e32 v34, v34, v36
	v_sub_f32_e32 v36, v51, v37
	v_mul_f32_e32 v113, v37, v112
	v_add_f32_e32 v51, v52, v36
	v_mul_f32_e32 v52, v103, v113
	v_fma_f32 v98, v113, v103, -v52
	v_fmac_f32_e32 v98, v113, v34
	v_add_f32_e32 v36, v52, v98
	v_sub_f32_e32 v53, v37, v36
	v_pk_add_f32 v[100:101], v[36:37], v[52:53] neg_lo:[0,1] neg_hi:[0,1]
	v_mov_b32_e32 v99, v36
	v_pk_add_f32 v[36:37], v[100:101], v[98:99] neg_lo:[0,1] neg_hi:[0,1]
	v_add_f32_e32 v37, v51, v37
	v_add_f32_e32 v36, v36, v37
	;; [unrolled: 1-line block ×3, first 2 shown]
	v_mul_f32_e32 v51, v112, v37
	v_mul_f32_e32 v52, v103, v51
	v_fma_f32 v98, v51, v103, -v52
	v_fmac_f32_e32 v98, v51, v34
	v_sub_f32_e32 v34, v53, v37
	v_add_f32_e32 v34, v36, v34
	v_add_f32_e32 v36, v52, v98
	v_sub_f32_e32 v53, v37, v36
	v_pk_add_f32 v[100:101], v[36:37], v[52:53] neg_lo:[0,1] neg_hi:[0,1]
	v_mov_b32_e32 v99, v36
	v_pk_add_f32 v[36:37], v[100:101], v[98:99] neg_lo:[0,1] neg_hi:[0,1]
	v_add_f32_e32 v34, v34, v37
	v_add_f32_e32 v34, v36, v34
	;; [unrolled: 1-line block ×4, first 2 shown]
	v_sub_f32_e32 v37, v36, v113
	v_mul_f32_e32 v34, v112, v34
	v_sub_f32_e32 v37, v51, v37
	v_add_f32_e32 v34, v37, v34
	v_add_f32_e32 v51, v36, v34
	v_mul_f32_e32 v53, v51, v51
	v_mov_b32_e32 v52, 0x3ecc95a3
	v_fmac_f32_e32 v52, 0x3e9b6dac, v53
	v_mov_b32_e32 v37, 0x3f2aaada
	v_fmac_f32_e32 v37, v53, v52
	v_cvt_f32_i32_e32 v52, v102
	v_sub_f32_e32 v36, v51, v36
	v_sub_f32_e32 v34, v34, v36
	v_mul_f32_e32 v53, v51, v53
	v_mov_b32_e32 v36, 0x3f317218
	s_mov_b32 s13, 0x3f317218
	v_pk_mul_f32 v[36:37], v[52:53], v[36:37]
	v_fma_f32 v98, v52, s13, -v36
	v_ldexp_f32 v99, v51, 1
	v_fmac_f32_e32 v98, 0xb102e308, v52
	v_pk_add_f32 v[52:53], v[36:37], v[98:99]
	v_sub_f32_e32 v51, v53, v99
	v_ldexp_f32 v34, v34, 1
	v_sub_f32_e32 v51, v37, v51
	v_add_f32_e32 v101, v34, v51
	v_mov_b32_e32 v100, v36
	v_pk_add_f32 v[36:37], v[52:53], v[36:37] neg_lo:[0,1] neg_hi:[0,1]
	v_pk_add_f32 v[102:103], v[52:53], v[100:101]
	v_mov_b32_e32 v37, v103
	v_mov_b32_e32 v99, v52
	v_pk_add_f32 v[112:113], v[98:99], v[36:37] neg_lo:[0,1] neg_hi:[0,1]
	v_pk_add_f32 v[36:37], v[98:99], v[36:37]
	v_mov_b32_e32 v34, v37
	v_pk_add_f32 v[98:99], v[34:35], v[52:53] neg_lo:[0,1] neg_hi:[0,1]
	v_mov_b32_e32 v51, v98
	v_pk_add_f32 v[114:115], v[102:103], v[50:51] neg_lo:[0,1] neg_hi:[0,1]
	v_mov_b32_e32 v36, v103
	v_mov_b32_e32 v102, v53
	;; [unrolled: 1-line block ×4, first 2 shown]
	v_pk_add_f32 v[36:37], v[36:37], v[102:103] neg_lo:[0,1] neg_hi:[0,1]
	v_mov_b32_e32 v98, v101
	v_mov_b32_e32 v99, v52
	v_pk_add_f32 v[36:37], v[98:99], v[36:37] neg_lo:[0,1] neg_hi:[0,1]
	v_mov_b32_e32 v114, v112
	v_pk_add_f32 v[52:53], v[114:115], v[36:37]
	v_mov_b32_e32 v98, v53
	v_pk_add_f32 v[98:99], v[52:53], v[98:99]
	v_pk_add_f32 v[100:101], v[34:35], v[98:99]
	v_mov_b32_e32 v53, v100
	v_pk_add_f32 v[102:103], v[52:53], v[112:113] neg_lo:[0,1] neg_hi:[0,1]
	v_mov_b32_e32 v37, v98
	v_sub_f32_e32 v34, v52, v102
	v_pk_add_f32 v[36:37], v[36:37], v[102:103] neg_lo:[0,1] neg_hi:[0,1]
	v_sub_f32_e32 v34, v112, v34
	s_mov_b32 s14, 0x7f800000
	v_add_f32_e32 v34, v36, v34
	s_mov_b32 s13, 0x33800000
	v_add_f32_e32 v34, v34, v37
	v_cmp_eq_f32_e32 vcc, s14, v97
	v_cmp_lt_f32_e64 s[14:15], |v97|, s13
	v_add_f32_e32 v34, v100, v34
	s_or_b64 vcc, vcc, s[14:15]
	v_cndmask_b32_e32 v34, v34, v97, vcc
	v_add_f32_e32 v34, v35, v34
	v_cvt_f16_f32_e32 v99, v34
	v_cvt_f32_f16_e32 v98, v99
	v_mov_b32_e32 v34, v99
.LBB381_216:
	s_or_b64 exec, exec, s[10:11]
	v_max_f32_e32 v35, v54, v54
	v_max_f32_e32 v36, v98, v98
	v_min_f32_e32 v37, v36, v35
	v_cmp_u_f16_e32 vcc, v99, v99
	v_max_f32_e32 v35, v36, v35
	v_cndmask_b32_e32 v37, v37, v98, vcc
	v_cndmask_b32_e32 v35, v35, v98, vcc
	v_cndmask_b32_e64 v37, v37, v54, s[18:19]
	v_cndmask_b32_e64 v36, v35, v54, s[18:19]
	v_cmp_neq_f32_e32 vcc, v37, v36
	v_cmp_class_f32_e64 s[10:11], v37, s12
	s_or_b64 s[12:13], vcc, s[10:11]
	v_mov_b32_e32 v35, v34
	s_and_saveexec_b64 s[10:11], s[12:13]
	s_cbranch_execz .LBB381_218
; %bb.217:
	v_sub_f32_e32 v35, v37, v36
	s_mov_b32 s12, 0x3fb8aa3b
	v_mul_f32_e32 v37, 0x3fb8aa3b, v35
	v_fma_f32 v51, v35, s12, -v37
	v_rndne_f32_e32 v52, v37
	v_fmac_f32_e32 v51, 0x32a5705f, v35
	v_sub_f32_e32 v37, v37, v52
	v_add_f32_e32 v37, v37, v51
	v_exp_f32_e32 v37, v37
	v_cvt_i32_f32_e32 v51, v52
	s_mov_b32 s12, 0xc2ce8ed0
	v_cmp_ngt_f32_e32 vcc, s12, v35
	s_mov_b32 s12, 0x42b17218
	v_ldexp_f32 v37, v37, v51
	v_cndmask_b32_e32 v37, 0, v37, vcc
	v_mov_b32_e32 v51, 0x7f800000
	v_cmp_nlt_f32_e32 vcc, s12, v35
	v_cndmask_b32_e32 v37, v51, v37, vcc
	v_add_f32_e32 v35, 1.0, v37
	v_add_f32_e32 v51, -1.0, v35
	v_sub_f32_e32 v52, v51, v35
	v_add_f32_e32 v52, 1.0, v52
	v_sub_f32_e32 v51, v37, v51
	v_add_f32_e32 v51, v51, v52
	v_frexp_mant_f32_e32 v54, v35
	s_mov_b32 s12, 0x3f2aaaab
	v_cvt_f64_f32_e32 v[52:53], v35
	v_frexp_exp_i32_f64_e32 v52, v[52:53]
	v_cmp_gt_f32_e32 vcc, s12, v54
	v_subbrev_co_u32_e32 v54, vcc, 0, v52, vcc
	v_sub_u32_e32 v52, 0, v54
	v_ldexp_f32 v35, v35, v52
	v_ldexp_f32 v51, v51, v52
	v_add_f32_e32 v52, -1.0, v35
	v_add_f32_e32 v53, 1.0, v52
	v_sub_f32_e32 v53, v35, v53
	v_add_f32_e32 v97, v51, v53
	v_add_f32_e32 v53, 1.0, v35
	v_add_f32_e32 v98, -1.0, v53
	v_sub_f32_e32 v35, v35, v98
	v_add_f32_e32 v35, v51, v35
	v_add_f32_e32 v51, v53, v35
	v_rcp_f32_e32 v112, v51
	v_sub_f32_e32 v53, v53, v51
	v_add_f32_e32 v35, v35, v53
	v_add_f32_e32 v53, v52, v97
	v_mul_f32_e32 v113, v53, v112
	v_mul_f32_e32 v98, v51, v113
	v_fma_f32 v100, v113, v51, -v98
	v_sub_f32_e32 v52, v52, v53
	v_fmac_f32_e32 v100, v113, v35
	v_add_f32_e32 v97, v97, v52
	v_add_f32_e32 v52, v98, v100
	v_sub_f32_e32 v99, v53, v52
	v_pk_add_f32 v[102:103], v[52:53], v[98:99] neg_lo:[0,1] neg_hi:[0,1]
	v_mov_b32_e32 v101, v52
	v_pk_add_f32 v[52:53], v[102:103], v[100:101] neg_lo:[0,1] neg_hi:[0,1]
	v_add_f32_e32 v53, v97, v53
	v_add_f32_e32 v52, v52, v53
	;; [unrolled: 1-line block ×3, first 2 shown]
	v_mul_f32_e32 v97, v112, v53
	v_mul_f32_e32 v98, v51, v97
	v_fma_f32 v100, v97, v51, -v98
	v_fmac_f32_e32 v100, v97, v35
	v_sub_f32_e32 v35, v99, v53
	v_add_f32_e32 v35, v52, v35
	v_add_f32_e32 v52, v98, v100
	v_sub_f32_e32 v99, v53, v52
	v_pk_add_f32 v[102:103], v[52:53], v[98:99] neg_lo:[0,1] neg_hi:[0,1]
	v_mov_b32_e32 v101, v52
	v_pk_add_f32 v[52:53], v[102:103], v[100:101] neg_lo:[0,1] neg_hi:[0,1]
	v_add_f32_e32 v35, v35, v53
	v_add_f32_e32 v35, v52, v35
	;; [unrolled: 1-line block ×4, first 2 shown]
	v_sub_f32_e32 v52, v51, v113
	v_mul_f32_e32 v35, v112, v35
	v_sub_f32_e32 v52, v97, v52
	v_add_f32_e32 v35, v52, v35
	v_add_f32_e32 v52, v51, v35
	v_mul_f32_e32 v97, v52, v52
	v_mov_b32_e32 v98, 0x3ecc95a3
	v_fmac_f32_e32 v98, 0x3e9b6dac, v97
	v_mov_b32_e32 v53, 0x3f2aaada
	v_fmac_f32_e32 v53, v97, v98
	v_cvt_f32_i32_e32 v98, v54
	v_sub_f32_e32 v51, v52, v51
	v_ldexp_f32 v101, v52, 1
	v_mul_f32_e32 v99, v52, v97
	v_mov_b32_e32 v52, 0x3f317218
	s_mov_b32 s12, 0x3f317218
	v_pk_mul_f32 v[52:53], v[98:99], v[52:53]
	v_fma_f32 v100, v98, s12, -v52
	v_fmac_f32_e32 v100, 0xb102e308, v98
	v_pk_add_f32 v[98:99], v[52:53], v[100:101]
	v_sub_f32_e32 v35, v35, v51
	v_sub_f32_e32 v51, v99, v101
	v_ldexp_f32 v35, v35, 1
	v_sub_f32_e32 v51, v53, v51
	v_add_f32_e32 v103, v35, v51
	v_mov_b32_e32 v102, v52
	v_pk_add_f32 v[52:53], v[98:99], v[52:53] neg_lo:[0,1] neg_hi:[0,1]
	v_pk_add_f32 v[112:113], v[98:99], v[102:103]
	v_mov_b32_e32 v53, v113
	v_mov_b32_e32 v101, v98
	v_pk_add_f32 v[114:115], v[100:101], v[52:53] neg_lo:[0,1] neg_hi:[0,1]
	v_pk_add_f32 v[52:53], v[100:101], v[52:53]
	v_mov_b32_e32 v54, v53
	v_pk_add_f32 v[100:101], v[54:55], v[98:99] neg_lo:[0,1] neg_hi:[0,1]
	v_mov_b32_e32 v35, v100
	v_pk_add_f32 v[116:117], v[112:113], v[34:35] neg_lo:[0,1] neg_hi:[0,1]
	v_mov_b32_e32 v52, v113
	v_mov_b32_e32 v112, v99
	;; [unrolled: 1-line block ×4, first 2 shown]
	v_pk_add_f32 v[52:53], v[52:53], v[112:113] neg_lo:[0,1] neg_hi:[0,1]
	v_mov_b32_e32 v100, v103
	v_mov_b32_e32 v101, v98
	v_pk_add_f32 v[52:53], v[100:101], v[52:53] neg_lo:[0,1] neg_hi:[0,1]
	v_mov_b32_e32 v116, v114
	v_pk_add_f32 v[98:99], v[116:117], v[52:53]
	v_mov_b32_e32 v100, v99
	v_pk_add_f32 v[100:101], v[98:99], v[100:101]
	v_pk_add_f32 v[102:103], v[54:55], v[100:101]
	v_mov_b32_e32 v99, v102
	v_pk_add_f32 v[112:113], v[98:99], v[114:115] neg_lo:[0,1] neg_hi:[0,1]
	v_mov_b32_e32 v53, v100
	v_sub_f32_e32 v35, v98, v112
	v_pk_add_f32 v[52:53], v[52:53], v[112:113] neg_lo:[0,1] neg_hi:[0,1]
	v_sub_f32_e32 v35, v114, v35
	s_mov_b32 s13, 0x7f800000
	v_add_f32_e32 v35, v52, v35
	s_mov_b32 s12, 0x33800000
	v_add_f32_e32 v35, v35, v53
	v_cmp_eq_f32_e32 vcc, s13, v37
	v_cmp_lt_f32_e64 s[12:13], |v37|, s12
	v_add_f32_e32 v35, v102, v35
	s_or_b64 vcc, vcc, s[12:13]
	v_cndmask_b32_e32 v35, v35, v37, vcc
	v_add_f32_e32 v35, v36, v35
	v_cvt_f16_f32_e32 v99, v35
	v_cvt_f32_f16_e32 v98, v99
	v_mov_b32_e32 v35, v99
.LBB381_218:
	s_or_b64 exec, exec, s[10:11]
	v_max_f32_e32 v36, v55, v55
	v_max_f32_e32 v37, v98, v98
	v_min_f32_e32 v51, v37, v36
	v_cmp_u_f16_e32 vcc, v99, v99
	v_max_f32_e32 v36, v37, v36
	v_cndmask_b32_e32 v51, v51, v98, vcc
	v_cndmask_b32_e32 v36, v36, v98, vcc
	v_cndmask_b32_e64 v51, v51, v55, s[20:21]
	v_cndmask_b32_e64 v37, v36, v55, s[20:21]
	s_movk_i32 s12, 0x1f8
	v_cmp_neq_f32_e32 vcc, v51, v37
	v_cmp_class_f32_e64 s[10:11], v51, s12
	s_or_b64 s[14:15], vcc, s[10:11]
	v_mov_b32_e32 v36, v35
	s_and_saveexec_b64 s[10:11], s[14:15]
	s_cbranch_execz .LBB381_220
; %bb.219:
	v_sub_f32_e32 v36, v51, v37
	s_mov_b32 s13, 0x3fb8aa3b
	v_mul_f32_e32 v51, 0x3fb8aa3b, v36
	v_fma_f32 v52, v36, s13, -v51
	v_rndne_f32_e32 v53, v51
	v_fmac_f32_e32 v52, 0x32a5705f, v36
	v_sub_f32_e32 v51, v51, v53
	v_add_f32_e32 v51, v51, v52
	v_exp_f32_e32 v51, v51
	v_cvt_i32_f32_e32 v52, v53
	s_mov_b32 s13, 0xc2ce8ed0
	v_cmp_ngt_f32_e32 vcc, s13, v36
	s_mov_b32 s13, 0x42b17218
	v_ldexp_f32 v51, v51, v52
	v_cndmask_b32_e32 v51, 0, v51, vcc
	v_mov_b32_e32 v52, 0x7f800000
	v_cmp_nlt_f32_e32 vcc, s13, v36
	v_cndmask_b32_e32 v97, v52, v51, vcc
	v_add_f32_e32 v36, 1.0, v97
	v_add_f32_e32 v51, -1.0, v36
	v_sub_f32_e32 v52, v51, v36
	v_add_f32_e32 v52, 1.0, v52
	v_sub_f32_e32 v51, v97, v51
	v_add_f32_e32 v51, v51, v52
	v_frexp_mant_f32_e32 v54, v36
	s_mov_b32 s13, 0x3f2aaaab
	v_cvt_f64_f32_e32 v[52:53], v36
	v_frexp_exp_i32_f64_e32 v52, v[52:53]
	v_cmp_gt_f32_e32 vcc, s13, v54
	v_subbrev_co_u32_e32 v102, vcc, 0, v52, vcc
	v_sub_u32_e32 v52, 0, v102
	v_ldexp_f32 v36, v36, v52
	v_ldexp_f32 v51, v51, v52
	v_add_f32_e32 v52, -1.0, v36
	v_add_f32_e32 v53, 1.0, v52
	v_sub_f32_e32 v53, v36, v53
	v_add_f32_e32 v54, v51, v53
	v_add_f32_e32 v53, 1.0, v36
	v_add_f32_e32 v55, -1.0, v53
	v_sub_f32_e32 v36, v36, v55
	v_add_f32_e32 v36, v51, v36
	v_add_f32_e32 v51, v53, v36
	v_rcp_f32_e32 v103, v51
	v_sub_f32_e32 v53, v53, v51
	v_add_f32_e32 v36, v36, v53
	v_add_f32_e32 v53, v52, v54
	v_sub_f32_e32 v52, v52, v53
	v_mul_f32_e32 v113, v53, v103
	v_add_f32_e32 v112, v54, v52
	v_mul_f32_e32 v54, v51, v113
	v_fma_f32 v98, v113, v51, -v54
	v_fmac_f32_e32 v98, v113, v36
	v_add_f32_e32 v52, v54, v98
	v_sub_f32_e32 v55, v53, v52
	v_pk_add_f32 v[100:101], v[52:53], v[54:55] neg_lo:[0,1] neg_hi:[0,1]
	v_mov_b32_e32 v99, v52
	v_pk_add_f32 v[52:53], v[100:101], v[98:99] neg_lo:[0,1] neg_hi:[0,1]
	v_add_f32_e32 v53, v112, v53
	v_add_f32_e32 v52, v52, v53
	;; [unrolled: 1-line block ×3, first 2 shown]
	v_mul_f32_e32 v112, v103, v53
	v_mul_f32_e32 v54, v51, v112
	v_fma_f32 v98, v112, v51, -v54
	v_fmac_f32_e32 v98, v112, v36
	v_sub_f32_e32 v36, v55, v53
	v_add_f32_e32 v36, v52, v36
	v_add_f32_e32 v52, v54, v98
	v_sub_f32_e32 v55, v53, v52
	v_pk_add_f32 v[100:101], v[52:53], v[54:55] neg_lo:[0,1] neg_hi:[0,1]
	v_mov_b32_e32 v99, v52
	v_pk_add_f32 v[52:53], v[100:101], v[98:99] neg_lo:[0,1] neg_hi:[0,1]
	v_add_f32_e32 v36, v36, v53
	v_add_f32_e32 v36, v52, v36
	;; [unrolled: 1-line block ×4, first 2 shown]
	v_sub_f32_e32 v52, v51, v113
	v_mul_f32_e32 v36, v103, v36
	v_sub_f32_e32 v52, v112, v52
	v_add_f32_e32 v36, v52, v36
	v_add_f32_e32 v52, v51, v36
	v_mul_f32_e32 v55, v52, v52
	v_mov_b32_e32 v54, 0x3ecc95a3
	v_fmac_f32_e32 v54, 0x3e9b6dac, v55
	v_mov_b32_e32 v53, 0x3f2aaada
	v_fmac_f32_e32 v53, v55, v54
	v_cvt_f32_i32_e32 v54, v102
	v_sub_f32_e32 v51, v52, v51
	v_ldexp_f32 v99, v52, 1
	v_mul_f32_e32 v55, v52, v55
	v_mov_b32_e32 v52, 0x3f317218
	s_mov_b32 s13, 0x3f317218
	v_pk_mul_f32 v[52:53], v[54:55], v[52:53]
	v_fma_f32 v98, v54, s13, -v52
	v_fmac_f32_e32 v98, 0xb102e308, v54
	v_pk_add_f32 v[54:55], v[52:53], v[98:99]
	v_sub_f32_e32 v36, v36, v51
	v_sub_f32_e32 v51, v55, v99
	v_ldexp_f32 v36, v36, 1
	v_sub_f32_e32 v51, v53, v51
	v_add_f32_e32 v101, v36, v51
	v_mov_b32_e32 v100, v52
	v_pk_add_f32 v[52:53], v[54:55], v[52:53] neg_lo:[0,1] neg_hi:[0,1]
	v_pk_add_f32 v[102:103], v[54:55], v[100:101]
	v_mov_b32_e32 v53, v103
	v_mov_b32_e32 v99, v54
	v_pk_add_f32 v[112:113], v[98:99], v[52:53] neg_lo:[0,1] neg_hi:[0,1]
	v_pk_add_f32 v[52:53], v[98:99], v[52:53]
	v_mov_b32_e32 v36, v53
	v_pk_add_f32 v[98:99], v[36:37], v[54:55] neg_lo:[0,1] neg_hi:[0,1]
	v_mov_b32_e32 v51, v98
	v_pk_add_f32 v[114:115], v[102:103], v[50:51] neg_lo:[0,1] neg_hi:[0,1]
	v_mov_b32_e32 v52, v103
	v_mov_b32_e32 v102, v55
	;; [unrolled: 1-line block ×4, first 2 shown]
	v_pk_add_f32 v[52:53], v[52:53], v[102:103] neg_lo:[0,1] neg_hi:[0,1]
	v_mov_b32_e32 v98, v101
	v_mov_b32_e32 v99, v54
	v_pk_add_f32 v[52:53], v[98:99], v[52:53] neg_lo:[0,1] neg_hi:[0,1]
	v_mov_b32_e32 v114, v112
	v_pk_add_f32 v[54:55], v[114:115], v[52:53]
	v_mov_b32_e32 v98, v55
	v_pk_add_f32 v[98:99], v[54:55], v[98:99]
	v_pk_add_f32 v[100:101], v[36:37], v[98:99]
	v_mov_b32_e32 v55, v100
	v_pk_add_f32 v[102:103], v[54:55], v[112:113] neg_lo:[0,1] neg_hi:[0,1]
	v_mov_b32_e32 v53, v98
	v_sub_f32_e32 v36, v54, v102
	v_pk_add_f32 v[52:53], v[52:53], v[102:103] neg_lo:[0,1] neg_hi:[0,1]
	v_sub_f32_e32 v36, v112, v36
	s_mov_b32 s14, 0x7f800000
	v_add_f32_e32 v36, v52, v36
	s_mov_b32 s13, 0x33800000
	v_add_f32_e32 v36, v36, v53
	v_cmp_eq_f32_e32 vcc, s14, v97
	v_cmp_lt_f32_e64 s[14:15], |v97|, s13
	v_add_f32_e32 v36, v100, v36
	s_or_b64 vcc, vcc, s[14:15]
	v_cndmask_b32_e32 v36, v36, v97, vcc
	v_add_f32_e32 v36, v37, v36
	v_cvt_f16_f32_e32 v99, v36
	v_cvt_f32_f16_e32 v98, v99
	v_mov_b32_e32 v36, v99
.LBB381_220:
	s_or_b64 exec, exec, s[10:11]
	v_max_f32_e32 v37, v64, v64
	v_max_f32_e32 v51, v98, v98
	v_min_f32_e32 v52, v51, v37
	v_cmp_u_f16_e32 vcc, v99, v99
	v_max_f32_e32 v37, v51, v37
	v_cndmask_b32_e32 v52, v52, v98, vcc
	v_cndmask_b32_e32 v37, v37, v98, vcc
	v_cndmask_b32_e64 v52, v52, v64, s[22:23]
	v_cndmask_b32_e64 v51, v37, v64, s[22:23]
	v_cmp_neq_f32_e32 vcc, v52, v51
	v_cmp_class_f32_e64 s[10:11], v52, s12
	s_or_b64 s[12:13], vcc, s[10:11]
	v_mov_b32_e32 v37, v36
	s_and_saveexec_b64 s[10:11], s[12:13]
	s_cbranch_execz .LBB381_222
; %bb.221:
	v_sub_f32_e32 v37, v52, v51
	s_mov_b32 s12, 0x3fb8aa3b
	v_mul_f32_e32 v52, 0x3fb8aa3b, v37
	v_fma_f32 v53, v37, s12, -v52
	v_rndne_f32_e32 v54, v52
	v_fmac_f32_e32 v53, 0x32a5705f, v37
	v_sub_f32_e32 v52, v52, v54
	v_add_f32_e32 v52, v52, v53
	v_exp_f32_e32 v52, v52
	v_cvt_i32_f32_e32 v53, v54
	s_mov_b32 s12, 0xc2ce8ed0
	v_cmp_ngt_f32_e32 vcc, s12, v37
	s_mov_b32 s12, 0x42b17218
	v_ldexp_f32 v52, v52, v53
	v_cndmask_b32_e32 v52, 0, v52, vcc
	v_mov_b32_e32 v53, 0x7f800000
	v_cmp_nlt_f32_e32 vcc, s12, v37
	v_cndmask_b32_e32 v97, v53, v52, vcc
	v_add_f32_e32 v37, 1.0, v97
	v_add_f32_e32 v52, -1.0, v37
	v_sub_f32_e32 v53, v52, v37
	v_add_f32_e32 v53, 1.0, v53
	v_sub_f32_e32 v52, v97, v52
	v_add_f32_e32 v54, v52, v53
	v_frexp_mant_f32_e32 v55, v37
	s_mov_b32 s12, 0x3f2aaaab
	v_cvt_f64_f32_e32 v[52:53], v37
	v_frexp_exp_i32_f64_e32 v52, v[52:53]
	v_cmp_gt_f32_e32 vcc, s12, v55
	v_subbrev_co_u32_e32 v64, vcc, 0, v52, vcc
	v_sub_u32_e32 v52, 0, v64
	v_ldexp_f32 v37, v37, v52
	v_ldexp_f32 v52, v54, v52
	v_add_f32_e32 v54, -1.0, v37
	v_add_f32_e32 v53, 1.0, v54
	v_sub_f32_e32 v53, v37, v53
	v_add_f32_e32 v55, v52, v53
	v_add_f32_e32 v53, 1.0, v37
	v_add_f32_e32 v98, -1.0, v53
	v_sub_f32_e32 v37, v37, v98
	v_add_f32_e32 v37, v52, v37
	v_add_f32_e32 v102, v53, v37
	v_rcp_f32_e32 v103, v102
	v_sub_f32_e32 v52, v53, v102
	v_add_f32_e32 v53, v54, v55
	v_add_f32_e32 v37, v37, v52
	v_mul_f32_e32 v113, v53, v103
	v_sub_f32_e32 v52, v54, v53
	v_mul_f32_e32 v54, v102, v113
	v_fma_f32 v98, v113, v102, -v54
	v_fmac_f32_e32 v98, v113, v37
	v_add_f32_e32 v112, v55, v52
	v_add_f32_e32 v52, v54, v98
	v_sub_f32_e32 v55, v53, v52
	v_pk_add_f32 v[100:101], v[52:53], v[54:55] neg_lo:[0,1] neg_hi:[0,1]
	v_mov_b32_e32 v99, v52
	v_pk_add_f32 v[52:53], v[100:101], v[98:99] neg_lo:[0,1] neg_hi:[0,1]
	v_add_f32_e32 v53, v112, v53
	v_add_f32_e32 v52, v52, v53
	;; [unrolled: 1-line block ×3, first 2 shown]
	v_mul_f32_e32 v112, v103, v53
	v_mul_f32_e32 v54, v102, v112
	v_fma_f32 v98, v112, v102, -v54
	v_fmac_f32_e32 v98, v112, v37
	v_sub_f32_e32 v37, v55, v53
	v_add_f32_e32 v37, v52, v37
	v_add_f32_e32 v52, v54, v98
	v_sub_f32_e32 v55, v53, v52
	v_pk_add_f32 v[100:101], v[52:53], v[54:55] neg_lo:[0,1] neg_hi:[0,1]
	v_mov_b32_e32 v99, v52
	v_pk_add_f32 v[52:53], v[100:101], v[98:99] neg_lo:[0,1] neg_hi:[0,1]
	v_add_f32_e32 v37, v37, v53
	v_add_f32_e32 v37, v52, v37
	;; [unrolled: 1-line block ×4, first 2 shown]
	v_sub_f32_e32 v53, v52, v113
	v_mul_f32_e32 v37, v103, v37
	v_sub_f32_e32 v53, v112, v53
	v_add_f32_e32 v37, v53, v37
	v_add_f32_e32 v55, v52, v37
	v_mul_f32_e32 v98, v55, v55
	v_mov_b32_e32 v54, 0x3ecc95a3
	v_fmac_f32_e32 v54, 0x3e9b6dac, v98
	v_mov_b32_e32 v53, 0x3f2aaada
	v_fmac_f32_e32 v53, v98, v54
	v_cvt_f32_i32_e32 v54, v64
	v_sub_f32_e32 v52, v55, v52
	v_sub_f32_e32 v37, v37, v52
	v_ldexp_f32 v99, v55, 1
	v_mul_f32_e32 v55, v55, v98
	v_mov_b32_e32 v52, 0x3f317218
	s_mov_b32 s12, 0x3f317218
	v_pk_mul_f32 v[52:53], v[54:55], v[52:53]
	v_fma_f32 v98, v54, s12, -v52
	v_fmac_f32_e32 v98, 0xb102e308, v54
	v_pk_add_f32 v[54:55], v[52:53], v[98:99]
	v_sub_f32_e32 v64, v55, v99
	v_ldexp_f32 v37, v37, 1
	v_sub_f32_e32 v64, v53, v64
	v_add_f32_e32 v101, v37, v64
	v_mov_b32_e32 v100, v52
	v_pk_add_f32 v[52:53], v[54:55], v[52:53] neg_lo:[0,1] neg_hi:[0,1]
	v_pk_add_f32 v[102:103], v[54:55], v[100:101]
	v_mov_b32_e32 v53, v103
	v_mov_b32_e32 v99, v54
	v_pk_add_f32 v[112:113], v[98:99], v[52:53] neg_lo:[0,1] neg_hi:[0,1]
	v_pk_add_f32 v[52:53], v[98:99], v[52:53]
	v_mov_b32_e32 v64, v53
	v_pk_add_f32 v[98:99], v[64:65], v[54:55] neg_lo:[0,1] neg_hi:[0,1]
	v_mov_b32_e32 v37, v98
	v_pk_add_f32 v[114:115], v[102:103], v[36:37] neg_lo:[0,1] neg_hi:[0,1]
	v_mov_b32_e32 v52, v103
	v_mov_b32_e32 v102, v55
	;; [unrolled: 1-line block ×4, first 2 shown]
	v_pk_add_f32 v[52:53], v[52:53], v[102:103] neg_lo:[0,1] neg_hi:[0,1]
	v_mov_b32_e32 v98, v101
	v_mov_b32_e32 v99, v54
	v_pk_add_f32 v[52:53], v[98:99], v[52:53] neg_lo:[0,1] neg_hi:[0,1]
	v_mov_b32_e32 v114, v112
	v_pk_add_f32 v[54:55], v[114:115], v[52:53]
	v_mov_b32_e32 v98, v55
	v_pk_add_f32 v[98:99], v[54:55], v[98:99]
	v_pk_add_f32 v[100:101], v[64:65], v[98:99]
	v_mov_b32_e32 v55, v100
	v_pk_add_f32 v[102:103], v[54:55], v[112:113] neg_lo:[0,1] neg_hi:[0,1]
	v_mov_b32_e32 v53, v98
	v_sub_f32_e32 v37, v54, v102
	v_pk_add_f32 v[52:53], v[52:53], v[102:103] neg_lo:[0,1] neg_hi:[0,1]
	v_sub_f32_e32 v37, v112, v37
	s_mov_b32 s13, 0x7f800000
	v_add_f32_e32 v37, v52, v37
	s_mov_b32 s12, 0x33800000
	v_add_f32_e32 v37, v37, v53
	v_cmp_eq_f32_e32 vcc, s13, v97
	v_cmp_lt_f32_e64 s[12:13], |v97|, s12
	v_add_f32_e32 v37, v100, v37
	s_or_b64 vcc, vcc, s[12:13]
	v_cndmask_b32_e32 v37, v37, v97, vcc
	v_add_f32_e32 v37, v51, v37
	v_cvt_f16_f32_e32 v99, v37
	v_cvt_f32_f16_e32 v98, v99
	v_mov_b32_e32 v37, v99
.LBB381_222:
	s_or_b64 exec, exec, s[10:11]
	v_max_f32_e32 v51, v65, v65
	v_max_f32_e32 v52, v98, v98
	v_min_f32_e32 v53, v52, v51
	v_cmp_u_f16_e32 vcc, v99, v99
	v_max_f32_e32 v51, v52, v51
	v_cndmask_b32_e32 v53, v53, v98, vcc
	v_cndmask_b32_e32 v51, v51, v98, vcc
	v_cndmask_b32_e64 v53, v53, v65, s[24:25]
	v_cndmask_b32_e64 v52, v51, v65, s[24:25]
	s_movk_i32 s12, 0x1f8
	v_cmp_neq_f32_e32 vcc, v53, v52
	v_cmp_class_f32_e64 s[10:11], v53, s12
	s_or_b64 s[14:15], vcc, s[10:11]
	v_mov_b32_e32 v51, v37
	s_and_saveexec_b64 s[10:11], s[14:15]
	s_cbranch_execz .LBB381_224
; %bb.223:
	v_sub_f32_e32 v51, v53, v52
	s_mov_b32 s13, 0x3fb8aa3b
	v_mul_f32_e32 v53, 0x3fb8aa3b, v51
	v_fma_f32 v54, v51, s13, -v53
	v_rndne_f32_e32 v55, v53
	v_fmac_f32_e32 v54, 0x32a5705f, v51
	v_sub_f32_e32 v53, v53, v55
	v_add_f32_e32 v53, v53, v54
	v_exp_f32_e32 v53, v53
	v_cvt_i32_f32_e32 v54, v55
	s_mov_b32 s13, 0xc2ce8ed0
	v_cmp_ngt_f32_e32 vcc, s13, v51
	s_mov_b32 s13, 0x42b17218
	v_ldexp_f32 v53, v53, v54
	v_cndmask_b32_e32 v53, 0, v53, vcc
	v_mov_b32_e32 v54, 0x7f800000
	v_cmp_nlt_f32_e32 vcc, s13, v51
	v_cndmask_b32_e32 v53, v54, v53, vcc
	v_add_f32_e32 v51, 1.0, v53
	v_add_f32_e32 v54, -1.0, v51
	v_sub_f32_e32 v55, v54, v51
	v_add_f32_e32 v55, 1.0, v55
	v_sub_f32_e32 v54, v53, v54
	v_add_f32_e32 v64, v54, v55
	v_frexp_mant_f32_e32 v65, v51
	s_mov_b32 s13, 0x3f2aaaab
	v_cvt_f64_f32_e32 v[54:55], v51
	v_frexp_exp_i32_f64_e32 v54, v[54:55]
	v_cmp_gt_f32_e32 vcc, s13, v65
	v_subbrev_co_u32_e32 v97, vcc, 0, v54, vcc
	v_sub_u32_e32 v54, 0, v97
	v_ldexp_f32 v51, v51, v54
	v_ldexp_f32 v54, v64, v54
	v_add_f32_e32 v64, -1.0, v51
	v_add_f32_e32 v55, 1.0, v64
	v_sub_f32_e32 v55, v51, v55
	v_add_f32_e32 v65, v54, v55
	v_add_f32_e32 v55, 1.0, v51
	v_add_f32_e32 v98, -1.0, v55
	v_sub_f32_e32 v51, v51, v98
	v_add_f32_e32 v51, v54, v51
	v_add_f32_e32 v102, v55, v51
	v_rcp_f32_e32 v103, v102
	v_sub_f32_e32 v54, v55, v102
	v_add_f32_e32 v55, v64, v65
	v_add_f32_e32 v51, v51, v54
	v_mul_f32_e32 v113, v55, v103
	v_sub_f32_e32 v54, v64, v55
	v_mul_f32_e32 v64, v102, v113
	v_fma_f32 v98, v113, v102, -v64
	v_fmac_f32_e32 v98, v113, v51
	v_add_f32_e32 v112, v65, v54
	v_add_f32_e32 v54, v64, v98
	v_sub_f32_e32 v65, v55, v54
	v_pk_add_f32 v[100:101], v[54:55], v[64:65] neg_lo:[0,1] neg_hi:[0,1]
	v_mov_b32_e32 v99, v54
	v_pk_add_f32 v[54:55], v[100:101], v[98:99] neg_lo:[0,1] neg_hi:[0,1]
	v_add_f32_e32 v55, v112, v55
	v_add_f32_e32 v54, v54, v55
	;; [unrolled: 1-line block ×3, first 2 shown]
	v_mul_f32_e32 v112, v103, v55
	v_mul_f32_e32 v64, v102, v112
	v_fma_f32 v98, v112, v102, -v64
	v_fmac_f32_e32 v98, v112, v51
	v_sub_f32_e32 v51, v65, v55
	v_add_f32_e32 v51, v54, v51
	v_add_f32_e32 v54, v64, v98
	v_sub_f32_e32 v65, v55, v54
	v_pk_add_f32 v[100:101], v[54:55], v[64:65] neg_lo:[0,1] neg_hi:[0,1]
	v_mov_b32_e32 v99, v54
	v_pk_add_f32 v[54:55], v[100:101], v[98:99] neg_lo:[0,1] neg_hi:[0,1]
	v_add_f32_e32 v51, v51, v55
	v_add_f32_e32 v51, v54, v51
	;; [unrolled: 1-line block ×4, first 2 shown]
	v_sub_f32_e32 v55, v54, v113
	v_mul_f32_e32 v51, v103, v51
	v_sub_f32_e32 v55, v112, v55
	v_add_f32_e32 v51, v55, v51
	v_add_f32_e32 v65, v54, v51
	v_mul_f32_e32 v98, v65, v65
	v_mov_b32_e32 v64, 0x3ecc95a3
	v_fmac_f32_e32 v64, 0x3e9b6dac, v98
	v_mov_b32_e32 v55, 0x3f2aaada
	v_fmac_f32_e32 v55, v98, v64
	v_cvt_f32_i32_e32 v64, v97
	v_sub_f32_e32 v54, v65, v54
	v_sub_f32_e32 v51, v51, v54
	v_ldexp_f32 v99, v65, 1
	v_mul_f32_e32 v65, v65, v98
	v_mov_b32_e32 v54, 0x3f317218
	s_mov_b32 s13, 0x3f317218
	v_pk_mul_f32 v[54:55], v[64:65], v[54:55]
	v_fma_f32 v98, v64, s13, -v54
	v_fmac_f32_e32 v98, 0xb102e308, v64
	v_pk_add_f32 v[64:65], v[54:55], v[98:99]
	v_sub_f32_e32 v97, v65, v99
	v_ldexp_f32 v51, v51, 1
	v_sub_f32_e32 v97, v55, v97
	v_add_f32_e32 v101, v51, v97
	v_mov_b32_e32 v100, v54
	v_pk_add_f32 v[54:55], v[64:65], v[54:55] neg_lo:[0,1] neg_hi:[0,1]
	v_pk_add_f32 v[102:103], v[64:65], v[100:101]
	v_mov_b32_e32 v55, v103
	v_mov_b32_e32 v99, v64
	v_pk_add_f32 v[112:113], v[98:99], v[54:55] neg_lo:[0,1] neg_hi:[0,1]
	v_pk_add_f32 v[54:55], v[98:99], v[54:55]
	v_mov_b32_e32 v98, v55
	v_pk_add_f32 v[114:115], v[98:99], v[64:65] neg_lo:[0,1] neg_hi:[0,1]
	v_mov_b32_e32 v51, v114
	v_pk_add_f32 v[116:117], v[102:103], v[50:51] neg_lo:[0,1] neg_hi:[0,1]
	v_mov_b32_e32 v54, v103
	v_mov_b32_e32 v102, v65
	;; [unrolled: 1-line block ×4, first 2 shown]
	v_pk_add_f32 v[54:55], v[54:55], v[102:103] neg_lo:[0,1] neg_hi:[0,1]
	v_mov_b32_e32 v100, v101
	v_mov_b32_e32 v101, v64
	v_pk_add_f32 v[54:55], v[100:101], v[54:55] neg_lo:[0,1] neg_hi:[0,1]
	v_mov_b32_e32 v116, v112
	v_pk_add_f32 v[64:65], v[116:117], v[54:55]
	v_mov_b32_e32 v100, v65
	v_pk_add_f32 v[100:101], v[64:65], v[100:101]
	v_pk_add_f32 v[98:99], v[98:99], v[100:101]
	v_mov_b32_e32 v65, v98
	v_pk_add_f32 v[102:103], v[64:65], v[112:113] neg_lo:[0,1] neg_hi:[0,1]
	v_mov_b32_e32 v55, v100
	v_sub_f32_e32 v51, v64, v102
	v_pk_add_f32 v[54:55], v[54:55], v[102:103] neg_lo:[0,1] neg_hi:[0,1]
	v_sub_f32_e32 v51, v112, v51
	s_mov_b32 s14, 0x7f800000
	v_add_f32_e32 v51, v54, v51
	s_mov_b32 s13, 0x33800000
	v_add_f32_e32 v51, v51, v55
	v_cmp_eq_f32_e32 vcc, s14, v53
	v_cmp_lt_f32_e64 s[14:15], |v53|, s13
	v_add_f32_e32 v51, v98, v51
	s_or_b64 vcc, vcc, s[14:15]
	v_cndmask_b32_e32 v51, v51, v53, vcc
	v_add_f32_e32 v51, v52, v51
	v_cvt_f16_f32_e32 v99, v51
	v_cvt_f32_f16_e32 v98, v99
	v_mov_b32_e32 v51, v99
.LBB381_224:
	s_or_b64 exec, exec, s[10:11]
	v_max_f32_e32 v52, v66, v66
	v_max_f32_e32 v53, v98, v98
	v_min_f32_e32 v54, v53, v52
	v_cmp_u_f16_e32 vcc, v99, v99
	v_max_f32_e32 v52, v53, v52
	v_cndmask_b32_e32 v54, v54, v98, vcc
	v_cndmask_b32_e32 v52, v52, v98, vcc
	v_cndmask_b32_e64 v54, v54, v66, s[26:27]
	v_cndmask_b32_e64 v53, v52, v66, s[26:27]
	v_cmp_neq_f32_e32 vcc, v54, v53
	v_cmp_class_f32_e64 s[10:11], v54, s12
	s_or_b64 s[12:13], vcc, s[10:11]
	v_mov_b32_e32 v52, v51
	s_and_saveexec_b64 s[10:11], s[12:13]
	s_cbranch_execz .LBB381_226
; %bb.225:
	v_sub_f32_e32 v52, v54, v53
	s_mov_b32 s12, 0x3fb8aa3b
	v_mul_f32_e32 v54, 0x3fb8aa3b, v52
	v_fma_f32 v55, v52, s12, -v54
	v_rndne_f32_e32 v64, v54
	v_fmac_f32_e32 v55, 0x32a5705f, v52
	v_sub_f32_e32 v54, v54, v64
	v_add_f32_e32 v54, v54, v55
	v_exp_f32_e32 v54, v54
	v_cvt_i32_f32_e32 v55, v64
	s_mov_b32 s12, 0xc2ce8ed0
	v_cmp_ngt_f32_e32 vcc, s12, v52
	s_mov_b32 s12, 0x42b17218
	v_ldexp_f32 v54, v54, v55
	v_cndmask_b32_e32 v54, 0, v54, vcc
	v_mov_b32_e32 v55, 0x7f800000
	v_cmp_nlt_f32_e32 vcc, s12, v52
	v_cndmask_b32_e32 v116, v55, v54, vcc
	v_add_f32_e32 v52, 1.0, v116
	v_add_f32_e32 v54, -1.0, v52
	v_sub_f32_e32 v55, v54, v52
	v_add_f32_e32 v55, 1.0, v55
	v_sub_f32_e32 v54, v116, v54
	v_add_f32_e32 v64, v54, v55
	v_frexp_mant_f32_e32 v65, v52
	s_mov_b32 s12, 0x3f2aaaab
	v_cvt_f64_f32_e32 v[54:55], v52
	v_frexp_exp_i32_f64_e32 v54, v[54:55]
	v_cmp_gt_f32_e32 vcc, s12, v65
	v_subbrev_co_u32_e32 v66, vcc, 0, v54, vcc
	v_sub_u32_e32 v54, 0, v66
	v_ldexp_f32 v52, v52, v54
	v_ldexp_f32 v54, v64, v54
	v_add_f32_e32 v64, -1.0, v52
	v_add_f32_e32 v55, 1.0, v64
	v_sub_f32_e32 v55, v52, v55
	v_add_f32_e32 v65, v54, v55
	v_add_f32_e32 v55, 1.0, v52
	v_add_f32_e32 v97, -1.0, v55
	v_sub_f32_e32 v52, v52, v97
	v_add_f32_e32 v52, v54, v52
	v_add_f32_e32 v97, v55, v52
	v_rcp_f32_e32 v102, v97
	v_sub_f32_e32 v54, v55, v97
	v_add_f32_e32 v55, v64, v65
	v_add_f32_e32 v52, v52, v54
	v_mul_f32_e32 v112, v55, v102
	v_sub_f32_e32 v54, v64, v55
	v_mul_f32_e32 v64, v97, v112
	v_fma_f32 v98, v112, v97, -v64
	v_fmac_f32_e32 v98, v112, v52
	v_add_f32_e32 v103, v65, v54
	v_add_f32_e32 v54, v64, v98
	v_sub_f32_e32 v65, v55, v54
	v_pk_add_f32 v[100:101], v[54:55], v[64:65] neg_lo:[0,1] neg_hi:[0,1]
	v_mov_b32_e32 v99, v54
	v_pk_add_f32 v[54:55], v[100:101], v[98:99] neg_lo:[0,1] neg_hi:[0,1]
	v_add_f32_e32 v55, v103, v55
	v_add_f32_e32 v54, v54, v55
	v_add_f32_e32 v55, v65, v54
	v_mul_f32_e32 v103, v102, v55
	v_mul_f32_e32 v64, v97, v103
	v_fma_f32 v98, v103, v97, -v64
	v_fmac_f32_e32 v98, v103, v52
	v_sub_f32_e32 v52, v65, v55
	v_add_f32_e32 v52, v54, v52
	v_add_f32_e32 v54, v64, v98
	v_sub_f32_e32 v65, v55, v54
	v_pk_add_f32 v[100:101], v[54:55], v[64:65] neg_lo:[0,1] neg_hi:[0,1]
	v_mov_b32_e32 v99, v54
	v_pk_add_f32 v[54:55], v[100:101], v[98:99] neg_lo:[0,1] neg_hi:[0,1]
	v_add_f32_e32 v52, v52, v55
	v_add_f32_e32 v52, v54, v52
	;; [unrolled: 1-line block ×4, first 2 shown]
	v_sub_f32_e32 v55, v54, v112
	v_mul_f32_e32 v52, v102, v52
	v_sub_f32_e32 v55, v103, v55
	v_add_f32_e32 v52, v55, v52
	v_add_f32_e32 v65, v54, v52
	v_mul_f32_e32 v97, v65, v65
	v_mov_b32_e32 v64, 0x3ecc95a3
	v_fmac_f32_e32 v64, 0x3e9b6dac, v97
	v_mov_b32_e32 v55, 0x3f2aaada
	v_fmac_f32_e32 v55, v97, v64
	v_cvt_f32_i32_e32 v64, v66
	v_sub_f32_e32 v54, v65, v54
	v_sub_f32_e32 v52, v52, v54
	v_ldexp_f32 v99, v65, 1
	v_mul_f32_e32 v65, v65, v97
	v_mov_b32_e32 v54, 0x3f317218
	s_mov_b32 s12, 0x3f317218
	v_pk_mul_f32 v[54:55], v[64:65], v[54:55]
	v_fma_f32 v98, v64, s12, -v54
	v_fmac_f32_e32 v98, 0xb102e308, v64
	v_pk_add_f32 v[64:65], v[54:55], v[98:99]
	v_sub_f32_e32 v66, v65, v99
	v_ldexp_f32 v52, v52, 1
	v_sub_f32_e32 v66, v55, v66
	v_add_f32_e32 v101, v52, v66
	v_mov_b32_e32 v100, v54
	v_pk_add_f32 v[54:55], v[64:65], v[54:55] neg_lo:[0,1] neg_hi:[0,1]
	v_pk_add_f32 v[102:103], v[64:65], v[100:101]
	v_mov_b32_e32 v55, v103
	v_mov_b32_e32 v99, v64
	v_pk_add_f32 v[112:113], v[98:99], v[54:55] neg_lo:[0,1] neg_hi:[0,1]
	v_pk_add_f32 v[54:55], v[98:99], v[54:55]
	v_mov_b32_e32 v52, v55
	v_pk_add_f32 v[98:99], v[52:53], v[64:65] neg_lo:[0,1] neg_hi:[0,1]
	v_mov_b32_e32 v97, v98
	v_pk_add_f32 v[114:115], v[102:103], v[96:97] neg_lo:[0,1] neg_hi:[0,1]
	v_mov_b32_e32 v54, v103
	v_mov_b32_e32 v102, v65
	;; [unrolled: 1-line block ×4, first 2 shown]
	v_pk_add_f32 v[54:55], v[54:55], v[102:103] neg_lo:[0,1] neg_hi:[0,1]
	v_mov_b32_e32 v98, v101
	v_mov_b32_e32 v99, v64
	v_pk_add_f32 v[54:55], v[98:99], v[54:55] neg_lo:[0,1] neg_hi:[0,1]
	v_mov_b32_e32 v114, v112
	v_pk_add_f32 v[64:65], v[114:115], v[54:55]
	v_mov_b32_e32 v66, v65
	v_pk_add_f32 v[98:99], v[64:65], v[66:67]
	v_pk_add_f32 v[100:101], v[52:53], v[98:99]
	v_mov_b32_e32 v65, v100
	v_pk_add_f32 v[102:103], v[64:65], v[112:113] neg_lo:[0,1] neg_hi:[0,1]
	v_mov_b32_e32 v55, v98
	v_sub_f32_e32 v52, v64, v102
	v_pk_add_f32 v[54:55], v[54:55], v[102:103] neg_lo:[0,1] neg_hi:[0,1]
	v_sub_f32_e32 v52, v112, v52
	s_mov_b32 s13, 0x7f800000
	v_add_f32_e32 v52, v54, v52
	s_mov_b32 s12, 0x33800000
	v_add_f32_e32 v52, v52, v55
	v_cmp_eq_f32_e32 vcc, s13, v116
	v_cmp_lt_f32_e64 s[12:13], |v116|, s12
	v_add_f32_e32 v52, v100, v52
	s_or_b64 vcc, vcc, s[12:13]
	v_cndmask_b32_e32 v52, v52, v116, vcc
	v_add_f32_e32 v52, v53, v52
	v_cvt_f16_f32_e32 v99, v52
	v_cvt_f32_f16_e32 v98, v99
	v_mov_b32_e32 v52, v99
.LBB381_226:
	s_or_b64 exec, exec, s[10:11]
	v_max_f32_e32 v53, v67, v67
	v_max_f32_e32 v55, v98, v98
	v_min_f32_e32 v54, v55, v53
	v_cmp_u_f16_e32 vcc, v99, v99
	v_max_f32_e32 v53, v55, v53
	v_cndmask_b32_e32 v54, v54, v98, vcc
	v_cndmask_b32_e32 v53, v53, v98, vcc
	v_cndmask_b32_e64 v54, v54, v67, s[28:29]
	v_cndmask_b32_e64 v53, v53, v67, s[28:29]
	s_movk_i32 s12, 0x1f8
	v_cmp_neq_f32_e32 vcc, v54, v53
	v_cmp_class_f32_e64 s[10:11], v54, s12
	s_or_b64 s[14:15], vcc, s[10:11]
	v_mov_b32_e32 v97, v52
	s_and_saveexec_b64 s[10:11], s[14:15]
	s_cbranch_execz .LBB381_228
; %bb.227:
	v_sub_f32_e32 v54, v54, v53
	s_mov_b32 s13, 0x3fb8aa3b
	v_mul_f32_e32 v55, 0x3fb8aa3b, v54
	v_fma_f32 v64, v54, s13, -v55
	v_rndne_f32_e32 v65, v55
	v_fmac_f32_e32 v64, 0x32a5705f, v54
	v_sub_f32_e32 v55, v55, v65
	v_add_f32_e32 v55, v55, v64
	v_exp_f32_e32 v55, v55
	v_cvt_i32_f32_e32 v64, v65
	s_mov_b32 s13, 0xc2ce8ed0
	v_cmp_ngt_f32_e32 vcc, s13, v54
	s_mov_b32 s13, 0x42b17218
	v_ldexp_f32 v55, v55, v64
	v_cndmask_b32_e32 v55, 0, v55, vcc
	v_mov_b32_e32 v64, 0x7f800000
	v_cmp_nlt_f32_e32 vcc, s13, v54
	v_cndmask_b32_e32 v97, v64, v55, vcc
	v_add_f32_e32 v64, 1.0, v97
	v_add_f32_e32 v54, -1.0, v64
	v_sub_f32_e32 v55, v54, v64
	v_add_f32_e32 v55, 1.0, v55
	v_sub_f32_e32 v54, v97, v54
	v_add_f32_e32 v65, v54, v55
	v_frexp_mant_f32_e32 v66, v64
	s_mov_b32 s13, 0x3f2aaaab
	v_cvt_f64_f32_e32 v[54:55], v64
	v_frexp_exp_i32_f64_e32 v54, v[54:55]
	v_cmp_gt_f32_e32 vcc, s13, v66
	v_subbrev_co_u32_e32 v100, vcc, 0, v54, vcc
	v_sub_u32_e32 v54, 0, v100
	v_ldexp_f32 v55, v64, v54
	v_add_f32_e32 v64, -1.0, v55
	v_add_f32_e32 v66, 1.0, v55
	v_ldexp_f32 v54, v65, v54
	v_add_f32_e32 v65, 1.0, v64
	v_add_f32_e32 v67, -1.0, v66
	v_sub_f32_e32 v65, v55, v65
	v_sub_f32_e32 v55, v55, v67
	v_add_f32_e32 v65, v54, v65
	v_add_f32_e32 v54, v54, v55
	;; [unrolled: 1-line block ×3, first 2 shown]
	v_rcp_f32_e32 v103, v101
	v_sub_f32_e32 v55, v66, v101
	v_add_f32_e32 v102, v54, v55
	v_add_f32_e32 v55, v64, v65
	v_mul_f32_e32 v113, v55, v103
	v_sub_f32_e32 v54, v64, v55
	v_mul_f32_e32 v64, v101, v113
	v_fma_f32 v66, v113, v101, -v64
	v_fmac_f32_e32 v66, v113, v102
	v_add_f32_e32 v112, v65, v54
	v_add_f32_e32 v54, v64, v66
	v_sub_f32_e32 v65, v55, v54
	v_pk_add_f32 v[98:99], v[54:55], v[64:65] neg_lo:[0,1] neg_hi:[0,1]
	v_mov_b32_e32 v67, v54
	v_pk_add_f32 v[54:55], v[98:99], v[66:67] neg_lo:[0,1] neg_hi:[0,1]
	v_add_f32_e32 v55, v112, v55
	v_add_f32_e32 v54, v54, v55
	;; [unrolled: 1-line block ×3, first 2 shown]
	v_mul_f32_e32 v112, v103, v55
	v_mul_f32_e32 v64, v101, v112
	v_fma_f32 v66, v112, v101, -v64
	v_fmac_f32_e32 v66, v112, v102
	v_sub_f32_e32 v65, v65, v55
	v_add_f32_e32 v101, v54, v65
	v_add_f32_e32 v54, v64, v66
	v_sub_f32_e32 v65, v55, v54
	v_pk_add_f32 v[98:99], v[54:55], v[64:65] neg_lo:[0,1] neg_hi:[0,1]
	v_mov_b32_e32 v67, v54
	v_pk_add_f32 v[54:55], v[98:99], v[66:67] neg_lo:[0,1] neg_hi:[0,1]
	v_add_f32_e32 v55, v101, v55
	v_add_f32_e32 v54, v54, v55
	;; [unrolled: 1-line block ×4, first 2 shown]
	v_sub_f32_e32 v55, v65, v113
	v_mul_f32_e32 v54, v103, v54
	v_sub_f32_e32 v55, v112, v55
	v_add_f32_e32 v54, v55, v54
	v_add_f32_e32 v66, v65, v54
	v_mul_f32_e32 v98, v66, v66
	v_mov_b32_e32 v64, 0x3ecc95a3
	v_fmac_f32_e32 v64, 0x3e9b6dac, v98
	v_mov_b32_e32 v55, 0x3f2aaada
	v_fmac_f32_e32 v55, v98, v64
	v_cvt_f32_i32_e32 v64, v100
	v_sub_f32_e32 v65, v66, v65
	v_sub_f32_e32 v54, v54, v65
	v_ldexp_f32 v99, v54, 1
	v_mul_f32_e32 v65, v66, v98
	v_mov_b32_e32 v54, 0x3f317218
	s_mov_b32 s13, 0x3f317218
	v_pk_mul_f32 v[54:55], v[64:65], v[54:55]
	v_ldexp_f32 v67, v66, 1
	v_fma_f32 v66, v64, s13, -v54
	v_fmac_f32_e32 v66, 0xb102e308, v64
	v_pk_add_f32 v[64:65], v[54:55], v[66:67]
	v_sub_f32_e32 v67, v65, v67
	v_sub_f32_e32 v67, v55, v67
	v_add_f32_e32 v99, v99, v67
	v_mov_b32_e32 v98, v54
	v_pk_add_f32 v[54:55], v[64:65], v[54:55] neg_lo:[0,1] neg_hi:[0,1]
	v_pk_add_f32 v[100:101], v[64:65], v[98:99]
	v_mov_b32_e32 v55, v101
	v_mov_b32_e32 v67, v64
	v_pk_add_f32 v[102:103], v[66:67], v[54:55] neg_lo:[0,1] neg_hi:[0,1]
	v_pk_add_f32 v[54:55], v[66:67], v[54:55]
	v_mov_b32_e32 v66, v55
	v_pk_add_f32 v[112:113], v[66:67], v[64:65] neg_lo:[0,1] neg_hi:[0,1]
	v_mov_b32_e32 v67, v112
	v_pk_add_f32 v[114:115], v[100:101], v[66:67] neg_lo:[0,1] neg_hi:[0,1]
	v_mov_b32_e32 v54, v101
	v_mov_b32_e32 v100, v65
	;; [unrolled: 1-line block ×4, first 2 shown]
	v_pk_add_f32 v[54:55], v[54:55], v[100:101] neg_lo:[0,1] neg_hi:[0,1]
	v_mov_b32_e32 v98, v99
	v_mov_b32_e32 v99, v64
	v_pk_add_f32 v[54:55], v[98:99], v[54:55] neg_lo:[0,1] neg_hi:[0,1]
	v_mov_b32_e32 v114, v102
	v_pk_add_f32 v[64:65], v[114:115], v[54:55]
	v_mov_b32_e32 v98, v65
	v_pk_add_f32 v[98:99], v[64:65], v[98:99]
	v_pk_add_f32 v[66:67], v[66:67], v[98:99]
	v_mov_b32_e32 v65, v66
	v_pk_add_f32 v[100:101], v[64:65], v[102:103] neg_lo:[0,1] neg_hi:[0,1]
	v_mov_b32_e32 v55, v98
	v_sub_f32_e32 v64, v64, v100
	v_pk_add_f32 v[54:55], v[54:55], v[100:101] neg_lo:[0,1] neg_hi:[0,1]
	v_sub_f32_e32 v64, v102, v64
	s_mov_b32 s14, 0x7f800000
	v_add_f32_e32 v54, v54, v64
	s_mov_b32 s13, 0x33800000
	v_add_f32_e32 v54, v54, v55
	v_cmp_eq_f32_e32 vcc, s14, v97
	v_cmp_lt_f32_e64 s[14:15], |v97|, s13
	v_add_f32_e32 v54, v66, v54
	s_or_b64 vcc, vcc, s[14:15]
	v_cndmask_b32_e32 v54, v54, v97, vcc
	v_add_f32_e32 v53, v53, v54
	v_cvt_f16_f32_e32 v99, v53
	v_cvt_f32_f16_e32 v98, v99
	v_mov_b32_e32 v97, v99
.LBB381_228:
	s_or_b64 exec, exec, s[10:11]
	v_max_f32_e32 v53, v68, v68
	v_max_f32_e32 v54, v98, v98
	v_min_f32_e32 v55, v54, v53
	v_cmp_u_f16_e32 vcc, v99, v99
	v_max_f32_e32 v53, v54, v53
	v_cndmask_b32_e32 v55, v55, v98, vcc
	v_cndmask_b32_e32 v53, v53, v98, vcc
	v_cndmask_b32_e64 v55, v55, v68, s[30:31]
	v_cndmask_b32_e64 v54, v53, v68, s[30:31]
	v_cmp_neq_f32_e32 vcc, v55, v54
	v_cmp_class_f32_e64 s[10:11], v55, s12
	s_or_b64 s[12:13], vcc, s[10:11]
	v_mov_b32_e32 v53, v97
	s_and_saveexec_b64 s[10:11], s[12:13]
	s_cbranch_execz .LBB381_230
; %bb.229:
	v_sub_f32_e32 v53, v55, v54
	s_mov_b32 s12, 0x3fb8aa3b
	v_mul_f32_e32 v55, 0x3fb8aa3b, v53
	v_fma_f32 v64, v53, s12, -v55
	v_rndne_f32_e32 v65, v55
	v_fmac_f32_e32 v64, 0x32a5705f, v53
	v_sub_f32_e32 v55, v55, v65
	v_add_f32_e32 v55, v55, v64
	v_exp_f32_e32 v55, v55
	v_cvt_i32_f32_e32 v64, v65
	s_mov_b32 s12, 0xc2ce8ed0
	v_cmp_ngt_f32_e32 vcc, s12, v53
	s_mov_b32 s12, 0x42b17218
	v_ldexp_f32 v55, v55, v64
	v_cndmask_b32_e32 v55, 0, v55, vcc
	v_mov_b32_e32 v64, 0x7f800000
	v_cmp_nlt_f32_e32 vcc, s12, v53
	v_cndmask_b32_e32 v55, v64, v55, vcc
	v_add_f32_e32 v53, 1.0, v55
	v_add_f32_e32 v64, -1.0, v53
	v_sub_f32_e32 v65, v64, v53
	v_add_f32_e32 v65, 1.0, v65
	v_sub_f32_e32 v64, v55, v64
	v_add_f32_e32 v66, v64, v65
	v_frexp_mant_f32_e32 v67, v53
	s_mov_b32 s12, 0x3f2aaaab
	v_cvt_f64_f32_e32 v[64:65], v53
	v_frexp_exp_i32_f64_e32 v64, v[64:65]
	v_cmp_gt_f32_e32 vcc, s12, v67
	v_subbrev_co_u32_e32 v68, vcc, 0, v64, vcc
	v_sub_u32_e32 v64, 0, v68
	v_ldexp_f32 v53, v53, v64
	v_ldexp_f32 v64, v66, v64
	v_add_f32_e32 v66, -1.0, v53
	v_add_f32_e32 v65, 1.0, v66
	v_sub_f32_e32 v65, v53, v65
	v_add_f32_e32 v67, v64, v65
	v_add_f32_e32 v65, 1.0, v53
	v_add_f32_e32 v98, -1.0, v65
	v_sub_f32_e32 v53, v53, v98
	v_add_f32_e32 v53, v64, v53
	v_add_f32_e32 v102, v65, v53
	v_rcp_f32_e32 v103, v102
	v_sub_f32_e32 v64, v65, v102
	v_add_f32_e32 v65, v66, v67
	v_add_f32_e32 v53, v53, v64
	v_mul_f32_e32 v113, v65, v103
	v_sub_f32_e32 v64, v66, v65
	v_mul_f32_e32 v66, v102, v113
	v_fma_f32 v98, v113, v102, -v66
	v_fmac_f32_e32 v98, v113, v53
	v_add_f32_e32 v112, v67, v64
	v_add_f32_e32 v64, v66, v98
	v_sub_f32_e32 v67, v65, v64
	v_pk_add_f32 v[100:101], v[64:65], v[66:67] neg_lo:[0,1] neg_hi:[0,1]
	v_mov_b32_e32 v99, v64
	v_pk_add_f32 v[64:65], v[100:101], v[98:99] neg_lo:[0,1] neg_hi:[0,1]
	v_add_f32_e32 v65, v112, v65
	v_add_f32_e32 v64, v64, v65
	;; [unrolled: 1-line block ×3, first 2 shown]
	v_mul_f32_e32 v112, v103, v65
	v_mul_f32_e32 v66, v102, v112
	v_fma_f32 v98, v112, v102, -v66
	v_fmac_f32_e32 v98, v112, v53
	v_sub_f32_e32 v53, v67, v65
	v_add_f32_e32 v53, v64, v53
	v_add_f32_e32 v64, v66, v98
	v_sub_f32_e32 v67, v65, v64
	v_pk_add_f32 v[100:101], v[64:65], v[66:67] neg_lo:[0,1] neg_hi:[0,1]
	v_mov_b32_e32 v99, v64
	v_pk_add_f32 v[64:65], v[100:101], v[98:99] neg_lo:[0,1] neg_hi:[0,1]
	v_add_f32_e32 v53, v53, v65
	v_add_f32_e32 v53, v64, v53
	;; [unrolled: 1-line block ×4, first 2 shown]
	v_sub_f32_e32 v65, v64, v113
	v_mul_f32_e32 v53, v103, v53
	v_sub_f32_e32 v65, v112, v65
	v_add_f32_e32 v53, v65, v53
	v_add_f32_e32 v67, v64, v53
	v_mul_f32_e32 v98, v67, v67
	v_mov_b32_e32 v66, 0x3ecc95a3
	v_fmac_f32_e32 v66, 0x3e9b6dac, v98
	v_mov_b32_e32 v65, 0x3f2aaada
	v_fmac_f32_e32 v65, v98, v66
	v_cvt_f32_i32_e32 v66, v68
	v_sub_f32_e32 v64, v67, v64
	v_sub_f32_e32 v53, v53, v64
	v_ldexp_f32 v99, v67, 1
	v_mul_f32_e32 v67, v67, v98
	v_mov_b32_e32 v64, 0x3f317218
	s_mov_b32 s12, 0x3f317218
	v_pk_mul_f32 v[64:65], v[66:67], v[64:65]
	v_fma_f32 v98, v66, s12, -v64
	v_fmac_f32_e32 v98, 0xb102e308, v66
	v_pk_add_f32 v[66:67], v[64:65], v[98:99]
	v_sub_f32_e32 v68, v67, v99
	v_ldexp_f32 v53, v53, 1
	v_sub_f32_e32 v68, v65, v68
	v_add_f32_e32 v101, v53, v68
	v_mov_b32_e32 v100, v64
	v_pk_add_f32 v[64:65], v[66:67], v[64:65] neg_lo:[0,1] neg_hi:[0,1]
	v_pk_add_f32 v[102:103], v[66:67], v[100:101]
	v_mov_b32_e32 v65, v103
	v_mov_b32_e32 v99, v66
	v_pk_add_f32 v[112:113], v[98:99], v[64:65] neg_lo:[0,1] neg_hi:[0,1]
	v_pk_add_f32 v[64:65], v[98:99], v[64:65]
	v_mov_b32_e32 v68, v65
	v_pk_add_f32 v[98:99], v[68:69], v[66:67] neg_lo:[0,1] neg_hi:[0,1]
	v_mov_b32_e32 v53, v98
	v_pk_add_f32 v[114:115], v[102:103], v[52:53] neg_lo:[0,1] neg_hi:[0,1]
	v_mov_b32_e32 v64, v103
	v_mov_b32_e32 v102, v67
	;; [unrolled: 1-line block ×4, first 2 shown]
	v_pk_add_f32 v[64:65], v[64:65], v[102:103] neg_lo:[0,1] neg_hi:[0,1]
	v_mov_b32_e32 v98, v101
	v_mov_b32_e32 v99, v66
	v_pk_add_f32 v[64:65], v[98:99], v[64:65] neg_lo:[0,1] neg_hi:[0,1]
	v_mov_b32_e32 v114, v112
	v_pk_add_f32 v[66:67], v[114:115], v[64:65]
	v_mov_b32_e32 v98, v67
	v_pk_add_f32 v[98:99], v[66:67], v[98:99]
	v_pk_add_f32 v[100:101], v[68:69], v[98:99]
	v_mov_b32_e32 v67, v100
	v_pk_add_f32 v[102:103], v[66:67], v[112:113] neg_lo:[0,1] neg_hi:[0,1]
	v_mov_b32_e32 v65, v98
	v_sub_f32_e32 v53, v66, v102
	v_pk_add_f32 v[64:65], v[64:65], v[102:103] neg_lo:[0,1] neg_hi:[0,1]
	v_sub_f32_e32 v53, v112, v53
	s_mov_b32 s13, 0x7f800000
	v_add_f32_e32 v53, v64, v53
	s_mov_b32 s12, 0x33800000
	v_add_f32_e32 v53, v53, v65
	v_cmp_eq_f32_e32 vcc, s13, v55
	v_cmp_lt_f32_e64 s[12:13], |v55|, s12
	v_add_f32_e32 v53, v100, v53
	s_or_b64 vcc, vcc, s[12:13]
	v_cndmask_b32_e32 v53, v53, v55, vcc
	v_add_f32_e32 v53, v54, v53
	v_cvt_f16_f32_e32 v99, v53
	v_cvt_f32_f16_e32 v98, v99
	v_mov_b32_e32 v53, v99
.LBB381_230:
	s_or_b64 exec, exec, s[10:11]
	v_max_f32_e32 v54, v69, v69
	v_max_f32_e32 v64, v98, v98
	v_min_f32_e32 v55, v64, v54
	v_cmp_u_f16_e32 vcc, v99, v99
	v_max_f32_e32 v54, v64, v54
	v_cndmask_b32_e32 v55, v55, v98, vcc
	v_cndmask_b32_e32 v54, v54, v98, vcc
	v_cndmask_b32_e64 v55, v55, v69, s[34:35]
	v_cndmask_b32_e64 v54, v54, v69, s[34:35]
	s_movk_i32 s12, 0x1f8
	v_cmp_neq_f32_e32 vcc, v55, v54
	v_cmp_class_f32_e64 s[10:11], v55, s12
	s_or_b64 s[14:15], vcc, s[10:11]
	v_mov_b32_e32 v68, v53
	s_and_saveexec_b64 s[10:11], s[14:15]
	s_cbranch_execz .LBB381_232
; %bb.231:
	v_sub_f32_e32 v55, v55, v54
	s_mov_b32 s13, 0x3fb8aa3b
	v_mul_f32_e32 v64, 0x3fb8aa3b, v55
	v_fma_f32 v65, v55, s13, -v64
	v_rndne_f32_e32 v66, v64
	v_fmac_f32_e32 v65, 0x32a5705f, v55
	v_sub_f32_e32 v64, v64, v66
	v_add_f32_e32 v64, v64, v65
	v_exp_f32_e32 v64, v64
	v_cvt_i32_f32_e32 v65, v66
	s_mov_b32 s13, 0xc2ce8ed0
	v_cmp_ngt_f32_e32 vcc, s13, v55
	s_mov_b32 s13, 0x42b17218
	v_ldexp_f32 v64, v64, v65
	v_cndmask_b32_e32 v64, 0, v64, vcc
	v_mov_b32_e32 v65, 0x7f800000
	v_cmp_nlt_f32_e32 vcc, s13, v55
	v_cndmask_b32_e32 v116, v65, v64, vcc
	v_add_f32_e32 v55, 1.0, v116
	v_add_f32_e32 v64, -1.0, v55
	v_sub_f32_e32 v65, v64, v55
	v_add_f32_e32 v65, 1.0, v65
	v_sub_f32_e32 v64, v116, v64
	v_add_f32_e32 v66, v64, v65
	v_frexp_mant_f32_e32 v67, v55
	s_mov_b32 s13, 0x3f2aaaab
	v_cvt_f64_f32_e32 v[64:65], v55
	v_frexp_exp_i32_f64_e32 v64, v[64:65]
	v_cmp_gt_f32_e32 vcc, s13, v67
	v_subbrev_co_u32_e32 v100, vcc, 0, v64, vcc
	v_sub_u32_e32 v64, 0, v100
	v_ldexp_f32 v55, v55, v64
	v_ldexp_f32 v64, v66, v64
	v_add_f32_e32 v66, -1.0, v55
	v_add_f32_e32 v65, 1.0, v66
	v_sub_f32_e32 v65, v55, v65
	v_add_f32_e32 v67, v64, v65
	v_add_f32_e32 v65, 1.0, v55
	v_add_f32_e32 v68, -1.0, v65
	v_sub_f32_e32 v55, v55, v68
	v_add_f32_e32 v55, v64, v55
	v_add_f32_e32 v101, v65, v55
	v_rcp_f32_e32 v102, v101
	v_sub_f32_e32 v64, v65, v101
	v_add_f32_e32 v65, v66, v67
	v_add_f32_e32 v55, v55, v64
	v_mul_f32_e32 v112, v65, v102
	v_sub_f32_e32 v64, v66, v65
	v_mul_f32_e32 v66, v101, v112
	v_fma_f32 v68, v112, v101, -v66
	v_fmac_f32_e32 v68, v112, v55
	v_add_f32_e32 v103, v67, v64
	v_add_f32_e32 v64, v66, v68
	v_sub_f32_e32 v67, v65, v64
	v_pk_add_f32 v[98:99], v[64:65], v[66:67] neg_lo:[0,1] neg_hi:[0,1]
	v_mov_b32_e32 v69, v64
	v_pk_add_f32 v[64:65], v[98:99], v[68:69] neg_lo:[0,1] neg_hi:[0,1]
	v_add_f32_e32 v65, v103, v65
	v_add_f32_e32 v64, v64, v65
	v_add_f32_e32 v65, v67, v64
	v_mul_f32_e32 v103, v102, v65
	v_mul_f32_e32 v66, v101, v103
	v_fma_f32 v68, v103, v101, -v66
	v_fmac_f32_e32 v68, v103, v55
	v_sub_f32_e32 v55, v67, v65
	v_add_f32_e32 v55, v64, v55
	v_add_f32_e32 v64, v66, v68
	v_sub_f32_e32 v67, v65, v64
	v_pk_add_f32 v[98:99], v[64:65], v[66:67] neg_lo:[0,1] neg_hi:[0,1]
	v_mov_b32_e32 v69, v64
	v_pk_add_f32 v[64:65], v[98:99], v[68:69] neg_lo:[0,1] neg_hi:[0,1]
	v_add_f32_e32 v55, v55, v65
	v_add_f32_e32 v55, v64, v55
	;; [unrolled: 1-line block ×4, first 2 shown]
	v_sub_f32_e32 v65, v64, v112
	v_mul_f32_e32 v55, v102, v55
	v_sub_f32_e32 v65, v103, v65
	v_add_f32_e32 v55, v65, v55
	v_add_f32_e32 v67, v64, v55
	v_mul_f32_e32 v68, v67, v67
	v_mov_b32_e32 v66, 0x3ecc95a3
	v_fmac_f32_e32 v66, 0x3e9b6dac, v68
	v_mov_b32_e32 v65, 0x3f2aaada
	v_fmac_f32_e32 v65, v68, v66
	v_cvt_f32_i32_e32 v66, v100
	v_sub_f32_e32 v64, v67, v64
	v_sub_f32_e32 v55, v55, v64
	v_ldexp_f32 v69, v67, 1
	v_mul_f32_e32 v67, v67, v68
	v_mov_b32_e32 v64, 0x3f317218
	s_mov_b32 s13, 0x3f317218
	v_pk_mul_f32 v[64:65], v[66:67], v[64:65]
	v_fma_f32 v68, v66, s13, -v64
	v_fmac_f32_e32 v68, 0xb102e308, v66
	v_pk_add_f32 v[66:67], v[64:65], v[68:69]
	v_sub_f32_e32 v69, v67, v69
	v_ldexp_f32 v55, v55, 1
	v_sub_f32_e32 v69, v65, v69
	v_add_f32_e32 v99, v55, v69
	v_mov_b32_e32 v98, v64
	v_pk_add_f32 v[64:65], v[66:67], v[64:65] neg_lo:[0,1] neg_hi:[0,1]
	v_pk_add_f32 v[100:101], v[66:67], v[98:99]
	v_mov_b32_e32 v65, v101
	v_mov_b32_e32 v69, v66
	v_pk_add_f32 v[102:103], v[68:69], v[64:65] neg_lo:[0,1] neg_hi:[0,1]
	v_pk_add_f32 v[64:65], v[68:69], v[64:65]
	v_mov_b32_e32 v68, v65
	v_pk_add_f32 v[112:113], v[68:69], v[66:67] neg_lo:[0,1] neg_hi:[0,1]
	v_mov_b32_e32 v55, v112
	v_pk_add_f32 v[114:115], v[100:101], v[54:55] neg_lo:[0,1] neg_hi:[0,1]
	v_mov_b32_e32 v64, v101
	v_mov_b32_e32 v100, v67
	v_mov_b32_e32 v101, v112
	v_mov_b32_e32 v103, v65
	v_pk_add_f32 v[64:65], v[64:65], v[100:101] neg_lo:[0,1] neg_hi:[0,1]
	v_mov_b32_e32 v98, v99
	v_mov_b32_e32 v99, v66
	v_pk_add_f32 v[64:65], v[98:99], v[64:65] neg_lo:[0,1] neg_hi:[0,1]
	v_mov_b32_e32 v114, v102
	v_pk_add_f32 v[66:67], v[114:115], v[64:65]
	v_mov_b32_e32 v98, v67
	v_pk_add_f32 v[98:99], v[66:67], v[98:99]
	v_pk_add_f32 v[68:69], v[68:69], v[98:99]
	v_mov_b32_e32 v67, v68
	v_pk_add_f32 v[100:101], v[66:67], v[102:103] neg_lo:[0,1] neg_hi:[0,1]
	v_mov_b32_e32 v65, v98
	v_sub_f32_e32 v55, v66, v100
	v_pk_add_f32 v[64:65], v[64:65], v[100:101] neg_lo:[0,1] neg_hi:[0,1]
	v_sub_f32_e32 v55, v102, v55
	s_mov_b32 s14, 0x7f800000
	v_add_f32_e32 v55, v64, v55
	s_mov_b32 s13, 0x33800000
	v_add_f32_e32 v55, v55, v65
	v_cmp_eq_f32_e32 vcc, s14, v116
	v_cmp_lt_f32_e64 s[14:15], |v116|, s13
	v_add_f32_e32 v55, v68, v55
	s_or_b64 vcc, vcc, s[14:15]
	v_cndmask_b32_e32 v55, v55, v116, vcc
	v_add_f32_e32 v54, v54, v55
	v_cvt_f16_f32_e32 v99, v54
	v_cvt_f32_f16_e32 v98, v99
	v_mov_b32_e32 v68, v99
.LBB381_232:
	s_or_b64 exec, exec, s[10:11]
	v_max_f32_e32 v54, v70, v70
	v_max_f32_e32 v55, v98, v98
	v_min_f32_e32 v64, v55, v54
	v_cmp_u_f16_e32 vcc, v99, v99
	v_max_f32_e32 v54, v55, v54
	v_cndmask_b32_e32 v64, v64, v98, vcc
	v_cndmask_b32_e32 v54, v54, v98, vcc
	v_cndmask_b32_e64 v64, v64, v70, s[36:37]
	v_cndmask_b32_e64 v55, v54, v70, s[36:37]
	v_cmp_neq_f32_e32 vcc, v64, v55
	v_cmp_class_f32_e64 s[10:11], v64, s12
	s_or_b64 s[12:13], vcc, s[10:11]
	v_mov_b32_e32 v54, v68
	s_and_saveexec_b64 s[10:11], s[12:13]
	s_cbranch_execz .LBB381_234
; %bb.233:
	v_sub_f32_e32 v54, v64, v55
	s_mov_b32 s12, 0x3fb8aa3b
	v_mul_f32_e32 v64, 0x3fb8aa3b, v54
	v_fma_f32 v65, v54, s12, -v64
	v_rndne_f32_e32 v66, v64
	v_fmac_f32_e32 v65, 0x32a5705f, v54
	v_sub_f32_e32 v64, v64, v66
	v_add_f32_e32 v64, v64, v65
	v_exp_f32_e32 v64, v64
	v_cvt_i32_f32_e32 v65, v66
	s_mov_b32 s12, 0xc2ce8ed0
	v_cmp_ngt_f32_e32 vcc, s12, v54
	s_mov_b32 s12, 0x42b17218
	v_ldexp_f32 v64, v64, v65
	v_cndmask_b32_e32 v64, 0, v64, vcc
	v_mov_b32_e32 v65, 0x7f800000
	v_cmp_nlt_f32_e32 vcc, s12, v54
	v_cndmask_b32_e32 v116, v65, v64, vcc
	v_add_f32_e32 v54, 1.0, v116
	v_add_f32_e32 v64, -1.0, v54
	v_sub_f32_e32 v65, v64, v54
	v_add_f32_e32 v65, 1.0, v65
	v_sub_f32_e32 v64, v116, v64
	v_add_f32_e32 v66, v64, v65
	v_frexp_mant_f32_e32 v67, v54
	s_mov_b32 s12, 0x3f2aaaab
	v_cvt_f64_f32_e32 v[64:65], v54
	v_frexp_exp_i32_f64_e32 v64, v[64:65]
	v_cmp_gt_f32_e32 vcc, s12, v67
	v_subbrev_co_u32_e32 v69, vcc, 0, v64, vcc
	v_sub_u32_e32 v64, 0, v69
	v_ldexp_f32 v54, v54, v64
	v_ldexp_f32 v64, v66, v64
	v_add_f32_e32 v66, -1.0, v54
	v_add_f32_e32 v65, 1.0, v66
	v_sub_f32_e32 v65, v54, v65
	v_add_f32_e32 v67, v64, v65
	v_add_f32_e32 v65, 1.0, v54
	v_add_f32_e32 v70, -1.0, v65
	v_sub_f32_e32 v54, v54, v70
	v_add_f32_e32 v54, v64, v54
	v_add_f32_e32 v70, v65, v54
	v_rcp_f32_e32 v102, v70
	v_sub_f32_e32 v64, v65, v70
	v_add_f32_e32 v65, v66, v67
	v_add_f32_e32 v54, v54, v64
	v_mul_f32_e32 v112, v65, v102
	v_sub_f32_e32 v64, v66, v65
	v_mul_f32_e32 v66, v70, v112
	v_fma_f32 v98, v112, v70, -v66
	v_fmac_f32_e32 v98, v112, v54
	v_add_f32_e32 v103, v67, v64
	v_add_f32_e32 v64, v66, v98
	v_sub_f32_e32 v67, v65, v64
	v_pk_add_f32 v[100:101], v[64:65], v[66:67] neg_lo:[0,1] neg_hi:[0,1]
	v_mov_b32_e32 v99, v64
	v_pk_add_f32 v[64:65], v[100:101], v[98:99] neg_lo:[0,1] neg_hi:[0,1]
	v_add_f32_e32 v65, v103, v65
	v_add_f32_e32 v64, v64, v65
	;; [unrolled: 1-line block ×3, first 2 shown]
	v_mul_f32_e32 v103, v102, v65
	v_mul_f32_e32 v66, v70, v103
	v_fma_f32 v98, v103, v70, -v66
	v_fmac_f32_e32 v98, v103, v54
	v_sub_f32_e32 v54, v67, v65
	v_add_f32_e32 v54, v64, v54
	v_add_f32_e32 v64, v66, v98
	v_sub_f32_e32 v67, v65, v64
	v_pk_add_f32 v[100:101], v[64:65], v[66:67] neg_lo:[0,1] neg_hi:[0,1]
	v_mov_b32_e32 v99, v64
	v_pk_add_f32 v[64:65], v[100:101], v[98:99] neg_lo:[0,1] neg_hi:[0,1]
	v_add_f32_e32 v54, v54, v65
	v_add_f32_e32 v54, v64, v54
	;; [unrolled: 1-line block ×4, first 2 shown]
	v_sub_f32_e32 v65, v64, v112
	v_mul_f32_e32 v54, v102, v54
	v_sub_f32_e32 v65, v103, v65
	v_add_f32_e32 v54, v65, v54
	v_add_f32_e32 v67, v64, v54
	v_mul_f32_e32 v70, v67, v67
	v_mov_b32_e32 v66, 0x3ecc95a3
	v_fmac_f32_e32 v66, 0x3e9b6dac, v70
	v_mov_b32_e32 v65, 0x3f2aaada
	v_fmac_f32_e32 v65, v70, v66
	v_cvt_f32_i32_e32 v66, v69
	v_sub_f32_e32 v64, v67, v64
	v_sub_f32_e32 v54, v54, v64
	v_ldexp_f32 v99, v67, 1
	v_mul_f32_e32 v67, v67, v70
	v_mov_b32_e32 v64, 0x3f317218
	s_mov_b32 s12, 0x3f317218
	v_pk_mul_f32 v[64:65], v[66:67], v[64:65]
	v_fma_f32 v98, v66, s12, -v64
	v_fmac_f32_e32 v98, 0xb102e308, v66
	v_pk_add_f32 v[66:67], v[64:65], v[98:99]
	v_sub_f32_e32 v69, v67, v99
	v_ldexp_f32 v54, v54, 1
	v_sub_f32_e32 v69, v65, v69
	v_add_f32_e32 v101, v54, v69
	v_mov_b32_e32 v100, v64
	v_pk_add_f32 v[64:65], v[66:67], v[64:65] neg_lo:[0,1] neg_hi:[0,1]
	v_pk_add_f32 v[102:103], v[66:67], v[100:101]
	v_mov_b32_e32 v65, v103
	v_mov_b32_e32 v99, v66
	v_pk_add_f32 v[112:113], v[98:99], v[64:65] neg_lo:[0,1] neg_hi:[0,1]
	v_pk_add_f32 v[64:65], v[98:99], v[64:65]
	v_mov_b32_e32 v54, v65
	v_pk_add_f32 v[98:99], v[54:55], v[66:67] neg_lo:[0,1] neg_hi:[0,1]
	v_mov_b32_e32 v69, v98
	v_pk_add_f32 v[114:115], v[102:103], v[68:69] neg_lo:[0,1] neg_hi:[0,1]
	v_mov_b32_e32 v64, v103
	v_mov_b32_e32 v102, v67
	;; [unrolled: 1-line block ×4, first 2 shown]
	v_pk_add_f32 v[64:65], v[64:65], v[102:103] neg_lo:[0,1] neg_hi:[0,1]
	v_mov_b32_e32 v98, v101
	v_mov_b32_e32 v99, v66
	v_pk_add_f32 v[64:65], v[98:99], v[64:65] neg_lo:[0,1] neg_hi:[0,1]
	v_mov_b32_e32 v114, v112
	v_pk_add_f32 v[66:67], v[114:115], v[64:65]
	v_mov_b32_e32 v70, v67
	v_pk_add_f32 v[98:99], v[66:67], v[70:71]
	v_pk_add_f32 v[100:101], v[54:55], v[98:99]
	v_mov_b32_e32 v67, v100
	v_pk_add_f32 v[102:103], v[66:67], v[112:113] neg_lo:[0,1] neg_hi:[0,1]
	v_mov_b32_e32 v65, v98
	v_sub_f32_e32 v54, v66, v102
	v_pk_add_f32 v[64:65], v[64:65], v[102:103] neg_lo:[0,1] neg_hi:[0,1]
	v_sub_f32_e32 v54, v112, v54
	s_mov_b32 s13, 0x7f800000
	v_add_f32_e32 v54, v64, v54
	s_mov_b32 s12, 0x33800000
	v_add_f32_e32 v54, v54, v65
	v_cmp_eq_f32_e32 vcc, s13, v116
	v_cmp_lt_f32_e64 s[12:13], |v116|, s12
	v_add_f32_e32 v54, v100, v54
	s_or_b64 vcc, vcc, s[12:13]
	v_cndmask_b32_e32 v54, v54, v116, vcc
	v_add_f32_e32 v54, v55, v54
	v_cvt_f16_f32_e32 v99, v54
	v_cvt_f32_f16_e32 v98, v99
	v_mov_b32_e32 v54, v99
.LBB381_234:
	s_or_b64 exec, exec, s[10:11]
	v_max_f32_e32 v55, v71, v71
	v_max_f32_e32 v65, v98, v98
	v_min_f32_e32 v64, v65, v55
	v_cmp_u_f16_e32 vcc, v99, v99
	v_max_f32_e32 v55, v65, v55
	v_cndmask_b32_e32 v64, v64, v98, vcc
	v_cndmask_b32_e32 v55, v55, v98, vcc
	v_cndmask_b32_e64 v64, v64, v71, s[38:39]
	v_cndmask_b32_e64 v55, v55, v71, s[38:39]
	s_movk_i32 s12, 0x1f8
	v_cmp_neq_f32_e32 vcc, v64, v55
	v_cmp_class_f32_e64 s[10:11], v64, s12
	s_or_b64 s[14:15], vcc, s[10:11]
	v_mov_b32_e32 v69, v54
	s_and_saveexec_b64 s[10:11], s[14:15]
	s_cbranch_execz .LBB381_236
; %bb.235:
	v_sub_f32_e32 v64, v64, v55
	s_mov_b32 s13, 0x3fb8aa3b
	v_mul_f32_e32 v65, 0x3fb8aa3b, v64
	v_fma_f32 v66, v64, s13, -v65
	v_rndne_f32_e32 v67, v65
	v_fmac_f32_e32 v66, 0x32a5705f, v64
	v_sub_f32_e32 v65, v65, v67
	v_add_f32_e32 v65, v65, v66
	v_exp_f32_e32 v65, v65
	v_cvt_i32_f32_e32 v66, v67
	s_mov_b32 s13, 0xc2ce8ed0
	v_cmp_ngt_f32_e32 vcc, s13, v64
	s_mov_b32 s13, 0x42b17218
	v_ldexp_f32 v65, v65, v66
	v_cndmask_b32_e32 v65, 0, v65, vcc
	v_mov_b32_e32 v66, 0x7f800000
	v_cmp_nlt_f32_e32 vcc, s13, v64
	v_cndmask_b32_e32 v116, v66, v65, vcc
	v_add_f32_e32 v66, 1.0, v116
	v_add_f32_e32 v64, -1.0, v66
	v_sub_f32_e32 v65, v64, v66
	v_add_f32_e32 v65, 1.0, v65
	v_sub_f32_e32 v64, v116, v64
	v_add_f32_e32 v67, v64, v65
	v_frexp_mant_f32_e32 v69, v66
	s_mov_b32 s13, 0x3f2aaaab
	v_cvt_f64_f32_e32 v[64:65], v66
	v_frexp_exp_i32_f64_e32 v64, v[64:65]
	v_cmp_gt_f32_e32 vcc, s13, v69
	v_subbrev_co_u32_e32 v69, vcc, 0, v64, vcc
	v_sub_u32_e32 v64, 0, v69
	v_ldexp_f32 v65, v66, v64
	v_add_f32_e32 v66, -1.0, v65
	v_add_f32_e32 v70, 1.0, v65
	v_ldexp_f32 v64, v67, v64
	v_add_f32_e32 v67, 1.0, v66
	v_add_f32_e32 v71, -1.0, v70
	v_sub_f32_e32 v67, v65, v67
	v_sub_f32_e32 v65, v65, v71
	v_add_f32_e32 v67, v64, v67
	v_add_f32_e32 v64, v64, v65
	;; [unrolled: 1-line block ×3, first 2 shown]
	v_rcp_f32_e32 v102, v100
	v_sub_f32_e32 v65, v70, v100
	v_add_f32_e32 v101, v64, v65
	v_add_f32_e32 v65, v66, v67
	v_mul_f32_e32 v112, v65, v102
	v_sub_f32_e32 v64, v66, v65
	v_mul_f32_e32 v66, v100, v112
	v_fma_f32 v70, v112, v100, -v66
	v_fmac_f32_e32 v70, v112, v101
	v_add_f32_e32 v103, v67, v64
	v_add_f32_e32 v64, v66, v70
	v_sub_f32_e32 v67, v65, v64
	v_pk_add_f32 v[98:99], v[64:65], v[66:67] neg_lo:[0,1] neg_hi:[0,1]
	v_mov_b32_e32 v71, v64
	v_pk_add_f32 v[64:65], v[98:99], v[70:71] neg_lo:[0,1] neg_hi:[0,1]
	v_add_f32_e32 v65, v103, v65
	v_add_f32_e32 v64, v64, v65
	;; [unrolled: 1-line block ×3, first 2 shown]
	v_mul_f32_e32 v103, v102, v65
	v_mul_f32_e32 v66, v100, v103
	v_fma_f32 v70, v103, v100, -v66
	v_fmac_f32_e32 v70, v103, v101
	v_sub_f32_e32 v67, v67, v65
	v_add_f32_e32 v100, v64, v67
	v_add_f32_e32 v64, v66, v70
	v_sub_f32_e32 v67, v65, v64
	v_pk_add_f32 v[98:99], v[64:65], v[66:67] neg_lo:[0,1] neg_hi:[0,1]
	v_mov_b32_e32 v71, v64
	v_pk_add_f32 v[64:65], v[98:99], v[70:71] neg_lo:[0,1] neg_hi:[0,1]
	v_add_f32_e32 v65, v100, v65
	v_add_f32_e32 v64, v64, v65
	;; [unrolled: 1-line block ×4, first 2 shown]
	v_sub_f32_e32 v65, v67, v112
	v_mul_f32_e32 v64, v102, v64
	v_sub_f32_e32 v65, v103, v65
	v_add_f32_e32 v64, v65, v64
	v_add_f32_e32 v70, v67, v64
	v_mul_f32_e32 v98, v70, v70
	v_mov_b32_e32 v66, 0x3ecc95a3
	v_fmac_f32_e32 v66, 0x3e9b6dac, v98
	v_mov_b32_e32 v65, 0x3f2aaada
	v_fmac_f32_e32 v65, v98, v66
	v_cvt_f32_i32_e32 v66, v69
	v_sub_f32_e32 v67, v70, v67
	v_sub_f32_e32 v64, v64, v67
	v_ldexp_f32 v69, v64, 1
	v_mul_f32_e32 v67, v70, v98
	v_mov_b32_e32 v64, 0x3f317218
	s_mov_b32 s13, 0x3f317218
	v_pk_mul_f32 v[64:65], v[66:67], v[64:65]
	v_ldexp_f32 v71, v70, 1
	v_fma_f32 v70, v66, s13, -v64
	v_fmac_f32_e32 v70, 0xb102e308, v66
	v_pk_add_f32 v[66:67], v[64:65], v[70:71]
	v_sub_f32_e32 v71, v67, v71
	v_sub_f32_e32 v71, v65, v71
	v_add_f32_e32 v99, v69, v71
	v_mov_b32_e32 v98, v64
	v_pk_add_f32 v[64:65], v[66:67], v[64:65] neg_lo:[0,1] neg_hi:[0,1]
	v_pk_add_f32 v[100:101], v[66:67], v[98:99]
	v_mov_b32_e32 v65, v101
	v_mov_b32_e32 v71, v66
	v_pk_add_f32 v[102:103], v[70:71], v[64:65] neg_lo:[0,1] neg_hi:[0,1]
	v_pk_add_f32 v[64:65], v[70:71], v[64:65]
	v_mov_b32_e32 v70, v65
	v_pk_add_f32 v[112:113], v[70:71], v[66:67] neg_lo:[0,1] neg_hi:[0,1]
	v_mov_b32_e32 v69, v112
	v_pk_add_f32 v[114:115], v[100:101], v[68:69] neg_lo:[0,1] neg_hi:[0,1]
	v_mov_b32_e32 v64, v101
	v_mov_b32_e32 v100, v67
	;; [unrolled: 1-line block ×4, first 2 shown]
	v_pk_add_f32 v[64:65], v[64:65], v[100:101] neg_lo:[0,1] neg_hi:[0,1]
	v_mov_b32_e32 v98, v99
	v_mov_b32_e32 v99, v66
	v_pk_add_f32 v[64:65], v[98:99], v[64:65] neg_lo:[0,1] neg_hi:[0,1]
	v_mov_b32_e32 v114, v102
	v_pk_add_f32 v[66:67], v[114:115], v[64:65]
	v_mov_b32_e32 v98, v67
	v_pk_add_f32 v[98:99], v[66:67], v[98:99]
	v_pk_add_f32 v[70:71], v[70:71], v[98:99]
	v_mov_b32_e32 v67, v70
	v_pk_add_f32 v[100:101], v[66:67], v[102:103] neg_lo:[0,1] neg_hi:[0,1]
	v_mov_b32_e32 v65, v98
	v_sub_f32_e32 v66, v66, v100
	v_pk_add_f32 v[64:65], v[64:65], v[100:101] neg_lo:[0,1] neg_hi:[0,1]
	v_sub_f32_e32 v66, v102, v66
	s_mov_b32 s14, 0x7f800000
	v_add_f32_e32 v64, v64, v66
	s_mov_b32 s13, 0x33800000
	v_add_f32_e32 v64, v64, v65
	v_cmp_eq_f32_e32 vcc, s14, v116
	v_cmp_lt_f32_e64 s[14:15], |v116|, s13
	v_add_f32_e32 v64, v70, v64
	s_or_b64 vcc, vcc, s[14:15]
	v_cndmask_b32_e32 v64, v64, v116, vcc
	v_add_f32_e32 v55, v55, v64
	v_cvt_f16_f32_e32 v99, v55
	v_cvt_f32_f16_e32 v98, v99
	v_mov_b32_e32 v69, v99
.LBB381_236:
	s_or_b64 exec, exec, s[10:11]
	v_max_f32_e32 v55, v80, v80
	v_max_f32_e32 v64, v98, v98
	v_min_f32_e32 v65, v64, v55
	v_cmp_u_f16_e32 vcc, v99, v99
	v_max_f32_e32 v55, v64, v55
	v_cndmask_b32_e32 v65, v65, v98, vcc
	v_cndmask_b32_e32 v55, v55, v98, vcc
	v_cndmask_b32_e64 v65, v65, v80, s[40:41]
	v_cndmask_b32_e64 v64, v55, v80, s[40:41]
	v_cmp_neq_f32_e32 vcc, v65, v64
	v_cmp_class_f32_e64 s[10:11], v65, s12
	s_or_b64 s[12:13], vcc, s[10:11]
	v_mov_b32_e32 v55, v69
	s_and_saveexec_b64 s[10:11], s[12:13]
	s_cbranch_execz .LBB381_238
; %bb.237:
	v_sub_f32_e32 v55, v65, v64
	s_mov_b32 s12, 0x3fb8aa3b
	v_mul_f32_e32 v65, 0x3fb8aa3b, v55
	v_fma_f32 v66, v55, s12, -v65
	v_rndne_f32_e32 v67, v65
	v_fmac_f32_e32 v66, 0x32a5705f, v55
	v_sub_f32_e32 v65, v65, v67
	v_add_f32_e32 v65, v65, v66
	v_exp_f32_e32 v65, v65
	v_cvt_i32_f32_e32 v66, v67
	s_mov_b32 s12, 0xc2ce8ed0
	v_cmp_ngt_f32_e32 vcc, s12, v55
	s_mov_b32 s12, 0x42b17218
	v_ldexp_f32 v65, v65, v66
	v_cndmask_b32_e32 v65, 0, v65, vcc
	v_mov_b32_e32 v66, 0x7f800000
	v_cmp_nlt_f32_e32 vcc, s12, v55
	v_cndmask_b32_e32 v65, v66, v65, vcc
	v_add_f32_e32 v55, 1.0, v65
	v_add_f32_e32 v66, -1.0, v55
	v_sub_f32_e32 v67, v66, v55
	v_add_f32_e32 v67, 1.0, v67
	v_sub_f32_e32 v66, v65, v66
	v_add_f32_e32 v70, v66, v67
	v_frexp_mant_f32_e32 v71, v55
	s_mov_b32 s12, 0x3f2aaaab
	v_cvt_f64_f32_e32 v[66:67], v55
	v_frexp_exp_i32_f64_e32 v66, v[66:67]
	v_cmp_gt_f32_e32 vcc, s12, v71
	v_subbrev_co_u32_e32 v80, vcc, 0, v66, vcc
	v_sub_u32_e32 v66, 0, v80
	v_ldexp_f32 v55, v55, v66
	v_ldexp_f32 v66, v70, v66
	v_add_f32_e32 v70, -1.0, v55
	v_add_f32_e32 v67, 1.0, v70
	v_sub_f32_e32 v67, v55, v67
	v_add_f32_e32 v71, v66, v67
	v_add_f32_e32 v67, 1.0, v55
	v_add_f32_e32 v98, -1.0, v67
	v_sub_f32_e32 v55, v55, v98
	v_add_f32_e32 v55, v66, v55
	v_add_f32_e32 v102, v67, v55
	v_rcp_f32_e32 v103, v102
	v_sub_f32_e32 v66, v67, v102
	v_add_f32_e32 v67, v70, v71
	v_add_f32_e32 v55, v55, v66
	v_mul_f32_e32 v113, v67, v103
	v_sub_f32_e32 v66, v70, v67
	v_mul_f32_e32 v70, v102, v113
	v_fma_f32 v98, v113, v102, -v70
	v_fmac_f32_e32 v98, v113, v55
	v_add_f32_e32 v112, v71, v66
	v_add_f32_e32 v66, v70, v98
	v_sub_f32_e32 v71, v67, v66
	v_pk_add_f32 v[100:101], v[66:67], v[70:71] neg_lo:[0,1] neg_hi:[0,1]
	v_mov_b32_e32 v99, v66
	v_pk_add_f32 v[66:67], v[100:101], v[98:99] neg_lo:[0,1] neg_hi:[0,1]
	v_add_f32_e32 v67, v112, v67
	v_add_f32_e32 v66, v66, v67
	;; [unrolled: 1-line block ×3, first 2 shown]
	v_mul_f32_e32 v112, v103, v67
	v_mul_f32_e32 v70, v102, v112
	v_fma_f32 v98, v112, v102, -v70
	v_fmac_f32_e32 v98, v112, v55
	v_sub_f32_e32 v55, v71, v67
	v_add_f32_e32 v55, v66, v55
	v_add_f32_e32 v66, v70, v98
	v_sub_f32_e32 v71, v67, v66
	v_pk_add_f32 v[100:101], v[66:67], v[70:71] neg_lo:[0,1] neg_hi:[0,1]
	v_mov_b32_e32 v99, v66
	v_pk_add_f32 v[66:67], v[100:101], v[98:99] neg_lo:[0,1] neg_hi:[0,1]
	v_add_f32_e32 v55, v55, v67
	v_add_f32_e32 v55, v66, v55
	;; [unrolled: 1-line block ×4, first 2 shown]
	v_sub_f32_e32 v67, v66, v113
	v_mul_f32_e32 v55, v103, v55
	v_sub_f32_e32 v67, v112, v67
	v_add_f32_e32 v55, v67, v55
	v_add_f32_e32 v71, v66, v55
	v_mul_f32_e32 v98, v71, v71
	v_mov_b32_e32 v70, 0x3ecc95a3
	v_fmac_f32_e32 v70, 0x3e9b6dac, v98
	v_mov_b32_e32 v67, 0x3f2aaada
	v_fmac_f32_e32 v67, v98, v70
	v_cvt_f32_i32_e32 v70, v80
	v_sub_f32_e32 v66, v71, v66
	v_sub_f32_e32 v55, v55, v66
	v_ldexp_f32 v99, v71, 1
	v_mul_f32_e32 v71, v71, v98
	v_mov_b32_e32 v66, 0x3f317218
	s_mov_b32 s12, 0x3f317218
	v_pk_mul_f32 v[66:67], v[70:71], v[66:67]
	v_fma_f32 v98, v70, s12, -v66
	v_fmac_f32_e32 v98, 0xb102e308, v70
	v_pk_add_f32 v[70:71], v[66:67], v[98:99]
	v_sub_f32_e32 v80, v71, v99
	v_ldexp_f32 v55, v55, 1
	v_sub_f32_e32 v80, v67, v80
	v_add_f32_e32 v101, v55, v80
	v_mov_b32_e32 v100, v66
	v_pk_add_f32 v[66:67], v[70:71], v[66:67] neg_lo:[0,1] neg_hi:[0,1]
	v_pk_add_f32 v[102:103], v[70:71], v[100:101]
	v_mov_b32_e32 v67, v103
	v_mov_b32_e32 v99, v70
	v_pk_add_f32 v[112:113], v[98:99], v[66:67] neg_lo:[0,1] neg_hi:[0,1]
	v_pk_add_f32 v[66:67], v[98:99], v[66:67]
	v_mov_b32_e32 v80, v67
	v_pk_add_f32 v[98:99], v[80:81], v[70:71] neg_lo:[0,1] neg_hi:[0,1]
	v_mov_b32_e32 v55, v98
	v_pk_add_f32 v[114:115], v[102:103], v[54:55] neg_lo:[0,1] neg_hi:[0,1]
	v_mov_b32_e32 v66, v103
	v_mov_b32_e32 v102, v71
	v_mov_b32_e32 v103, v98
	v_mov_b32_e32 v113, v67
	v_pk_add_f32 v[66:67], v[66:67], v[102:103] neg_lo:[0,1] neg_hi:[0,1]
	v_mov_b32_e32 v98, v101
	v_mov_b32_e32 v99, v70
	v_pk_add_f32 v[66:67], v[98:99], v[66:67] neg_lo:[0,1] neg_hi:[0,1]
	v_mov_b32_e32 v114, v112
	v_pk_add_f32 v[70:71], v[114:115], v[66:67]
	v_mov_b32_e32 v98, v71
	v_pk_add_f32 v[98:99], v[70:71], v[98:99]
	v_pk_add_f32 v[100:101], v[80:81], v[98:99]
	v_mov_b32_e32 v71, v100
	v_pk_add_f32 v[102:103], v[70:71], v[112:113] neg_lo:[0,1] neg_hi:[0,1]
	v_mov_b32_e32 v67, v98
	v_sub_f32_e32 v55, v70, v102
	v_pk_add_f32 v[66:67], v[66:67], v[102:103] neg_lo:[0,1] neg_hi:[0,1]
	v_sub_f32_e32 v55, v112, v55
	s_mov_b32 s13, 0x7f800000
	v_add_f32_e32 v55, v66, v55
	s_mov_b32 s12, 0x33800000
	v_add_f32_e32 v55, v55, v67
	v_cmp_eq_f32_e32 vcc, s13, v65
	v_cmp_lt_f32_e64 s[12:13], |v65|, s12
	v_add_f32_e32 v55, v100, v55
	s_or_b64 vcc, vcc, s[12:13]
	v_cndmask_b32_e32 v55, v55, v65, vcc
	v_add_f32_e32 v55, v64, v55
	v_cvt_f16_f32_e32 v99, v55
	v_cvt_f32_f16_e32 v98, v99
	v_mov_b32_e32 v55, v99
.LBB381_238:
	s_or_b64 exec, exec, s[10:11]
	v_max_f32_e32 v64, v81, v81
	v_max_f32_e32 v66, v98, v98
	v_min_f32_e32 v65, v66, v64
	v_cmp_u_f16_e32 vcc, v99, v99
	v_max_f32_e32 v64, v66, v64
	v_cndmask_b32_e32 v65, v65, v98, vcc
	v_cndmask_b32_e32 v64, v64, v98, vcc
	v_cndmask_b32_e64 v65, v65, v81, s[42:43]
	v_cndmask_b32_e64 v64, v64, v81, s[42:43]
	s_movk_i32 s12, 0x1f8
	v_cmp_neq_f32_e32 vcc, v65, v64
	v_cmp_class_f32_e64 s[10:11], v65, s12
	s_or_b64 s[14:15], vcc, s[10:11]
	v_mov_b32_e32 v70, v55
	s_and_saveexec_b64 s[10:11], s[14:15]
	s_cbranch_execz .LBB381_240
; %bb.239:
	v_sub_f32_e32 v65, v65, v64
	s_mov_b32 s13, 0x3fb8aa3b
	v_mul_f32_e32 v66, 0x3fb8aa3b, v65
	v_fma_f32 v67, v65, s13, -v66
	v_rndne_f32_e32 v70, v66
	v_fmac_f32_e32 v67, 0x32a5705f, v65
	v_sub_f32_e32 v66, v66, v70
	v_add_f32_e32 v66, v66, v67
	v_exp_f32_e32 v66, v66
	v_cvt_i32_f32_e32 v67, v70
	s_mov_b32 s13, 0xc2ce8ed0
	v_cmp_ngt_f32_e32 vcc, s13, v65
	s_mov_b32 s13, 0x42b17218
	v_ldexp_f32 v66, v66, v67
	v_cndmask_b32_e32 v66, 0, v66, vcc
	v_mov_b32_e32 v67, 0x7f800000
	v_cmp_nlt_f32_e32 vcc, s13, v65
	v_cndmask_b32_e32 v116, v67, v66, vcc
	v_add_f32_e32 v65, 1.0, v116
	v_add_f32_e32 v66, -1.0, v65
	v_sub_f32_e32 v67, v66, v65
	v_add_f32_e32 v67, 1.0, v67
	v_sub_f32_e32 v66, v116, v66
	v_add_f32_e32 v70, v66, v67
	v_frexp_mant_f32_e32 v71, v65
	s_mov_b32 s13, 0x3f2aaaab
	v_cvt_f64_f32_e32 v[66:67], v65
	v_frexp_exp_i32_f64_e32 v66, v[66:67]
	v_cmp_gt_f32_e32 vcc, s13, v71
	v_subbrev_co_u32_e32 v100, vcc, 0, v66, vcc
	v_sub_u32_e32 v66, 0, v100
	v_ldexp_f32 v65, v65, v66
	v_ldexp_f32 v66, v70, v66
	v_add_f32_e32 v70, -1.0, v65
	v_add_f32_e32 v67, 1.0, v70
	v_sub_f32_e32 v67, v65, v67
	v_add_f32_e32 v71, v66, v67
	v_add_f32_e32 v67, 1.0, v65
	v_add_f32_e32 v80, -1.0, v67
	v_sub_f32_e32 v65, v65, v80
	v_add_f32_e32 v65, v66, v65
	v_add_f32_e32 v101, v67, v65
	v_rcp_f32_e32 v102, v101
	v_sub_f32_e32 v66, v67, v101
	v_add_f32_e32 v67, v70, v71
	v_add_f32_e32 v65, v65, v66
	v_mul_f32_e32 v112, v67, v102
	v_sub_f32_e32 v66, v70, v67
	v_mul_f32_e32 v70, v101, v112
	v_fma_f32 v80, v112, v101, -v70
	v_fmac_f32_e32 v80, v112, v65
	v_add_f32_e32 v103, v71, v66
	v_add_f32_e32 v66, v70, v80
	v_sub_f32_e32 v71, v67, v66
	v_pk_add_f32 v[98:99], v[66:67], v[70:71] neg_lo:[0,1] neg_hi:[0,1]
	v_mov_b32_e32 v81, v66
	v_pk_add_f32 v[66:67], v[98:99], v[80:81] neg_lo:[0,1] neg_hi:[0,1]
	v_add_f32_e32 v67, v103, v67
	v_add_f32_e32 v66, v66, v67
	;; [unrolled: 1-line block ×3, first 2 shown]
	v_mul_f32_e32 v103, v102, v67
	v_mul_f32_e32 v70, v101, v103
	v_fma_f32 v80, v103, v101, -v70
	v_fmac_f32_e32 v80, v103, v65
	v_sub_f32_e32 v65, v71, v67
	v_add_f32_e32 v65, v66, v65
	v_add_f32_e32 v66, v70, v80
	v_sub_f32_e32 v71, v67, v66
	v_pk_add_f32 v[98:99], v[66:67], v[70:71] neg_lo:[0,1] neg_hi:[0,1]
	v_mov_b32_e32 v81, v66
	v_pk_add_f32 v[66:67], v[98:99], v[80:81] neg_lo:[0,1] neg_hi:[0,1]
	v_add_f32_e32 v65, v65, v67
	v_add_f32_e32 v65, v66, v65
	;; [unrolled: 1-line block ×4, first 2 shown]
	v_sub_f32_e32 v67, v66, v112
	v_mul_f32_e32 v65, v102, v65
	v_sub_f32_e32 v67, v103, v67
	v_add_f32_e32 v65, v67, v65
	v_add_f32_e32 v71, v66, v65
	v_mul_f32_e32 v80, v71, v71
	v_mov_b32_e32 v70, 0x3ecc95a3
	v_fmac_f32_e32 v70, 0x3e9b6dac, v80
	v_mov_b32_e32 v67, 0x3f2aaada
	v_fmac_f32_e32 v67, v80, v70
	v_cvt_f32_i32_e32 v70, v100
	v_sub_f32_e32 v66, v71, v66
	v_sub_f32_e32 v65, v65, v66
	v_ldexp_f32 v81, v71, 1
	v_mul_f32_e32 v71, v71, v80
	v_mov_b32_e32 v66, 0x3f317218
	s_mov_b32 s13, 0x3f317218
	v_pk_mul_f32 v[66:67], v[70:71], v[66:67]
	v_fma_f32 v80, v70, s13, -v66
	v_fmac_f32_e32 v80, 0xb102e308, v70
	v_pk_add_f32 v[70:71], v[66:67], v[80:81]
	v_sub_f32_e32 v81, v71, v81
	v_ldexp_f32 v65, v65, 1
	v_sub_f32_e32 v81, v67, v81
	v_add_f32_e32 v99, v65, v81
	v_mov_b32_e32 v98, v66
	v_pk_add_f32 v[66:67], v[70:71], v[66:67] neg_lo:[0,1] neg_hi:[0,1]
	v_pk_add_f32 v[100:101], v[70:71], v[98:99]
	v_mov_b32_e32 v67, v101
	v_mov_b32_e32 v81, v70
	v_pk_add_f32 v[102:103], v[80:81], v[66:67] neg_lo:[0,1] neg_hi:[0,1]
	v_pk_add_f32 v[66:67], v[80:81], v[66:67]
	v_mov_b32_e32 v80, v67
	v_pk_add_f32 v[112:113], v[80:81], v[70:71] neg_lo:[0,1] neg_hi:[0,1]
	v_mov_b32_e32 v65, v112
	v_pk_add_f32 v[114:115], v[100:101], v[64:65] neg_lo:[0,1] neg_hi:[0,1]
	v_mov_b32_e32 v66, v101
	v_mov_b32_e32 v100, v71
	;; [unrolled: 1-line block ×4, first 2 shown]
	v_pk_add_f32 v[66:67], v[66:67], v[100:101] neg_lo:[0,1] neg_hi:[0,1]
	v_mov_b32_e32 v98, v99
	v_mov_b32_e32 v99, v70
	v_pk_add_f32 v[66:67], v[98:99], v[66:67] neg_lo:[0,1] neg_hi:[0,1]
	v_mov_b32_e32 v114, v102
	v_pk_add_f32 v[70:71], v[114:115], v[66:67]
	v_mov_b32_e32 v98, v71
	v_pk_add_f32 v[98:99], v[70:71], v[98:99]
	v_pk_add_f32 v[80:81], v[80:81], v[98:99]
	v_mov_b32_e32 v71, v80
	v_pk_add_f32 v[100:101], v[70:71], v[102:103] neg_lo:[0,1] neg_hi:[0,1]
	v_mov_b32_e32 v67, v98
	v_sub_f32_e32 v65, v70, v100
	v_pk_add_f32 v[66:67], v[66:67], v[100:101] neg_lo:[0,1] neg_hi:[0,1]
	v_sub_f32_e32 v65, v102, v65
	s_mov_b32 s14, 0x7f800000
	v_add_f32_e32 v65, v66, v65
	s_mov_b32 s13, 0x33800000
	v_add_f32_e32 v65, v65, v67
	v_cmp_eq_f32_e32 vcc, s14, v116
	v_cmp_lt_f32_e64 s[14:15], |v116|, s13
	v_add_f32_e32 v65, v80, v65
	s_or_b64 vcc, vcc, s[14:15]
	v_cndmask_b32_e32 v65, v65, v116, vcc
	v_add_f32_e32 v64, v64, v65
	v_cvt_f16_f32_e32 v99, v64
	v_cvt_f32_f16_e32 v98, v99
	v_mov_b32_e32 v70, v99
.LBB381_240:
	s_or_b64 exec, exec, s[10:11]
	v_max_f32_e32 v64, v82, v82
	v_max_f32_e32 v65, v98, v98
	v_min_f32_e32 v66, v65, v64
	v_cmp_u_f16_e32 vcc, v99, v99
	v_max_f32_e32 v64, v65, v64
	v_cndmask_b32_e32 v66, v66, v98, vcc
	v_cndmask_b32_e32 v64, v64, v98, vcc
	v_cndmask_b32_e64 v66, v66, v82, s[44:45]
	v_cndmask_b32_e64 v65, v64, v82, s[44:45]
	v_cmp_neq_f32_e32 vcc, v66, v65
	v_cmp_class_f32_e64 s[10:11], v66, s12
	s_or_b64 s[12:13], vcc, s[10:11]
	v_mov_b32_e32 v64, v70
	s_and_saveexec_b64 s[10:11], s[12:13]
	s_cbranch_execz .LBB381_242
; %bb.241:
	v_sub_f32_e32 v64, v66, v65
	s_mov_b32 s12, 0x3fb8aa3b
	v_mul_f32_e32 v66, 0x3fb8aa3b, v64
	v_fma_f32 v67, v64, s12, -v66
	v_rndne_f32_e32 v71, v66
	v_fmac_f32_e32 v67, 0x32a5705f, v64
	v_sub_f32_e32 v66, v66, v71
	v_add_f32_e32 v66, v66, v67
	v_exp_f32_e32 v66, v66
	v_cvt_i32_f32_e32 v67, v71
	s_mov_b32 s12, 0xc2ce8ed0
	v_cmp_ngt_f32_e32 vcc, s12, v64
	s_mov_b32 s12, 0x42b17218
	v_ldexp_f32 v66, v66, v67
	v_cndmask_b32_e32 v66, 0, v66, vcc
	v_mov_b32_e32 v67, 0x7f800000
	v_cmp_nlt_f32_e32 vcc, s12, v64
	v_cndmask_b32_e32 v116, v67, v66, vcc
	v_add_f32_e32 v64, 1.0, v116
	v_add_f32_e32 v66, -1.0, v64
	v_sub_f32_e32 v67, v66, v64
	v_add_f32_e32 v67, 1.0, v67
	v_sub_f32_e32 v66, v116, v66
	v_add_f32_e32 v71, v66, v67
	v_frexp_mant_f32_e32 v80, v64
	s_mov_b32 s12, 0x3f2aaaab
	v_cvt_f64_f32_e32 v[66:67], v64
	v_frexp_exp_i32_f64_e32 v66, v[66:67]
	v_cmp_gt_f32_e32 vcc, s12, v80
	v_subbrev_co_u32_e32 v82, vcc, 0, v66, vcc
	v_sub_u32_e32 v66, 0, v82
	v_ldexp_f32 v64, v64, v66
	v_ldexp_f32 v66, v71, v66
	v_add_f32_e32 v71, -1.0, v64
	v_add_f32_e32 v67, 1.0, v71
	v_sub_f32_e32 v67, v64, v67
	v_add_f32_e32 v80, v66, v67
	v_add_f32_e32 v67, 1.0, v64
	v_add_f32_e32 v81, -1.0, v67
	v_sub_f32_e32 v64, v64, v81
	v_add_f32_e32 v64, v66, v64
	v_add_f32_e32 v102, v67, v64
	v_rcp_f32_e32 v103, v102
	v_sub_f32_e32 v66, v67, v102
	v_add_f32_e32 v67, v71, v80
	v_add_f32_e32 v64, v64, v66
	v_sub_f32_e32 v66, v71, v67
	v_mul_f32_e32 v112, v67, v103
	v_add_f32_e32 v71, v80, v66
	v_mul_f32_e32 v80, v102, v112
	v_fma_f32 v98, v112, v102, -v80
	v_fmac_f32_e32 v98, v112, v64
	v_add_f32_e32 v66, v80, v98
	v_sub_f32_e32 v81, v67, v66
	v_pk_add_f32 v[100:101], v[66:67], v[80:81] neg_lo:[0,1] neg_hi:[0,1]
	v_mov_b32_e32 v99, v66
	v_pk_add_f32 v[66:67], v[100:101], v[98:99] neg_lo:[0,1] neg_hi:[0,1]
	v_add_f32_e32 v67, v71, v67
	v_add_f32_e32 v66, v66, v67
	;; [unrolled: 1-line block ×3, first 2 shown]
	v_mul_f32_e32 v71, v103, v67
	v_mul_f32_e32 v80, v102, v71
	v_fma_f32 v98, v71, v102, -v80
	v_fmac_f32_e32 v98, v71, v64
	v_sub_f32_e32 v64, v81, v67
	v_add_f32_e32 v64, v66, v64
	v_add_f32_e32 v66, v80, v98
	v_sub_f32_e32 v81, v67, v66
	v_pk_add_f32 v[100:101], v[66:67], v[80:81] neg_lo:[0,1] neg_hi:[0,1]
	v_mov_b32_e32 v99, v66
	v_pk_add_f32 v[66:67], v[100:101], v[98:99] neg_lo:[0,1] neg_hi:[0,1]
	v_add_f32_e32 v64, v64, v67
	v_add_f32_e32 v64, v66, v64
	;; [unrolled: 1-line block ×4, first 2 shown]
	v_sub_f32_e32 v67, v66, v112
	v_mul_f32_e32 v64, v103, v64
	v_sub_f32_e32 v67, v71, v67
	v_add_f32_e32 v64, v67, v64
	v_add_f32_e32 v71, v66, v64
	v_mul_f32_e32 v81, v71, v71
	v_mov_b32_e32 v80, 0x3ecc95a3
	v_fmac_f32_e32 v80, 0x3e9b6dac, v81
	v_mov_b32_e32 v67, 0x3f2aaada
	v_fmac_f32_e32 v67, v81, v80
	v_cvt_f32_i32_e32 v80, v82
	v_sub_f32_e32 v66, v71, v66
	v_sub_f32_e32 v64, v64, v66
	v_mul_f32_e32 v81, v71, v81
	v_mov_b32_e32 v66, 0x3f317218
	s_mov_b32 s12, 0x3f317218
	v_pk_mul_f32 v[66:67], v[80:81], v[66:67]
	v_fma_f32 v98, v80, s12, -v66
	v_ldexp_f32 v99, v71, 1
	v_fmac_f32_e32 v98, 0xb102e308, v80
	v_pk_add_f32 v[80:81], v[66:67], v[98:99]
	v_sub_f32_e32 v71, v81, v99
	v_ldexp_f32 v64, v64, 1
	v_sub_f32_e32 v71, v67, v71
	v_add_f32_e32 v101, v64, v71
	v_mov_b32_e32 v100, v66
	v_pk_add_f32 v[66:67], v[80:81], v[66:67] neg_lo:[0,1] neg_hi:[0,1]
	v_pk_add_f32 v[102:103], v[80:81], v[100:101]
	v_mov_b32_e32 v67, v103
	v_mov_b32_e32 v99, v80
	v_pk_add_f32 v[112:113], v[98:99], v[66:67] neg_lo:[0,1] neg_hi:[0,1]
	v_pk_add_f32 v[66:67], v[98:99], v[66:67]
	v_mov_b32_e32 v64, v67
	v_pk_add_f32 v[98:99], v[64:65], v[80:81] neg_lo:[0,1] neg_hi:[0,1]
	v_mov_b32_e32 v71, v98
	v_pk_add_f32 v[114:115], v[102:103], v[70:71] neg_lo:[0,1] neg_hi:[0,1]
	v_mov_b32_e32 v66, v103
	v_mov_b32_e32 v102, v81
	;; [unrolled: 1-line block ×4, first 2 shown]
	v_pk_add_f32 v[66:67], v[66:67], v[102:103] neg_lo:[0,1] neg_hi:[0,1]
	v_mov_b32_e32 v98, v101
	v_mov_b32_e32 v99, v80
	v_pk_add_f32 v[66:67], v[98:99], v[66:67] neg_lo:[0,1] neg_hi:[0,1]
	v_mov_b32_e32 v114, v112
	v_pk_add_f32 v[80:81], v[114:115], v[66:67]
	v_mov_b32_e32 v82, v81
	v_pk_add_f32 v[98:99], v[80:81], v[82:83]
	v_pk_add_f32 v[100:101], v[64:65], v[98:99]
	v_mov_b32_e32 v81, v100
	v_pk_add_f32 v[102:103], v[80:81], v[112:113] neg_lo:[0,1] neg_hi:[0,1]
	v_mov_b32_e32 v67, v98
	v_sub_f32_e32 v64, v80, v102
	v_pk_add_f32 v[66:67], v[66:67], v[102:103] neg_lo:[0,1] neg_hi:[0,1]
	v_sub_f32_e32 v64, v112, v64
	s_mov_b32 s13, 0x7f800000
	v_add_f32_e32 v64, v66, v64
	s_mov_b32 s12, 0x33800000
	v_add_f32_e32 v64, v64, v67
	v_cmp_eq_f32_e32 vcc, s13, v116
	v_cmp_lt_f32_e64 s[12:13], |v116|, s12
	v_add_f32_e32 v64, v100, v64
	s_or_b64 vcc, vcc, s[12:13]
	v_cndmask_b32_e32 v64, v64, v116, vcc
	v_add_f32_e32 v64, v65, v64
	v_cvt_f16_f32_e32 v99, v64
	v_cvt_f32_f16_e32 v98, v99
	v_mov_b32_e32 v64, v99
.LBB381_242:
	s_or_b64 exec, exec, s[10:11]
	v_max_f32_e32 v65, v83, v83
	v_max_f32_e32 v67, v98, v98
	v_min_f32_e32 v66, v67, v65
	v_cmp_u_f16_e32 vcc, v99, v99
	v_max_f32_e32 v65, v67, v65
	v_cndmask_b32_e32 v66, v66, v98, vcc
	v_cndmask_b32_e32 v65, v65, v98, vcc
	v_cndmask_b32_e64 v66, v66, v83, s[46:47]
	v_cndmask_b32_e64 v65, v65, v83, s[46:47]
	s_movk_i32 s12, 0x1f8
	v_cmp_neq_f32_e32 vcc, v66, v65
	v_cmp_class_f32_e64 s[10:11], v66, s12
	s_or_b64 s[14:15], vcc, s[10:11]
	v_mov_b32_e32 v71, v64
	s_and_saveexec_b64 s[10:11], s[14:15]
	s_cbranch_execz .LBB381_244
; %bb.243:
	v_sub_f32_e32 v66, v66, v65
	s_mov_b32 s13, 0x3fb8aa3b
	v_mul_f32_e32 v67, 0x3fb8aa3b, v66
	v_fma_f32 v71, v66, s13, -v67
	v_rndne_f32_e32 v80, v67
	v_fmac_f32_e32 v71, 0x32a5705f, v66
	v_sub_f32_e32 v67, v67, v80
	v_add_f32_e32 v67, v67, v71
	v_exp_f32_e32 v67, v67
	v_cvt_i32_f32_e32 v71, v80
	s_mov_b32 s13, 0xc2ce8ed0
	v_cmp_ngt_f32_e32 vcc, s13, v66
	s_mov_b32 s13, 0x42b17218
	v_ldexp_f32 v67, v67, v71
	v_cndmask_b32_e32 v67, 0, v67, vcc
	v_mov_b32_e32 v71, 0x7f800000
	v_cmp_nlt_f32_e32 vcc, s13, v66
	v_cndmask_b32_e32 v116, v71, v67, vcc
	v_add_f32_e32 v71, 1.0, v116
	v_add_f32_e32 v66, -1.0, v71
	v_sub_f32_e32 v67, v66, v71
	v_add_f32_e32 v67, 1.0, v67
	v_sub_f32_e32 v66, v116, v66
	v_add_f32_e32 v80, v66, v67
	v_frexp_mant_f32_e32 v81, v71
	s_mov_b32 s13, 0x3f2aaaab
	v_cvt_f64_f32_e32 v[66:67], v71
	v_frexp_exp_i32_f64_e32 v66, v[66:67]
	v_cmp_gt_f32_e32 vcc, s13, v81
	v_subbrev_co_u32_e32 v100, vcc, 0, v66, vcc
	v_sub_u32_e32 v66, 0, v100
	v_ldexp_f32 v67, v71, v66
	v_add_f32_e32 v71, -1.0, v67
	v_add_f32_e32 v81, 1.0, v67
	v_ldexp_f32 v66, v80, v66
	v_add_f32_e32 v80, 1.0, v71
	v_add_f32_e32 v82, -1.0, v81
	v_sub_f32_e32 v80, v67, v80
	v_sub_f32_e32 v67, v67, v82
	v_add_f32_e32 v80, v66, v80
	v_add_f32_e32 v66, v66, v67
	;; [unrolled: 1-line block ×3, first 2 shown]
	v_rcp_f32_e32 v103, v101
	v_sub_f32_e32 v67, v81, v101
	v_add_f32_e32 v102, v66, v67
	v_add_f32_e32 v67, v71, v80
	v_sub_f32_e32 v66, v71, v67
	v_mul_f32_e32 v112, v67, v103
	v_add_f32_e32 v71, v80, v66
	v_mul_f32_e32 v80, v101, v112
	v_fma_f32 v82, v112, v101, -v80
	v_fmac_f32_e32 v82, v112, v102
	v_add_f32_e32 v66, v80, v82
	v_sub_f32_e32 v81, v67, v66
	v_pk_add_f32 v[98:99], v[66:67], v[80:81] neg_lo:[0,1] neg_hi:[0,1]
	v_mov_b32_e32 v83, v66
	v_pk_add_f32 v[66:67], v[98:99], v[82:83] neg_lo:[0,1] neg_hi:[0,1]
	v_add_f32_e32 v67, v71, v67
	v_add_f32_e32 v66, v66, v67
	;; [unrolled: 1-line block ×3, first 2 shown]
	v_mul_f32_e32 v71, v103, v67
	v_mul_f32_e32 v80, v101, v71
	v_fma_f32 v82, v71, v101, -v80
	v_fmac_f32_e32 v82, v71, v102
	v_sub_f32_e32 v81, v81, v67
	v_add_f32_e32 v101, v66, v81
	v_add_f32_e32 v66, v80, v82
	v_sub_f32_e32 v81, v67, v66
	v_pk_add_f32 v[98:99], v[66:67], v[80:81] neg_lo:[0,1] neg_hi:[0,1]
	v_mov_b32_e32 v83, v66
	v_pk_add_f32 v[66:67], v[98:99], v[82:83] neg_lo:[0,1] neg_hi:[0,1]
	v_add_f32_e32 v67, v101, v67
	v_add_f32_e32 v66, v66, v67
	;; [unrolled: 1-line block ×4, first 2 shown]
	v_sub_f32_e32 v67, v81, v112
	v_mul_f32_e32 v66, v103, v66
	v_sub_f32_e32 v67, v71, v67
	v_add_f32_e32 v66, v67, v66
	v_add_f32_e32 v71, v81, v66
	v_mul_f32_e32 v82, v71, v71
	v_mov_b32_e32 v80, 0x3ecc95a3
	v_fmac_f32_e32 v80, 0x3e9b6dac, v82
	v_mov_b32_e32 v67, 0x3f2aaada
	v_fmac_f32_e32 v67, v82, v80
	v_cvt_f32_i32_e32 v80, v100
	v_sub_f32_e32 v81, v71, v81
	v_sub_f32_e32 v66, v66, v81
	v_ldexp_f32 v98, v66, 1
	v_mul_f32_e32 v81, v71, v82
	v_mov_b32_e32 v66, 0x3f317218
	s_mov_b32 s13, 0x3f317218
	v_pk_mul_f32 v[66:67], v[80:81], v[66:67]
	v_fma_f32 v82, v80, s13, -v66
	v_ldexp_f32 v83, v71, 1
	v_fmac_f32_e32 v82, 0xb102e308, v80
	v_pk_add_f32 v[80:81], v[66:67], v[82:83]
	v_sub_f32_e32 v71, v81, v83
	v_sub_f32_e32 v71, v67, v71
	v_add_f32_e32 v99, v98, v71
	v_mov_b32_e32 v98, v66
	v_pk_add_f32 v[66:67], v[80:81], v[66:67] neg_lo:[0,1] neg_hi:[0,1]
	v_pk_add_f32 v[100:101], v[80:81], v[98:99]
	v_mov_b32_e32 v67, v101
	v_mov_b32_e32 v83, v80
	v_pk_add_f32 v[102:103], v[82:83], v[66:67] neg_lo:[0,1] neg_hi:[0,1]
	v_pk_add_f32 v[66:67], v[82:83], v[66:67]
	v_mov_b32_e32 v82, v67
	v_pk_add_f32 v[112:113], v[82:83], v[80:81] neg_lo:[0,1] neg_hi:[0,1]
	v_mov_b32_e32 v71, v112
	v_pk_add_f32 v[114:115], v[100:101], v[70:71] neg_lo:[0,1] neg_hi:[0,1]
	v_mov_b32_e32 v66, v101
	v_mov_b32_e32 v100, v81
	;; [unrolled: 1-line block ×4, first 2 shown]
	v_pk_add_f32 v[66:67], v[66:67], v[100:101] neg_lo:[0,1] neg_hi:[0,1]
	v_mov_b32_e32 v98, v99
	v_mov_b32_e32 v99, v80
	v_pk_add_f32 v[66:67], v[98:99], v[66:67] neg_lo:[0,1] neg_hi:[0,1]
	v_mov_b32_e32 v114, v102
	v_pk_add_f32 v[80:81], v[114:115], v[66:67]
	v_mov_b32_e32 v98, v81
	v_pk_add_f32 v[98:99], v[80:81], v[98:99]
	v_pk_add_f32 v[82:83], v[82:83], v[98:99]
	v_mov_b32_e32 v81, v82
	v_pk_add_f32 v[100:101], v[80:81], v[102:103] neg_lo:[0,1] neg_hi:[0,1]
	v_mov_b32_e32 v67, v98
	v_sub_f32_e32 v71, v80, v100
	v_pk_add_f32 v[66:67], v[66:67], v[100:101] neg_lo:[0,1] neg_hi:[0,1]
	v_sub_f32_e32 v71, v102, v71
	s_mov_b32 s14, 0x7f800000
	v_add_f32_e32 v66, v66, v71
	s_mov_b32 s13, 0x33800000
	v_add_f32_e32 v66, v66, v67
	v_cmp_eq_f32_e32 vcc, s14, v116
	v_cmp_lt_f32_e64 s[14:15], |v116|, s13
	v_add_f32_e32 v66, v82, v66
	s_or_b64 vcc, vcc, s[14:15]
	v_cndmask_b32_e32 v66, v66, v116, vcc
	v_add_f32_e32 v65, v65, v66
	v_cvt_f16_f32_e32 v99, v65
	v_cvt_f32_f16_e32 v98, v99
	v_mov_b32_e32 v71, v99
.LBB381_244:
	s_or_b64 exec, exec, s[10:11]
	v_max_f32_e32 v65, v84, v84
	v_max_f32_e32 v66, v98, v98
	v_min_f32_e32 v67, v66, v65
	v_cmp_u_f16_e32 vcc, v99, v99
	v_max_f32_e32 v65, v66, v65
	v_cndmask_b32_e32 v67, v67, v98, vcc
	v_cndmask_b32_e32 v65, v65, v98, vcc
	v_cndmask_b32_e64 v67, v67, v84, s[48:49]
	v_cndmask_b32_e64 v66, v65, v84, s[48:49]
	v_cmp_neq_f32_e32 vcc, v67, v66
	v_cmp_class_f32_e64 s[10:11], v67, s12
	s_or_b64 s[12:13], vcc, s[10:11]
	v_mov_b32_e32 v65, v71
	s_and_saveexec_b64 s[10:11], s[12:13]
	s_cbranch_execz .LBB381_246
; %bb.245:
	v_sub_f32_e32 v65, v67, v66
	s_mov_b32 s12, 0x3fb8aa3b
	v_mul_f32_e32 v67, 0x3fb8aa3b, v65
	v_fma_f32 v80, v65, s12, -v67
	v_rndne_f32_e32 v81, v67
	v_fmac_f32_e32 v80, 0x32a5705f, v65
	v_sub_f32_e32 v67, v67, v81
	v_add_f32_e32 v67, v67, v80
	v_exp_f32_e32 v67, v67
	v_cvt_i32_f32_e32 v80, v81
	s_mov_b32 s12, 0xc2ce8ed0
	v_cmp_ngt_f32_e32 vcc, s12, v65
	s_mov_b32 s12, 0x42b17218
	v_ldexp_f32 v67, v67, v80
	v_cndmask_b32_e32 v67, 0, v67, vcc
	v_mov_b32_e32 v80, 0x7f800000
	v_cmp_nlt_f32_e32 vcc, s12, v65
	v_cndmask_b32_e32 v67, v80, v67, vcc
	v_add_f32_e32 v65, 1.0, v67
	v_add_f32_e32 v80, -1.0, v65
	v_sub_f32_e32 v81, v80, v65
	v_add_f32_e32 v81, 1.0, v81
	v_sub_f32_e32 v80, v67, v80
	v_add_f32_e32 v82, v80, v81
	v_frexp_mant_f32_e32 v83, v65
	s_mov_b32 s12, 0x3f2aaaab
	v_cvt_f64_f32_e32 v[80:81], v65
	v_frexp_exp_i32_f64_e32 v80, v[80:81]
	v_cmp_gt_f32_e32 vcc, s12, v83
	v_subbrev_co_u32_e32 v84, vcc, 0, v80, vcc
	v_sub_u32_e32 v80, 0, v84
	v_ldexp_f32 v65, v65, v80
	v_ldexp_f32 v80, v82, v80
	v_add_f32_e32 v82, -1.0, v65
	v_add_f32_e32 v81, 1.0, v82
	v_sub_f32_e32 v81, v65, v81
	v_add_f32_e32 v83, v80, v81
	v_add_f32_e32 v81, 1.0, v65
	v_add_f32_e32 v98, -1.0, v81
	v_sub_f32_e32 v65, v65, v98
	v_add_f32_e32 v65, v80, v65
	v_add_f32_e32 v102, v81, v65
	v_rcp_f32_e32 v103, v102
	v_sub_f32_e32 v80, v81, v102
	v_add_f32_e32 v81, v82, v83
	v_add_f32_e32 v65, v65, v80
	v_mul_f32_e32 v113, v81, v103
	v_sub_f32_e32 v80, v82, v81
	v_mul_f32_e32 v82, v102, v113
	v_fma_f32 v98, v113, v102, -v82
	v_fmac_f32_e32 v98, v113, v65
	v_add_f32_e32 v112, v83, v80
	v_add_f32_e32 v80, v82, v98
	v_sub_f32_e32 v83, v81, v80
	v_pk_add_f32 v[100:101], v[80:81], v[82:83] neg_lo:[0,1] neg_hi:[0,1]
	v_mov_b32_e32 v99, v80
	v_pk_add_f32 v[80:81], v[100:101], v[98:99] neg_lo:[0,1] neg_hi:[0,1]
	v_add_f32_e32 v81, v112, v81
	v_add_f32_e32 v80, v80, v81
	;; [unrolled: 1-line block ×3, first 2 shown]
	v_mul_f32_e32 v112, v103, v81
	v_mul_f32_e32 v82, v102, v112
	v_fma_f32 v98, v112, v102, -v82
	v_fmac_f32_e32 v98, v112, v65
	v_sub_f32_e32 v65, v83, v81
	v_add_f32_e32 v65, v80, v65
	v_add_f32_e32 v80, v82, v98
	v_sub_f32_e32 v83, v81, v80
	v_pk_add_f32 v[100:101], v[80:81], v[82:83] neg_lo:[0,1] neg_hi:[0,1]
	v_mov_b32_e32 v99, v80
	v_pk_add_f32 v[80:81], v[100:101], v[98:99] neg_lo:[0,1] neg_hi:[0,1]
	v_add_f32_e32 v65, v65, v81
	v_add_f32_e32 v65, v80, v65
	;; [unrolled: 1-line block ×4, first 2 shown]
	v_sub_f32_e32 v81, v80, v113
	v_mul_f32_e32 v65, v103, v65
	v_sub_f32_e32 v81, v112, v81
	v_add_f32_e32 v65, v81, v65
	v_add_f32_e32 v83, v80, v65
	v_mul_f32_e32 v98, v83, v83
	v_mov_b32_e32 v82, 0x3ecc95a3
	v_fmac_f32_e32 v82, 0x3e9b6dac, v98
	v_mov_b32_e32 v81, 0x3f2aaada
	v_fmac_f32_e32 v81, v98, v82
	v_cvt_f32_i32_e32 v82, v84
	v_sub_f32_e32 v80, v83, v80
	v_sub_f32_e32 v65, v65, v80
	v_ldexp_f32 v99, v83, 1
	v_mul_f32_e32 v83, v83, v98
	v_mov_b32_e32 v80, 0x3f317218
	s_mov_b32 s12, 0x3f317218
	v_pk_mul_f32 v[80:81], v[82:83], v[80:81]
	v_fma_f32 v98, v82, s12, -v80
	v_fmac_f32_e32 v98, 0xb102e308, v82
	v_pk_add_f32 v[82:83], v[80:81], v[98:99]
	v_sub_f32_e32 v84, v83, v99
	v_ldexp_f32 v65, v65, 1
	v_sub_f32_e32 v84, v81, v84
	v_add_f32_e32 v101, v65, v84
	v_mov_b32_e32 v100, v80
	v_pk_add_f32 v[80:81], v[82:83], v[80:81] neg_lo:[0,1] neg_hi:[0,1]
	v_pk_add_f32 v[102:103], v[82:83], v[100:101]
	v_mov_b32_e32 v81, v103
	v_mov_b32_e32 v99, v82
	v_pk_add_f32 v[112:113], v[98:99], v[80:81] neg_lo:[0,1] neg_hi:[0,1]
	v_pk_add_f32 v[80:81], v[98:99], v[80:81]
	v_mov_b32_e32 v84, v81
	v_pk_add_f32 v[98:99], v[84:85], v[82:83] neg_lo:[0,1] neg_hi:[0,1]
	v_mov_b32_e32 v65, v98
	v_pk_add_f32 v[114:115], v[102:103], v[64:65] neg_lo:[0,1] neg_hi:[0,1]
	v_mov_b32_e32 v80, v103
	v_mov_b32_e32 v102, v83
	;; [unrolled: 1-line block ×4, first 2 shown]
	v_pk_add_f32 v[80:81], v[80:81], v[102:103] neg_lo:[0,1] neg_hi:[0,1]
	v_mov_b32_e32 v98, v101
	v_mov_b32_e32 v99, v82
	v_pk_add_f32 v[80:81], v[98:99], v[80:81] neg_lo:[0,1] neg_hi:[0,1]
	v_mov_b32_e32 v114, v112
	v_pk_add_f32 v[82:83], v[114:115], v[80:81]
	v_mov_b32_e32 v98, v83
	v_pk_add_f32 v[98:99], v[82:83], v[98:99]
	v_pk_add_f32 v[100:101], v[84:85], v[98:99]
	v_mov_b32_e32 v83, v100
	v_pk_add_f32 v[102:103], v[82:83], v[112:113] neg_lo:[0,1] neg_hi:[0,1]
	v_mov_b32_e32 v81, v98
	v_sub_f32_e32 v65, v82, v102
	v_pk_add_f32 v[80:81], v[80:81], v[102:103] neg_lo:[0,1] neg_hi:[0,1]
	v_sub_f32_e32 v65, v112, v65
	s_mov_b32 s13, 0x7f800000
	v_add_f32_e32 v65, v80, v65
	s_mov_b32 s12, 0x33800000
	v_add_f32_e32 v65, v65, v81
	v_cmp_eq_f32_e32 vcc, s13, v67
	v_cmp_lt_f32_e64 s[12:13], |v67|, s12
	v_add_f32_e32 v65, v100, v65
	s_or_b64 vcc, vcc, s[12:13]
	v_cndmask_b32_e32 v65, v65, v67, vcc
	v_add_f32_e32 v65, v66, v65
	v_cvt_f16_f32_e32 v99, v65
	v_cvt_f32_f16_e32 v98, v99
	v_mov_b32_e32 v65, v99
.LBB381_246:
	s_or_b64 exec, exec, s[10:11]
	v_max_f32_e32 v66, v85, v85
	v_max_f32_e32 v80, v98, v98
	v_min_f32_e32 v67, v80, v66
	v_cmp_u_f16_e32 vcc, v99, v99
	v_max_f32_e32 v66, v80, v66
	v_cndmask_b32_e32 v67, v67, v98, vcc
	v_cndmask_b32_e32 v66, v66, v98, vcc
	v_cndmask_b32_e64 v67, v67, v85, s[50:51]
	v_cndmask_b32_e64 v66, v66, v85, s[50:51]
	s_movk_i32 s12, 0x1f8
	v_cmp_neq_f32_e32 vcc, v67, v66
	v_cmp_class_f32_e64 s[10:11], v67, s12
	s_or_b64 s[14:15], vcc, s[10:11]
	v_mov_b32_e32 v80, v65
	s_and_saveexec_b64 s[10:11], s[14:15]
	s_cbranch_execz .LBB381_248
; %bb.247:
	v_sub_f32_e32 v67, v67, v66
	s_mov_b32 s13, 0x3fb8aa3b
	v_mul_f32_e32 v80, 0x3fb8aa3b, v67
	v_fma_f32 v81, v67, s13, -v80
	v_rndne_f32_e32 v82, v80
	v_fmac_f32_e32 v81, 0x32a5705f, v67
	v_sub_f32_e32 v80, v80, v82
	v_add_f32_e32 v80, v80, v81
	v_exp_f32_e32 v80, v80
	v_cvt_i32_f32_e32 v81, v82
	s_mov_b32 s13, 0xc2ce8ed0
	v_cmp_ngt_f32_e32 vcc, s13, v67
	s_mov_b32 s13, 0x42b17218
	v_ldexp_f32 v80, v80, v81
	v_cndmask_b32_e32 v80, 0, v80, vcc
	v_mov_b32_e32 v81, 0x7f800000
	v_cmp_nlt_f32_e32 vcc, s13, v67
	v_cndmask_b32_e32 v116, v81, v80, vcc
	v_add_f32_e32 v67, 1.0, v116
	v_add_f32_e32 v80, -1.0, v67
	v_sub_f32_e32 v81, v80, v67
	v_add_f32_e32 v81, 1.0, v81
	v_sub_f32_e32 v80, v116, v80
	v_add_f32_e32 v82, v80, v81
	v_frexp_mant_f32_e32 v83, v67
	s_mov_b32 s13, 0x3f2aaaab
	v_cvt_f64_f32_e32 v[80:81], v67
	v_frexp_exp_i32_f64_e32 v80, v[80:81]
	v_cmp_gt_f32_e32 vcc, s13, v83
	v_subbrev_co_u32_e32 v100, vcc, 0, v80, vcc
	v_sub_u32_e32 v80, 0, v100
	v_ldexp_f32 v67, v67, v80
	v_ldexp_f32 v80, v82, v80
	v_add_f32_e32 v82, -1.0, v67
	v_add_f32_e32 v81, 1.0, v82
	v_sub_f32_e32 v81, v67, v81
	v_add_f32_e32 v83, v80, v81
	v_add_f32_e32 v81, 1.0, v67
	v_add_f32_e32 v84, -1.0, v81
	v_sub_f32_e32 v67, v67, v84
	v_add_f32_e32 v67, v80, v67
	v_add_f32_e32 v101, v81, v67
	v_rcp_f32_e32 v102, v101
	v_sub_f32_e32 v80, v81, v101
	v_add_f32_e32 v81, v82, v83
	v_add_f32_e32 v67, v67, v80
	v_mul_f32_e32 v112, v81, v102
	v_sub_f32_e32 v80, v82, v81
	v_mul_f32_e32 v82, v101, v112
	v_fma_f32 v84, v112, v101, -v82
	v_fmac_f32_e32 v84, v112, v67
	v_add_f32_e32 v103, v83, v80
	v_add_f32_e32 v80, v82, v84
	v_sub_f32_e32 v83, v81, v80
	v_pk_add_f32 v[98:99], v[80:81], v[82:83] neg_lo:[0,1] neg_hi:[0,1]
	v_mov_b32_e32 v85, v80
	v_pk_add_f32 v[80:81], v[98:99], v[84:85] neg_lo:[0,1] neg_hi:[0,1]
	v_add_f32_e32 v81, v103, v81
	v_add_f32_e32 v80, v80, v81
	;; [unrolled: 1-line block ×3, first 2 shown]
	v_mul_f32_e32 v103, v102, v81
	v_mul_f32_e32 v82, v101, v103
	v_fma_f32 v84, v103, v101, -v82
	v_fmac_f32_e32 v84, v103, v67
	v_sub_f32_e32 v67, v83, v81
	v_add_f32_e32 v67, v80, v67
	v_add_f32_e32 v80, v82, v84
	v_sub_f32_e32 v83, v81, v80
	v_pk_add_f32 v[98:99], v[80:81], v[82:83] neg_lo:[0,1] neg_hi:[0,1]
	v_mov_b32_e32 v85, v80
	v_pk_add_f32 v[80:81], v[98:99], v[84:85] neg_lo:[0,1] neg_hi:[0,1]
	v_add_f32_e32 v67, v67, v81
	v_add_f32_e32 v67, v80, v67
	;; [unrolled: 1-line block ×4, first 2 shown]
	v_sub_f32_e32 v81, v80, v112
	v_mul_f32_e32 v67, v102, v67
	v_sub_f32_e32 v81, v103, v81
	v_add_f32_e32 v67, v81, v67
	v_add_f32_e32 v83, v80, v67
	v_mul_f32_e32 v84, v83, v83
	v_mov_b32_e32 v82, 0x3ecc95a3
	v_fmac_f32_e32 v82, 0x3e9b6dac, v84
	v_mov_b32_e32 v81, 0x3f2aaada
	v_fmac_f32_e32 v81, v84, v82
	v_cvt_f32_i32_e32 v82, v100
	v_sub_f32_e32 v80, v83, v80
	v_sub_f32_e32 v67, v67, v80
	v_ldexp_f32 v85, v83, 1
	v_mul_f32_e32 v83, v83, v84
	v_mov_b32_e32 v80, 0x3f317218
	s_mov_b32 s13, 0x3f317218
	v_pk_mul_f32 v[80:81], v[82:83], v[80:81]
	v_fma_f32 v84, v82, s13, -v80
	v_fmac_f32_e32 v84, 0xb102e308, v82
	v_pk_add_f32 v[82:83], v[80:81], v[84:85]
	v_sub_f32_e32 v85, v83, v85
	v_ldexp_f32 v67, v67, 1
	v_sub_f32_e32 v85, v81, v85
	v_add_f32_e32 v99, v67, v85
	v_mov_b32_e32 v98, v80
	v_pk_add_f32 v[80:81], v[82:83], v[80:81] neg_lo:[0,1] neg_hi:[0,1]
	v_pk_add_f32 v[100:101], v[82:83], v[98:99]
	v_mov_b32_e32 v81, v101
	v_mov_b32_e32 v85, v82
	v_pk_add_f32 v[102:103], v[84:85], v[80:81] neg_lo:[0,1] neg_hi:[0,1]
	v_pk_add_f32 v[80:81], v[84:85], v[80:81]
	v_mov_b32_e32 v84, v81
	v_pk_add_f32 v[112:113], v[84:85], v[82:83] neg_lo:[0,1] neg_hi:[0,1]
	v_mov_b32_e32 v67, v112
	v_pk_add_f32 v[114:115], v[100:101], v[66:67] neg_lo:[0,1] neg_hi:[0,1]
	v_mov_b32_e32 v80, v101
	v_mov_b32_e32 v100, v83
	;; [unrolled: 1-line block ×4, first 2 shown]
	v_pk_add_f32 v[80:81], v[80:81], v[100:101] neg_lo:[0,1] neg_hi:[0,1]
	v_mov_b32_e32 v98, v99
	v_mov_b32_e32 v99, v82
	v_pk_add_f32 v[80:81], v[98:99], v[80:81] neg_lo:[0,1] neg_hi:[0,1]
	v_mov_b32_e32 v114, v102
	v_pk_add_f32 v[82:83], v[114:115], v[80:81]
	v_mov_b32_e32 v98, v83
	v_pk_add_f32 v[98:99], v[82:83], v[98:99]
	v_pk_add_f32 v[84:85], v[84:85], v[98:99]
	v_mov_b32_e32 v83, v84
	v_pk_add_f32 v[100:101], v[82:83], v[102:103] neg_lo:[0,1] neg_hi:[0,1]
	v_mov_b32_e32 v81, v98
	v_sub_f32_e32 v67, v82, v100
	v_pk_add_f32 v[80:81], v[80:81], v[100:101] neg_lo:[0,1] neg_hi:[0,1]
	v_sub_f32_e32 v67, v102, v67
	s_mov_b32 s14, 0x7f800000
	v_add_f32_e32 v67, v80, v67
	s_mov_b32 s13, 0x33800000
	v_add_f32_e32 v67, v67, v81
	v_cmp_eq_f32_e32 vcc, s14, v116
	v_cmp_lt_f32_e64 s[14:15], |v116|, s13
	v_add_f32_e32 v67, v84, v67
	s_or_b64 vcc, vcc, s[14:15]
	v_cndmask_b32_e32 v67, v67, v116, vcc
	v_add_f32_e32 v66, v66, v67
	v_cvt_f16_f32_e32 v99, v66
	v_cvt_f32_f16_e32 v98, v99
	v_mov_b32_e32 v80, v99
.LBB381_248:
	s_or_b64 exec, exec, s[10:11]
	v_max_f32_e32 v66, v86, v86
	v_max_f32_e32 v67, v98, v98
	v_min_f32_e32 v81, v67, v66
	v_cmp_u_f16_e32 vcc, v99, v99
	v_max_f32_e32 v66, v67, v66
	v_cndmask_b32_e32 v81, v81, v98, vcc
	v_cndmask_b32_e32 v66, v66, v98, vcc
	v_cndmask_b32_e64 v81, v81, v86, s[52:53]
	v_cndmask_b32_e64 v67, v66, v86, s[52:53]
	v_cmp_neq_f32_e32 vcc, v81, v67
	v_cmp_class_f32_e64 s[10:11], v81, s12
	s_or_b64 s[12:13], vcc, s[10:11]
	v_mov_b32_e32 v66, v80
	s_and_saveexec_b64 s[10:11], s[12:13]
	s_cbranch_execz .LBB381_250
; %bb.249:
	v_sub_f32_e32 v66, v81, v67
	s_mov_b32 s12, 0x3fb8aa3b
	v_mul_f32_e32 v81, 0x3fb8aa3b, v66
	v_fma_f32 v82, v66, s12, -v81
	v_rndne_f32_e32 v83, v81
	v_fmac_f32_e32 v82, 0x32a5705f, v66
	v_sub_f32_e32 v81, v81, v83
	v_add_f32_e32 v81, v81, v82
	v_exp_f32_e32 v81, v81
	v_cvt_i32_f32_e32 v82, v83
	s_mov_b32 s12, 0xc2ce8ed0
	v_cmp_ngt_f32_e32 vcc, s12, v66
	s_mov_b32 s12, 0x42b17218
	v_ldexp_f32 v81, v81, v82
	v_cndmask_b32_e32 v81, 0, v81, vcc
	v_mov_b32_e32 v82, 0x7f800000
	v_cmp_nlt_f32_e32 vcc, s12, v66
	v_cndmask_b32_e32 v116, v82, v81, vcc
	v_add_f32_e32 v66, 1.0, v116
	v_add_f32_e32 v81, -1.0, v66
	v_sub_f32_e32 v82, v81, v66
	v_add_f32_e32 v82, 1.0, v82
	v_sub_f32_e32 v81, v116, v81
	v_add_f32_e32 v81, v81, v82
	v_frexp_mant_f32_e32 v84, v66
	s_mov_b32 s12, 0x3f2aaaab
	v_cvt_f64_f32_e32 v[82:83], v66
	v_frexp_exp_i32_f64_e32 v82, v[82:83]
	v_cmp_gt_f32_e32 vcc, s12, v84
	v_subbrev_co_u32_e32 v86, vcc, 0, v82, vcc
	v_sub_u32_e32 v82, 0, v86
	v_ldexp_f32 v66, v66, v82
	v_ldexp_f32 v81, v81, v82
	v_add_f32_e32 v82, -1.0, v66
	v_add_f32_e32 v83, 1.0, v82
	v_sub_f32_e32 v83, v66, v83
	v_add_f32_e32 v84, v81, v83
	v_add_f32_e32 v83, 1.0, v66
	v_add_f32_e32 v85, -1.0, v83
	v_sub_f32_e32 v66, v66, v85
	v_add_f32_e32 v66, v81, v66
	v_add_f32_e32 v81, v83, v66
	v_rcp_f32_e32 v102, v81
	v_sub_f32_e32 v83, v83, v81
	v_add_f32_e32 v66, v66, v83
	v_add_f32_e32 v83, v82, v84
	v_sub_f32_e32 v82, v82, v83
	v_mul_f32_e32 v112, v83, v102
	v_add_f32_e32 v103, v84, v82
	v_mul_f32_e32 v84, v81, v112
	v_fma_f32 v98, v112, v81, -v84
	v_fmac_f32_e32 v98, v112, v66
	v_add_f32_e32 v82, v84, v98
	v_sub_f32_e32 v85, v83, v82
	v_pk_add_f32 v[100:101], v[82:83], v[84:85] neg_lo:[0,1] neg_hi:[0,1]
	v_mov_b32_e32 v99, v82
	v_pk_add_f32 v[82:83], v[100:101], v[98:99] neg_lo:[0,1] neg_hi:[0,1]
	v_add_f32_e32 v83, v103, v83
	v_add_f32_e32 v82, v82, v83
	;; [unrolled: 1-line block ×3, first 2 shown]
	v_mul_f32_e32 v103, v102, v83
	v_mul_f32_e32 v84, v81, v103
	v_fma_f32 v98, v103, v81, -v84
	v_fmac_f32_e32 v98, v103, v66
	v_sub_f32_e32 v66, v85, v83
	v_add_f32_e32 v66, v82, v66
	v_add_f32_e32 v82, v84, v98
	v_sub_f32_e32 v85, v83, v82
	v_pk_add_f32 v[100:101], v[82:83], v[84:85] neg_lo:[0,1] neg_hi:[0,1]
	v_mov_b32_e32 v99, v82
	v_pk_add_f32 v[82:83], v[100:101], v[98:99] neg_lo:[0,1] neg_hi:[0,1]
	v_add_f32_e32 v66, v66, v83
	v_add_f32_e32 v66, v82, v66
	;; [unrolled: 1-line block ×4, first 2 shown]
	v_sub_f32_e32 v82, v81, v112
	v_mul_f32_e32 v66, v102, v66
	v_sub_f32_e32 v82, v103, v82
	v_add_f32_e32 v66, v82, v66
	v_add_f32_e32 v82, v81, v66
	v_mul_f32_e32 v85, v82, v82
	v_mov_b32_e32 v84, 0x3ecc95a3
	v_fmac_f32_e32 v84, 0x3e9b6dac, v85
	v_mov_b32_e32 v83, 0x3f2aaada
	v_fmac_f32_e32 v83, v85, v84
	v_cvt_f32_i32_e32 v84, v86
	v_sub_f32_e32 v81, v82, v81
	v_ldexp_f32 v99, v82, 1
	v_mul_f32_e32 v85, v82, v85
	v_mov_b32_e32 v82, 0x3f317218
	s_mov_b32 s12, 0x3f317218
	v_pk_mul_f32 v[82:83], v[84:85], v[82:83]
	v_fma_f32 v98, v84, s12, -v82
	v_fmac_f32_e32 v98, 0xb102e308, v84
	v_pk_add_f32 v[84:85], v[82:83], v[98:99]
	v_sub_f32_e32 v66, v66, v81
	v_sub_f32_e32 v81, v85, v99
	v_ldexp_f32 v66, v66, 1
	v_sub_f32_e32 v81, v83, v81
	v_add_f32_e32 v101, v66, v81
	v_mov_b32_e32 v100, v82
	v_pk_add_f32 v[82:83], v[84:85], v[82:83] neg_lo:[0,1] neg_hi:[0,1]
	v_pk_add_f32 v[102:103], v[84:85], v[100:101]
	v_mov_b32_e32 v83, v103
	v_mov_b32_e32 v99, v84
	v_pk_add_f32 v[112:113], v[98:99], v[82:83] neg_lo:[0,1] neg_hi:[0,1]
	v_pk_add_f32 v[82:83], v[98:99], v[82:83]
	v_mov_b32_e32 v66, v83
	v_pk_add_f32 v[98:99], v[66:67], v[84:85] neg_lo:[0,1] neg_hi:[0,1]
	v_mov_b32_e32 v81, v98
	v_pk_add_f32 v[114:115], v[102:103], v[80:81] neg_lo:[0,1] neg_hi:[0,1]
	v_mov_b32_e32 v82, v103
	v_mov_b32_e32 v102, v85
	;; [unrolled: 1-line block ×4, first 2 shown]
	v_pk_add_f32 v[82:83], v[82:83], v[102:103] neg_lo:[0,1] neg_hi:[0,1]
	v_mov_b32_e32 v98, v101
	v_mov_b32_e32 v99, v84
	v_pk_add_f32 v[82:83], v[98:99], v[82:83] neg_lo:[0,1] neg_hi:[0,1]
	v_mov_b32_e32 v114, v112
	v_pk_add_f32 v[84:85], v[114:115], v[82:83]
	v_mov_b32_e32 v86, v85
	v_pk_add_f32 v[98:99], v[84:85], v[86:87]
	v_pk_add_f32 v[100:101], v[66:67], v[98:99]
	v_mov_b32_e32 v85, v100
	v_pk_add_f32 v[102:103], v[84:85], v[112:113] neg_lo:[0,1] neg_hi:[0,1]
	v_mov_b32_e32 v83, v98
	v_sub_f32_e32 v66, v84, v102
	v_pk_add_f32 v[82:83], v[82:83], v[102:103] neg_lo:[0,1] neg_hi:[0,1]
	v_sub_f32_e32 v66, v112, v66
	s_mov_b32 s13, 0x7f800000
	v_add_f32_e32 v66, v82, v66
	s_mov_b32 s12, 0x33800000
	v_add_f32_e32 v66, v66, v83
	v_cmp_eq_f32_e32 vcc, s13, v116
	v_cmp_lt_f32_e64 s[12:13], |v116|, s12
	v_add_f32_e32 v66, v100, v66
	s_or_b64 vcc, vcc, s[12:13]
	v_cndmask_b32_e32 v66, v66, v116, vcc
	v_add_f32_e32 v66, v67, v66
	v_cvt_f16_f32_e32 v99, v66
	v_cvt_f32_f16_e32 v98, v99
	v_mov_b32_e32 v66, v99
.LBB381_250:
	s_or_b64 exec, exec, s[10:11]
	v_max_f32_e32 v67, v87, v87
	v_max_f32_e32 v81, v98, v98
	v_min_f32_e32 v82, v81, v67
	v_cmp_u_f16_e32 vcc, v99, v99
	v_max_f32_e32 v67, v81, v67
	v_cndmask_b32_e32 v82, v82, v98, vcc
	v_cndmask_b32_e32 v67, v67, v98, vcc
	v_cndmask_b32_e64 v82, v82, v87, s[54:55]
	v_cndmask_b32_e64 v67, v67, v87, s[54:55]
	s_movk_i32 s12, 0x1f8
	v_cmp_neq_f32_e32 vcc, v82, v67
	v_cmp_class_f32_e64 s[10:11], v82, s12
	s_or_b64 s[14:15], vcc, s[10:11]
	v_mov_b32_e32 v81, v66
	s_and_saveexec_b64 s[10:11], s[14:15]
	s_cbranch_execz .LBB381_252
; %bb.251:
	v_sub_f32_e32 v81, v82, v67
	s_mov_b32 s13, 0x3fb8aa3b
	v_mul_f32_e32 v82, 0x3fb8aa3b, v81
	v_fma_f32 v83, v81, s13, -v82
	v_rndne_f32_e32 v84, v82
	v_fmac_f32_e32 v83, 0x32a5705f, v81
	v_sub_f32_e32 v82, v82, v84
	v_add_f32_e32 v82, v82, v83
	v_exp_f32_e32 v82, v82
	v_cvt_i32_f32_e32 v83, v84
	s_mov_b32 s13, 0xc2ce8ed0
	v_cmp_ngt_f32_e32 vcc, s13, v81
	s_mov_b32 s13, 0x42b17218
	v_ldexp_f32 v82, v82, v83
	v_cndmask_b32_e32 v82, 0, v82, vcc
	v_mov_b32_e32 v83, 0x7f800000
	v_cmp_nlt_f32_e32 vcc, s13, v81
	v_cndmask_b32_e32 v116, v83, v82, vcc
	v_add_f32_e32 v81, 1.0, v116
	v_add_f32_e32 v82, -1.0, v81
	v_sub_f32_e32 v83, v82, v81
	v_add_f32_e32 v83, 1.0, v83
	v_sub_f32_e32 v82, v116, v82
	v_add_f32_e32 v84, v82, v83
	v_frexp_mant_f32_e32 v85, v81
	s_mov_b32 s13, 0x3f2aaaab
	v_cvt_f64_f32_e32 v[82:83], v81
	v_frexp_exp_i32_f64_e32 v82, v[82:83]
	v_cmp_gt_f32_e32 vcc, s13, v85
	v_subbrev_co_u32_e32 v100, vcc, 0, v82, vcc
	v_sub_u32_e32 v82, 0, v100
	v_ldexp_f32 v81, v81, v82
	v_ldexp_f32 v82, v84, v82
	v_add_f32_e32 v84, -1.0, v81
	v_add_f32_e32 v83, 1.0, v84
	v_sub_f32_e32 v83, v81, v83
	v_add_f32_e32 v85, v82, v83
	v_add_f32_e32 v83, 1.0, v81
	v_add_f32_e32 v86, -1.0, v83
	v_sub_f32_e32 v81, v81, v86
	v_add_f32_e32 v81, v82, v81
	v_add_f32_e32 v101, v83, v81
	v_rcp_f32_e32 v102, v101
	v_sub_f32_e32 v82, v83, v101
	v_add_f32_e32 v83, v84, v85
	v_add_f32_e32 v81, v81, v82
	v_mul_f32_e32 v112, v83, v102
	v_sub_f32_e32 v82, v84, v83
	v_mul_f32_e32 v84, v101, v112
	v_fma_f32 v86, v112, v101, -v84
	v_fmac_f32_e32 v86, v112, v81
	v_add_f32_e32 v103, v85, v82
	v_add_f32_e32 v82, v84, v86
	v_sub_f32_e32 v85, v83, v82
	v_pk_add_f32 v[98:99], v[82:83], v[84:85] neg_lo:[0,1] neg_hi:[0,1]
	v_mov_b32_e32 v87, v82
	v_pk_add_f32 v[82:83], v[98:99], v[86:87] neg_lo:[0,1] neg_hi:[0,1]
	v_add_f32_e32 v83, v103, v83
	v_add_f32_e32 v82, v82, v83
	;; [unrolled: 1-line block ×3, first 2 shown]
	v_mul_f32_e32 v103, v102, v83
	v_mul_f32_e32 v84, v101, v103
	v_fma_f32 v86, v103, v101, -v84
	v_fmac_f32_e32 v86, v103, v81
	v_sub_f32_e32 v81, v85, v83
	v_add_f32_e32 v81, v82, v81
	v_add_f32_e32 v82, v84, v86
	v_sub_f32_e32 v85, v83, v82
	v_pk_add_f32 v[98:99], v[82:83], v[84:85] neg_lo:[0,1] neg_hi:[0,1]
	v_mov_b32_e32 v87, v82
	v_pk_add_f32 v[82:83], v[98:99], v[86:87] neg_lo:[0,1] neg_hi:[0,1]
	v_add_f32_e32 v81, v81, v83
	v_add_f32_e32 v81, v82, v81
	;; [unrolled: 1-line block ×4, first 2 shown]
	v_sub_f32_e32 v83, v82, v112
	v_mul_f32_e32 v81, v102, v81
	v_sub_f32_e32 v83, v103, v83
	v_add_f32_e32 v81, v83, v81
	v_add_f32_e32 v85, v82, v81
	v_mul_f32_e32 v86, v85, v85
	v_mov_b32_e32 v84, 0x3ecc95a3
	v_fmac_f32_e32 v84, 0x3e9b6dac, v86
	v_mov_b32_e32 v83, 0x3f2aaada
	v_fmac_f32_e32 v83, v86, v84
	v_cvt_f32_i32_e32 v84, v100
	v_sub_f32_e32 v82, v85, v82
	v_sub_f32_e32 v81, v81, v82
	v_ldexp_f32 v87, v85, 1
	v_mul_f32_e32 v85, v85, v86
	v_mov_b32_e32 v82, 0x3f317218
	s_mov_b32 s13, 0x3f317218
	v_pk_mul_f32 v[82:83], v[84:85], v[82:83]
	v_fma_f32 v86, v84, s13, -v82
	v_fmac_f32_e32 v86, 0xb102e308, v84
	v_pk_add_f32 v[84:85], v[82:83], v[86:87]
	v_sub_f32_e32 v87, v85, v87
	v_ldexp_f32 v81, v81, 1
	v_sub_f32_e32 v87, v83, v87
	v_add_f32_e32 v99, v81, v87
	v_mov_b32_e32 v98, v82
	v_pk_add_f32 v[82:83], v[84:85], v[82:83] neg_lo:[0,1] neg_hi:[0,1]
	v_pk_add_f32 v[100:101], v[84:85], v[98:99]
	v_mov_b32_e32 v83, v101
	v_mov_b32_e32 v87, v84
	v_pk_add_f32 v[102:103], v[86:87], v[82:83] neg_lo:[0,1] neg_hi:[0,1]
	v_pk_add_f32 v[82:83], v[86:87], v[82:83]
	v_mov_b32_e32 v86, v83
	v_pk_add_f32 v[112:113], v[86:87], v[84:85] neg_lo:[0,1] neg_hi:[0,1]
	v_mov_b32_e32 v81, v112
	v_pk_add_f32 v[114:115], v[100:101], v[80:81] neg_lo:[0,1] neg_hi:[0,1]
	v_mov_b32_e32 v82, v101
	v_mov_b32_e32 v100, v85
	;; [unrolled: 1-line block ×4, first 2 shown]
	v_pk_add_f32 v[82:83], v[82:83], v[100:101] neg_lo:[0,1] neg_hi:[0,1]
	v_mov_b32_e32 v98, v99
	v_mov_b32_e32 v99, v84
	v_pk_add_f32 v[82:83], v[98:99], v[82:83] neg_lo:[0,1] neg_hi:[0,1]
	v_mov_b32_e32 v114, v102
	v_pk_add_f32 v[84:85], v[114:115], v[82:83]
	v_mov_b32_e32 v98, v85
	v_pk_add_f32 v[98:99], v[84:85], v[98:99]
	v_pk_add_f32 v[86:87], v[86:87], v[98:99]
	v_mov_b32_e32 v85, v86
	v_pk_add_f32 v[100:101], v[84:85], v[102:103] neg_lo:[0,1] neg_hi:[0,1]
	v_mov_b32_e32 v83, v98
	v_sub_f32_e32 v81, v84, v100
	v_pk_add_f32 v[82:83], v[82:83], v[100:101] neg_lo:[0,1] neg_hi:[0,1]
	v_sub_f32_e32 v81, v102, v81
	s_mov_b32 s14, 0x7f800000
	v_add_f32_e32 v81, v82, v81
	s_mov_b32 s13, 0x33800000
	v_add_f32_e32 v81, v81, v83
	v_cmp_eq_f32_e32 vcc, s14, v116
	v_cmp_lt_f32_e64 s[14:15], |v116|, s13
	v_add_f32_e32 v81, v86, v81
	s_or_b64 vcc, vcc, s[14:15]
	v_cndmask_b32_e32 v81, v81, v116, vcc
	v_add_f32_e32 v67, v67, v81
	v_cvt_f16_f32_e32 v99, v67
	v_cvt_f32_f16_e32 v98, v99
	v_mov_b32_e32 v81, v99
.LBB381_252:
	s_or_b64 exec, exec, s[10:11]
	v_max_f32_e32 v67, v96, v96
	v_max_f32_e32 v82, v98, v98
	v_min_f32_e32 v83, v82, v67
	v_cmp_u_f16_e32 vcc, v99, v99
	v_max_f32_e32 v67, v82, v67
	v_cndmask_b32_e32 v83, v83, v98, vcc
	v_cndmask_b32_e32 v67, v67, v98, vcc
	v_cndmask_b32_e64 v83, v83, v96, s[56:57]
	v_cndmask_b32_e64 v82, v67, v96, s[56:57]
	v_cmp_neq_f32_e32 vcc, v83, v82
	v_cmp_class_f32_e64 s[10:11], v83, s12
	s_or_b64 s[12:13], vcc, s[10:11]
	v_mov_b32_e32 v67, v81
	s_and_saveexec_b64 s[10:11], s[12:13]
	s_cbranch_execz .LBB381_254
; %bb.253:
	v_sub_f32_e32 v67, v83, v82
	s_mov_b32 s12, 0x3fb8aa3b
	v_mul_f32_e32 v83, 0x3fb8aa3b, v67
	v_fma_f32 v84, v67, s12, -v83
	v_rndne_f32_e32 v85, v83
	v_fmac_f32_e32 v84, 0x32a5705f, v67
	v_sub_f32_e32 v83, v83, v85
	v_add_f32_e32 v83, v83, v84
	v_exp_f32_e32 v83, v83
	v_cvt_i32_f32_e32 v84, v85
	s_mov_b32 s12, 0xc2ce8ed0
	v_cmp_ngt_f32_e32 vcc, s12, v67
	s_mov_b32 s12, 0x42b17218
	v_ldexp_f32 v83, v83, v84
	v_cndmask_b32_e32 v83, 0, v83, vcc
	v_mov_b32_e32 v84, 0x7f800000
	v_cmp_nlt_f32_e32 vcc, s12, v67
	v_cndmask_b32_e32 v83, v84, v83, vcc
	v_add_f32_e32 v67, 1.0, v83
	v_add_f32_e32 v84, -1.0, v67
	v_sub_f32_e32 v85, v84, v67
	v_add_f32_e32 v85, 1.0, v85
	v_sub_f32_e32 v84, v83, v84
	v_add_f32_e32 v86, v84, v85
	v_frexp_mant_f32_e32 v87, v67
	s_mov_b32 s12, 0x3f2aaaab
	v_cvt_f64_f32_e32 v[84:85], v67
	v_frexp_exp_i32_f64_e32 v84, v[84:85]
	v_cmp_gt_f32_e32 vcc, s12, v87
	v_subbrev_co_u32_e32 v96, vcc, 0, v84, vcc
	v_sub_u32_e32 v84, 0, v96
	v_ldexp_f32 v67, v67, v84
	v_ldexp_f32 v84, v86, v84
	v_add_f32_e32 v86, -1.0, v67
	v_add_f32_e32 v85, 1.0, v86
	v_sub_f32_e32 v85, v67, v85
	v_add_f32_e32 v87, v84, v85
	v_add_f32_e32 v85, 1.0, v67
	v_add_f32_e32 v98, -1.0, v85
	v_sub_f32_e32 v67, v67, v98
	v_add_f32_e32 v67, v84, v67
	v_add_f32_e32 v102, v85, v67
	v_rcp_f32_e32 v103, v102
	v_sub_f32_e32 v84, v85, v102
	v_add_f32_e32 v85, v86, v87
	v_add_f32_e32 v67, v67, v84
	v_mul_f32_e32 v113, v85, v103
	v_sub_f32_e32 v84, v86, v85
	v_mul_f32_e32 v86, v102, v113
	v_fma_f32 v98, v113, v102, -v86
	v_fmac_f32_e32 v98, v113, v67
	v_add_f32_e32 v112, v87, v84
	v_add_f32_e32 v84, v86, v98
	v_sub_f32_e32 v87, v85, v84
	v_pk_add_f32 v[100:101], v[84:85], v[86:87] neg_lo:[0,1] neg_hi:[0,1]
	v_mov_b32_e32 v99, v84
	v_pk_add_f32 v[84:85], v[100:101], v[98:99] neg_lo:[0,1] neg_hi:[0,1]
	v_add_f32_e32 v85, v112, v85
	v_add_f32_e32 v84, v84, v85
	v_add_f32_e32 v85, v87, v84
	v_mul_f32_e32 v112, v103, v85
	v_mul_f32_e32 v86, v102, v112
	v_fma_f32 v98, v112, v102, -v86
	v_fmac_f32_e32 v98, v112, v67
	v_sub_f32_e32 v67, v87, v85
	v_add_f32_e32 v67, v84, v67
	v_add_f32_e32 v84, v86, v98
	v_sub_f32_e32 v87, v85, v84
	v_pk_add_f32 v[100:101], v[84:85], v[86:87] neg_lo:[0,1] neg_hi:[0,1]
	v_mov_b32_e32 v99, v84
	v_pk_add_f32 v[84:85], v[100:101], v[98:99] neg_lo:[0,1] neg_hi:[0,1]
	v_add_f32_e32 v67, v67, v85
	v_add_f32_e32 v67, v84, v67
	;; [unrolled: 1-line block ×4, first 2 shown]
	v_sub_f32_e32 v85, v84, v113
	v_mul_f32_e32 v67, v103, v67
	v_sub_f32_e32 v85, v112, v85
	v_add_f32_e32 v67, v85, v67
	v_add_f32_e32 v87, v84, v67
	v_mul_f32_e32 v98, v87, v87
	v_mov_b32_e32 v86, 0x3ecc95a3
	v_fmac_f32_e32 v86, 0x3e9b6dac, v98
	v_mov_b32_e32 v85, 0x3f2aaada
	v_fmac_f32_e32 v85, v98, v86
	v_cvt_f32_i32_e32 v86, v96
	v_sub_f32_e32 v84, v87, v84
	v_sub_f32_e32 v67, v67, v84
	v_ldexp_f32 v99, v87, 1
	v_mul_f32_e32 v87, v87, v98
	v_mov_b32_e32 v84, 0x3f317218
	s_mov_b32 s12, 0x3f317218
	v_pk_mul_f32 v[84:85], v[86:87], v[84:85]
	v_fma_f32 v98, v86, s12, -v84
	v_fmac_f32_e32 v98, 0xb102e308, v86
	v_pk_add_f32 v[86:87], v[84:85], v[98:99]
	v_sub_f32_e32 v96, v87, v99
	v_ldexp_f32 v67, v67, 1
	v_sub_f32_e32 v96, v85, v96
	v_add_f32_e32 v101, v67, v96
	v_mov_b32_e32 v100, v84
	v_pk_add_f32 v[84:85], v[86:87], v[84:85] neg_lo:[0,1] neg_hi:[0,1]
	v_pk_add_f32 v[102:103], v[86:87], v[100:101]
	v_mov_b32_e32 v85, v103
	v_mov_b32_e32 v99, v86
	v_pk_add_f32 v[112:113], v[98:99], v[84:85] neg_lo:[0,1] neg_hi:[0,1]
	v_pk_add_f32 v[84:85], v[98:99], v[84:85]
	v_mov_b32_e32 v96, v85
	v_pk_add_f32 v[98:99], v[96:97], v[86:87] neg_lo:[0,1] neg_hi:[0,1]
	v_mov_b32_e32 v67, v98
	v_pk_add_f32 v[114:115], v[102:103], v[66:67] neg_lo:[0,1] neg_hi:[0,1]
	v_mov_b32_e32 v84, v103
	v_mov_b32_e32 v102, v87
	;; [unrolled: 1-line block ×4, first 2 shown]
	v_pk_add_f32 v[84:85], v[84:85], v[102:103] neg_lo:[0,1] neg_hi:[0,1]
	v_mov_b32_e32 v98, v101
	v_mov_b32_e32 v99, v86
	v_pk_add_f32 v[84:85], v[98:99], v[84:85] neg_lo:[0,1] neg_hi:[0,1]
	v_mov_b32_e32 v114, v112
	v_pk_add_f32 v[86:87], v[114:115], v[84:85]
	v_mov_b32_e32 v98, v87
	v_pk_add_f32 v[98:99], v[86:87], v[98:99]
	v_pk_add_f32 v[100:101], v[96:97], v[98:99]
	v_mov_b32_e32 v87, v100
	v_pk_add_f32 v[102:103], v[86:87], v[112:113] neg_lo:[0,1] neg_hi:[0,1]
	v_mov_b32_e32 v85, v98
	v_sub_f32_e32 v67, v86, v102
	v_pk_add_f32 v[84:85], v[84:85], v[102:103] neg_lo:[0,1] neg_hi:[0,1]
	v_sub_f32_e32 v67, v112, v67
	s_mov_b32 s13, 0x7f800000
	v_add_f32_e32 v67, v84, v67
	s_mov_b32 s12, 0x33800000
	v_add_f32_e32 v67, v67, v85
	v_cmp_eq_f32_e32 vcc, s13, v83
	v_cmp_lt_f32_e64 s[12:13], |v83|, s12
	v_add_f32_e32 v67, v100, v67
	s_or_b64 vcc, vcc, s[12:13]
	v_cndmask_b32_e32 v67, v67, v83, vcc
	v_add_f32_e32 v67, v82, v67
	v_cvt_f16_f32_e32 v67, v67
.LBB381_254:
	s_or_b64 exec, exec, s[10:11]
	s_branch .LBB381_385
.LBB381_255:
                                        ; implicit-def: $vgpr30
                                        ; implicit-def: $vgpr31
                                        ; implicit-def: $vgpr32
                                        ; implicit-def: $vgpr33
                                        ; implicit-def: $vgpr34
                                        ; implicit-def: $vgpr35
                                        ; implicit-def: $vgpr36
                                        ; implicit-def: $vgpr37
                                        ; implicit-def: $vgpr51
                                        ; implicit-def: $vgpr52
                                        ; implicit-def: $vgpr97
                                        ; implicit-def: $vgpr53
                                        ; implicit-def: $vgpr68
                                        ; implicit-def: $vgpr54
                                        ; implicit-def: $vgpr69
                                        ; implicit-def: $vgpr55
                                        ; implicit-def: $vgpr70
                                        ; implicit-def: $vgpr64
                                        ; implicit-def: $vgpr71
                                        ; implicit-def: $vgpr65
                                        ; implicit-def: $vgpr80
                                        ; implicit-def: $vgpr66
                                        ; implicit-def: $vgpr81
                                        ; implicit-def: $vgpr67
	s_cbranch_execz .LBB381_385
; %bb.256:
	v_cmp_ne_u64_e32 vcc, 0, v[6:7]
	s_and_b64 s[10:11], s[8:9], vcc
	v_mov_b32_e32 v30, v20
	s_and_saveexec_b64 s[8:9], s[10:11]
	s_cbranch_execz .LBB381_260
; %bb.257:
	flat_load_ushort v30, v[2:3]
	v_cvt_f32_f16_e32 v2, v20
	s_movk_i32 s10, 0x1f8
	s_waitcnt vmcnt(0) lgkmcnt(0)
	v_cvt_f32_f16_e32 v3, v30
	v_cmp_u_f16_e32 vcc, v30, v30
	v_min_f32_e32 v6, v3, v2
	v_max_f32_e32 v7, v3, v2
	v_cndmask_b32_e32 v6, v6, v3, vcc
	v_cndmask_b32_e32 v7, v7, v3, vcc
	v_cmp_u_f16_e32 vcc, v20, v20
	v_cndmask_b32_e32 v3, v6, v2, vcc
	v_cndmask_b32_e32 v2, v7, v2, vcc
	v_cmp_neq_f32_e32 vcc, v3, v2
	v_cmp_class_f32_e64 s[10:11], v3, s10
	s_or_b64 s[12:13], vcc, s[10:11]
	s_and_saveexec_b64 s[10:11], s[12:13]
	s_cbranch_execz .LBB381_259
; %bb.258:
	v_sub_f32_e32 v3, v3, v2
	s_mov_b32 s12, 0x3fb8aa3b
	v_mul_f32_e32 v6, 0x3fb8aa3b, v3
	v_fma_f32 v7, v3, s12, -v6
	v_rndne_f32_e32 v30, v6
	v_fmac_f32_e32 v7, 0x32a5705f, v3
	v_sub_f32_e32 v6, v6, v30
	v_add_f32_e32 v6, v6, v7
	v_exp_f32_e32 v6, v6
	v_cvt_i32_f32_e32 v7, v30
	s_mov_b32 s12, 0xc2ce8ed0
	v_cmp_ngt_f32_e32 vcc, s12, v3
	s_mov_b32 s12, 0x42b17218
	v_ldexp_f32 v6, v6, v7
	v_cndmask_b32_e32 v6, 0, v6, vcc
	v_mov_b32_e32 v7, 0x7f800000
	v_cmp_nlt_f32_e32 vcc, s12, v3
	v_cndmask_b32_e32 v51, v7, v6, vcc
	v_add_f32_e32 v3, 1.0, v51
	v_add_f32_e32 v6, -1.0, v3
	v_sub_f32_e32 v7, v6, v3
	v_add_f32_e32 v7, 1.0, v7
	v_sub_f32_e32 v6, v51, v6
	v_add_f32_e32 v30, v6, v7
	v_frexp_mant_f32_e32 v31, v3
	s_mov_b32 s12, 0x3f2aaaab
	v_cvt_f64_f32_e32 v[6:7], v3
	v_frexp_exp_i32_f64_e32 v6, v[6:7]
	v_cmp_gt_f32_e32 vcc, s12, v31
	v_subbrev_co_u32_e32 v36, vcc, 0, v6, vcc
	v_sub_u32_e32 v6, 0, v36
	v_ldexp_f32 v3, v3, v6
	v_ldexp_f32 v6, v30, v6
	v_add_f32_e32 v30, -1.0, v3
	v_add_f32_e32 v7, 1.0, v30
	v_sub_f32_e32 v7, v3, v7
	v_add_f32_e32 v31, v6, v7
	v_add_f32_e32 v7, 1.0, v3
	v_add_f32_e32 v32, -1.0, v7
	v_sub_f32_e32 v3, v3, v32
	v_add_f32_e32 v3, v6, v3
	v_add_f32_e32 v37, v7, v3
	v_rcp_f32_e32 v52, v37
	v_sub_f32_e32 v6, v7, v37
	v_add_f32_e32 v7, v30, v31
	v_add_f32_e32 v3, v3, v6
	v_mul_f32_e32 v54, v7, v52
	v_sub_f32_e32 v6, v30, v7
	v_mul_f32_e32 v30, v37, v54
	v_fma_f32 v32, v54, v37, -v30
	v_fmac_f32_e32 v32, v54, v3
	v_add_f32_e32 v53, v31, v6
	v_add_f32_e32 v6, v30, v32
	v_sub_f32_e32 v31, v7, v6
	v_pk_add_f32 v[34:35], v[6:7], v[30:31] neg_lo:[0,1] neg_hi:[0,1]
	v_mov_b32_e32 v33, v6
	v_pk_add_f32 v[6:7], v[34:35], v[32:33] neg_lo:[0,1] neg_hi:[0,1]
	v_add_f32_e32 v7, v53, v7
	v_add_f32_e32 v6, v6, v7
	;; [unrolled: 1-line block ×3, first 2 shown]
	v_mul_f32_e32 v53, v52, v7
	v_mul_f32_e32 v30, v37, v53
	v_fma_f32 v32, v53, v37, -v30
	v_fmac_f32_e32 v32, v53, v3
	v_sub_f32_e32 v3, v31, v7
	v_add_f32_e32 v3, v6, v3
	v_add_f32_e32 v6, v30, v32
	v_sub_f32_e32 v31, v7, v6
	v_pk_add_f32 v[34:35], v[6:7], v[30:31] neg_lo:[0,1] neg_hi:[0,1]
	v_mov_b32_e32 v33, v6
	v_pk_add_f32 v[6:7], v[34:35], v[32:33] neg_lo:[0,1] neg_hi:[0,1]
	v_add_f32_e32 v3, v3, v7
	v_add_f32_e32 v3, v6, v3
	;; [unrolled: 1-line block ×4, first 2 shown]
	v_sub_f32_e32 v7, v6, v54
	v_mul_f32_e32 v3, v52, v3
	v_sub_f32_e32 v7, v53, v7
	v_add_f32_e32 v3, v7, v3
	v_add_f32_e32 v31, v6, v3
	v_mul_f32_e32 v32, v31, v31
	v_mov_b32_e32 v30, 0x3ecc95a3
	v_fmac_f32_e32 v30, 0x3e9b6dac, v32
	v_mov_b32_e32 v7, 0x3f2aaada
	v_fmac_f32_e32 v7, v32, v30
	v_cvt_f32_i32_e32 v30, v36
	v_sub_f32_e32 v6, v31, v6
	v_sub_f32_e32 v3, v3, v6
	v_ldexp_f32 v33, v31, 1
	v_mul_f32_e32 v31, v31, v32
	v_mov_b32_e32 v6, 0x3f317218
	s_mov_b32 s12, 0x3f317218
	v_pk_mul_f32 v[6:7], v[30:31], v[6:7]
	v_fma_f32 v32, v30, s12, -v6
	v_fmac_f32_e32 v32, 0xb102e308, v30
	v_pk_add_f32 v[30:31], v[6:7], v[32:33]
	v_sub_f32_e32 v33, v31, v33
	v_ldexp_f32 v3, v3, 1
	v_sub_f32_e32 v33, v7, v33
	v_add_f32_e32 v35, v3, v33
	v_mov_b32_e32 v34, v6
	v_pk_add_f32 v[6:7], v[30:31], v[6:7] neg_lo:[0,1] neg_hi:[0,1]
	v_pk_add_f32 v[36:37], v[30:31], v[34:35]
	v_mov_b32_e32 v7, v37
	v_mov_b32_e32 v33, v30
	v_pk_add_f32 v[52:53], v[32:33], v[6:7] neg_lo:[0,1] neg_hi:[0,1]
	v_pk_add_f32 v[6:7], v[32:33], v[6:7]
	v_mov_b32_e32 v32, v7
	v_pk_add_f32 v[54:55], v[32:33], v[30:31] neg_lo:[0,1] neg_hi:[0,1]
	v_mov_b32_e32 v3, v54
	v_pk_add_f32 v[64:65], v[36:37], v[2:3] neg_lo:[0,1] neg_hi:[0,1]
	v_mov_b32_e32 v6, v37
	v_mov_b32_e32 v36, v31
	;; [unrolled: 1-line block ×4, first 2 shown]
	v_pk_add_f32 v[6:7], v[6:7], v[36:37] neg_lo:[0,1] neg_hi:[0,1]
	v_mov_b32_e32 v34, v35
	v_mov_b32_e32 v35, v30
	v_pk_add_f32 v[6:7], v[34:35], v[6:7] neg_lo:[0,1] neg_hi:[0,1]
	v_mov_b32_e32 v64, v52
	v_pk_add_f32 v[30:31], v[64:65], v[6:7]
	v_mov_b32_e32 v34, v31
	v_pk_add_f32 v[34:35], v[30:31], v[34:35]
	v_pk_add_f32 v[32:33], v[32:33], v[34:35]
	v_mov_b32_e32 v31, v32
	v_pk_add_f32 v[36:37], v[30:31], v[52:53] neg_lo:[0,1] neg_hi:[0,1]
	v_mov_b32_e32 v7, v34
	v_sub_f32_e32 v3, v30, v36
	v_pk_add_f32 v[6:7], v[6:7], v[36:37] neg_lo:[0,1] neg_hi:[0,1]
	v_sub_f32_e32 v3, v52, v3
	s_mov_b32 s13, 0x7f800000
	v_add_f32_e32 v3, v6, v3
	s_mov_b32 s12, 0x33800000
	v_add_f32_e32 v3, v3, v7
	v_cmp_eq_f32_e32 vcc, s13, v51
	v_cmp_lt_f32_e64 s[12:13], |v51|, s12
	v_add_f32_e32 v3, v32, v3
	s_or_b64 vcc, vcc, s[12:13]
	v_cndmask_b32_e32 v3, v3, v51, vcc
	v_add_f32_e32 v2, v2, v3
	v_cvt_f16_f32_e32 v30, v2
.LBB381_259:
	s_or_b64 exec, exec, s[10:11]
.LBB381_260:
	s_or_b64 exec, exec, s[8:9]
	v_cvt_f32_f16_e32 v2, v30
	v_cmp_u_f16_e64 s[54:55], v30, v30
	v_cmp_u_f16_sdwa vcc, v20, v20 src0_sel:WORD_1 src1_sel:WORD_1
	s_movk_i32 s12, 0x1f8
	v_min_f32_e32 v31, v2, v50
	v_max_f32_e32 v32, v2, v50
	v_cndmask_b32_e64 v3, v31, v2, s[54:55]
	v_cndmask_b32_e32 v6, v3, v50, vcc
	v_cndmask_b32_e64 v3, v32, v2, s[54:55]
	v_cndmask_b32_e32 v3, v3, v50, vcc
	v_cmp_neq_f32_e64 s[8:9], v6, v3
	v_cmp_class_f32_e64 s[10:11], v6, s12
	s_or_b64 s[8:9], s[8:9], s[10:11]
	v_mov_b32_e32 v34, v2
	v_mov_b32_e32 v33, v30
	s_and_saveexec_b64 s[10:11], s[8:9]
	s_cbranch_execz .LBB381_262
; %bb.261:
	v_sub_f32_e32 v6, v6, v3
	s_mov_b32 s8, 0x3fb8aa3b
	v_mul_f32_e32 v7, 0x3fb8aa3b, v6
	v_fma_f32 v20, v6, s8, -v7
	v_rndne_f32_e32 v33, v7
	v_fmac_f32_e32 v20, 0x32a5705f, v6
	v_sub_f32_e32 v7, v7, v33
	v_add_f32_e32 v7, v7, v20
	v_exp_f32_e32 v7, v7
	v_cvt_i32_f32_e32 v20, v33
	s_mov_b32 s8, 0xc2ce8ed0
	v_cmp_ngt_f32_e64 s[8:9], s8, v6
	s_mov_b32 s13, 0x7f800000
	v_ldexp_f32 v7, v7, v20
	v_cndmask_b32_e64 v7, 0, v7, s[8:9]
	s_mov_b32 s8, 0x42b17218
	v_mov_b32_e32 v20, 0x7f800000
	v_cmp_nlt_f32_e64 s[8:9], s8, v6
	v_cndmask_b32_e64 v51, v20, v7, s[8:9]
	v_add_f32_e32 v20, 1.0, v51
	v_add_f32_e32 v6, -1.0, v20
	v_sub_f32_e32 v7, v6, v20
	v_add_f32_e32 v7, 1.0, v7
	v_sub_f32_e32 v6, v51, v6
	v_add_f32_e32 v33, v6, v7
	v_frexp_mant_f32_e32 v34, v20
	s_mov_b32 s8, 0x3f2aaaab
	v_cvt_f64_f32_e32 v[6:7], v20
	v_frexp_exp_i32_f64_e32 v6, v[6:7]
	v_cmp_gt_f32_e64 s[8:9], s8, v34
	v_subbrev_co_u32_e64 v54, s[8:9], 0, v6, s[8:9]
	v_sub_u32_e32 v6, 0, v54
	v_ldexp_f32 v7, v20, v6
	v_add_f32_e32 v20, -1.0, v7
	v_add_f32_e32 v34, 1.0, v7
	v_ldexp_f32 v6, v33, v6
	v_add_f32_e32 v33, 1.0, v20
	v_add_f32_e32 v35, -1.0, v34
	v_sub_f32_e32 v33, v7, v33
	v_sub_f32_e32 v7, v7, v35
	v_add_f32_e32 v33, v6, v33
	v_add_f32_e32 v6, v6, v7
	;; [unrolled: 1-line block ×3, first 2 shown]
	v_rcp_f32_e32 v65, v55
	v_sub_f32_e32 v7, v34, v55
	v_add_f32_e32 v64, v6, v7
	v_add_f32_e32 v7, v20, v33
	v_sub_f32_e32 v6, v20, v7
	v_add_f32_e32 v20, v33, v6
	v_mul_f32_e32 v33, v7, v65
	v_mul_f32_e32 v34, v55, v33
	v_fma_f32 v36, v33, v55, -v34
	v_fmac_f32_e32 v36, v33, v64
	v_add_f32_e32 v6, v34, v36
	v_sub_f32_e32 v35, v7, v6
	v_pk_add_f32 v[52:53], v[6:7], v[34:35] neg_lo:[0,1] neg_hi:[0,1]
	v_mov_b32_e32 v37, v6
	v_pk_add_f32 v[6:7], v[52:53], v[36:37] neg_lo:[0,1] neg_hi:[0,1]
	v_add_f32_e32 v7, v20, v7
	v_add_f32_e32 v6, v6, v7
	;; [unrolled: 1-line block ×3, first 2 shown]
	v_mul_f32_e32 v20, v65, v7
	v_mul_f32_e32 v34, v55, v20
	v_fma_f32 v36, v20, v55, -v34
	v_fmac_f32_e32 v36, v20, v64
	v_sub_f32_e32 v35, v35, v7
	v_add_f32_e32 v55, v6, v35
	v_add_f32_e32 v6, v34, v36
	v_sub_f32_e32 v35, v7, v6
	v_pk_add_f32 v[52:53], v[6:7], v[34:35] neg_lo:[0,1] neg_hi:[0,1]
	v_mov_b32_e32 v37, v6
	v_pk_add_f32 v[6:7], v[52:53], v[36:37] neg_lo:[0,1] neg_hi:[0,1]
	v_add_f32_e32 v7, v55, v7
	v_add_f32_e32 v6, v6, v7
	;; [unrolled: 1-line block ×4, first 2 shown]
	v_sub_f32_e32 v7, v35, v33
	v_mul_f32_e32 v6, v65, v6
	v_sub_f32_e32 v7, v20, v7
	v_add_f32_e32 v6, v7, v6
	v_add_f32_e32 v20, v35, v6
	v_mul_f32_e32 v33, v20, v20
	v_mov_b32_e32 v34, 0x3ecc95a3
	v_fmac_f32_e32 v34, 0x3e9b6dac, v33
	v_mov_b32_e32 v7, 0x3f2aaada
	v_fmac_f32_e32 v7, v33, v34
	v_cvt_f32_i32_e32 v34, v54
	v_sub_f32_e32 v35, v20, v35
	v_sub_f32_e32 v6, v6, v35
	v_ldexp_f32 v52, v6, 1
	v_mul_f32_e32 v35, v20, v33
	v_mov_b32_e32 v6, 0x3f317218
	s_mov_b32 s8, 0x3f317218
	v_pk_mul_f32 v[6:7], v[34:35], v[6:7]
	v_fma_f32 v36, v34, s8, -v6
	v_ldexp_f32 v37, v20, 1
	v_fmac_f32_e32 v36, 0xb102e308, v34
	v_pk_add_f32 v[34:35], v[6:7], v[36:37]
	v_sub_f32_e32 v20, v35, v37
	v_sub_f32_e32 v20, v7, v20
	v_add_f32_e32 v53, v52, v20
	v_mov_b32_e32 v52, v6
	v_pk_add_f32 v[6:7], v[34:35], v[6:7] neg_lo:[0,1] neg_hi:[0,1]
	v_pk_add_f32 v[54:55], v[34:35], v[52:53]
	v_mov_b32_e32 v7, v55
	v_mov_b32_e32 v37, v34
	v_pk_add_f32 v[64:65], v[36:37], v[6:7] neg_lo:[0,1] neg_hi:[0,1]
	v_pk_add_f32 v[6:7], v[36:37], v[6:7]
	v_mov_b32_e32 v20, v7
	v_pk_add_f32 v[36:37], v[20:21], v[34:35] neg_lo:[0,1] neg_hi:[0,1]
	v_mov_b32_e32 v33, v36
	v_pk_add_f32 v[66:67], v[54:55], v[32:33] neg_lo:[0,1] neg_hi:[0,1]
	v_mov_b32_e32 v6, v55
	v_mov_b32_e32 v54, v35
	;; [unrolled: 1-line block ×4, first 2 shown]
	v_pk_add_f32 v[6:7], v[6:7], v[54:55] neg_lo:[0,1] neg_hi:[0,1]
	v_mov_b32_e32 v36, v53
	v_mov_b32_e32 v37, v34
	v_pk_add_f32 v[6:7], v[36:37], v[6:7] neg_lo:[0,1] neg_hi:[0,1]
	v_mov_b32_e32 v66, v64
	v_pk_add_f32 v[34:35], v[66:67], v[6:7]
	v_mov_b32_e32 v36, v35
	v_pk_add_f32 v[36:37], v[34:35], v[36:37]
	v_pk_add_f32 v[52:53], v[20:21], v[36:37]
	v_mov_b32_e32 v35, v52
	v_pk_add_f32 v[54:55], v[34:35], v[64:65] neg_lo:[0,1] neg_hi:[0,1]
	v_mov_b32_e32 v7, v36
	v_sub_f32_e32 v20, v34, v54
	v_pk_add_f32 v[6:7], v[6:7], v[54:55] neg_lo:[0,1] neg_hi:[0,1]
	v_sub_f32_e32 v20, v64, v20
	v_add_f32_e32 v6, v6, v20
	v_cmp_eq_f32_e64 s[8:9], s13, v51
	s_mov_b32 s13, 0x33800000
	v_add_f32_e32 v6, v6, v7
	v_cmp_lt_f32_e64 s[14:15], |v51|, s13
	v_add_f32_e32 v6, v52, v6
	s_or_b64 s[8:9], s[8:9], s[14:15]
	v_cndmask_b32_e64 v6, v6, v51, s[8:9]
	v_add_f32_e32 v3, v3, v6
	v_cvt_f16_f32_e32 v33, v3
	v_cvt_f32_f16_e32 v34, v33
.LBB381_262:
	s_or_b64 exec, exec, s[10:11]
	v_cvt_f32_f16_e32 v3, v21
	v_max_f32_e32 v6, v34, v34
	v_cmp_u_f16_e64 s[10:11], v33, v33
	v_cmp_u_f16_e64 s[8:9], v21, v21
	v_min_f32_e32 v7, v6, v3
	v_max_f32_e32 v6, v6, v3
	v_cndmask_b32_e64 v7, v7, v34, s[10:11]
	v_cndmask_b32_e64 v6, v6, v34, s[10:11]
	;; [unrolled: 1-line block ×4, first 2 shown]
	v_cmp_neq_f32_e64 s[10:11], v7, v6
	v_cmp_class_f32_e64 s[12:13], v7, s12
	s_or_b64 s[10:11], s[10:11], s[12:13]
	s_and_saveexec_b64 s[12:13], s[10:11]
	s_cbranch_execz .LBB381_264
; %bb.263:
	v_sub_f32_e32 v7, v7, v6
	s_mov_b32 s10, 0x3fb8aa3b
	v_mul_f32_e32 v20, 0x3fb8aa3b, v7
	v_fma_f32 v33, v7, s10, -v20
	v_rndne_f32_e32 v34, v20
	v_fmac_f32_e32 v33, 0x32a5705f, v7
	v_sub_f32_e32 v20, v20, v34
	v_add_f32_e32 v20, v20, v33
	v_exp_f32_e32 v20, v20
	v_cvt_i32_f32_e32 v33, v34
	s_mov_b32 s10, 0xc2ce8ed0
	v_cmp_ngt_f32_e64 s[10:11], s10, v7
	s_mov_b32 s14, 0x7f800000
	v_ldexp_f32 v20, v20, v33
	v_cndmask_b32_e64 v20, 0, v20, s[10:11]
	s_mov_b32 s10, 0x42b17218
	v_mov_b32_e32 v33, 0x7f800000
	v_cmp_nlt_f32_e64 s[10:11], s10, v7
	v_cndmask_b32_e64 v33, v33, v20, s[10:11]
	v_add_f32_e32 v7, 1.0, v33
	v_add_f32_e32 v20, -1.0, v7
	v_sub_f32_e32 v34, v20, v7
	v_add_f32_e32 v34, 1.0, v34
	v_sub_f32_e32 v20, v33, v20
	v_add_f32_e32 v20, v20, v34
	v_frexp_mant_f32_e32 v36, v7
	s_mov_b32 s10, 0x3f2aaaab
	v_cvt_f64_f32_e32 v[34:35], v7
	v_frexp_exp_i32_f64_e32 v34, v[34:35]
	v_cmp_gt_f32_e64 s[10:11], s10, v36
	v_subbrev_co_u32_e64 v51, s[10:11], 0, v34, s[10:11]
	v_sub_u32_e32 v34, 0, v51
	v_ldexp_f32 v7, v7, v34
	v_ldexp_f32 v20, v20, v34
	v_add_f32_e32 v34, -1.0, v7
	v_add_f32_e32 v35, 1.0, v34
	v_sub_f32_e32 v35, v7, v35
	v_add_f32_e32 v36, v20, v35
	v_add_f32_e32 v35, 1.0, v7
	v_add_f32_e32 v37, -1.0, v35
	v_sub_f32_e32 v7, v7, v37
	v_add_f32_e32 v7, v20, v7
	v_add_f32_e32 v20, v35, v7
	v_rcp_f32_e32 v64, v20
	v_sub_f32_e32 v35, v35, v20
	v_add_f32_e32 v7, v7, v35
	v_add_f32_e32 v35, v34, v36
	v_sub_f32_e32 v34, v34, v35
	v_mul_f32_e32 v66, v35, v64
	v_add_f32_e32 v65, v36, v34
	v_mul_f32_e32 v36, v20, v66
	v_fma_f32 v52, v66, v20, -v36
	v_fmac_f32_e32 v52, v66, v7
	v_add_f32_e32 v34, v36, v52
	v_sub_f32_e32 v37, v35, v34
	v_pk_add_f32 v[54:55], v[34:35], v[36:37] neg_lo:[0,1] neg_hi:[0,1]
	v_mov_b32_e32 v53, v34
	v_pk_add_f32 v[34:35], v[54:55], v[52:53] neg_lo:[0,1] neg_hi:[0,1]
	v_add_f32_e32 v35, v65, v35
	v_add_f32_e32 v34, v34, v35
	;; [unrolled: 1-line block ×3, first 2 shown]
	v_mul_f32_e32 v65, v64, v35
	v_mul_f32_e32 v36, v20, v65
	v_fma_f32 v52, v65, v20, -v36
	v_fmac_f32_e32 v52, v65, v7
	v_sub_f32_e32 v7, v37, v35
	v_add_f32_e32 v7, v34, v7
	v_add_f32_e32 v34, v36, v52
	v_sub_f32_e32 v37, v35, v34
	v_pk_add_f32 v[54:55], v[34:35], v[36:37] neg_lo:[0,1] neg_hi:[0,1]
	v_mov_b32_e32 v53, v34
	v_pk_add_f32 v[34:35], v[54:55], v[52:53] neg_lo:[0,1] neg_hi:[0,1]
	v_add_f32_e32 v7, v7, v35
	v_add_f32_e32 v7, v34, v7
	;; [unrolled: 1-line block ×4, first 2 shown]
	v_sub_f32_e32 v34, v20, v66
	v_mul_f32_e32 v7, v64, v7
	v_sub_f32_e32 v34, v65, v34
	v_add_f32_e32 v7, v34, v7
	v_add_f32_e32 v34, v20, v7
	v_mul_f32_e32 v37, v34, v34
	v_mov_b32_e32 v36, 0x3ecc95a3
	v_fmac_f32_e32 v36, 0x3e9b6dac, v37
	v_mov_b32_e32 v35, 0x3f2aaada
	v_fmac_f32_e32 v35, v37, v36
	v_cvt_f32_i32_e32 v36, v51
	v_sub_f32_e32 v20, v34, v20
	v_ldexp_f32 v53, v34, 1
	v_mul_f32_e32 v37, v34, v37
	v_mov_b32_e32 v34, 0x3f317218
	s_mov_b32 s10, 0x3f317218
	v_pk_mul_f32 v[34:35], v[36:37], v[34:35]
	v_fma_f32 v52, v36, s10, -v34
	v_fmac_f32_e32 v52, 0xb102e308, v36
	v_pk_add_f32 v[36:37], v[34:35], v[52:53]
	v_sub_f32_e32 v7, v7, v20
	v_sub_f32_e32 v20, v37, v53
	v_ldexp_f32 v7, v7, 1
	v_sub_f32_e32 v20, v35, v20
	v_add_f32_e32 v55, v7, v20
	v_mov_b32_e32 v54, v34
	v_pk_add_f32 v[34:35], v[36:37], v[34:35] neg_lo:[0,1] neg_hi:[0,1]
	v_pk_add_f32 v[64:65], v[36:37], v[54:55]
	v_mov_b32_e32 v35, v65
	v_mov_b32_e32 v53, v36
	v_pk_add_f32 v[66:67], v[52:53], v[34:35] neg_lo:[0,1] neg_hi:[0,1]
	v_pk_add_f32 v[34:35], v[52:53], v[34:35]
	v_mov_b32_e32 v20, v35
	v_pk_add_f32 v[52:53], v[20:21], v[36:37] neg_lo:[0,1] neg_hi:[0,1]
	v_mov_b32_e32 v7, v52
	v_pk_add_f32 v[68:69], v[64:65], v[6:7] neg_lo:[0,1] neg_hi:[0,1]
	v_mov_b32_e32 v34, v65
	v_mov_b32_e32 v64, v37
	;; [unrolled: 1-line block ×4, first 2 shown]
	v_pk_add_f32 v[34:35], v[34:35], v[64:65] neg_lo:[0,1] neg_hi:[0,1]
	v_mov_b32_e32 v52, v55
	v_mov_b32_e32 v53, v36
	v_pk_add_f32 v[34:35], v[52:53], v[34:35] neg_lo:[0,1] neg_hi:[0,1]
	v_mov_b32_e32 v68, v66
	v_pk_add_f32 v[36:37], v[68:69], v[34:35]
	v_mov_b32_e32 v52, v37
	v_pk_add_f32 v[52:53], v[36:37], v[52:53]
	v_pk_add_f32 v[54:55], v[20:21], v[52:53]
	v_mov_b32_e32 v37, v54
	v_pk_add_f32 v[64:65], v[36:37], v[66:67] neg_lo:[0,1] neg_hi:[0,1]
	v_mov_b32_e32 v35, v52
	v_sub_f32_e32 v7, v36, v64
	v_pk_add_f32 v[34:35], v[34:35], v[64:65] neg_lo:[0,1] neg_hi:[0,1]
	v_sub_f32_e32 v7, v66, v7
	v_add_f32_e32 v7, v34, v7
	v_cmp_eq_f32_e64 s[10:11], s14, v33
	s_mov_b32 s14, 0x33800000
	v_add_f32_e32 v7, v7, v35
	v_cmp_lt_f32_e64 s[14:15], |v33|, s14
	v_add_f32_e32 v7, v54, v7
	s_or_b64 s[10:11], s[10:11], s[14:15]
	v_cndmask_b32_e64 v7, v7, v33, s[10:11]
	v_add_f32_e32 v6, v6, v7
	v_cvt_f16_f32_e32 v33, v6
	v_cvt_f32_f16_e32 v34, v33
.LBB381_264:
	s_or_b64 exec, exec, s[12:13]
	v_cvt_f32_f16_sdwa v6, v21 dst_sel:DWORD dst_unused:UNUSED_PAD src0_sel:WORD_1
	v_max_f32_e32 v7, v34, v34
	v_cmp_u_f16_e64 s[12:13], v33, v33
	v_cmp_u_f16_sdwa s[10:11], v21, v21 src0_sel:WORD_1 src1_sel:WORD_1
	v_min_f32_e32 v20, v7, v6
	v_max_f32_e32 v7, v7, v6
	v_cndmask_b32_e64 v20, v20, v34, s[12:13]
	v_cndmask_b32_e64 v7, v7, v34, s[12:13]
	;; [unrolled: 1-line block ×4, first 2 shown]
	s_movk_i32 s16, 0x1f8
	v_cmp_neq_f32_e64 s[12:13], v20, v7
	v_cmp_class_f32_e64 s[14:15], v20, s16
	s_or_b64 s[12:13], s[12:13], s[14:15]
	s_and_saveexec_b64 s[14:15], s[12:13]
	s_cbranch_execz .LBB381_266
; %bb.265:
	v_sub_f32_e32 v20, v20, v7
	s_mov_b32 s12, 0x3fb8aa3b
	v_mul_f32_e32 v21, 0x3fb8aa3b, v20
	v_fma_f32 v33, v20, s12, -v21
	v_rndne_f32_e32 v34, v21
	v_fmac_f32_e32 v33, 0x32a5705f, v20
	v_sub_f32_e32 v21, v21, v34
	v_add_f32_e32 v21, v21, v33
	v_exp_f32_e32 v21, v21
	v_cvt_i32_f32_e32 v33, v34
	s_mov_b32 s12, 0xc2ce8ed0
	v_cmp_ngt_f32_e64 s[12:13], s12, v20
	s_mov_b32 s17, 0x7f800000
	v_ldexp_f32 v21, v21, v33
	v_cndmask_b32_e64 v21, 0, v21, s[12:13]
	s_mov_b32 s12, 0x42b17218
	v_mov_b32_e32 v33, 0x7f800000
	v_cmp_nlt_f32_e64 s[12:13], s12, v20
	v_cndmask_b32_e64 v51, v33, v21, s[12:13]
	v_add_f32_e32 v33, 1.0, v51
	v_add_f32_e32 v20, -1.0, v33
	v_sub_f32_e32 v21, v20, v33
	v_add_f32_e32 v21, 1.0, v21
	v_sub_f32_e32 v20, v51, v20
	v_add_f32_e32 v34, v20, v21
	v_frexp_mant_f32_e32 v35, v33
	s_mov_b32 s12, 0x3f2aaaab
	v_cvt_f64_f32_e32 v[20:21], v33
	v_frexp_exp_i32_f64_e32 v20, v[20:21]
	v_cmp_gt_f32_e64 s[12:13], s12, v35
	v_subbrev_co_u32_e64 v54, s[12:13], 0, v20, s[12:13]
	v_sub_u32_e32 v20, 0, v54
	v_ldexp_f32 v21, v33, v20
	v_add_f32_e32 v33, -1.0, v21
	v_add_f32_e32 v35, 1.0, v21
	v_ldexp_f32 v20, v34, v20
	v_add_f32_e32 v34, 1.0, v33
	v_add_f32_e32 v36, -1.0, v35
	v_sub_f32_e32 v34, v21, v34
	v_sub_f32_e32 v21, v21, v36
	v_add_f32_e32 v34, v20, v34
	v_add_f32_e32 v20, v20, v21
	;; [unrolled: 1-line block ×3, first 2 shown]
	v_rcp_f32_e32 v65, v55
	v_sub_f32_e32 v21, v35, v55
	v_add_f32_e32 v64, v20, v21
	v_add_f32_e32 v21, v33, v34
	v_sub_f32_e32 v20, v33, v21
	v_mul_f32_e32 v66, v21, v65
	v_add_f32_e32 v33, v34, v20
	v_mul_f32_e32 v34, v55, v66
	v_fma_f32 v36, v66, v55, -v34
	v_fmac_f32_e32 v36, v66, v64
	v_add_f32_e32 v20, v34, v36
	v_sub_f32_e32 v35, v21, v20
	v_pk_add_f32 v[52:53], v[20:21], v[34:35] neg_lo:[0,1] neg_hi:[0,1]
	v_mov_b32_e32 v37, v20
	v_pk_add_f32 v[20:21], v[52:53], v[36:37] neg_lo:[0,1] neg_hi:[0,1]
	v_add_f32_e32 v21, v33, v21
	v_add_f32_e32 v20, v20, v21
	;; [unrolled: 1-line block ×3, first 2 shown]
	v_mul_f32_e32 v33, v65, v21
	v_mul_f32_e32 v34, v55, v33
	v_fma_f32 v36, v33, v55, -v34
	v_fmac_f32_e32 v36, v33, v64
	v_sub_f32_e32 v35, v35, v21
	v_add_f32_e32 v55, v20, v35
	v_add_f32_e32 v20, v34, v36
	v_sub_f32_e32 v35, v21, v20
	v_pk_add_f32 v[52:53], v[20:21], v[34:35] neg_lo:[0,1] neg_hi:[0,1]
	v_mov_b32_e32 v37, v20
	v_pk_add_f32 v[20:21], v[52:53], v[36:37] neg_lo:[0,1] neg_hi:[0,1]
	v_add_f32_e32 v21, v55, v21
	v_add_f32_e32 v20, v20, v21
	;; [unrolled: 1-line block ×4, first 2 shown]
	v_sub_f32_e32 v21, v35, v66
	v_mul_f32_e32 v20, v65, v20
	v_sub_f32_e32 v21, v33, v21
	v_add_f32_e32 v20, v21, v20
	v_add_f32_e32 v33, v35, v20
	v_mul_f32_e32 v36, v33, v33
	v_mov_b32_e32 v34, 0x3ecc95a3
	v_fmac_f32_e32 v34, 0x3e9b6dac, v36
	v_mov_b32_e32 v21, 0x3f2aaada
	v_fmac_f32_e32 v21, v36, v34
	v_cvt_f32_i32_e32 v34, v54
	v_sub_f32_e32 v35, v33, v35
	v_sub_f32_e32 v20, v20, v35
	v_ldexp_f32 v52, v20, 1
	v_mul_f32_e32 v35, v33, v36
	v_mov_b32_e32 v20, 0x3f317218
	s_mov_b32 s12, 0x3f317218
	v_pk_mul_f32 v[20:21], v[34:35], v[20:21]
	v_fma_f32 v36, v34, s12, -v20
	v_ldexp_f32 v37, v33, 1
	v_fmac_f32_e32 v36, 0xb102e308, v34
	v_pk_add_f32 v[34:35], v[20:21], v[36:37]
	v_sub_f32_e32 v33, v35, v37
	v_sub_f32_e32 v33, v21, v33
	v_add_f32_e32 v53, v52, v33
	v_mov_b32_e32 v52, v20
	v_pk_add_f32 v[20:21], v[34:35], v[20:21] neg_lo:[0,1] neg_hi:[0,1]
	v_pk_add_f32 v[54:55], v[34:35], v[52:53]
	v_mov_b32_e32 v21, v55
	v_mov_b32_e32 v37, v34
	v_pk_add_f32 v[64:65], v[36:37], v[20:21] neg_lo:[0,1] neg_hi:[0,1]
	v_pk_add_f32 v[20:21], v[36:37], v[20:21]
	v_mov_b32_e32 v36, v21
	v_pk_add_f32 v[66:67], v[36:37], v[34:35] neg_lo:[0,1] neg_hi:[0,1]
	v_mov_b32_e32 v33, v66
	v_pk_add_f32 v[68:69], v[54:55], v[32:33] neg_lo:[0,1] neg_hi:[0,1]
	v_mov_b32_e32 v20, v55
	v_mov_b32_e32 v54, v35
	;; [unrolled: 1-line block ×4, first 2 shown]
	v_pk_add_f32 v[20:21], v[20:21], v[54:55] neg_lo:[0,1] neg_hi:[0,1]
	v_mov_b32_e32 v52, v53
	v_mov_b32_e32 v53, v34
	v_pk_add_f32 v[20:21], v[52:53], v[20:21] neg_lo:[0,1] neg_hi:[0,1]
	v_mov_b32_e32 v68, v64
	v_pk_add_f32 v[34:35], v[68:69], v[20:21]
	v_mov_b32_e32 v52, v35
	v_pk_add_f32 v[52:53], v[34:35], v[52:53]
	v_pk_add_f32 v[36:37], v[36:37], v[52:53]
	v_mov_b32_e32 v35, v36
	v_pk_add_f32 v[54:55], v[34:35], v[64:65] neg_lo:[0,1] neg_hi:[0,1]
	v_mov_b32_e32 v21, v52
	v_sub_f32_e32 v33, v34, v54
	v_pk_add_f32 v[20:21], v[20:21], v[54:55] neg_lo:[0,1] neg_hi:[0,1]
	v_sub_f32_e32 v33, v64, v33
	v_add_f32_e32 v20, v20, v33
	v_cmp_eq_f32_e64 s[12:13], s17, v51
	s_mov_b32 s17, 0x33800000
	v_add_f32_e32 v20, v20, v21
	v_cmp_lt_f32_e64 s[18:19], |v51|, s17
	v_add_f32_e32 v20, v36, v20
	s_or_b64 s[12:13], s[12:13], s[18:19]
	v_cndmask_b32_e64 v20, v20, v51, s[12:13]
	v_add_f32_e32 v7, v7, v20
	v_cvt_f16_f32_e32 v33, v7
	v_cvt_f32_f16_e32 v34, v33
.LBB381_266:
	s_or_b64 exec, exec, s[14:15]
	v_cvt_f32_f16_e32 v7, v22
	v_max_f32_e32 v20, v34, v34
	v_cmp_u_f16_e64 s[14:15], v33, v33
	v_cmp_u_f16_e64 s[12:13], v22, v22
	v_min_f32_e32 v21, v20, v7
	v_max_f32_e32 v20, v20, v7
	v_cndmask_b32_e64 v21, v21, v34, s[14:15]
	v_cndmask_b32_e64 v20, v20, v34, s[14:15]
	;; [unrolled: 1-line block ×4, first 2 shown]
	v_cmp_neq_f32_e64 s[14:15], v21, v20
	v_cmp_class_f32_e64 s[16:17], v21, s16
	s_or_b64 s[14:15], s[14:15], s[16:17]
	s_and_saveexec_b64 s[16:17], s[14:15]
	s_cbranch_execz .LBB381_268
; %bb.267:
	v_sub_f32_e32 v21, v21, v20
	s_mov_b32 s14, 0x3fb8aa3b
	v_mul_f32_e32 v33, 0x3fb8aa3b, v21
	v_fma_f32 v34, v21, s14, -v33
	v_rndne_f32_e32 v35, v33
	v_fmac_f32_e32 v34, 0x32a5705f, v21
	v_sub_f32_e32 v33, v33, v35
	v_add_f32_e32 v33, v33, v34
	v_exp_f32_e32 v33, v33
	v_cvt_i32_f32_e32 v34, v35
	s_mov_b32 s14, 0xc2ce8ed0
	v_cmp_ngt_f32_e64 s[14:15], s14, v21
	s_mov_b32 s18, 0x7f800000
	v_ldexp_f32 v33, v33, v34
	v_cndmask_b32_e64 v33, 0, v33, s[14:15]
	s_mov_b32 s14, 0x42b17218
	v_mov_b32_e32 v34, 0x7f800000
	v_cmp_nlt_f32_e64 s[14:15], s14, v21
	v_cndmask_b32_e64 v33, v34, v33, s[14:15]
	v_add_f32_e32 v21, 1.0, v33
	v_add_f32_e32 v34, -1.0, v21
	v_sub_f32_e32 v35, v34, v21
	v_add_f32_e32 v35, 1.0, v35
	v_sub_f32_e32 v34, v33, v34
	v_add_f32_e32 v36, v34, v35
	v_frexp_mant_f32_e32 v37, v21
	s_mov_b32 s14, 0x3f2aaaab
	v_cvt_f64_f32_e32 v[34:35], v21
	v_frexp_exp_i32_f64_e32 v34, v[34:35]
	v_cmp_gt_f32_e64 s[14:15], s14, v37
	v_subbrev_co_u32_e64 v51, s[14:15], 0, v34, s[14:15]
	v_sub_u32_e32 v34, 0, v51
	v_ldexp_f32 v21, v21, v34
	v_ldexp_f32 v34, v36, v34
	v_add_f32_e32 v36, -1.0, v21
	v_add_f32_e32 v35, 1.0, v36
	v_sub_f32_e32 v35, v21, v35
	v_add_f32_e32 v37, v34, v35
	v_add_f32_e32 v35, 1.0, v21
	v_add_f32_e32 v52, -1.0, v35
	v_sub_f32_e32 v21, v21, v52
	v_add_f32_e32 v21, v34, v21
	v_add_f32_e32 v64, v35, v21
	v_rcp_f32_e32 v65, v64
	v_sub_f32_e32 v34, v35, v64
	v_add_f32_e32 v35, v36, v37
	v_add_f32_e32 v21, v21, v34
	v_mul_f32_e32 v67, v35, v65
	v_sub_f32_e32 v34, v36, v35
	v_mul_f32_e32 v36, v64, v67
	v_fma_f32 v52, v67, v64, -v36
	v_fmac_f32_e32 v52, v67, v21
	v_add_f32_e32 v66, v37, v34
	v_add_f32_e32 v34, v36, v52
	v_sub_f32_e32 v37, v35, v34
	v_pk_add_f32 v[54:55], v[34:35], v[36:37] neg_lo:[0,1] neg_hi:[0,1]
	v_mov_b32_e32 v53, v34
	v_pk_add_f32 v[34:35], v[54:55], v[52:53] neg_lo:[0,1] neg_hi:[0,1]
	v_add_f32_e32 v35, v66, v35
	v_add_f32_e32 v34, v34, v35
	;; [unrolled: 1-line block ×3, first 2 shown]
	v_mul_f32_e32 v66, v65, v35
	v_mul_f32_e32 v36, v64, v66
	v_fma_f32 v52, v66, v64, -v36
	v_fmac_f32_e32 v52, v66, v21
	v_sub_f32_e32 v21, v37, v35
	v_add_f32_e32 v21, v34, v21
	v_add_f32_e32 v34, v36, v52
	v_sub_f32_e32 v37, v35, v34
	v_pk_add_f32 v[54:55], v[34:35], v[36:37] neg_lo:[0,1] neg_hi:[0,1]
	v_mov_b32_e32 v53, v34
	v_pk_add_f32 v[34:35], v[54:55], v[52:53] neg_lo:[0,1] neg_hi:[0,1]
	v_add_f32_e32 v21, v21, v35
	v_add_f32_e32 v21, v34, v21
	;; [unrolled: 1-line block ×4, first 2 shown]
	v_sub_f32_e32 v35, v34, v67
	v_mul_f32_e32 v21, v65, v21
	v_sub_f32_e32 v35, v66, v35
	v_add_f32_e32 v21, v35, v21
	v_add_f32_e32 v37, v34, v21
	v_mul_f32_e32 v52, v37, v37
	v_mov_b32_e32 v36, 0x3ecc95a3
	v_fmac_f32_e32 v36, 0x3e9b6dac, v52
	v_mov_b32_e32 v35, 0x3f2aaada
	v_fmac_f32_e32 v35, v52, v36
	v_cvt_f32_i32_e32 v36, v51
	v_sub_f32_e32 v34, v37, v34
	v_sub_f32_e32 v21, v21, v34
	v_ldexp_f32 v53, v37, 1
	v_mul_f32_e32 v37, v37, v52
	v_mov_b32_e32 v34, 0x3f317218
	s_mov_b32 s14, 0x3f317218
	v_pk_mul_f32 v[34:35], v[36:37], v[34:35]
	v_fma_f32 v52, v36, s14, -v34
	v_fmac_f32_e32 v52, 0xb102e308, v36
	v_pk_add_f32 v[36:37], v[34:35], v[52:53]
	v_sub_f32_e32 v51, v37, v53
	v_ldexp_f32 v21, v21, 1
	v_sub_f32_e32 v51, v35, v51
	v_add_f32_e32 v55, v21, v51
	v_mov_b32_e32 v54, v34
	v_pk_add_f32 v[34:35], v[36:37], v[34:35] neg_lo:[0,1] neg_hi:[0,1]
	v_pk_add_f32 v[64:65], v[36:37], v[54:55]
	v_mov_b32_e32 v35, v65
	v_mov_b32_e32 v53, v36
	v_pk_add_f32 v[66:67], v[52:53], v[34:35] neg_lo:[0,1] neg_hi:[0,1]
	v_pk_add_f32 v[34:35], v[52:53], v[34:35]
	v_mov_b32_e32 v52, v35
	v_pk_add_f32 v[68:69], v[52:53], v[36:37] neg_lo:[0,1] neg_hi:[0,1]
	v_mov_b32_e32 v21, v68
	v_pk_add_f32 v[70:71], v[64:65], v[20:21] neg_lo:[0,1] neg_hi:[0,1]
	v_mov_b32_e32 v34, v65
	v_mov_b32_e32 v64, v37
	;; [unrolled: 1-line block ×4, first 2 shown]
	v_pk_add_f32 v[34:35], v[34:35], v[64:65] neg_lo:[0,1] neg_hi:[0,1]
	v_mov_b32_e32 v54, v55
	v_mov_b32_e32 v55, v36
	v_pk_add_f32 v[34:35], v[54:55], v[34:35] neg_lo:[0,1] neg_hi:[0,1]
	v_mov_b32_e32 v70, v66
	v_pk_add_f32 v[36:37], v[70:71], v[34:35]
	v_mov_b32_e32 v54, v37
	v_pk_add_f32 v[54:55], v[36:37], v[54:55]
	v_pk_add_f32 v[52:53], v[52:53], v[54:55]
	v_mov_b32_e32 v37, v52
	v_pk_add_f32 v[64:65], v[36:37], v[66:67] neg_lo:[0,1] neg_hi:[0,1]
	v_mov_b32_e32 v35, v54
	v_sub_f32_e32 v21, v36, v64
	v_pk_add_f32 v[34:35], v[34:35], v[64:65] neg_lo:[0,1] neg_hi:[0,1]
	v_sub_f32_e32 v21, v66, v21
	v_add_f32_e32 v21, v34, v21
	v_cmp_eq_f32_e64 s[14:15], s18, v33
	s_mov_b32 s18, 0x33800000
	v_add_f32_e32 v21, v21, v35
	v_cmp_lt_f32_e64 s[18:19], |v33|, s18
	v_add_f32_e32 v21, v52, v21
	s_or_b64 s[14:15], s[14:15], s[18:19]
	v_cndmask_b32_e64 v21, v21, v33, s[14:15]
	v_add_f32_e32 v20, v20, v21
	v_cvt_f16_f32_e32 v33, v20
	v_cvt_f32_f16_e32 v34, v33
.LBB381_268:
	s_or_b64 exec, exec, s[16:17]
	v_cvt_f32_f16_sdwa v20, v22 dst_sel:DWORD dst_unused:UNUSED_PAD src0_sel:WORD_1
	v_max_f32_e32 v21, v34, v34
	v_cmp_u_f16_e64 s[16:17], v33, v33
	v_cmp_u_f16_sdwa s[14:15], v22, v22 src0_sel:WORD_1 src1_sel:WORD_1
	v_min_f32_e32 v35, v21, v20
	v_max_f32_e32 v21, v21, v20
	v_cndmask_b32_e64 v35, v35, v34, s[16:17]
	v_cndmask_b32_e64 v21, v21, v34, s[16:17]
	;; [unrolled: 1-line block ×4, first 2 shown]
	s_movk_i32 s20, 0x1f8
	v_cmp_neq_f32_e64 s[16:17], v22, v21
	v_cmp_class_f32_e64 s[18:19], v22, s20
	s_or_b64 s[16:17], s[16:17], s[18:19]
	s_and_saveexec_b64 s[18:19], s[16:17]
	s_cbranch_execz .LBB381_270
; %bb.269:
	v_sub_f32_e32 v22, v22, v21
	s_mov_b32 s16, 0x3fb8aa3b
	v_mul_f32_e32 v33, 0x3fb8aa3b, v22
	v_fma_f32 v34, v22, s16, -v33
	v_rndne_f32_e32 v35, v33
	v_fmac_f32_e32 v34, 0x32a5705f, v22
	v_sub_f32_e32 v33, v33, v35
	v_add_f32_e32 v33, v33, v34
	v_exp_f32_e32 v33, v33
	v_cvt_i32_f32_e32 v34, v35
	s_mov_b32 s16, 0xc2ce8ed0
	v_cmp_ngt_f32_e64 s[16:17], s16, v22
	s_mov_b32 s21, 0x7f800000
	v_ldexp_f32 v33, v33, v34
	v_cndmask_b32_e64 v33, 0, v33, s[16:17]
	s_mov_b32 s16, 0x42b17218
	v_mov_b32_e32 v34, 0x7f800000
	v_cmp_nlt_f32_e64 s[16:17], s16, v22
	v_cndmask_b32_e64 v51, v34, v33, s[16:17]
	v_add_f32_e32 v22, 1.0, v51
	v_add_f32_e32 v33, -1.0, v22
	v_sub_f32_e32 v34, v33, v22
	v_add_f32_e32 v34, 1.0, v34
	v_sub_f32_e32 v33, v51, v33
	v_add_f32_e32 v33, v33, v34
	v_frexp_mant_f32_e32 v36, v22
	s_mov_b32 s16, 0x3f2aaaab
	v_cvt_f64_f32_e32 v[34:35], v22
	v_frexp_exp_i32_f64_e32 v34, v[34:35]
	v_cmp_gt_f32_e64 s[16:17], s16, v36
	v_subbrev_co_u32_e64 v64, s[16:17], 0, v34, s[16:17]
	v_sub_u32_e32 v34, 0, v64
	v_ldexp_f32 v22, v22, v34
	v_ldexp_f32 v33, v33, v34
	v_add_f32_e32 v34, -1.0, v22
	v_add_f32_e32 v35, 1.0, v34
	v_sub_f32_e32 v35, v22, v35
	v_add_f32_e32 v36, v33, v35
	v_add_f32_e32 v35, 1.0, v22
	v_add_f32_e32 v37, -1.0, v35
	v_sub_f32_e32 v22, v22, v37
	v_add_f32_e32 v22, v33, v22
	v_add_f32_e32 v33, v35, v22
	v_rcp_f32_e32 v65, v33
	v_sub_f32_e32 v35, v35, v33
	v_add_f32_e32 v22, v22, v35
	v_add_f32_e32 v35, v34, v36
	v_sub_f32_e32 v34, v34, v35
	v_mul_f32_e32 v67, v35, v65
	v_add_f32_e32 v66, v36, v34
	v_mul_f32_e32 v36, v33, v67
	v_fma_f32 v52, v67, v33, -v36
	v_fmac_f32_e32 v52, v67, v22
	v_add_f32_e32 v34, v36, v52
	v_sub_f32_e32 v37, v35, v34
	v_pk_add_f32 v[54:55], v[34:35], v[36:37] neg_lo:[0,1] neg_hi:[0,1]
	v_mov_b32_e32 v53, v34
	v_pk_add_f32 v[34:35], v[54:55], v[52:53] neg_lo:[0,1] neg_hi:[0,1]
	v_add_f32_e32 v35, v66, v35
	v_add_f32_e32 v34, v34, v35
	v_add_f32_e32 v35, v37, v34
	v_mul_f32_e32 v66, v65, v35
	v_mul_f32_e32 v36, v33, v66
	v_fma_f32 v52, v66, v33, -v36
	v_fmac_f32_e32 v52, v66, v22
	v_sub_f32_e32 v22, v37, v35
	v_add_f32_e32 v22, v34, v22
	v_add_f32_e32 v34, v36, v52
	v_sub_f32_e32 v37, v35, v34
	v_pk_add_f32 v[54:55], v[34:35], v[36:37] neg_lo:[0,1] neg_hi:[0,1]
	v_mov_b32_e32 v53, v34
	v_pk_add_f32 v[34:35], v[54:55], v[52:53] neg_lo:[0,1] neg_hi:[0,1]
	v_add_f32_e32 v22, v22, v35
	v_add_f32_e32 v22, v34, v22
	;; [unrolled: 1-line block ×4, first 2 shown]
	v_sub_f32_e32 v34, v33, v67
	v_mul_f32_e32 v22, v65, v22
	v_sub_f32_e32 v34, v66, v34
	v_add_f32_e32 v22, v34, v22
	v_add_f32_e32 v34, v33, v22
	v_mul_f32_e32 v37, v34, v34
	v_mov_b32_e32 v36, 0x3ecc95a3
	v_fmac_f32_e32 v36, 0x3e9b6dac, v37
	v_mov_b32_e32 v35, 0x3f2aaada
	v_fmac_f32_e32 v35, v37, v36
	v_cvt_f32_i32_e32 v36, v64
	v_sub_f32_e32 v33, v34, v33
	v_ldexp_f32 v53, v34, 1
	v_mul_f32_e32 v37, v34, v37
	v_mov_b32_e32 v34, 0x3f317218
	s_mov_b32 s16, 0x3f317218
	v_pk_mul_f32 v[34:35], v[36:37], v[34:35]
	v_fma_f32 v52, v36, s16, -v34
	v_fmac_f32_e32 v52, 0xb102e308, v36
	v_pk_add_f32 v[36:37], v[34:35], v[52:53]
	v_sub_f32_e32 v22, v22, v33
	v_sub_f32_e32 v33, v37, v53
	v_ldexp_f32 v22, v22, 1
	v_sub_f32_e32 v33, v35, v33
	v_add_f32_e32 v55, v22, v33
	v_mov_b32_e32 v54, v34
	v_pk_add_f32 v[34:35], v[36:37], v[34:35] neg_lo:[0,1] neg_hi:[0,1]
	v_pk_add_f32 v[64:65], v[36:37], v[54:55]
	v_mov_b32_e32 v35, v65
	v_mov_b32_e32 v53, v36
	v_pk_add_f32 v[66:67], v[52:53], v[34:35] neg_lo:[0,1] neg_hi:[0,1]
	v_pk_add_f32 v[34:35], v[52:53], v[34:35]
	v_mov_b32_e32 v22, v35
	v_pk_add_f32 v[52:53], v[22:23], v[36:37] neg_lo:[0,1] neg_hi:[0,1]
	v_mov_b32_e32 v33, v52
	v_pk_add_f32 v[68:69], v[64:65], v[32:33] neg_lo:[0,1] neg_hi:[0,1]
	v_mov_b32_e32 v34, v65
	v_mov_b32_e32 v64, v37
	;; [unrolled: 1-line block ×4, first 2 shown]
	v_pk_add_f32 v[34:35], v[34:35], v[64:65] neg_lo:[0,1] neg_hi:[0,1]
	v_mov_b32_e32 v52, v55
	v_mov_b32_e32 v53, v36
	v_pk_add_f32 v[34:35], v[52:53], v[34:35] neg_lo:[0,1] neg_hi:[0,1]
	v_mov_b32_e32 v68, v66
	v_pk_add_f32 v[36:37], v[68:69], v[34:35]
	v_mov_b32_e32 v52, v37
	v_pk_add_f32 v[52:53], v[36:37], v[52:53]
	v_pk_add_f32 v[54:55], v[22:23], v[52:53]
	v_mov_b32_e32 v37, v54
	v_pk_add_f32 v[64:65], v[36:37], v[66:67] neg_lo:[0,1] neg_hi:[0,1]
	v_mov_b32_e32 v35, v52
	v_sub_f32_e32 v22, v36, v64
	v_pk_add_f32 v[34:35], v[34:35], v[64:65] neg_lo:[0,1] neg_hi:[0,1]
	v_sub_f32_e32 v22, v66, v22
	v_add_f32_e32 v22, v34, v22
	v_cmp_eq_f32_e64 s[16:17], s21, v51
	s_mov_b32 s21, 0x33800000
	v_add_f32_e32 v22, v22, v35
	v_cmp_lt_f32_e64 s[22:23], |v51|, s21
	v_add_f32_e32 v22, v54, v22
	s_or_b64 s[16:17], s[16:17], s[22:23]
	v_cndmask_b32_e64 v22, v22, v51, s[16:17]
	v_add_f32_e32 v21, v21, v22
	v_cvt_f16_f32_e32 v33, v21
	v_cvt_f32_f16_e32 v34, v33
.LBB381_270:
	s_or_b64 exec, exec, s[18:19]
	v_cvt_f32_f16_e32 v21, v23
	v_max_f32_e32 v22, v34, v34
	v_cmp_u_f16_e64 s[18:19], v33, v33
	v_cmp_u_f16_e64 s[16:17], v23, v23
	v_min_f32_e32 v35, v22, v21
	v_max_f32_e32 v22, v22, v21
	v_cndmask_b32_e64 v35, v35, v34, s[18:19]
	v_cndmask_b32_e64 v22, v22, v34, s[18:19]
	;; [unrolled: 1-line block ×4, first 2 shown]
	v_cmp_neq_f32_e64 s[18:19], v35, v22
	v_cmp_class_f32_e64 s[20:21], v35, s20
	s_or_b64 s[18:19], s[18:19], s[20:21]
	s_and_saveexec_b64 s[20:21], s[18:19]
	s_cbranch_execz .LBB381_272
; %bb.271:
	v_sub_f32_e32 v33, v35, v22
	s_mov_b32 s18, 0x3fb8aa3b
	v_mul_f32_e32 v34, 0x3fb8aa3b, v33
	v_fma_f32 v35, v33, s18, -v34
	v_rndne_f32_e32 v36, v34
	v_fmac_f32_e32 v35, 0x32a5705f, v33
	v_sub_f32_e32 v34, v34, v36
	v_add_f32_e32 v34, v34, v35
	v_exp_f32_e32 v34, v34
	v_cvt_i32_f32_e32 v35, v36
	s_mov_b32 s18, 0xc2ce8ed0
	v_cmp_ngt_f32_e64 s[18:19], s18, v33
	s_mov_b32 s22, 0x7f800000
	v_ldexp_f32 v34, v34, v35
	v_cndmask_b32_e64 v34, 0, v34, s[18:19]
	s_mov_b32 s18, 0x42b17218
	v_mov_b32_e32 v35, 0x7f800000
	v_cmp_nlt_f32_e64 s[18:19], s18, v33
	v_cndmask_b32_e64 v51, v35, v34, s[18:19]
	v_add_f32_e32 v33, 1.0, v51
	v_add_f32_e32 v34, -1.0, v33
	v_sub_f32_e32 v35, v34, v33
	v_add_f32_e32 v35, 1.0, v35
	v_sub_f32_e32 v34, v51, v34
	v_add_f32_e32 v36, v34, v35
	v_frexp_mant_f32_e32 v37, v33
	s_mov_b32 s18, 0x3f2aaaab
	v_cvt_f64_f32_e32 v[34:35], v33
	v_frexp_exp_i32_f64_e32 v34, v[34:35]
	v_cmp_gt_f32_e64 s[18:19], s18, v37
	v_subbrev_co_u32_e64 v64, s[18:19], 0, v34, s[18:19]
	v_sub_u32_e32 v34, 0, v64
	v_ldexp_f32 v33, v33, v34
	v_ldexp_f32 v34, v36, v34
	v_add_f32_e32 v36, -1.0, v33
	v_add_f32_e32 v35, 1.0, v36
	v_sub_f32_e32 v35, v33, v35
	v_add_f32_e32 v37, v34, v35
	v_add_f32_e32 v35, 1.0, v33
	v_add_f32_e32 v52, -1.0, v35
	v_sub_f32_e32 v33, v33, v52
	v_add_f32_e32 v33, v34, v33
	v_add_f32_e32 v65, v35, v33
	v_rcp_f32_e32 v66, v65
	v_sub_f32_e32 v34, v35, v65
	v_add_f32_e32 v35, v36, v37
	v_add_f32_e32 v33, v33, v34
	v_mul_f32_e32 v68, v35, v66
	v_sub_f32_e32 v34, v36, v35
	v_mul_f32_e32 v36, v65, v68
	v_fma_f32 v52, v68, v65, -v36
	v_fmac_f32_e32 v52, v68, v33
	v_add_f32_e32 v67, v37, v34
	v_add_f32_e32 v34, v36, v52
	v_sub_f32_e32 v37, v35, v34
	v_pk_add_f32 v[54:55], v[34:35], v[36:37] neg_lo:[0,1] neg_hi:[0,1]
	v_mov_b32_e32 v53, v34
	v_pk_add_f32 v[34:35], v[54:55], v[52:53] neg_lo:[0,1] neg_hi:[0,1]
	v_add_f32_e32 v35, v67, v35
	v_add_f32_e32 v34, v34, v35
	;; [unrolled: 1-line block ×3, first 2 shown]
	v_mul_f32_e32 v67, v66, v35
	v_mul_f32_e32 v36, v65, v67
	v_fma_f32 v52, v67, v65, -v36
	v_fmac_f32_e32 v52, v67, v33
	v_sub_f32_e32 v33, v37, v35
	v_add_f32_e32 v33, v34, v33
	v_add_f32_e32 v34, v36, v52
	v_sub_f32_e32 v37, v35, v34
	v_pk_add_f32 v[54:55], v[34:35], v[36:37] neg_lo:[0,1] neg_hi:[0,1]
	v_mov_b32_e32 v53, v34
	v_pk_add_f32 v[34:35], v[54:55], v[52:53] neg_lo:[0,1] neg_hi:[0,1]
	v_add_f32_e32 v33, v33, v35
	v_add_f32_e32 v33, v34, v33
	;; [unrolled: 1-line block ×4, first 2 shown]
	v_sub_f32_e32 v35, v34, v68
	v_mul_f32_e32 v33, v66, v33
	v_sub_f32_e32 v35, v67, v35
	v_add_f32_e32 v33, v35, v33
	v_add_f32_e32 v37, v34, v33
	v_mul_f32_e32 v52, v37, v37
	v_mov_b32_e32 v36, 0x3ecc95a3
	v_fmac_f32_e32 v36, 0x3e9b6dac, v52
	v_mov_b32_e32 v35, 0x3f2aaada
	v_fmac_f32_e32 v35, v52, v36
	v_cvt_f32_i32_e32 v36, v64
	v_sub_f32_e32 v34, v37, v34
	v_sub_f32_e32 v33, v33, v34
	v_ldexp_f32 v53, v37, 1
	v_mul_f32_e32 v37, v37, v52
	v_mov_b32_e32 v34, 0x3f317218
	s_mov_b32 s18, 0x3f317218
	v_pk_mul_f32 v[34:35], v[36:37], v[34:35]
	v_fma_f32 v52, v36, s18, -v34
	v_fmac_f32_e32 v52, 0xb102e308, v36
	v_pk_add_f32 v[36:37], v[34:35], v[52:53]
	v_sub_f32_e32 v53, v37, v53
	v_ldexp_f32 v33, v33, 1
	v_sub_f32_e32 v53, v35, v53
	v_add_f32_e32 v55, v33, v53
	v_mov_b32_e32 v54, v34
	v_pk_add_f32 v[34:35], v[36:37], v[34:35] neg_lo:[0,1] neg_hi:[0,1]
	v_pk_add_f32 v[64:65], v[36:37], v[54:55]
	v_mov_b32_e32 v35, v65
	v_mov_b32_e32 v53, v36
	v_pk_add_f32 v[66:67], v[52:53], v[34:35] neg_lo:[0,1] neg_hi:[0,1]
	v_pk_add_f32 v[34:35], v[52:53], v[34:35]
	v_mov_b32_e32 v52, v35
	v_pk_add_f32 v[68:69], v[52:53], v[36:37] neg_lo:[0,1] neg_hi:[0,1]
	v_mov_b32_e32 v33, v68
	v_pk_add_f32 v[70:71], v[64:65], v[32:33] neg_lo:[0,1] neg_hi:[0,1]
	v_mov_b32_e32 v34, v65
	v_mov_b32_e32 v64, v37
	;; [unrolled: 1-line block ×4, first 2 shown]
	v_pk_add_f32 v[34:35], v[34:35], v[64:65] neg_lo:[0,1] neg_hi:[0,1]
	v_mov_b32_e32 v54, v55
	v_mov_b32_e32 v55, v36
	v_pk_add_f32 v[34:35], v[54:55], v[34:35] neg_lo:[0,1] neg_hi:[0,1]
	v_mov_b32_e32 v70, v66
	v_pk_add_f32 v[36:37], v[70:71], v[34:35]
	v_mov_b32_e32 v54, v37
	v_pk_add_f32 v[54:55], v[36:37], v[54:55]
	v_pk_add_f32 v[52:53], v[52:53], v[54:55]
	v_mov_b32_e32 v37, v52
	v_pk_add_f32 v[64:65], v[36:37], v[66:67] neg_lo:[0,1] neg_hi:[0,1]
	v_mov_b32_e32 v35, v54
	v_sub_f32_e32 v33, v36, v64
	v_pk_add_f32 v[34:35], v[34:35], v[64:65] neg_lo:[0,1] neg_hi:[0,1]
	v_sub_f32_e32 v33, v66, v33
	v_add_f32_e32 v33, v34, v33
	v_cmp_eq_f32_e64 s[18:19], s22, v51
	s_mov_b32 s22, 0x33800000
	v_add_f32_e32 v33, v33, v35
	v_cmp_lt_f32_e64 s[22:23], |v51|, s22
	v_add_f32_e32 v33, v52, v33
	s_or_b64 s[18:19], s[18:19], s[22:23]
	v_cndmask_b32_e64 v33, v33, v51, s[18:19]
	v_add_f32_e32 v22, v22, v33
	v_cvt_f16_f32_e32 v33, v22
	v_cvt_f32_f16_e32 v34, v33
.LBB381_272:
	s_or_b64 exec, exec, s[20:21]
	v_cvt_f32_f16_sdwa v22, v23 dst_sel:DWORD dst_unused:UNUSED_PAD src0_sel:WORD_1
	v_max_f32_e32 v36, v34, v34
	v_cmp_u_f16_e64 s[20:21], v33, v33
	v_cmp_u_f16_sdwa s[18:19], v23, v23 src0_sel:WORD_1 src1_sel:WORD_1
	v_min_f32_e32 v35, v36, v22
	v_max_f32_e32 v23, v36, v22
	v_cndmask_b32_e64 v35, v35, v34, s[20:21]
	v_cndmask_b32_e64 v23, v23, v34, s[20:21]
	;; [unrolled: 1-line block ×4, first 2 shown]
	s_movk_i32 s24, 0x1f8
	v_cmp_neq_f32_e64 s[20:21], v35, v23
	v_cmp_class_f32_e64 s[22:23], v35, s24
	s_or_b64 s[20:21], s[20:21], s[22:23]
	s_and_saveexec_b64 s[22:23], s[20:21]
	s_cbranch_execz .LBB381_274
; %bb.273:
	v_sub_f32_e32 v33, v35, v23
	s_mov_b32 s20, 0x3fb8aa3b
	v_mul_f32_e32 v34, 0x3fb8aa3b, v33
	v_fma_f32 v35, v33, s20, -v34
	v_rndne_f32_e32 v36, v34
	v_fmac_f32_e32 v35, 0x32a5705f, v33
	v_sub_f32_e32 v34, v34, v36
	v_add_f32_e32 v34, v34, v35
	v_exp_f32_e32 v34, v34
	v_cvt_i32_f32_e32 v35, v36
	s_mov_b32 s20, 0xc2ce8ed0
	v_cmp_ngt_f32_e64 s[20:21], s20, v33
	s_mov_b32 s25, 0x7f800000
	v_ldexp_f32 v34, v34, v35
	v_cndmask_b32_e64 v34, 0, v34, s[20:21]
	s_mov_b32 s20, 0x42b17218
	v_mov_b32_e32 v35, 0x7f800000
	v_cmp_nlt_f32_e64 s[20:21], s20, v33
	v_cndmask_b32_e64 v51, v35, v34, s[20:21]
	v_add_f32_e32 v33, 1.0, v51
	v_add_f32_e32 v34, -1.0, v33
	v_sub_f32_e32 v35, v34, v33
	v_add_f32_e32 v35, 1.0, v35
	v_sub_f32_e32 v34, v51, v34
	v_add_f32_e32 v36, v34, v35
	v_frexp_mant_f32_e32 v37, v33
	s_mov_b32 s20, 0x3f2aaaab
	v_cvt_f64_f32_e32 v[34:35], v33
	v_frexp_exp_i32_f64_e32 v34, v[34:35]
	v_cmp_gt_f32_e64 s[20:21], s20, v37
	v_subbrev_co_u32_e64 v64, s[20:21], 0, v34, s[20:21]
	v_sub_u32_e32 v34, 0, v64
	v_ldexp_f32 v33, v33, v34
	v_ldexp_f32 v34, v36, v34
	v_add_f32_e32 v36, -1.0, v33
	v_add_f32_e32 v35, 1.0, v36
	v_sub_f32_e32 v35, v33, v35
	v_add_f32_e32 v37, v34, v35
	v_add_f32_e32 v35, 1.0, v33
	v_add_f32_e32 v52, -1.0, v35
	v_sub_f32_e32 v33, v33, v52
	v_add_f32_e32 v33, v34, v33
	v_add_f32_e32 v65, v35, v33
	v_rcp_f32_e32 v66, v65
	v_sub_f32_e32 v34, v35, v65
	v_add_f32_e32 v35, v36, v37
	v_add_f32_e32 v33, v33, v34
	v_mul_f32_e32 v68, v35, v66
	v_sub_f32_e32 v34, v36, v35
	v_mul_f32_e32 v36, v65, v68
	v_fma_f32 v52, v68, v65, -v36
	v_fmac_f32_e32 v52, v68, v33
	v_add_f32_e32 v67, v37, v34
	v_add_f32_e32 v34, v36, v52
	v_sub_f32_e32 v37, v35, v34
	v_pk_add_f32 v[54:55], v[34:35], v[36:37] neg_lo:[0,1] neg_hi:[0,1]
	v_mov_b32_e32 v53, v34
	v_pk_add_f32 v[34:35], v[54:55], v[52:53] neg_lo:[0,1] neg_hi:[0,1]
	v_add_f32_e32 v35, v67, v35
	v_add_f32_e32 v34, v34, v35
	;; [unrolled: 1-line block ×3, first 2 shown]
	v_mul_f32_e32 v67, v66, v35
	v_mul_f32_e32 v36, v65, v67
	v_fma_f32 v52, v67, v65, -v36
	v_fmac_f32_e32 v52, v67, v33
	v_sub_f32_e32 v33, v37, v35
	v_add_f32_e32 v33, v34, v33
	v_add_f32_e32 v34, v36, v52
	v_sub_f32_e32 v37, v35, v34
	v_pk_add_f32 v[54:55], v[34:35], v[36:37] neg_lo:[0,1] neg_hi:[0,1]
	v_mov_b32_e32 v53, v34
	v_pk_add_f32 v[34:35], v[54:55], v[52:53] neg_lo:[0,1] neg_hi:[0,1]
	v_add_f32_e32 v33, v33, v35
	v_add_f32_e32 v33, v34, v33
	;; [unrolled: 1-line block ×4, first 2 shown]
	v_sub_f32_e32 v35, v34, v68
	v_mul_f32_e32 v33, v66, v33
	v_sub_f32_e32 v35, v67, v35
	v_add_f32_e32 v33, v35, v33
	v_add_f32_e32 v37, v34, v33
	v_mul_f32_e32 v52, v37, v37
	v_mov_b32_e32 v36, 0x3ecc95a3
	v_fmac_f32_e32 v36, 0x3e9b6dac, v52
	v_mov_b32_e32 v35, 0x3f2aaada
	v_fmac_f32_e32 v35, v52, v36
	v_cvt_f32_i32_e32 v36, v64
	v_sub_f32_e32 v34, v37, v34
	v_sub_f32_e32 v33, v33, v34
	v_ldexp_f32 v53, v37, 1
	v_mul_f32_e32 v37, v37, v52
	v_mov_b32_e32 v34, 0x3f317218
	s_mov_b32 s20, 0x3f317218
	v_pk_mul_f32 v[34:35], v[36:37], v[34:35]
	v_fma_f32 v52, v36, s20, -v34
	v_fmac_f32_e32 v52, 0xb102e308, v36
	v_pk_add_f32 v[36:37], v[34:35], v[52:53]
	v_sub_f32_e32 v53, v37, v53
	v_ldexp_f32 v33, v33, 1
	v_sub_f32_e32 v53, v35, v53
	v_add_f32_e32 v55, v33, v53
	v_mov_b32_e32 v54, v34
	v_pk_add_f32 v[34:35], v[36:37], v[34:35] neg_lo:[0,1] neg_hi:[0,1]
	v_pk_add_f32 v[64:65], v[36:37], v[54:55]
	v_mov_b32_e32 v35, v65
	v_mov_b32_e32 v53, v36
	v_pk_add_f32 v[66:67], v[52:53], v[34:35] neg_lo:[0,1] neg_hi:[0,1]
	v_pk_add_f32 v[34:35], v[52:53], v[34:35]
	v_mov_b32_e32 v52, v35
	v_pk_add_f32 v[68:69], v[52:53], v[36:37] neg_lo:[0,1] neg_hi:[0,1]
	v_mov_b32_e32 v33, v68
	v_pk_add_f32 v[70:71], v[64:65], v[32:33] neg_lo:[0,1] neg_hi:[0,1]
	v_mov_b32_e32 v34, v65
	v_mov_b32_e32 v64, v37
	;; [unrolled: 1-line block ×4, first 2 shown]
	v_pk_add_f32 v[34:35], v[34:35], v[64:65] neg_lo:[0,1] neg_hi:[0,1]
	v_mov_b32_e32 v54, v55
	v_mov_b32_e32 v55, v36
	v_pk_add_f32 v[34:35], v[54:55], v[34:35] neg_lo:[0,1] neg_hi:[0,1]
	v_mov_b32_e32 v70, v66
	v_pk_add_f32 v[36:37], v[70:71], v[34:35]
	v_mov_b32_e32 v54, v37
	v_pk_add_f32 v[54:55], v[36:37], v[54:55]
	v_pk_add_f32 v[52:53], v[52:53], v[54:55]
	v_mov_b32_e32 v37, v52
	v_pk_add_f32 v[64:65], v[36:37], v[66:67] neg_lo:[0,1] neg_hi:[0,1]
	v_mov_b32_e32 v35, v54
	v_sub_f32_e32 v33, v36, v64
	v_pk_add_f32 v[34:35], v[34:35], v[64:65] neg_lo:[0,1] neg_hi:[0,1]
	v_sub_f32_e32 v33, v66, v33
	v_add_f32_e32 v33, v34, v33
	v_cmp_eq_f32_e64 s[20:21], s25, v51
	s_mov_b32 s25, 0x33800000
	v_add_f32_e32 v33, v33, v35
	v_cmp_lt_f32_e64 s[26:27], |v51|, s25
	v_add_f32_e32 v33, v52, v33
	s_or_b64 s[20:21], s[20:21], s[26:27]
	v_cndmask_b32_e64 v33, v33, v51, s[20:21]
	v_add_f32_e32 v23, v23, v33
	v_cvt_f16_f32_e32 v33, v23
	v_cvt_f32_f16_e32 v34, v33
.LBB381_274:
	s_or_b64 exec, exec, s[22:23]
	v_cvt_f32_f16_e32 v23, v16
	v_max_f32_e32 v35, v34, v34
	v_cmp_u_f16_e64 s[22:23], v33, v33
	v_cmp_u_f16_e64 s[20:21], v16, v16
	v_min_f32_e32 v36, v35, v23
	v_max_f32_e32 v35, v35, v23
	v_cndmask_b32_e64 v36, v36, v34, s[22:23]
	v_cndmask_b32_e64 v35, v35, v34, s[22:23]
	;; [unrolled: 1-line block ×4, first 2 shown]
	v_cmp_neq_f32_e64 s[22:23], v36, v35
	v_cmp_class_f32_e64 s[24:25], v36, s24
	s_or_b64 s[22:23], s[22:23], s[24:25]
	s_and_saveexec_b64 s[24:25], s[22:23]
	s_cbranch_execz .LBB381_276
; %bb.275:
	v_sub_f32_e32 v33, v36, v35
	s_mov_b32 s22, 0x3fb8aa3b
	v_mul_f32_e32 v34, 0x3fb8aa3b, v33
	v_fma_f32 v36, v33, s22, -v34
	v_rndne_f32_e32 v37, v34
	v_fmac_f32_e32 v36, 0x32a5705f, v33
	v_sub_f32_e32 v34, v34, v37
	v_add_f32_e32 v34, v34, v36
	v_exp_f32_e32 v34, v34
	v_cvt_i32_f32_e32 v36, v37
	s_mov_b32 s22, 0xc2ce8ed0
	v_cmp_ngt_f32_e64 s[22:23], s22, v33
	s_mov_b32 s26, 0x7f800000
	v_ldexp_f32 v34, v34, v36
	v_cndmask_b32_e64 v34, 0, v34, s[22:23]
	s_mov_b32 s22, 0x42b17218
	v_mov_b32_e32 v36, 0x7f800000
	v_cmp_nlt_f32_e64 s[22:23], s22, v33
	v_cndmask_b32_e64 v51, v36, v34, s[22:23]
	v_add_f32_e32 v33, 1.0, v51
	v_add_f32_e32 v34, -1.0, v33
	v_sub_f32_e32 v36, v34, v33
	v_add_f32_e32 v36, 1.0, v36
	v_sub_f32_e32 v34, v51, v34
	v_add_f32_e32 v34, v34, v36
	v_frexp_mant_f32_e32 v52, v33
	s_mov_b32 s22, 0x3f2aaaab
	v_cvt_f64_f32_e32 v[36:37], v33
	v_frexp_exp_i32_f64_e32 v36, v[36:37]
	v_cmp_gt_f32_e64 s[22:23], s22, v52
	v_subbrev_co_u32_e64 v66, s[22:23], 0, v36, s[22:23]
	v_sub_u32_e32 v36, 0, v66
	v_ldexp_f32 v33, v33, v36
	v_ldexp_f32 v34, v34, v36
	v_add_f32_e32 v36, -1.0, v33
	v_add_f32_e32 v37, 1.0, v36
	v_sub_f32_e32 v37, v33, v37
	v_add_f32_e32 v52, v34, v37
	v_add_f32_e32 v37, 1.0, v33
	v_add_f32_e32 v53, -1.0, v37
	v_sub_f32_e32 v33, v33, v53
	v_add_f32_e32 v33, v34, v33
	v_add_f32_e32 v34, v37, v33
	v_rcp_f32_e32 v67, v34
	v_sub_f32_e32 v37, v37, v34
	v_add_f32_e32 v33, v33, v37
	v_add_f32_e32 v37, v36, v52
	v_sub_f32_e32 v36, v36, v37
	v_mul_f32_e32 v69, v37, v67
	v_add_f32_e32 v68, v52, v36
	v_mul_f32_e32 v52, v34, v69
	v_fma_f32 v54, v69, v34, -v52
	v_fmac_f32_e32 v54, v69, v33
	v_add_f32_e32 v36, v52, v54
	v_sub_f32_e32 v53, v37, v36
	v_pk_add_f32 v[64:65], v[36:37], v[52:53] neg_lo:[0,1] neg_hi:[0,1]
	v_mov_b32_e32 v55, v36
	v_pk_add_f32 v[36:37], v[64:65], v[54:55] neg_lo:[0,1] neg_hi:[0,1]
	v_add_f32_e32 v37, v68, v37
	v_add_f32_e32 v36, v36, v37
	;; [unrolled: 1-line block ×3, first 2 shown]
	v_mul_f32_e32 v68, v67, v37
	v_mul_f32_e32 v52, v34, v68
	v_fma_f32 v54, v68, v34, -v52
	v_fmac_f32_e32 v54, v68, v33
	v_sub_f32_e32 v33, v53, v37
	v_add_f32_e32 v33, v36, v33
	v_add_f32_e32 v36, v52, v54
	v_sub_f32_e32 v53, v37, v36
	v_pk_add_f32 v[64:65], v[36:37], v[52:53] neg_lo:[0,1] neg_hi:[0,1]
	v_mov_b32_e32 v55, v36
	v_pk_add_f32 v[36:37], v[64:65], v[54:55] neg_lo:[0,1] neg_hi:[0,1]
	v_add_f32_e32 v33, v33, v37
	v_add_f32_e32 v33, v36, v33
	;; [unrolled: 1-line block ×4, first 2 shown]
	v_sub_f32_e32 v36, v34, v69
	v_mul_f32_e32 v33, v67, v33
	v_sub_f32_e32 v36, v68, v36
	v_add_f32_e32 v33, v36, v33
	v_add_f32_e32 v36, v34, v33
	v_mul_f32_e32 v53, v36, v36
	v_mov_b32_e32 v52, 0x3ecc95a3
	v_fmac_f32_e32 v52, 0x3e9b6dac, v53
	v_mov_b32_e32 v37, 0x3f2aaada
	v_fmac_f32_e32 v37, v53, v52
	v_cvt_f32_i32_e32 v52, v66
	v_sub_f32_e32 v34, v36, v34
	v_ldexp_f32 v55, v36, 1
	v_mul_f32_e32 v53, v36, v53
	v_mov_b32_e32 v36, 0x3f317218
	s_mov_b32 s22, 0x3f317218
	v_pk_mul_f32 v[36:37], v[52:53], v[36:37]
	v_fma_f32 v54, v52, s22, -v36
	v_fmac_f32_e32 v54, 0xb102e308, v52
	v_pk_add_f32 v[52:53], v[36:37], v[54:55]
	v_sub_f32_e32 v33, v33, v34
	v_sub_f32_e32 v34, v53, v55
	v_ldexp_f32 v33, v33, 1
	v_sub_f32_e32 v34, v37, v34
	v_add_f32_e32 v65, v33, v34
	v_mov_b32_e32 v64, v36
	v_pk_add_f32 v[36:37], v[52:53], v[36:37] neg_lo:[0,1] neg_hi:[0,1]
	v_pk_add_f32 v[66:67], v[52:53], v[64:65]
	v_mov_b32_e32 v37, v67
	v_mov_b32_e32 v55, v52
	v_pk_add_f32 v[68:69], v[54:55], v[36:37] neg_lo:[0,1] neg_hi:[0,1]
	v_pk_add_f32 v[36:37], v[54:55], v[36:37]
	v_mov_b32_e32 v34, v37
	v_pk_add_f32 v[54:55], v[34:35], v[52:53] neg_lo:[0,1] neg_hi:[0,1]
	v_mov_b32_e32 v33, v54
	v_pk_add_f32 v[70:71], v[66:67], v[32:33] neg_lo:[0,1] neg_hi:[0,1]
	v_mov_b32_e32 v36, v67
	v_mov_b32_e32 v66, v53
	;; [unrolled: 1-line block ×4, first 2 shown]
	v_pk_add_f32 v[36:37], v[36:37], v[66:67] neg_lo:[0,1] neg_hi:[0,1]
	v_mov_b32_e32 v54, v65
	v_mov_b32_e32 v55, v52
	v_pk_add_f32 v[36:37], v[54:55], v[36:37] neg_lo:[0,1] neg_hi:[0,1]
	v_mov_b32_e32 v70, v68
	v_pk_add_f32 v[52:53], v[70:71], v[36:37]
	v_mov_b32_e32 v54, v53
	v_pk_add_f32 v[54:55], v[52:53], v[54:55]
	v_pk_add_f32 v[64:65], v[34:35], v[54:55]
	v_mov_b32_e32 v53, v64
	v_pk_add_f32 v[66:67], v[52:53], v[68:69] neg_lo:[0,1] neg_hi:[0,1]
	v_mov_b32_e32 v37, v54
	v_sub_f32_e32 v33, v52, v66
	v_pk_add_f32 v[36:37], v[36:37], v[66:67] neg_lo:[0,1] neg_hi:[0,1]
	v_sub_f32_e32 v33, v68, v33
	v_add_f32_e32 v33, v36, v33
	v_cmp_eq_f32_e64 s[22:23], s26, v51
	s_mov_b32 s26, 0x33800000
	v_add_f32_e32 v33, v33, v37
	v_cmp_lt_f32_e64 s[26:27], |v51|, s26
	v_add_f32_e32 v33, v64, v33
	s_or_b64 s[22:23], s[22:23], s[26:27]
	v_cndmask_b32_e64 v33, v33, v51, s[22:23]
	v_add_f32_e32 v33, v35, v33
	v_cvt_f16_f32_e32 v33, v33
	v_cvt_f32_f16_e32 v34, v33
.LBB381_276:
	s_or_b64 exec, exec, s[24:25]
	v_cvt_f32_f16_sdwa v52, v16 dst_sel:DWORD dst_unused:UNUSED_PAD src0_sel:WORD_1
	v_max_f32_e32 v36, v34, v34
	v_cmp_u_f16_e64 s[24:25], v33, v33
	v_cmp_u_f16_sdwa s[22:23], v16, v16 src0_sel:WORD_1 src1_sel:WORD_1
	v_min_f32_e32 v35, v36, v52
	v_max_f32_e32 v16, v36, v52
	v_cndmask_b32_e64 v35, v35, v34, s[24:25]
	v_cndmask_b32_e64 v16, v16, v34, s[24:25]
	;; [unrolled: 1-line block ×4, first 2 shown]
	s_movk_i32 s28, 0x1f8
	v_cmp_neq_f32_e64 s[24:25], v35, v16
	v_cmp_class_f32_e64 s[26:27], v35, s28
	s_or_b64 s[24:25], s[24:25], s[26:27]
	s_and_saveexec_b64 s[26:27], s[24:25]
	s_cbranch_execz .LBB381_278
; %bb.277:
	v_sub_f32_e32 v33, v35, v16
	s_mov_b32 s24, 0x3fb8aa3b
	v_mul_f32_e32 v34, 0x3fb8aa3b, v33
	v_fma_f32 v35, v33, s24, -v34
	v_rndne_f32_e32 v36, v34
	v_fmac_f32_e32 v35, 0x32a5705f, v33
	v_sub_f32_e32 v34, v34, v36
	v_add_f32_e32 v34, v34, v35
	v_exp_f32_e32 v34, v34
	v_cvt_i32_f32_e32 v35, v36
	s_mov_b32 s24, 0xc2ce8ed0
	v_cmp_ngt_f32_e64 s[24:25], s24, v33
	s_mov_b32 s29, 0x7f800000
	v_ldexp_f32 v34, v34, v35
	v_cndmask_b32_e64 v34, 0, v34, s[24:25]
	s_mov_b32 s24, 0x42b17218
	v_mov_b32_e32 v35, 0x7f800000
	v_cmp_nlt_f32_e64 s[24:25], s24, v33
	v_cndmask_b32_e64 v51, v35, v34, s[24:25]
	v_add_f32_e32 v33, 1.0, v51
	v_add_f32_e32 v34, -1.0, v33
	v_sub_f32_e32 v35, v34, v33
	v_add_f32_e32 v35, 1.0, v35
	v_sub_f32_e32 v34, v51, v34
	v_add_f32_e32 v36, v34, v35
	v_frexp_mant_f32_e32 v37, v33
	s_mov_b32 s24, 0x3f2aaaab
	v_cvt_f64_f32_e32 v[34:35], v33
	v_frexp_exp_i32_f64_e32 v34, v[34:35]
	v_cmp_gt_f32_e64 s[24:25], s24, v37
	v_subbrev_co_u32_e64 v53, s[24:25], 0, v34, s[24:25]
	v_sub_u32_e32 v34, 0, v53
	v_ldexp_f32 v33, v33, v34
	v_ldexp_f32 v34, v36, v34
	v_add_f32_e32 v36, -1.0, v33
	v_add_f32_e32 v35, 1.0, v36
	v_sub_f32_e32 v35, v33, v35
	v_add_f32_e32 v37, v34, v35
	v_add_f32_e32 v35, 1.0, v33
	v_add_f32_e32 v54, -1.0, v35
	v_sub_f32_e32 v33, v33, v54
	v_add_f32_e32 v33, v34, v33
	v_add_f32_e32 v66, v35, v33
	v_rcp_f32_e32 v67, v66
	v_sub_f32_e32 v34, v35, v66
	v_add_f32_e32 v35, v36, v37
	v_add_f32_e32 v33, v33, v34
	v_mul_f32_e32 v69, v35, v67
	v_sub_f32_e32 v34, v36, v35
	v_mul_f32_e32 v36, v66, v69
	v_fma_f32 v54, v69, v66, -v36
	v_fmac_f32_e32 v54, v69, v33
	v_add_f32_e32 v68, v37, v34
	v_add_f32_e32 v34, v36, v54
	v_sub_f32_e32 v37, v35, v34
	v_pk_add_f32 v[64:65], v[34:35], v[36:37] neg_lo:[0,1] neg_hi:[0,1]
	v_mov_b32_e32 v55, v34
	v_pk_add_f32 v[34:35], v[64:65], v[54:55] neg_lo:[0,1] neg_hi:[0,1]
	v_add_f32_e32 v35, v68, v35
	v_add_f32_e32 v34, v34, v35
	;; [unrolled: 1-line block ×3, first 2 shown]
	v_mul_f32_e32 v68, v67, v35
	v_mul_f32_e32 v36, v66, v68
	v_fma_f32 v54, v68, v66, -v36
	v_fmac_f32_e32 v54, v68, v33
	v_sub_f32_e32 v33, v37, v35
	v_add_f32_e32 v33, v34, v33
	v_add_f32_e32 v34, v36, v54
	v_sub_f32_e32 v37, v35, v34
	v_pk_add_f32 v[64:65], v[34:35], v[36:37] neg_lo:[0,1] neg_hi:[0,1]
	v_mov_b32_e32 v55, v34
	v_pk_add_f32 v[34:35], v[64:65], v[54:55] neg_lo:[0,1] neg_hi:[0,1]
	v_add_f32_e32 v33, v33, v35
	v_add_f32_e32 v33, v34, v33
	;; [unrolled: 1-line block ×4, first 2 shown]
	v_sub_f32_e32 v35, v34, v69
	v_mul_f32_e32 v33, v67, v33
	v_sub_f32_e32 v35, v68, v35
	v_add_f32_e32 v33, v35, v33
	v_add_f32_e32 v37, v34, v33
	v_mul_f32_e32 v54, v37, v37
	v_mov_b32_e32 v36, 0x3ecc95a3
	v_fmac_f32_e32 v36, 0x3e9b6dac, v54
	v_mov_b32_e32 v35, 0x3f2aaada
	v_fmac_f32_e32 v35, v54, v36
	v_cvt_f32_i32_e32 v36, v53
	v_sub_f32_e32 v34, v37, v34
	v_sub_f32_e32 v33, v33, v34
	v_ldexp_f32 v55, v37, 1
	v_mul_f32_e32 v37, v37, v54
	v_mov_b32_e32 v34, 0x3f317218
	s_mov_b32 s24, 0x3f317218
	v_pk_mul_f32 v[34:35], v[36:37], v[34:35]
	v_fma_f32 v54, v36, s24, -v34
	v_fmac_f32_e32 v54, 0xb102e308, v36
	v_pk_add_f32 v[36:37], v[34:35], v[54:55]
	v_sub_f32_e32 v53, v37, v55
	v_ldexp_f32 v33, v33, 1
	v_sub_f32_e32 v53, v35, v53
	v_add_f32_e32 v65, v33, v53
	v_mov_b32_e32 v64, v34
	v_pk_add_f32 v[34:35], v[36:37], v[34:35] neg_lo:[0,1] neg_hi:[0,1]
	v_pk_add_f32 v[66:67], v[36:37], v[64:65]
	v_mov_b32_e32 v35, v67
	v_mov_b32_e32 v55, v36
	v_pk_add_f32 v[68:69], v[54:55], v[34:35] neg_lo:[0,1] neg_hi:[0,1]
	v_pk_add_f32 v[34:35], v[54:55], v[34:35]
	v_mov_b32_e32 v54, v35
	v_pk_add_f32 v[70:71], v[54:55], v[36:37] neg_lo:[0,1] neg_hi:[0,1]
	v_mov_b32_e32 v33, v70
	v_pk_add_f32 v[80:81], v[66:67], v[32:33] neg_lo:[0,1] neg_hi:[0,1]
	v_mov_b32_e32 v34, v67
	v_mov_b32_e32 v66, v37
	;; [unrolled: 1-line block ×4, first 2 shown]
	v_pk_add_f32 v[34:35], v[34:35], v[66:67] neg_lo:[0,1] neg_hi:[0,1]
	v_mov_b32_e32 v64, v65
	v_mov_b32_e32 v65, v36
	v_pk_add_f32 v[34:35], v[64:65], v[34:35] neg_lo:[0,1] neg_hi:[0,1]
	v_mov_b32_e32 v80, v68
	v_pk_add_f32 v[36:37], v[80:81], v[34:35]
	v_mov_b32_e32 v64, v37
	v_pk_add_f32 v[64:65], v[36:37], v[64:65]
	v_pk_add_f32 v[54:55], v[54:55], v[64:65]
	v_mov_b32_e32 v37, v54
	v_pk_add_f32 v[66:67], v[36:37], v[68:69] neg_lo:[0,1] neg_hi:[0,1]
	v_mov_b32_e32 v35, v64
	v_sub_f32_e32 v33, v36, v66
	v_pk_add_f32 v[34:35], v[34:35], v[66:67] neg_lo:[0,1] neg_hi:[0,1]
	v_sub_f32_e32 v33, v68, v33
	v_add_f32_e32 v33, v34, v33
	v_cmp_eq_f32_e64 s[24:25], s29, v51
	s_mov_b32 s29, 0x33800000
	v_add_f32_e32 v33, v33, v35
	v_cmp_lt_f32_e64 s[30:31], |v51|, s29
	v_add_f32_e32 v33, v54, v33
	s_or_b64 s[24:25], s[24:25], s[30:31]
	v_cndmask_b32_e64 v33, v33, v51, s[24:25]
	v_add_f32_e32 v16, v16, v33
	v_cvt_f16_f32_e32 v33, v16
	v_cvt_f32_f16_e32 v34, v33
.LBB381_278:
	s_or_b64 exec, exec, s[26:27]
	v_cvt_f32_f16_e32 v16, v17
	v_max_f32_e32 v35, v34, v34
	v_cmp_u_f16_e64 s[26:27], v33, v33
	v_cmp_u_f16_e64 s[24:25], v17, v17
	v_min_f32_e32 v36, v35, v16
	v_max_f32_e32 v35, v35, v16
	v_cndmask_b32_e64 v36, v36, v34, s[26:27]
	v_cndmask_b32_e64 v35, v35, v34, s[26:27]
	;; [unrolled: 1-line block ×4, first 2 shown]
	v_cmp_neq_f32_e64 s[26:27], v36, v35
	v_cmp_class_f32_e64 s[28:29], v36, s28
	s_or_b64 s[26:27], s[26:27], s[28:29]
	s_and_saveexec_b64 s[28:29], s[26:27]
	s_cbranch_execz .LBB381_280
; %bb.279:
	v_sub_f32_e32 v33, v36, v35
	s_mov_b32 s26, 0x3fb8aa3b
	v_mul_f32_e32 v34, 0x3fb8aa3b, v33
	v_fma_f32 v36, v33, s26, -v34
	v_rndne_f32_e32 v37, v34
	v_fmac_f32_e32 v36, 0x32a5705f, v33
	v_sub_f32_e32 v34, v34, v37
	v_add_f32_e32 v34, v34, v36
	v_exp_f32_e32 v34, v34
	v_cvt_i32_f32_e32 v36, v37
	s_mov_b32 s26, 0xc2ce8ed0
	v_cmp_ngt_f32_e64 s[26:27], s26, v33
	s_mov_b32 s30, 0x7f800000
	v_ldexp_f32 v34, v34, v36
	v_cndmask_b32_e64 v34, 0, v34, s[26:27]
	s_mov_b32 s26, 0x42b17218
	v_mov_b32_e32 v36, 0x7f800000
	v_cmp_nlt_f32_e64 s[26:27], s26, v33
	v_cndmask_b32_e64 v51, v36, v34, s[26:27]
	v_add_f32_e32 v33, 1.0, v51
	v_add_f32_e32 v34, -1.0, v33
	v_sub_f32_e32 v36, v34, v33
	v_add_f32_e32 v36, 1.0, v36
	v_sub_f32_e32 v34, v51, v34
	v_add_f32_e32 v34, v34, v36
	v_frexp_mant_f32_e32 v53, v33
	s_mov_b32 s26, 0x3f2aaaab
	v_cvt_f64_f32_e32 v[36:37], v33
	v_frexp_exp_i32_f64_e32 v36, v[36:37]
	v_cmp_gt_f32_e64 s[26:27], s26, v53
	v_subbrev_co_u32_e64 v53, s[26:27], 0, v36, s[26:27]
	v_sub_u32_e32 v36, 0, v53
	v_ldexp_f32 v33, v33, v36
	v_ldexp_f32 v34, v34, v36
	v_add_f32_e32 v36, -1.0, v33
	v_add_f32_e32 v37, 1.0, v36
	v_sub_f32_e32 v37, v33, v37
	v_add_f32_e32 v54, v34, v37
	v_add_f32_e32 v37, 1.0, v33
	v_add_f32_e32 v55, -1.0, v37
	v_sub_f32_e32 v33, v33, v55
	v_add_f32_e32 v33, v34, v33
	v_add_f32_e32 v34, v37, v33
	v_rcp_f32_e32 v68, v34
	v_sub_f32_e32 v37, v37, v34
	v_add_f32_e32 v33, v33, v37
	v_add_f32_e32 v37, v36, v54
	v_sub_f32_e32 v36, v36, v37
	v_mul_f32_e32 v70, v37, v68
	v_add_f32_e32 v69, v54, v36
	v_mul_f32_e32 v54, v34, v70
	v_fma_f32 v64, v70, v34, -v54
	v_fmac_f32_e32 v64, v70, v33
	v_add_f32_e32 v36, v54, v64
	v_sub_f32_e32 v55, v37, v36
	v_pk_add_f32 v[66:67], v[36:37], v[54:55] neg_lo:[0,1] neg_hi:[0,1]
	v_mov_b32_e32 v65, v36
	v_pk_add_f32 v[36:37], v[66:67], v[64:65] neg_lo:[0,1] neg_hi:[0,1]
	v_add_f32_e32 v37, v69, v37
	v_add_f32_e32 v36, v36, v37
	;; [unrolled: 1-line block ×3, first 2 shown]
	v_mul_f32_e32 v69, v68, v37
	v_mul_f32_e32 v54, v34, v69
	v_fma_f32 v64, v69, v34, -v54
	v_fmac_f32_e32 v64, v69, v33
	v_sub_f32_e32 v33, v55, v37
	v_add_f32_e32 v33, v36, v33
	v_add_f32_e32 v36, v54, v64
	v_sub_f32_e32 v55, v37, v36
	v_pk_add_f32 v[66:67], v[36:37], v[54:55] neg_lo:[0,1] neg_hi:[0,1]
	v_mov_b32_e32 v65, v36
	v_pk_add_f32 v[36:37], v[66:67], v[64:65] neg_lo:[0,1] neg_hi:[0,1]
	v_add_f32_e32 v33, v33, v37
	v_add_f32_e32 v33, v36, v33
	;; [unrolled: 1-line block ×4, first 2 shown]
	v_sub_f32_e32 v36, v34, v70
	v_mul_f32_e32 v33, v68, v33
	v_sub_f32_e32 v36, v69, v36
	v_add_f32_e32 v33, v36, v33
	v_add_f32_e32 v36, v34, v33
	v_mul_f32_e32 v55, v36, v36
	v_mov_b32_e32 v54, 0x3ecc95a3
	v_fmac_f32_e32 v54, 0x3e9b6dac, v55
	v_mov_b32_e32 v37, 0x3f2aaada
	v_fmac_f32_e32 v37, v55, v54
	v_cvt_f32_i32_e32 v54, v53
	v_sub_f32_e32 v34, v36, v34
	v_ldexp_f32 v65, v36, 1
	v_mul_f32_e32 v55, v36, v55
	v_mov_b32_e32 v36, 0x3f317218
	s_mov_b32 s26, 0x3f317218
	v_pk_mul_f32 v[36:37], v[54:55], v[36:37]
	v_fma_f32 v64, v54, s26, -v36
	v_fmac_f32_e32 v64, 0xb102e308, v54
	v_pk_add_f32 v[54:55], v[36:37], v[64:65]
	v_sub_f32_e32 v33, v33, v34
	v_sub_f32_e32 v34, v55, v65
	v_ldexp_f32 v33, v33, 1
	v_sub_f32_e32 v34, v37, v34
	v_add_f32_e32 v67, v33, v34
	v_mov_b32_e32 v66, v36
	v_pk_add_f32 v[36:37], v[54:55], v[36:37] neg_lo:[0,1] neg_hi:[0,1]
	v_pk_add_f32 v[68:69], v[54:55], v[66:67]
	v_mov_b32_e32 v37, v69
	v_mov_b32_e32 v65, v54
	v_pk_add_f32 v[70:71], v[64:65], v[36:37] neg_lo:[0,1] neg_hi:[0,1]
	v_pk_add_f32 v[36:37], v[64:65], v[36:37]
	v_mov_b32_e32 v34, v37
	v_pk_add_f32 v[64:65], v[34:35], v[54:55] neg_lo:[0,1] neg_hi:[0,1]
	v_mov_b32_e32 v33, v64
	v_pk_add_f32 v[80:81], v[68:69], v[32:33] neg_lo:[0,1] neg_hi:[0,1]
	v_mov_b32_e32 v36, v69
	v_mov_b32_e32 v68, v55
	;; [unrolled: 1-line block ×4, first 2 shown]
	v_pk_add_f32 v[36:37], v[36:37], v[68:69] neg_lo:[0,1] neg_hi:[0,1]
	v_mov_b32_e32 v64, v67
	v_mov_b32_e32 v65, v54
	v_pk_add_f32 v[36:37], v[64:65], v[36:37] neg_lo:[0,1] neg_hi:[0,1]
	v_mov_b32_e32 v80, v70
	v_pk_add_f32 v[54:55], v[80:81], v[36:37]
	v_mov_b32_e32 v64, v55
	v_pk_add_f32 v[64:65], v[54:55], v[64:65]
	v_pk_add_f32 v[66:67], v[34:35], v[64:65]
	v_mov_b32_e32 v55, v66
	v_pk_add_f32 v[68:69], v[54:55], v[70:71] neg_lo:[0,1] neg_hi:[0,1]
	v_mov_b32_e32 v37, v64
	v_sub_f32_e32 v33, v54, v68
	v_pk_add_f32 v[36:37], v[36:37], v[68:69] neg_lo:[0,1] neg_hi:[0,1]
	v_sub_f32_e32 v33, v70, v33
	v_add_f32_e32 v33, v36, v33
	v_cmp_eq_f32_e64 s[26:27], s30, v51
	s_mov_b32 s30, 0x33800000
	v_add_f32_e32 v33, v33, v37
	v_cmp_lt_f32_e64 s[30:31], |v51|, s30
	v_add_f32_e32 v33, v66, v33
	s_or_b64 s[26:27], s[26:27], s[30:31]
	v_cndmask_b32_e64 v33, v33, v51, s[26:27]
	v_add_f32_e32 v33, v35, v33
	v_cvt_f16_f32_e32 v33, v33
	v_cvt_f32_f16_e32 v34, v33
.LBB381_280:
	s_or_b64 exec, exec, s[28:29]
	v_cvt_f32_f16_sdwa v53, v17 dst_sel:DWORD dst_unused:UNUSED_PAD src0_sel:WORD_1
	v_max_f32_e32 v36, v34, v34
	v_cmp_u_f16_e64 s[28:29], v33, v33
	v_cmp_u_f16_sdwa s[26:27], v17, v17 src0_sel:WORD_1 src1_sel:WORD_1
	v_min_f32_e32 v35, v36, v53
	v_max_f32_e32 v17, v36, v53
	v_cndmask_b32_e64 v35, v35, v34, s[28:29]
	v_cndmask_b32_e64 v17, v17, v34, s[28:29]
	;; [unrolled: 1-line block ×4, first 2 shown]
	s_movk_i32 s34, 0x1f8
	v_cmp_neq_f32_e64 s[28:29], v35, v17
	v_cmp_class_f32_e64 s[30:31], v35, s34
	s_or_b64 s[28:29], s[28:29], s[30:31]
	s_and_saveexec_b64 s[30:31], s[28:29]
	s_cbranch_execz .LBB381_282
; %bb.281:
	v_sub_f32_e32 v33, v35, v17
	s_mov_b32 s28, 0x3fb8aa3b
	v_mul_f32_e32 v34, 0x3fb8aa3b, v33
	v_fma_f32 v35, v33, s28, -v34
	v_rndne_f32_e32 v36, v34
	v_fmac_f32_e32 v35, 0x32a5705f, v33
	v_sub_f32_e32 v34, v34, v36
	v_add_f32_e32 v34, v34, v35
	v_exp_f32_e32 v34, v34
	v_cvt_i32_f32_e32 v35, v36
	s_mov_b32 s28, 0xc2ce8ed0
	v_cmp_ngt_f32_e64 s[28:29], s28, v33
	s_mov_b32 s35, 0x7f800000
	v_ldexp_f32 v34, v34, v35
	v_cndmask_b32_e64 v34, 0, v34, s[28:29]
	s_mov_b32 s28, 0x42b17218
	v_mov_b32_e32 v35, 0x7f800000
	v_cmp_nlt_f32_e64 s[28:29], s28, v33
	v_cndmask_b32_e64 v51, v35, v34, s[28:29]
	v_add_f32_e32 v33, 1.0, v51
	v_add_f32_e32 v34, -1.0, v33
	v_sub_f32_e32 v35, v34, v33
	v_add_f32_e32 v35, 1.0, v35
	v_sub_f32_e32 v34, v51, v34
	v_add_f32_e32 v36, v34, v35
	v_frexp_mant_f32_e32 v37, v33
	s_mov_b32 s28, 0x3f2aaaab
	v_cvt_f64_f32_e32 v[34:35], v33
	v_frexp_exp_i32_f64_e32 v34, v[34:35]
	v_cmp_gt_f32_e64 s[28:29], s28, v37
	v_subbrev_co_u32_e64 v66, s[28:29], 0, v34, s[28:29]
	v_sub_u32_e32 v34, 0, v66
	v_ldexp_f32 v33, v33, v34
	v_ldexp_f32 v34, v36, v34
	v_add_f32_e32 v36, -1.0, v33
	v_add_f32_e32 v35, 1.0, v36
	v_sub_f32_e32 v35, v33, v35
	v_add_f32_e32 v37, v34, v35
	v_add_f32_e32 v35, 1.0, v33
	v_add_f32_e32 v54, -1.0, v35
	v_sub_f32_e32 v33, v33, v54
	v_add_f32_e32 v33, v34, v33
	v_add_f32_e32 v67, v35, v33
	v_rcp_f32_e32 v68, v67
	v_sub_f32_e32 v34, v35, v67
	v_add_f32_e32 v35, v36, v37
	v_add_f32_e32 v33, v33, v34
	v_mul_f32_e32 v70, v35, v68
	v_sub_f32_e32 v34, v36, v35
	v_mul_f32_e32 v36, v67, v70
	v_fma_f32 v54, v70, v67, -v36
	v_fmac_f32_e32 v54, v70, v33
	v_add_f32_e32 v69, v37, v34
	v_add_f32_e32 v34, v36, v54
	v_sub_f32_e32 v37, v35, v34
	v_pk_add_f32 v[64:65], v[34:35], v[36:37] neg_lo:[0,1] neg_hi:[0,1]
	v_mov_b32_e32 v55, v34
	v_pk_add_f32 v[34:35], v[64:65], v[54:55] neg_lo:[0,1] neg_hi:[0,1]
	v_add_f32_e32 v35, v69, v35
	v_add_f32_e32 v34, v34, v35
	;; [unrolled: 1-line block ×3, first 2 shown]
	v_mul_f32_e32 v69, v68, v35
	v_mul_f32_e32 v36, v67, v69
	v_fma_f32 v54, v69, v67, -v36
	v_fmac_f32_e32 v54, v69, v33
	v_sub_f32_e32 v33, v37, v35
	v_add_f32_e32 v33, v34, v33
	v_add_f32_e32 v34, v36, v54
	v_sub_f32_e32 v37, v35, v34
	v_pk_add_f32 v[64:65], v[34:35], v[36:37] neg_lo:[0,1] neg_hi:[0,1]
	v_mov_b32_e32 v55, v34
	v_pk_add_f32 v[34:35], v[64:65], v[54:55] neg_lo:[0,1] neg_hi:[0,1]
	v_add_f32_e32 v33, v33, v35
	v_add_f32_e32 v33, v34, v33
	;; [unrolled: 1-line block ×4, first 2 shown]
	v_sub_f32_e32 v35, v34, v70
	v_mul_f32_e32 v33, v68, v33
	v_sub_f32_e32 v35, v69, v35
	v_add_f32_e32 v33, v35, v33
	v_add_f32_e32 v37, v34, v33
	v_mul_f32_e32 v54, v37, v37
	v_mov_b32_e32 v36, 0x3ecc95a3
	v_fmac_f32_e32 v36, 0x3e9b6dac, v54
	v_mov_b32_e32 v35, 0x3f2aaada
	v_fmac_f32_e32 v35, v54, v36
	v_cvt_f32_i32_e32 v36, v66
	v_sub_f32_e32 v34, v37, v34
	v_sub_f32_e32 v33, v33, v34
	v_ldexp_f32 v55, v37, 1
	v_mul_f32_e32 v37, v37, v54
	v_mov_b32_e32 v34, 0x3f317218
	s_mov_b32 s28, 0x3f317218
	v_pk_mul_f32 v[34:35], v[36:37], v[34:35]
	v_fma_f32 v54, v36, s28, -v34
	v_fmac_f32_e32 v54, 0xb102e308, v36
	v_pk_add_f32 v[36:37], v[34:35], v[54:55]
	v_sub_f32_e32 v55, v37, v55
	v_ldexp_f32 v33, v33, 1
	v_sub_f32_e32 v55, v35, v55
	v_add_f32_e32 v65, v33, v55
	v_mov_b32_e32 v64, v34
	v_pk_add_f32 v[34:35], v[36:37], v[34:35] neg_lo:[0,1] neg_hi:[0,1]
	v_pk_add_f32 v[66:67], v[36:37], v[64:65]
	v_mov_b32_e32 v35, v67
	v_mov_b32_e32 v55, v36
	v_pk_add_f32 v[68:69], v[54:55], v[34:35] neg_lo:[0,1] neg_hi:[0,1]
	v_pk_add_f32 v[34:35], v[54:55], v[34:35]
	v_mov_b32_e32 v54, v35
	v_pk_add_f32 v[70:71], v[54:55], v[36:37] neg_lo:[0,1] neg_hi:[0,1]
	v_mov_b32_e32 v33, v70
	v_pk_add_f32 v[80:81], v[66:67], v[32:33] neg_lo:[0,1] neg_hi:[0,1]
	v_mov_b32_e32 v34, v67
	v_mov_b32_e32 v66, v37
	;; [unrolled: 1-line block ×4, first 2 shown]
	v_pk_add_f32 v[34:35], v[34:35], v[66:67] neg_lo:[0,1] neg_hi:[0,1]
	v_mov_b32_e32 v64, v65
	v_mov_b32_e32 v65, v36
	v_pk_add_f32 v[34:35], v[64:65], v[34:35] neg_lo:[0,1] neg_hi:[0,1]
	v_mov_b32_e32 v80, v68
	v_pk_add_f32 v[36:37], v[80:81], v[34:35]
	v_mov_b32_e32 v64, v37
	v_pk_add_f32 v[64:65], v[36:37], v[64:65]
	v_pk_add_f32 v[54:55], v[54:55], v[64:65]
	v_mov_b32_e32 v37, v54
	v_pk_add_f32 v[66:67], v[36:37], v[68:69] neg_lo:[0,1] neg_hi:[0,1]
	v_mov_b32_e32 v35, v64
	v_sub_f32_e32 v33, v36, v66
	v_pk_add_f32 v[34:35], v[34:35], v[66:67] neg_lo:[0,1] neg_hi:[0,1]
	v_sub_f32_e32 v33, v68, v33
	v_add_f32_e32 v33, v34, v33
	v_cmp_eq_f32_e64 s[28:29], s35, v51
	s_mov_b32 s35, 0x33800000
	v_add_f32_e32 v33, v33, v35
	v_cmp_lt_f32_e64 s[36:37], |v51|, s35
	v_add_f32_e32 v33, v54, v33
	s_or_b64 s[28:29], s[28:29], s[36:37]
	v_cndmask_b32_e64 v33, v33, v51, s[28:29]
	v_add_f32_e32 v17, v17, v33
	v_cvt_f16_f32_e32 v33, v17
	v_cvt_f32_f16_e32 v34, v33
.LBB381_282:
	s_or_b64 exec, exec, s[30:31]
	v_cvt_f32_f16_e32 v17, v18
	v_max_f32_e32 v35, v34, v34
	v_cmp_u_f16_e64 s[30:31], v33, v33
	v_cmp_u_f16_e64 s[28:29], v18, v18
	v_min_f32_e32 v36, v35, v17
	v_max_f32_e32 v35, v35, v17
	v_cndmask_b32_e64 v36, v36, v34, s[30:31]
	v_cndmask_b32_e64 v35, v35, v34, s[30:31]
	;; [unrolled: 1-line block ×4, first 2 shown]
	v_cmp_neq_f32_e64 s[30:31], v36, v35
	v_cmp_class_f32_e64 s[34:35], v36, s34
	s_or_b64 s[30:31], s[30:31], s[34:35]
	s_and_saveexec_b64 s[34:35], s[30:31]
	s_cbranch_execz .LBB381_284
; %bb.283:
	v_sub_f32_e32 v33, v36, v35
	s_mov_b32 s30, 0x3fb8aa3b
	v_mul_f32_e32 v34, 0x3fb8aa3b, v33
	v_fma_f32 v36, v33, s30, -v34
	v_rndne_f32_e32 v37, v34
	v_fmac_f32_e32 v36, 0x32a5705f, v33
	v_sub_f32_e32 v34, v34, v37
	v_add_f32_e32 v34, v34, v36
	v_exp_f32_e32 v34, v34
	v_cvt_i32_f32_e32 v36, v37
	s_mov_b32 s30, 0xc2ce8ed0
	v_cmp_ngt_f32_e64 s[30:31], s30, v33
	s_mov_b32 s36, 0x7f800000
	v_ldexp_f32 v34, v34, v36
	v_cndmask_b32_e64 v34, 0, v34, s[30:31]
	s_mov_b32 s30, 0x42b17218
	v_mov_b32_e32 v36, 0x7f800000
	v_cmp_nlt_f32_e64 s[30:31], s30, v33
	v_cndmask_b32_e64 v51, v36, v34, s[30:31]
	v_add_f32_e32 v33, 1.0, v51
	v_add_f32_e32 v34, -1.0, v33
	v_sub_f32_e32 v36, v34, v33
	v_add_f32_e32 v36, 1.0, v36
	v_sub_f32_e32 v34, v51, v34
	v_add_f32_e32 v34, v34, v36
	v_frexp_mant_f32_e32 v54, v33
	s_mov_b32 s30, 0x3f2aaaab
	v_cvt_f64_f32_e32 v[36:37], v33
	v_frexp_exp_i32_f64_e32 v36, v[36:37]
	v_cmp_gt_f32_e64 s[30:31], s30, v54
	v_subbrev_co_u32_e64 v68, s[30:31], 0, v36, s[30:31]
	v_sub_u32_e32 v36, 0, v68
	v_ldexp_f32 v33, v33, v36
	v_ldexp_f32 v34, v34, v36
	v_add_f32_e32 v36, -1.0, v33
	v_add_f32_e32 v37, 1.0, v36
	v_sub_f32_e32 v37, v33, v37
	v_add_f32_e32 v54, v34, v37
	v_add_f32_e32 v37, 1.0, v33
	v_add_f32_e32 v55, -1.0, v37
	v_sub_f32_e32 v33, v33, v55
	v_add_f32_e32 v33, v34, v33
	v_add_f32_e32 v34, v37, v33
	v_rcp_f32_e32 v69, v34
	v_sub_f32_e32 v37, v37, v34
	v_add_f32_e32 v33, v33, v37
	v_add_f32_e32 v37, v36, v54
	v_sub_f32_e32 v36, v36, v37
	v_mul_f32_e32 v71, v37, v69
	v_add_f32_e32 v70, v54, v36
	v_mul_f32_e32 v54, v34, v71
	v_fma_f32 v64, v71, v34, -v54
	v_fmac_f32_e32 v64, v71, v33
	v_add_f32_e32 v36, v54, v64
	v_sub_f32_e32 v55, v37, v36
	v_pk_add_f32 v[66:67], v[36:37], v[54:55] neg_lo:[0,1] neg_hi:[0,1]
	v_mov_b32_e32 v65, v36
	v_pk_add_f32 v[36:37], v[66:67], v[64:65] neg_lo:[0,1] neg_hi:[0,1]
	v_add_f32_e32 v37, v70, v37
	v_add_f32_e32 v36, v36, v37
	;; [unrolled: 1-line block ×3, first 2 shown]
	v_mul_f32_e32 v70, v69, v37
	v_mul_f32_e32 v54, v34, v70
	v_fma_f32 v64, v70, v34, -v54
	v_fmac_f32_e32 v64, v70, v33
	v_sub_f32_e32 v33, v55, v37
	v_add_f32_e32 v33, v36, v33
	v_add_f32_e32 v36, v54, v64
	v_sub_f32_e32 v55, v37, v36
	v_pk_add_f32 v[66:67], v[36:37], v[54:55] neg_lo:[0,1] neg_hi:[0,1]
	v_mov_b32_e32 v65, v36
	v_pk_add_f32 v[36:37], v[66:67], v[64:65] neg_lo:[0,1] neg_hi:[0,1]
	v_add_f32_e32 v33, v33, v37
	v_add_f32_e32 v33, v36, v33
	;; [unrolled: 1-line block ×4, first 2 shown]
	v_sub_f32_e32 v36, v34, v71
	v_mul_f32_e32 v33, v69, v33
	v_sub_f32_e32 v36, v70, v36
	v_add_f32_e32 v33, v36, v33
	v_add_f32_e32 v36, v34, v33
	v_mul_f32_e32 v55, v36, v36
	v_mov_b32_e32 v54, 0x3ecc95a3
	v_fmac_f32_e32 v54, 0x3e9b6dac, v55
	v_mov_b32_e32 v37, 0x3f2aaada
	v_fmac_f32_e32 v37, v55, v54
	v_cvt_f32_i32_e32 v54, v68
	v_sub_f32_e32 v34, v36, v34
	v_ldexp_f32 v65, v36, 1
	v_mul_f32_e32 v55, v36, v55
	v_mov_b32_e32 v36, 0x3f317218
	s_mov_b32 s30, 0x3f317218
	v_pk_mul_f32 v[36:37], v[54:55], v[36:37]
	v_fma_f32 v64, v54, s30, -v36
	v_fmac_f32_e32 v64, 0xb102e308, v54
	v_pk_add_f32 v[54:55], v[36:37], v[64:65]
	v_sub_f32_e32 v33, v33, v34
	v_sub_f32_e32 v34, v55, v65
	v_ldexp_f32 v33, v33, 1
	v_sub_f32_e32 v34, v37, v34
	v_add_f32_e32 v67, v33, v34
	v_mov_b32_e32 v66, v36
	v_pk_add_f32 v[36:37], v[54:55], v[36:37] neg_lo:[0,1] neg_hi:[0,1]
	v_pk_add_f32 v[68:69], v[54:55], v[66:67]
	v_mov_b32_e32 v37, v69
	v_mov_b32_e32 v65, v54
	v_pk_add_f32 v[70:71], v[64:65], v[36:37] neg_lo:[0,1] neg_hi:[0,1]
	v_pk_add_f32 v[36:37], v[64:65], v[36:37]
	v_mov_b32_e32 v34, v37
	v_pk_add_f32 v[64:65], v[34:35], v[54:55] neg_lo:[0,1] neg_hi:[0,1]
	v_mov_b32_e32 v33, v64
	v_pk_add_f32 v[80:81], v[68:69], v[32:33] neg_lo:[0,1] neg_hi:[0,1]
	v_mov_b32_e32 v36, v69
	v_mov_b32_e32 v68, v55
	;; [unrolled: 1-line block ×4, first 2 shown]
	v_pk_add_f32 v[36:37], v[36:37], v[68:69] neg_lo:[0,1] neg_hi:[0,1]
	v_mov_b32_e32 v64, v67
	v_mov_b32_e32 v65, v54
	v_pk_add_f32 v[36:37], v[64:65], v[36:37] neg_lo:[0,1] neg_hi:[0,1]
	v_mov_b32_e32 v80, v70
	v_pk_add_f32 v[54:55], v[80:81], v[36:37]
	v_mov_b32_e32 v64, v55
	v_pk_add_f32 v[64:65], v[54:55], v[64:65]
	v_pk_add_f32 v[66:67], v[34:35], v[64:65]
	v_mov_b32_e32 v55, v66
	v_pk_add_f32 v[68:69], v[54:55], v[70:71] neg_lo:[0,1] neg_hi:[0,1]
	v_mov_b32_e32 v37, v64
	v_sub_f32_e32 v33, v54, v68
	v_pk_add_f32 v[36:37], v[36:37], v[68:69] neg_lo:[0,1] neg_hi:[0,1]
	v_sub_f32_e32 v33, v70, v33
	v_add_f32_e32 v33, v36, v33
	v_cmp_eq_f32_e64 s[30:31], s36, v51
	s_mov_b32 s36, 0x33800000
	v_add_f32_e32 v33, v33, v37
	v_cmp_lt_f32_e64 s[36:37], |v51|, s36
	v_add_f32_e32 v33, v66, v33
	s_or_b64 s[30:31], s[30:31], s[36:37]
	v_cndmask_b32_e64 v33, v33, v51, s[30:31]
	v_add_f32_e32 v33, v35, v33
	v_cvt_f16_f32_e32 v33, v33
	v_cvt_f32_f16_e32 v34, v33
.LBB381_284:
	s_or_b64 exec, exec, s[34:35]
	v_cvt_f32_f16_sdwa v54, v18 dst_sel:DWORD dst_unused:UNUSED_PAD src0_sel:WORD_1
	v_max_f32_e32 v36, v34, v34
	v_cmp_u_f16_e64 s[34:35], v33, v33
	v_cmp_u_f16_sdwa s[30:31], v18, v18 src0_sel:WORD_1 src1_sel:WORD_1
	v_min_f32_e32 v35, v36, v54
	v_max_f32_e32 v18, v36, v54
	v_cndmask_b32_e64 v35, v35, v34, s[34:35]
	v_cndmask_b32_e64 v18, v18, v34, s[34:35]
	;; [unrolled: 1-line block ×4, first 2 shown]
	s_movk_i32 s38, 0x1f8
	v_cmp_neq_f32_e64 s[34:35], v35, v18
	v_cmp_class_f32_e64 s[36:37], v35, s38
	s_or_b64 s[34:35], s[34:35], s[36:37]
	s_and_saveexec_b64 s[36:37], s[34:35]
	s_cbranch_execz .LBB381_286
; %bb.285:
	v_sub_f32_e32 v33, v35, v18
	s_mov_b32 s34, 0x3fb8aa3b
	v_mul_f32_e32 v34, 0x3fb8aa3b, v33
	v_fma_f32 v35, v33, s34, -v34
	v_rndne_f32_e32 v36, v34
	v_fmac_f32_e32 v35, 0x32a5705f, v33
	v_sub_f32_e32 v34, v34, v36
	v_add_f32_e32 v34, v34, v35
	v_exp_f32_e32 v34, v34
	v_cvt_i32_f32_e32 v35, v36
	s_mov_b32 s34, 0xc2ce8ed0
	v_cmp_ngt_f32_e64 s[34:35], s34, v33
	s_mov_b32 s39, 0x7f800000
	v_ldexp_f32 v34, v34, v35
	v_cndmask_b32_e64 v34, 0, v34, s[34:35]
	s_mov_b32 s34, 0x42b17218
	v_mov_b32_e32 v35, 0x7f800000
	v_cmp_nlt_f32_e64 s[34:35], s34, v33
	v_cndmask_b32_e64 v51, v35, v34, s[34:35]
	v_add_f32_e32 v33, 1.0, v51
	v_add_f32_e32 v34, -1.0, v33
	v_sub_f32_e32 v35, v34, v33
	v_add_f32_e32 v35, 1.0, v35
	v_sub_f32_e32 v34, v51, v34
	v_add_f32_e32 v36, v34, v35
	v_frexp_mant_f32_e32 v37, v33
	s_mov_b32 s34, 0x3f2aaaab
	v_cvt_f64_f32_e32 v[34:35], v33
	v_frexp_exp_i32_f64_e32 v34, v[34:35]
	v_cmp_gt_f32_e64 s[34:35], s34, v37
	v_subbrev_co_u32_e64 v55, s[34:35], 0, v34, s[34:35]
	v_sub_u32_e32 v34, 0, v55
	v_ldexp_f32 v33, v33, v34
	v_ldexp_f32 v34, v36, v34
	v_add_f32_e32 v36, -1.0, v33
	v_add_f32_e32 v35, 1.0, v36
	v_sub_f32_e32 v35, v33, v35
	v_add_f32_e32 v37, v34, v35
	v_add_f32_e32 v35, 1.0, v33
	v_add_f32_e32 v64, -1.0, v35
	v_sub_f32_e32 v33, v33, v64
	v_add_f32_e32 v33, v34, v33
	v_add_f32_e32 v68, v35, v33
	v_rcp_f32_e32 v69, v68
	v_sub_f32_e32 v34, v35, v68
	v_add_f32_e32 v35, v36, v37
	v_add_f32_e32 v33, v33, v34
	v_mul_f32_e32 v71, v35, v69
	v_sub_f32_e32 v34, v36, v35
	v_mul_f32_e32 v36, v68, v71
	v_fma_f32 v64, v71, v68, -v36
	v_fmac_f32_e32 v64, v71, v33
	v_add_f32_e32 v70, v37, v34
	v_add_f32_e32 v34, v36, v64
	v_sub_f32_e32 v37, v35, v34
	v_pk_add_f32 v[66:67], v[34:35], v[36:37] neg_lo:[0,1] neg_hi:[0,1]
	v_mov_b32_e32 v65, v34
	v_pk_add_f32 v[34:35], v[66:67], v[64:65] neg_lo:[0,1] neg_hi:[0,1]
	v_add_f32_e32 v35, v70, v35
	v_add_f32_e32 v34, v34, v35
	;; [unrolled: 1-line block ×3, first 2 shown]
	v_mul_f32_e32 v70, v69, v35
	v_mul_f32_e32 v36, v68, v70
	v_fma_f32 v64, v70, v68, -v36
	v_fmac_f32_e32 v64, v70, v33
	v_sub_f32_e32 v33, v37, v35
	v_add_f32_e32 v33, v34, v33
	v_add_f32_e32 v34, v36, v64
	v_sub_f32_e32 v37, v35, v34
	v_pk_add_f32 v[66:67], v[34:35], v[36:37] neg_lo:[0,1] neg_hi:[0,1]
	v_mov_b32_e32 v65, v34
	v_pk_add_f32 v[34:35], v[66:67], v[64:65] neg_lo:[0,1] neg_hi:[0,1]
	v_add_f32_e32 v33, v33, v35
	v_add_f32_e32 v33, v34, v33
	;; [unrolled: 1-line block ×4, first 2 shown]
	v_sub_f32_e32 v35, v34, v71
	v_mul_f32_e32 v33, v69, v33
	v_sub_f32_e32 v35, v70, v35
	v_add_f32_e32 v33, v35, v33
	v_add_f32_e32 v37, v34, v33
	v_mul_f32_e32 v64, v37, v37
	v_mov_b32_e32 v36, 0x3ecc95a3
	v_fmac_f32_e32 v36, 0x3e9b6dac, v64
	v_mov_b32_e32 v35, 0x3f2aaada
	v_fmac_f32_e32 v35, v64, v36
	v_cvt_f32_i32_e32 v36, v55
	v_sub_f32_e32 v34, v37, v34
	v_sub_f32_e32 v33, v33, v34
	v_ldexp_f32 v65, v37, 1
	v_mul_f32_e32 v37, v37, v64
	v_mov_b32_e32 v34, 0x3f317218
	s_mov_b32 s34, 0x3f317218
	v_pk_mul_f32 v[34:35], v[36:37], v[34:35]
	v_fma_f32 v64, v36, s34, -v34
	v_fmac_f32_e32 v64, 0xb102e308, v36
	v_pk_add_f32 v[36:37], v[34:35], v[64:65]
	v_sub_f32_e32 v55, v37, v65
	v_ldexp_f32 v33, v33, 1
	v_sub_f32_e32 v55, v35, v55
	v_add_f32_e32 v67, v33, v55
	v_mov_b32_e32 v66, v34
	v_pk_add_f32 v[34:35], v[36:37], v[34:35] neg_lo:[0,1] neg_hi:[0,1]
	v_pk_add_f32 v[68:69], v[36:37], v[66:67]
	v_mov_b32_e32 v35, v69
	v_mov_b32_e32 v65, v36
	v_pk_add_f32 v[70:71], v[64:65], v[34:35] neg_lo:[0,1] neg_hi:[0,1]
	v_pk_add_f32 v[34:35], v[64:65], v[34:35]
	v_mov_b32_e32 v64, v35
	v_pk_add_f32 v[80:81], v[64:65], v[36:37] neg_lo:[0,1] neg_hi:[0,1]
	v_mov_b32_e32 v33, v80
	v_pk_add_f32 v[82:83], v[68:69], v[32:33] neg_lo:[0,1] neg_hi:[0,1]
	v_mov_b32_e32 v34, v69
	v_mov_b32_e32 v68, v37
	;; [unrolled: 1-line block ×4, first 2 shown]
	v_pk_add_f32 v[34:35], v[34:35], v[68:69] neg_lo:[0,1] neg_hi:[0,1]
	v_mov_b32_e32 v66, v67
	v_mov_b32_e32 v67, v36
	v_pk_add_f32 v[34:35], v[66:67], v[34:35] neg_lo:[0,1] neg_hi:[0,1]
	v_mov_b32_e32 v82, v70
	v_pk_add_f32 v[36:37], v[82:83], v[34:35]
	v_mov_b32_e32 v66, v37
	v_pk_add_f32 v[66:67], v[36:37], v[66:67]
	v_pk_add_f32 v[64:65], v[64:65], v[66:67]
	v_mov_b32_e32 v37, v64
	v_pk_add_f32 v[68:69], v[36:37], v[70:71] neg_lo:[0,1] neg_hi:[0,1]
	v_mov_b32_e32 v35, v66
	v_sub_f32_e32 v33, v36, v68
	v_pk_add_f32 v[34:35], v[34:35], v[68:69] neg_lo:[0,1] neg_hi:[0,1]
	v_sub_f32_e32 v33, v70, v33
	v_add_f32_e32 v33, v34, v33
	v_cmp_eq_f32_e64 s[34:35], s39, v51
	s_mov_b32 s39, 0x33800000
	v_add_f32_e32 v33, v33, v35
	v_cmp_lt_f32_e64 s[40:41], |v51|, s39
	v_add_f32_e32 v33, v64, v33
	s_or_b64 s[34:35], s[34:35], s[40:41]
	v_cndmask_b32_e64 v33, v33, v51, s[34:35]
	v_add_f32_e32 v18, v18, v33
	v_cvt_f16_f32_e32 v33, v18
	v_cvt_f32_f16_e32 v34, v33
.LBB381_286:
	s_or_b64 exec, exec, s[36:37]
	v_cvt_f32_f16_e32 v18, v19
	v_max_f32_e32 v35, v34, v34
	v_cmp_u_f16_e64 s[36:37], v33, v33
	v_cmp_u_f16_e64 s[34:35], v19, v19
	v_min_f32_e32 v36, v35, v18
	v_max_f32_e32 v35, v35, v18
	v_cndmask_b32_e64 v36, v36, v34, s[36:37]
	v_cndmask_b32_e64 v35, v35, v34, s[36:37]
	;; [unrolled: 1-line block ×4, first 2 shown]
	v_cmp_neq_f32_e64 s[36:37], v36, v35
	v_cmp_class_f32_e64 s[38:39], v36, s38
	s_or_b64 s[36:37], s[36:37], s[38:39]
	s_and_saveexec_b64 s[38:39], s[36:37]
	s_cbranch_execz .LBB381_288
; %bb.287:
	v_sub_f32_e32 v33, v36, v35
	s_mov_b32 s36, 0x3fb8aa3b
	v_mul_f32_e32 v34, 0x3fb8aa3b, v33
	v_fma_f32 v36, v33, s36, -v34
	v_rndne_f32_e32 v37, v34
	v_fmac_f32_e32 v36, 0x32a5705f, v33
	v_sub_f32_e32 v34, v34, v37
	v_add_f32_e32 v34, v34, v36
	v_exp_f32_e32 v34, v34
	v_cvt_i32_f32_e32 v36, v37
	s_mov_b32 s36, 0xc2ce8ed0
	v_cmp_ngt_f32_e64 s[36:37], s36, v33
	s_mov_b32 s40, 0x7f800000
	v_ldexp_f32 v34, v34, v36
	v_cndmask_b32_e64 v34, 0, v34, s[36:37]
	s_mov_b32 s36, 0x42b17218
	v_mov_b32_e32 v36, 0x7f800000
	v_cmp_nlt_f32_e64 s[36:37], s36, v33
	v_cndmask_b32_e64 v51, v36, v34, s[36:37]
	v_add_f32_e32 v33, 1.0, v51
	v_add_f32_e32 v34, -1.0, v33
	v_sub_f32_e32 v36, v34, v33
	v_add_f32_e32 v36, 1.0, v36
	v_sub_f32_e32 v34, v51, v34
	v_add_f32_e32 v34, v34, v36
	v_frexp_mant_f32_e32 v55, v33
	s_mov_b32 s36, 0x3f2aaaab
	v_cvt_f64_f32_e32 v[36:37], v33
	v_frexp_exp_i32_f64_e32 v36, v[36:37]
	v_cmp_gt_f32_e64 s[36:37], s36, v55
	v_subbrev_co_u32_e64 v55, s[36:37], 0, v36, s[36:37]
	v_sub_u32_e32 v36, 0, v55
	v_ldexp_f32 v33, v33, v36
	v_ldexp_f32 v34, v34, v36
	v_add_f32_e32 v36, -1.0, v33
	v_add_f32_e32 v37, 1.0, v36
	v_sub_f32_e32 v37, v33, v37
	v_add_f32_e32 v64, v34, v37
	v_add_f32_e32 v37, 1.0, v33
	v_add_f32_e32 v65, -1.0, v37
	v_sub_f32_e32 v33, v33, v65
	v_add_f32_e32 v33, v34, v33
	v_add_f32_e32 v34, v37, v33
	v_rcp_f32_e32 v70, v34
	v_sub_f32_e32 v37, v37, v34
	v_add_f32_e32 v33, v33, v37
	v_add_f32_e32 v37, v36, v64
	v_sub_f32_e32 v36, v36, v37
	v_mul_f32_e32 v80, v37, v70
	v_add_f32_e32 v71, v64, v36
	v_mul_f32_e32 v64, v34, v80
	v_fma_f32 v66, v80, v34, -v64
	v_fmac_f32_e32 v66, v80, v33
	v_add_f32_e32 v36, v64, v66
	v_sub_f32_e32 v65, v37, v36
	v_pk_add_f32 v[68:69], v[36:37], v[64:65] neg_lo:[0,1] neg_hi:[0,1]
	v_mov_b32_e32 v67, v36
	v_pk_add_f32 v[36:37], v[68:69], v[66:67] neg_lo:[0,1] neg_hi:[0,1]
	v_add_f32_e32 v37, v71, v37
	v_add_f32_e32 v36, v36, v37
	;; [unrolled: 1-line block ×3, first 2 shown]
	v_mul_f32_e32 v71, v70, v37
	v_mul_f32_e32 v64, v34, v71
	v_fma_f32 v66, v71, v34, -v64
	v_fmac_f32_e32 v66, v71, v33
	v_sub_f32_e32 v33, v65, v37
	v_add_f32_e32 v33, v36, v33
	v_add_f32_e32 v36, v64, v66
	v_sub_f32_e32 v65, v37, v36
	v_pk_add_f32 v[68:69], v[36:37], v[64:65] neg_lo:[0,1] neg_hi:[0,1]
	v_mov_b32_e32 v67, v36
	v_pk_add_f32 v[36:37], v[68:69], v[66:67] neg_lo:[0,1] neg_hi:[0,1]
	v_add_f32_e32 v33, v33, v37
	v_add_f32_e32 v33, v36, v33
	;; [unrolled: 1-line block ×4, first 2 shown]
	v_sub_f32_e32 v36, v34, v80
	v_mul_f32_e32 v33, v70, v33
	v_sub_f32_e32 v36, v71, v36
	v_add_f32_e32 v33, v36, v33
	v_add_f32_e32 v36, v34, v33
	v_mul_f32_e32 v65, v36, v36
	v_mov_b32_e32 v64, 0x3ecc95a3
	v_fmac_f32_e32 v64, 0x3e9b6dac, v65
	v_mov_b32_e32 v37, 0x3f2aaada
	v_fmac_f32_e32 v37, v65, v64
	v_cvt_f32_i32_e32 v64, v55
	v_sub_f32_e32 v34, v36, v34
	v_ldexp_f32 v67, v36, 1
	v_mul_f32_e32 v65, v36, v65
	v_mov_b32_e32 v36, 0x3f317218
	s_mov_b32 s36, 0x3f317218
	v_pk_mul_f32 v[36:37], v[64:65], v[36:37]
	v_fma_f32 v66, v64, s36, -v36
	v_fmac_f32_e32 v66, 0xb102e308, v64
	v_pk_add_f32 v[64:65], v[36:37], v[66:67]
	v_sub_f32_e32 v33, v33, v34
	v_sub_f32_e32 v34, v65, v67
	v_ldexp_f32 v33, v33, 1
	v_sub_f32_e32 v34, v37, v34
	v_add_f32_e32 v69, v33, v34
	v_mov_b32_e32 v68, v36
	v_pk_add_f32 v[36:37], v[64:65], v[36:37] neg_lo:[0,1] neg_hi:[0,1]
	v_pk_add_f32 v[70:71], v[64:65], v[68:69]
	v_mov_b32_e32 v37, v71
	v_mov_b32_e32 v67, v64
	v_pk_add_f32 v[80:81], v[66:67], v[36:37] neg_lo:[0,1] neg_hi:[0,1]
	v_pk_add_f32 v[36:37], v[66:67], v[36:37]
	v_mov_b32_e32 v34, v37
	v_pk_add_f32 v[66:67], v[34:35], v[64:65] neg_lo:[0,1] neg_hi:[0,1]
	v_mov_b32_e32 v33, v66
	v_pk_add_f32 v[82:83], v[70:71], v[32:33] neg_lo:[0,1] neg_hi:[0,1]
	v_mov_b32_e32 v36, v71
	v_mov_b32_e32 v70, v65
	v_mov_b32_e32 v71, v66
	v_mov_b32_e32 v81, v37
	v_pk_add_f32 v[36:37], v[36:37], v[70:71] neg_lo:[0,1] neg_hi:[0,1]
	v_mov_b32_e32 v66, v69
	v_mov_b32_e32 v67, v64
	v_pk_add_f32 v[36:37], v[66:67], v[36:37] neg_lo:[0,1] neg_hi:[0,1]
	v_mov_b32_e32 v82, v80
	v_pk_add_f32 v[64:65], v[82:83], v[36:37]
	v_mov_b32_e32 v66, v65
	v_pk_add_f32 v[66:67], v[64:65], v[66:67]
	v_pk_add_f32 v[68:69], v[34:35], v[66:67]
	v_mov_b32_e32 v65, v68
	v_pk_add_f32 v[70:71], v[64:65], v[80:81] neg_lo:[0,1] neg_hi:[0,1]
	v_mov_b32_e32 v37, v66
	v_sub_f32_e32 v33, v64, v70
	v_pk_add_f32 v[36:37], v[36:37], v[70:71] neg_lo:[0,1] neg_hi:[0,1]
	v_sub_f32_e32 v33, v80, v33
	v_add_f32_e32 v33, v36, v33
	v_cmp_eq_f32_e64 s[36:37], s40, v51
	s_mov_b32 s40, 0x33800000
	v_add_f32_e32 v33, v33, v37
	v_cmp_lt_f32_e64 s[40:41], |v51|, s40
	v_add_f32_e32 v33, v68, v33
	s_or_b64 s[36:37], s[36:37], s[40:41]
	v_cndmask_b32_e64 v33, v33, v51, s[36:37]
	v_add_f32_e32 v33, v35, v33
	v_cvt_f16_f32_e32 v33, v33
	v_cvt_f32_f16_e32 v34, v33
.LBB381_288:
	s_or_b64 exec, exec, s[38:39]
	v_cvt_f32_f16_sdwa v55, v19 dst_sel:DWORD dst_unused:UNUSED_PAD src0_sel:WORD_1
	v_max_f32_e32 v36, v34, v34
	v_cmp_u_f16_e64 s[38:39], v33, v33
	v_cmp_u_f16_sdwa s[36:37], v19, v19 src0_sel:WORD_1 src1_sel:WORD_1
	v_min_f32_e32 v35, v36, v55
	v_max_f32_e32 v19, v36, v55
	v_cndmask_b32_e64 v35, v35, v34, s[38:39]
	v_cndmask_b32_e64 v19, v19, v34, s[38:39]
	;; [unrolled: 1-line block ×4, first 2 shown]
	s_movk_i32 s42, 0x1f8
	v_cmp_neq_f32_e64 s[38:39], v35, v19
	v_cmp_class_f32_e64 s[40:41], v35, s42
	s_or_b64 s[38:39], s[38:39], s[40:41]
	s_and_saveexec_b64 s[40:41], s[38:39]
	s_cbranch_execz .LBB381_290
; %bb.289:
	v_sub_f32_e32 v33, v35, v19
	s_mov_b32 s38, 0x3fb8aa3b
	v_mul_f32_e32 v34, 0x3fb8aa3b, v33
	v_fma_f32 v35, v33, s38, -v34
	v_rndne_f32_e32 v36, v34
	v_fmac_f32_e32 v35, 0x32a5705f, v33
	v_sub_f32_e32 v34, v34, v36
	v_add_f32_e32 v34, v34, v35
	v_exp_f32_e32 v34, v34
	v_cvt_i32_f32_e32 v35, v36
	s_mov_b32 s38, 0xc2ce8ed0
	v_cmp_ngt_f32_e64 s[38:39], s38, v33
	s_mov_b32 s43, 0x7f800000
	v_ldexp_f32 v34, v34, v35
	v_cndmask_b32_e64 v34, 0, v34, s[38:39]
	s_mov_b32 s38, 0x42b17218
	v_mov_b32_e32 v35, 0x7f800000
	v_cmp_nlt_f32_e64 s[38:39], s38, v33
	v_cndmask_b32_e64 v51, v35, v34, s[38:39]
	v_add_f32_e32 v33, 1.0, v51
	v_add_f32_e32 v34, -1.0, v33
	v_sub_f32_e32 v35, v34, v33
	v_add_f32_e32 v35, 1.0, v35
	v_sub_f32_e32 v34, v51, v34
	v_add_f32_e32 v36, v34, v35
	v_frexp_mant_f32_e32 v37, v33
	s_mov_b32 s38, 0x3f2aaaab
	v_cvt_f64_f32_e32 v[34:35], v33
	v_frexp_exp_i32_f64_e32 v34, v[34:35]
	v_cmp_gt_f32_e64 s[38:39], s38, v37
	v_subbrev_co_u32_e64 v68, s[38:39], 0, v34, s[38:39]
	v_sub_u32_e32 v34, 0, v68
	v_ldexp_f32 v33, v33, v34
	v_ldexp_f32 v34, v36, v34
	v_add_f32_e32 v36, -1.0, v33
	v_add_f32_e32 v35, 1.0, v36
	v_sub_f32_e32 v35, v33, v35
	v_add_f32_e32 v37, v34, v35
	v_add_f32_e32 v35, 1.0, v33
	v_add_f32_e32 v64, -1.0, v35
	v_sub_f32_e32 v33, v33, v64
	v_add_f32_e32 v33, v34, v33
	v_add_f32_e32 v69, v35, v33
	v_rcp_f32_e32 v70, v69
	v_sub_f32_e32 v34, v35, v69
	v_add_f32_e32 v35, v36, v37
	v_add_f32_e32 v33, v33, v34
	v_mul_f32_e32 v80, v35, v70
	v_sub_f32_e32 v34, v36, v35
	v_mul_f32_e32 v36, v69, v80
	v_fma_f32 v64, v80, v69, -v36
	v_fmac_f32_e32 v64, v80, v33
	v_add_f32_e32 v71, v37, v34
	v_add_f32_e32 v34, v36, v64
	v_sub_f32_e32 v37, v35, v34
	v_pk_add_f32 v[66:67], v[34:35], v[36:37] neg_lo:[0,1] neg_hi:[0,1]
	v_mov_b32_e32 v65, v34
	v_pk_add_f32 v[34:35], v[66:67], v[64:65] neg_lo:[0,1] neg_hi:[0,1]
	v_add_f32_e32 v35, v71, v35
	v_add_f32_e32 v34, v34, v35
	;; [unrolled: 1-line block ×3, first 2 shown]
	v_mul_f32_e32 v71, v70, v35
	v_mul_f32_e32 v36, v69, v71
	v_fma_f32 v64, v71, v69, -v36
	v_fmac_f32_e32 v64, v71, v33
	v_sub_f32_e32 v33, v37, v35
	v_add_f32_e32 v33, v34, v33
	v_add_f32_e32 v34, v36, v64
	v_sub_f32_e32 v37, v35, v34
	v_pk_add_f32 v[66:67], v[34:35], v[36:37] neg_lo:[0,1] neg_hi:[0,1]
	v_mov_b32_e32 v65, v34
	v_pk_add_f32 v[34:35], v[66:67], v[64:65] neg_lo:[0,1] neg_hi:[0,1]
	v_add_f32_e32 v33, v33, v35
	v_add_f32_e32 v33, v34, v33
	;; [unrolled: 1-line block ×4, first 2 shown]
	v_sub_f32_e32 v35, v34, v80
	v_mul_f32_e32 v33, v70, v33
	v_sub_f32_e32 v35, v71, v35
	v_add_f32_e32 v33, v35, v33
	v_add_f32_e32 v37, v34, v33
	v_mul_f32_e32 v64, v37, v37
	v_mov_b32_e32 v36, 0x3ecc95a3
	v_fmac_f32_e32 v36, 0x3e9b6dac, v64
	v_mov_b32_e32 v35, 0x3f2aaada
	v_fmac_f32_e32 v35, v64, v36
	v_cvt_f32_i32_e32 v36, v68
	v_sub_f32_e32 v34, v37, v34
	v_sub_f32_e32 v33, v33, v34
	v_ldexp_f32 v65, v37, 1
	v_mul_f32_e32 v37, v37, v64
	v_mov_b32_e32 v34, 0x3f317218
	s_mov_b32 s38, 0x3f317218
	v_pk_mul_f32 v[34:35], v[36:37], v[34:35]
	v_fma_f32 v64, v36, s38, -v34
	v_fmac_f32_e32 v64, 0xb102e308, v36
	v_pk_add_f32 v[36:37], v[34:35], v[64:65]
	v_sub_f32_e32 v65, v37, v65
	v_ldexp_f32 v33, v33, 1
	v_sub_f32_e32 v65, v35, v65
	v_add_f32_e32 v67, v33, v65
	v_mov_b32_e32 v66, v34
	v_pk_add_f32 v[34:35], v[36:37], v[34:35] neg_lo:[0,1] neg_hi:[0,1]
	v_pk_add_f32 v[68:69], v[36:37], v[66:67]
	v_mov_b32_e32 v35, v69
	v_mov_b32_e32 v65, v36
	v_pk_add_f32 v[70:71], v[64:65], v[34:35] neg_lo:[0,1] neg_hi:[0,1]
	v_pk_add_f32 v[34:35], v[64:65], v[34:35]
	v_mov_b32_e32 v64, v35
	v_pk_add_f32 v[80:81], v[64:65], v[36:37] neg_lo:[0,1] neg_hi:[0,1]
	v_mov_b32_e32 v33, v80
	v_pk_add_f32 v[82:83], v[68:69], v[32:33] neg_lo:[0,1] neg_hi:[0,1]
	v_mov_b32_e32 v34, v69
	v_mov_b32_e32 v68, v37
	v_mov_b32_e32 v69, v80
	v_mov_b32_e32 v71, v35
	v_pk_add_f32 v[34:35], v[34:35], v[68:69] neg_lo:[0,1] neg_hi:[0,1]
	v_mov_b32_e32 v66, v67
	v_mov_b32_e32 v67, v36
	v_pk_add_f32 v[34:35], v[66:67], v[34:35] neg_lo:[0,1] neg_hi:[0,1]
	v_mov_b32_e32 v82, v70
	v_pk_add_f32 v[36:37], v[82:83], v[34:35]
	v_mov_b32_e32 v66, v37
	v_pk_add_f32 v[66:67], v[36:37], v[66:67]
	v_pk_add_f32 v[64:65], v[64:65], v[66:67]
	v_mov_b32_e32 v37, v64
	v_pk_add_f32 v[68:69], v[36:37], v[70:71] neg_lo:[0,1] neg_hi:[0,1]
	v_mov_b32_e32 v35, v66
	v_sub_f32_e32 v33, v36, v68
	v_pk_add_f32 v[34:35], v[34:35], v[68:69] neg_lo:[0,1] neg_hi:[0,1]
	v_sub_f32_e32 v33, v70, v33
	v_add_f32_e32 v33, v34, v33
	v_cmp_eq_f32_e64 s[38:39], s43, v51
	s_mov_b32 s43, 0x33800000
	v_add_f32_e32 v33, v33, v35
	v_cmp_lt_f32_e64 s[44:45], |v51|, s43
	v_add_f32_e32 v33, v64, v33
	s_or_b64 s[38:39], s[38:39], s[44:45]
	v_cndmask_b32_e64 v33, v33, v51, s[38:39]
	v_add_f32_e32 v19, v19, v33
	v_cvt_f16_f32_e32 v33, v19
	v_cvt_f32_f16_e32 v34, v33
.LBB381_290:
	s_or_b64 exec, exec, s[40:41]
	v_cvt_f32_f16_e32 v19, v12
	v_max_f32_e32 v35, v34, v34
	v_cmp_u_f16_e64 s[40:41], v33, v33
	v_cmp_u_f16_e64 s[38:39], v12, v12
	v_min_f32_e32 v36, v35, v19
	v_max_f32_e32 v35, v35, v19
	v_cndmask_b32_e64 v36, v36, v34, s[40:41]
	v_cndmask_b32_e64 v35, v35, v34, s[40:41]
	;; [unrolled: 1-line block ×4, first 2 shown]
	v_cmp_neq_f32_e64 s[40:41], v36, v35
	v_cmp_class_f32_e64 s[42:43], v36, s42
	s_or_b64 s[40:41], s[40:41], s[42:43]
	s_and_saveexec_b64 s[42:43], s[40:41]
	s_cbranch_execz .LBB381_292
; %bb.291:
	v_sub_f32_e32 v33, v36, v35
	s_mov_b32 s40, 0x3fb8aa3b
	v_mul_f32_e32 v34, 0x3fb8aa3b, v33
	v_fma_f32 v36, v33, s40, -v34
	v_rndne_f32_e32 v37, v34
	v_fmac_f32_e32 v36, 0x32a5705f, v33
	v_sub_f32_e32 v34, v34, v37
	v_add_f32_e32 v34, v34, v36
	v_exp_f32_e32 v34, v34
	v_cvt_i32_f32_e32 v36, v37
	s_mov_b32 s40, 0xc2ce8ed0
	v_cmp_ngt_f32_e64 s[40:41], s40, v33
	s_mov_b32 s44, 0x7f800000
	v_ldexp_f32 v34, v34, v36
	v_cndmask_b32_e64 v34, 0, v34, s[40:41]
	s_mov_b32 s40, 0x42b17218
	v_mov_b32_e32 v36, 0x7f800000
	v_cmp_nlt_f32_e64 s[40:41], s40, v33
	v_cndmask_b32_e64 v51, v36, v34, s[40:41]
	v_add_f32_e32 v33, 1.0, v51
	v_add_f32_e32 v34, -1.0, v33
	v_sub_f32_e32 v36, v34, v33
	v_add_f32_e32 v36, 1.0, v36
	v_sub_f32_e32 v34, v51, v34
	v_add_f32_e32 v34, v34, v36
	v_frexp_mant_f32_e32 v64, v33
	s_mov_b32 s40, 0x3f2aaaab
	v_cvt_f64_f32_e32 v[36:37], v33
	v_frexp_exp_i32_f64_e32 v36, v[36:37]
	v_cmp_gt_f32_e64 s[40:41], s40, v64
	v_subbrev_co_u32_e64 v70, s[40:41], 0, v36, s[40:41]
	v_sub_u32_e32 v36, 0, v70
	v_ldexp_f32 v33, v33, v36
	v_ldexp_f32 v34, v34, v36
	v_add_f32_e32 v36, -1.0, v33
	v_add_f32_e32 v37, 1.0, v36
	v_sub_f32_e32 v37, v33, v37
	v_add_f32_e32 v64, v34, v37
	v_add_f32_e32 v37, 1.0, v33
	v_add_f32_e32 v65, -1.0, v37
	v_sub_f32_e32 v33, v33, v65
	v_add_f32_e32 v33, v34, v33
	v_add_f32_e32 v34, v37, v33
	v_rcp_f32_e32 v71, v34
	v_sub_f32_e32 v37, v37, v34
	v_add_f32_e32 v33, v33, v37
	v_add_f32_e32 v37, v36, v64
	v_sub_f32_e32 v36, v36, v37
	v_mul_f32_e32 v81, v37, v71
	v_add_f32_e32 v80, v64, v36
	v_mul_f32_e32 v64, v34, v81
	v_fma_f32 v66, v81, v34, -v64
	v_fmac_f32_e32 v66, v81, v33
	v_add_f32_e32 v36, v64, v66
	v_sub_f32_e32 v65, v37, v36
	v_pk_add_f32 v[68:69], v[36:37], v[64:65] neg_lo:[0,1] neg_hi:[0,1]
	v_mov_b32_e32 v67, v36
	v_pk_add_f32 v[36:37], v[68:69], v[66:67] neg_lo:[0,1] neg_hi:[0,1]
	v_add_f32_e32 v37, v80, v37
	v_add_f32_e32 v36, v36, v37
	;; [unrolled: 1-line block ×3, first 2 shown]
	v_mul_f32_e32 v80, v71, v37
	v_mul_f32_e32 v64, v34, v80
	v_fma_f32 v66, v80, v34, -v64
	v_fmac_f32_e32 v66, v80, v33
	v_sub_f32_e32 v33, v65, v37
	v_add_f32_e32 v33, v36, v33
	v_add_f32_e32 v36, v64, v66
	v_sub_f32_e32 v65, v37, v36
	v_pk_add_f32 v[68:69], v[36:37], v[64:65] neg_lo:[0,1] neg_hi:[0,1]
	v_mov_b32_e32 v67, v36
	v_pk_add_f32 v[36:37], v[68:69], v[66:67] neg_lo:[0,1] neg_hi:[0,1]
	v_add_f32_e32 v33, v33, v37
	v_add_f32_e32 v33, v36, v33
	;; [unrolled: 1-line block ×4, first 2 shown]
	v_sub_f32_e32 v36, v34, v81
	v_mul_f32_e32 v33, v71, v33
	v_sub_f32_e32 v36, v80, v36
	v_add_f32_e32 v33, v36, v33
	v_add_f32_e32 v36, v34, v33
	v_mul_f32_e32 v65, v36, v36
	v_mov_b32_e32 v64, 0x3ecc95a3
	v_fmac_f32_e32 v64, 0x3e9b6dac, v65
	v_mov_b32_e32 v37, 0x3f2aaada
	v_fmac_f32_e32 v37, v65, v64
	v_cvt_f32_i32_e32 v64, v70
	v_sub_f32_e32 v34, v36, v34
	v_ldexp_f32 v67, v36, 1
	v_mul_f32_e32 v65, v36, v65
	v_mov_b32_e32 v36, 0x3f317218
	s_mov_b32 s40, 0x3f317218
	v_pk_mul_f32 v[36:37], v[64:65], v[36:37]
	v_fma_f32 v66, v64, s40, -v36
	v_fmac_f32_e32 v66, 0xb102e308, v64
	v_pk_add_f32 v[64:65], v[36:37], v[66:67]
	v_sub_f32_e32 v33, v33, v34
	v_sub_f32_e32 v34, v65, v67
	v_ldexp_f32 v33, v33, 1
	v_sub_f32_e32 v34, v37, v34
	v_add_f32_e32 v69, v33, v34
	v_mov_b32_e32 v68, v36
	v_pk_add_f32 v[36:37], v[64:65], v[36:37] neg_lo:[0,1] neg_hi:[0,1]
	v_pk_add_f32 v[70:71], v[64:65], v[68:69]
	v_mov_b32_e32 v37, v71
	v_mov_b32_e32 v67, v64
	v_pk_add_f32 v[80:81], v[66:67], v[36:37] neg_lo:[0,1] neg_hi:[0,1]
	v_pk_add_f32 v[36:37], v[66:67], v[36:37]
	v_mov_b32_e32 v34, v37
	v_pk_add_f32 v[66:67], v[34:35], v[64:65] neg_lo:[0,1] neg_hi:[0,1]
	v_mov_b32_e32 v33, v66
	v_pk_add_f32 v[82:83], v[70:71], v[32:33] neg_lo:[0,1] neg_hi:[0,1]
	v_mov_b32_e32 v36, v71
	v_mov_b32_e32 v70, v65
	;; [unrolled: 1-line block ×4, first 2 shown]
	v_pk_add_f32 v[36:37], v[36:37], v[70:71] neg_lo:[0,1] neg_hi:[0,1]
	v_mov_b32_e32 v66, v69
	v_mov_b32_e32 v67, v64
	v_pk_add_f32 v[36:37], v[66:67], v[36:37] neg_lo:[0,1] neg_hi:[0,1]
	v_mov_b32_e32 v82, v80
	v_pk_add_f32 v[64:65], v[82:83], v[36:37]
	v_mov_b32_e32 v66, v65
	v_pk_add_f32 v[66:67], v[64:65], v[66:67]
	v_pk_add_f32 v[68:69], v[34:35], v[66:67]
	v_mov_b32_e32 v65, v68
	v_pk_add_f32 v[70:71], v[64:65], v[80:81] neg_lo:[0,1] neg_hi:[0,1]
	v_mov_b32_e32 v37, v66
	v_sub_f32_e32 v33, v64, v70
	v_pk_add_f32 v[36:37], v[36:37], v[70:71] neg_lo:[0,1] neg_hi:[0,1]
	v_sub_f32_e32 v33, v80, v33
	v_add_f32_e32 v33, v36, v33
	v_cmp_eq_f32_e64 s[40:41], s44, v51
	s_mov_b32 s44, 0x33800000
	v_add_f32_e32 v33, v33, v37
	v_cmp_lt_f32_e64 s[44:45], |v51|, s44
	v_add_f32_e32 v33, v68, v33
	s_or_b64 s[40:41], s[40:41], s[44:45]
	v_cndmask_b32_e64 v33, v33, v51, s[40:41]
	v_add_f32_e32 v33, v35, v33
	v_cvt_f16_f32_e32 v33, v33
	v_cvt_f32_f16_e32 v34, v33
.LBB381_292:
	s_or_b64 exec, exec, s[42:43]
	v_cvt_f32_f16_sdwa v64, v12 dst_sel:DWORD dst_unused:UNUSED_PAD src0_sel:WORD_1
	v_max_f32_e32 v36, v34, v34
	v_cmp_u_f16_e64 s[42:43], v33, v33
	v_cmp_u_f16_sdwa s[40:41], v12, v12 src0_sel:WORD_1 src1_sel:WORD_1
	v_min_f32_e32 v35, v36, v64
	v_max_f32_e32 v12, v36, v64
	v_cndmask_b32_e64 v35, v35, v34, s[42:43]
	v_cndmask_b32_e64 v12, v12, v34, s[42:43]
	;; [unrolled: 1-line block ×4, first 2 shown]
	s_movk_i32 s46, 0x1f8
	v_cmp_neq_f32_e64 s[42:43], v35, v12
	v_cmp_class_f32_e64 s[44:45], v35, s46
	s_or_b64 s[42:43], s[42:43], s[44:45]
	s_and_saveexec_b64 s[44:45], s[42:43]
	s_cbranch_execz .LBB381_294
; %bb.293:
	v_sub_f32_e32 v33, v35, v12
	s_mov_b32 s42, 0x3fb8aa3b
	v_mul_f32_e32 v34, 0x3fb8aa3b, v33
	v_fma_f32 v35, v33, s42, -v34
	v_rndne_f32_e32 v36, v34
	v_fmac_f32_e32 v35, 0x32a5705f, v33
	v_sub_f32_e32 v34, v34, v36
	v_add_f32_e32 v34, v34, v35
	v_exp_f32_e32 v34, v34
	v_cvt_i32_f32_e32 v35, v36
	s_mov_b32 s42, 0xc2ce8ed0
	v_cmp_ngt_f32_e64 s[42:43], s42, v33
	s_mov_b32 s47, 0x7f800000
	v_ldexp_f32 v34, v34, v35
	v_cndmask_b32_e64 v34, 0, v34, s[42:43]
	s_mov_b32 s42, 0x42b17218
	v_mov_b32_e32 v35, 0x7f800000
	v_cmp_nlt_f32_e64 s[42:43], s42, v33
	v_cndmask_b32_e64 v51, v35, v34, s[42:43]
	v_add_f32_e32 v33, 1.0, v51
	v_add_f32_e32 v34, -1.0, v33
	v_sub_f32_e32 v35, v34, v33
	v_add_f32_e32 v35, 1.0, v35
	v_sub_f32_e32 v34, v51, v34
	v_add_f32_e32 v36, v34, v35
	v_frexp_mant_f32_e32 v37, v33
	s_mov_b32 s42, 0x3f2aaaab
	v_cvt_f64_f32_e32 v[34:35], v33
	v_frexp_exp_i32_f64_e32 v34, v[34:35]
	v_cmp_gt_f32_e64 s[42:43], s42, v37
	v_subbrev_co_u32_e64 v65, s[42:43], 0, v34, s[42:43]
	v_sub_u32_e32 v34, 0, v65
	v_ldexp_f32 v33, v33, v34
	v_ldexp_f32 v34, v36, v34
	v_add_f32_e32 v36, -1.0, v33
	v_add_f32_e32 v35, 1.0, v36
	v_sub_f32_e32 v35, v33, v35
	v_add_f32_e32 v37, v34, v35
	v_add_f32_e32 v35, 1.0, v33
	v_add_f32_e32 v66, -1.0, v35
	v_sub_f32_e32 v33, v33, v66
	v_add_f32_e32 v33, v34, v33
	v_add_f32_e32 v70, v35, v33
	v_rcp_f32_e32 v71, v70
	v_sub_f32_e32 v34, v35, v70
	v_add_f32_e32 v35, v36, v37
	v_add_f32_e32 v33, v33, v34
	v_mul_f32_e32 v81, v35, v71
	v_sub_f32_e32 v34, v36, v35
	v_mul_f32_e32 v36, v70, v81
	v_fma_f32 v66, v81, v70, -v36
	v_fmac_f32_e32 v66, v81, v33
	v_add_f32_e32 v80, v37, v34
	v_add_f32_e32 v34, v36, v66
	v_sub_f32_e32 v37, v35, v34
	v_pk_add_f32 v[68:69], v[34:35], v[36:37] neg_lo:[0,1] neg_hi:[0,1]
	v_mov_b32_e32 v67, v34
	v_pk_add_f32 v[34:35], v[68:69], v[66:67] neg_lo:[0,1] neg_hi:[0,1]
	v_add_f32_e32 v35, v80, v35
	v_add_f32_e32 v34, v34, v35
	;; [unrolled: 1-line block ×3, first 2 shown]
	v_mul_f32_e32 v80, v71, v35
	v_mul_f32_e32 v36, v70, v80
	v_fma_f32 v66, v80, v70, -v36
	v_fmac_f32_e32 v66, v80, v33
	v_sub_f32_e32 v33, v37, v35
	v_add_f32_e32 v33, v34, v33
	v_add_f32_e32 v34, v36, v66
	v_sub_f32_e32 v37, v35, v34
	v_pk_add_f32 v[68:69], v[34:35], v[36:37] neg_lo:[0,1] neg_hi:[0,1]
	v_mov_b32_e32 v67, v34
	v_pk_add_f32 v[34:35], v[68:69], v[66:67] neg_lo:[0,1] neg_hi:[0,1]
	v_add_f32_e32 v33, v33, v35
	v_add_f32_e32 v33, v34, v33
	;; [unrolled: 1-line block ×4, first 2 shown]
	v_sub_f32_e32 v35, v34, v81
	v_mul_f32_e32 v33, v71, v33
	v_sub_f32_e32 v35, v80, v35
	v_add_f32_e32 v33, v35, v33
	v_add_f32_e32 v37, v34, v33
	v_mul_f32_e32 v66, v37, v37
	v_mov_b32_e32 v36, 0x3ecc95a3
	v_fmac_f32_e32 v36, 0x3e9b6dac, v66
	v_mov_b32_e32 v35, 0x3f2aaada
	v_fmac_f32_e32 v35, v66, v36
	v_cvt_f32_i32_e32 v36, v65
	v_sub_f32_e32 v34, v37, v34
	v_sub_f32_e32 v33, v33, v34
	v_ldexp_f32 v67, v37, 1
	v_mul_f32_e32 v37, v37, v66
	v_mov_b32_e32 v34, 0x3f317218
	s_mov_b32 s42, 0x3f317218
	v_pk_mul_f32 v[34:35], v[36:37], v[34:35]
	v_fma_f32 v66, v36, s42, -v34
	v_fmac_f32_e32 v66, 0xb102e308, v36
	v_pk_add_f32 v[36:37], v[34:35], v[66:67]
	v_sub_f32_e32 v65, v37, v67
	v_ldexp_f32 v33, v33, 1
	v_sub_f32_e32 v65, v35, v65
	v_add_f32_e32 v69, v33, v65
	v_mov_b32_e32 v68, v34
	v_pk_add_f32 v[34:35], v[36:37], v[34:35] neg_lo:[0,1] neg_hi:[0,1]
	v_pk_add_f32 v[70:71], v[36:37], v[68:69]
	v_mov_b32_e32 v35, v71
	v_mov_b32_e32 v67, v36
	v_pk_add_f32 v[80:81], v[66:67], v[34:35] neg_lo:[0,1] neg_hi:[0,1]
	v_pk_add_f32 v[34:35], v[66:67], v[34:35]
	v_mov_b32_e32 v66, v35
	v_pk_add_f32 v[82:83], v[66:67], v[36:37] neg_lo:[0,1] neg_hi:[0,1]
	v_mov_b32_e32 v33, v82
	v_pk_add_f32 v[84:85], v[70:71], v[32:33] neg_lo:[0,1] neg_hi:[0,1]
	v_mov_b32_e32 v34, v71
	v_mov_b32_e32 v70, v37
	;; [unrolled: 1-line block ×4, first 2 shown]
	v_pk_add_f32 v[34:35], v[34:35], v[70:71] neg_lo:[0,1] neg_hi:[0,1]
	v_mov_b32_e32 v68, v69
	v_mov_b32_e32 v69, v36
	v_pk_add_f32 v[34:35], v[68:69], v[34:35] neg_lo:[0,1] neg_hi:[0,1]
	v_mov_b32_e32 v84, v80
	v_pk_add_f32 v[36:37], v[84:85], v[34:35]
	v_mov_b32_e32 v68, v37
	v_pk_add_f32 v[68:69], v[36:37], v[68:69]
	v_pk_add_f32 v[66:67], v[66:67], v[68:69]
	v_mov_b32_e32 v37, v66
	v_pk_add_f32 v[70:71], v[36:37], v[80:81] neg_lo:[0,1] neg_hi:[0,1]
	v_mov_b32_e32 v35, v68
	v_sub_f32_e32 v33, v36, v70
	v_pk_add_f32 v[34:35], v[34:35], v[70:71] neg_lo:[0,1] neg_hi:[0,1]
	v_sub_f32_e32 v33, v80, v33
	v_add_f32_e32 v33, v34, v33
	v_cmp_eq_f32_e64 s[42:43], s47, v51
	s_mov_b32 s47, 0x33800000
	v_add_f32_e32 v33, v33, v35
	v_cmp_lt_f32_e64 s[48:49], |v51|, s47
	v_add_f32_e32 v33, v66, v33
	s_or_b64 s[42:43], s[42:43], s[48:49]
	v_cndmask_b32_e64 v33, v33, v51, s[42:43]
	v_add_f32_e32 v12, v12, v33
	v_cvt_f16_f32_e32 v33, v12
	v_cvt_f32_f16_e32 v34, v33
.LBB381_294:
	s_or_b64 exec, exec, s[44:45]
	v_cvt_f32_f16_e32 v12, v13
	v_max_f32_e32 v35, v34, v34
	v_cmp_u_f16_e64 s[44:45], v33, v33
	v_cmp_u_f16_e64 s[42:43], v13, v13
	v_min_f32_e32 v36, v35, v12
	v_max_f32_e32 v35, v35, v12
	v_cndmask_b32_e64 v36, v36, v34, s[44:45]
	v_cndmask_b32_e64 v35, v35, v34, s[44:45]
	;; [unrolled: 1-line block ×4, first 2 shown]
	v_cmp_neq_f32_e64 s[44:45], v36, v35
	v_cmp_class_f32_e64 s[46:47], v36, s46
	s_or_b64 s[44:45], s[44:45], s[46:47]
	s_and_saveexec_b64 s[46:47], s[44:45]
	s_cbranch_execz .LBB381_296
; %bb.295:
	v_sub_f32_e32 v33, v36, v35
	s_mov_b32 s44, 0x3fb8aa3b
	v_mul_f32_e32 v34, 0x3fb8aa3b, v33
	v_fma_f32 v36, v33, s44, -v34
	v_rndne_f32_e32 v37, v34
	v_fmac_f32_e32 v36, 0x32a5705f, v33
	v_sub_f32_e32 v34, v34, v37
	v_add_f32_e32 v34, v34, v36
	v_exp_f32_e32 v34, v34
	v_cvt_i32_f32_e32 v36, v37
	s_mov_b32 s44, 0xc2ce8ed0
	v_cmp_ngt_f32_e64 s[44:45], s44, v33
	s_mov_b32 s48, 0x7f800000
	v_ldexp_f32 v34, v34, v36
	v_cndmask_b32_e64 v34, 0, v34, s[44:45]
	s_mov_b32 s44, 0x42b17218
	v_mov_b32_e32 v36, 0x7f800000
	v_cmp_nlt_f32_e64 s[44:45], s44, v33
	v_cndmask_b32_e64 v51, v36, v34, s[44:45]
	v_add_f32_e32 v33, 1.0, v51
	v_add_f32_e32 v34, -1.0, v33
	v_sub_f32_e32 v36, v34, v33
	v_add_f32_e32 v36, 1.0, v36
	v_sub_f32_e32 v34, v51, v34
	v_add_f32_e32 v34, v34, v36
	v_frexp_mant_f32_e32 v65, v33
	s_mov_b32 s44, 0x3f2aaaab
	v_cvt_f64_f32_e32 v[36:37], v33
	v_frexp_exp_i32_f64_e32 v36, v[36:37]
	v_cmp_gt_f32_e64 s[44:45], s44, v65
	v_subbrev_co_u32_e64 v65, s[44:45], 0, v36, s[44:45]
	v_sub_u32_e32 v36, 0, v65
	v_ldexp_f32 v33, v33, v36
	v_ldexp_f32 v34, v34, v36
	v_add_f32_e32 v36, -1.0, v33
	v_add_f32_e32 v37, 1.0, v36
	v_sub_f32_e32 v37, v33, v37
	v_add_f32_e32 v66, v34, v37
	v_add_f32_e32 v37, 1.0, v33
	v_add_f32_e32 v67, -1.0, v37
	v_sub_f32_e32 v33, v33, v67
	v_add_f32_e32 v33, v34, v33
	v_add_f32_e32 v34, v37, v33
	v_rcp_f32_e32 v80, v34
	v_sub_f32_e32 v37, v37, v34
	v_add_f32_e32 v33, v33, v37
	v_add_f32_e32 v37, v36, v66
	v_sub_f32_e32 v36, v36, v37
	v_mul_f32_e32 v82, v37, v80
	v_add_f32_e32 v81, v66, v36
	v_mul_f32_e32 v66, v34, v82
	v_fma_f32 v68, v82, v34, -v66
	v_fmac_f32_e32 v68, v82, v33
	v_add_f32_e32 v36, v66, v68
	v_sub_f32_e32 v67, v37, v36
	v_pk_add_f32 v[70:71], v[36:37], v[66:67] neg_lo:[0,1] neg_hi:[0,1]
	v_mov_b32_e32 v69, v36
	v_pk_add_f32 v[36:37], v[70:71], v[68:69] neg_lo:[0,1] neg_hi:[0,1]
	v_add_f32_e32 v37, v81, v37
	v_add_f32_e32 v36, v36, v37
	;; [unrolled: 1-line block ×3, first 2 shown]
	v_mul_f32_e32 v81, v80, v37
	v_mul_f32_e32 v66, v34, v81
	v_fma_f32 v68, v81, v34, -v66
	v_fmac_f32_e32 v68, v81, v33
	v_sub_f32_e32 v33, v67, v37
	v_add_f32_e32 v33, v36, v33
	v_add_f32_e32 v36, v66, v68
	v_sub_f32_e32 v67, v37, v36
	v_pk_add_f32 v[70:71], v[36:37], v[66:67] neg_lo:[0,1] neg_hi:[0,1]
	v_mov_b32_e32 v69, v36
	v_pk_add_f32 v[36:37], v[70:71], v[68:69] neg_lo:[0,1] neg_hi:[0,1]
	v_add_f32_e32 v33, v33, v37
	v_add_f32_e32 v33, v36, v33
	;; [unrolled: 1-line block ×4, first 2 shown]
	v_sub_f32_e32 v36, v34, v82
	v_mul_f32_e32 v33, v80, v33
	v_sub_f32_e32 v36, v81, v36
	v_add_f32_e32 v33, v36, v33
	v_add_f32_e32 v36, v34, v33
	v_mul_f32_e32 v67, v36, v36
	v_mov_b32_e32 v66, 0x3ecc95a3
	v_fmac_f32_e32 v66, 0x3e9b6dac, v67
	v_mov_b32_e32 v37, 0x3f2aaada
	v_fmac_f32_e32 v37, v67, v66
	v_cvt_f32_i32_e32 v66, v65
	v_sub_f32_e32 v34, v36, v34
	v_ldexp_f32 v69, v36, 1
	v_mul_f32_e32 v67, v36, v67
	v_mov_b32_e32 v36, 0x3f317218
	s_mov_b32 s44, 0x3f317218
	v_pk_mul_f32 v[36:37], v[66:67], v[36:37]
	v_fma_f32 v68, v66, s44, -v36
	v_fmac_f32_e32 v68, 0xb102e308, v66
	v_pk_add_f32 v[66:67], v[36:37], v[68:69]
	v_sub_f32_e32 v33, v33, v34
	v_sub_f32_e32 v34, v67, v69
	v_ldexp_f32 v33, v33, 1
	v_sub_f32_e32 v34, v37, v34
	v_add_f32_e32 v71, v33, v34
	v_mov_b32_e32 v70, v36
	v_pk_add_f32 v[36:37], v[66:67], v[36:37] neg_lo:[0,1] neg_hi:[0,1]
	v_pk_add_f32 v[80:81], v[66:67], v[70:71]
	v_mov_b32_e32 v37, v81
	v_mov_b32_e32 v69, v66
	v_pk_add_f32 v[82:83], v[68:69], v[36:37] neg_lo:[0,1] neg_hi:[0,1]
	v_pk_add_f32 v[36:37], v[68:69], v[36:37]
	v_mov_b32_e32 v34, v37
	v_pk_add_f32 v[68:69], v[34:35], v[66:67] neg_lo:[0,1] neg_hi:[0,1]
	v_mov_b32_e32 v33, v68
	v_pk_add_f32 v[84:85], v[80:81], v[32:33] neg_lo:[0,1] neg_hi:[0,1]
	v_mov_b32_e32 v36, v81
	v_mov_b32_e32 v80, v67
	;; [unrolled: 1-line block ×4, first 2 shown]
	v_pk_add_f32 v[36:37], v[36:37], v[80:81] neg_lo:[0,1] neg_hi:[0,1]
	v_mov_b32_e32 v68, v71
	v_mov_b32_e32 v69, v66
	v_pk_add_f32 v[36:37], v[68:69], v[36:37] neg_lo:[0,1] neg_hi:[0,1]
	v_mov_b32_e32 v84, v82
	v_pk_add_f32 v[66:67], v[84:85], v[36:37]
	v_mov_b32_e32 v68, v67
	v_pk_add_f32 v[68:69], v[66:67], v[68:69]
	v_pk_add_f32 v[70:71], v[34:35], v[68:69]
	v_mov_b32_e32 v67, v70
	v_pk_add_f32 v[80:81], v[66:67], v[82:83] neg_lo:[0,1] neg_hi:[0,1]
	v_mov_b32_e32 v37, v68
	v_sub_f32_e32 v33, v66, v80
	v_pk_add_f32 v[36:37], v[36:37], v[80:81] neg_lo:[0,1] neg_hi:[0,1]
	v_sub_f32_e32 v33, v82, v33
	v_add_f32_e32 v33, v36, v33
	v_cmp_eq_f32_e64 s[44:45], s48, v51
	s_mov_b32 s48, 0x33800000
	v_add_f32_e32 v33, v33, v37
	v_cmp_lt_f32_e64 s[48:49], |v51|, s48
	v_add_f32_e32 v33, v70, v33
	s_or_b64 s[44:45], s[44:45], s[48:49]
	v_cndmask_b32_e64 v33, v33, v51, s[44:45]
	v_add_f32_e32 v33, v35, v33
	v_cvt_f16_f32_e32 v33, v33
	v_cvt_f32_f16_e32 v34, v33
.LBB381_296:
	s_or_b64 exec, exec, s[46:47]
	v_cvt_f32_f16_sdwa v65, v13 dst_sel:DWORD dst_unused:UNUSED_PAD src0_sel:WORD_1
	v_max_f32_e32 v36, v34, v34
	v_cmp_u_f16_e64 s[46:47], v33, v33
	v_cmp_u_f16_sdwa s[44:45], v13, v13 src0_sel:WORD_1 src1_sel:WORD_1
	v_min_f32_e32 v35, v36, v65
	v_max_f32_e32 v13, v36, v65
	v_cndmask_b32_e64 v35, v35, v34, s[46:47]
	v_cndmask_b32_e64 v13, v13, v34, s[46:47]
	;; [unrolled: 1-line block ×4, first 2 shown]
	s_movk_i32 s50, 0x1f8
	v_cmp_neq_f32_e64 s[46:47], v35, v13
	v_cmp_class_f32_e64 s[48:49], v35, s50
	s_or_b64 s[46:47], s[46:47], s[48:49]
	s_and_saveexec_b64 s[48:49], s[46:47]
	s_cbranch_execz .LBB381_298
; %bb.297:
	v_sub_f32_e32 v33, v35, v13
	s_mov_b32 s46, 0x3fb8aa3b
	v_mul_f32_e32 v34, 0x3fb8aa3b, v33
	v_fma_f32 v35, v33, s46, -v34
	v_rndne_f32_e32 v36, v34
	v_fmac_f32_e32 v35, 0x32a5705f, v33
	v_sub_f32_e32 v34, v34, v36
	v_add_f32_e32 v34, v34, v35
	v_exp_f32_e32 v34, v34
	v_cvt_i32_f32_e32 v35, v36
	s_mov_b32 s46, 0xc2ce8ed0
	v_cmp_ngt_f32_e64 s[46:47], s46, v33
	s_mov_b32 s51, 0x7f800000
	v_ldexp_f32 v34, v34, v35
	v_cndmask_b32_e64 v34, 0, v34, s[46:47]
	s_mov_b32 s46, 0x42b17218
	v_mov_b32_e32 v35, 0x7f800000
	v_cmp_nlt_f32_e64 s[46:47], s46, v33
	v_cndmask_b32_e64 v51, v35, v34, s[46:47]
	v_add_f32_e32 v33, 1.0, v51
	v_add_f32_e32 v34, -1.0, v33
	v_sub_f32_e32 v35, v34, v33
	v_add_f32_e32 v35, 1.0, v35
	v_sub_f32_e32 v34, v51, v34
	v_add_f32_e32 v36, v34, v35
	v_frexp_mant_f32_e32 v37, v33
	s_mov_b32 s46, 0x3f2aaaab
	v_cvt_f64_f32_e32 v[34:35], v33
	v_frexp_exp_i32_f64_e32 v34, v[34:35]
	v_cmp_gt_f32_e64 s[46:47], s46, v37
	v_subbrev_co_u32_e64 v70, s[46:47], 0, v34, s[46:47]
	v_sub_u32_e32 v34, 0, v70
	v_ldexp_f32 v33, v33, v34
	v_ldexp_f32 v34, v36, v34
	v_add_f32_e32 v36, -1.0, v33
	v_add_f32_e32 v35, 1.0, v36
	v_sub_f32_e32 v35, v33, v35
	v_add_f32_e32 v37, v34, v35
	v_add_f32_e32 v35, 1.0, v33
	v_add_f32_e32 v66, -1.0, v35
	v_sub_f32_e32 v33, v33, v66
	v_add_f32_e32 v33, v34, v33
	v_add_f32_e32 v71, v35, v33
	v_rcp_f32_e32 v80, v71
	v_sub_f32_e32 v34, v35, v71
	v_add_f32_e32 v35, v36, v37
	v_add_f32_e32 v33, v33, v34
	v_mul_f32_e32 v82, v35, v80
	v_sub_f32_e32 v34, v36, v35
	v_mul_f32_e32 v36, v71, v82
	v_fma_f32 v66, v82, v71, -v36
	v_fmac_f32_e32 v66, v82, v33
	v_add_f32_e32 v81, v37, v34
	v_add_f32_e32 v34, v36, v66
	v_sub_f32_e32 v37, v35, v34
	v_pk_add_f32 v[68:69], v[34:35], v[36:37] neg_lo:[0,1] neg_hi:[0,1]
	v_mov_b32_e32 v67, v34
	v_pk_add_f32 v[34:35], v[68:69], v[66:67] neg_lo:[0,1] neg_hi:[0,1]
	v_add_f32_e32 v35, v81, v35
	v_add_f32_e32 v34, v34, v35
	;; [unrolled: 1-line block ×3, first 2 shown]
	v_mul_f32_e32 v81, v80, v35
	v_mul_f32_e32 v36, v71, v81
	v_fma_f32 v66, v81, v71, -v36
	v_fmac_f32_e32 v66, v81, v33
	v_sub_f32_e32 v33, v37, v35
	v_add_f32_e32 v33, v34, v33
	v_add_f32_e32 v34, v36, v66
	v_sub_f32_e32 v37, v35, v34
	v_pk_add_f32 v[68:69], v[34:35], v[36:37] neg_lo:[0,1] neg_hi:[0,1]
	v_mov_b32_e32 v67, v34
	v_pk_add_f32 v[34:35], v[68:69], v[66:67] neg_lo:[0,1] neg_hi:[0,1]
	v_add_f32_e32 v33, v33, v35
	v_add_f32_e32 v33, v34, v33
	;; [unrolled: 1-line block ×4, first 2 shown]
	v_sub_f32_e32 v35, v34, v82
	v_mul_f32_e32 v33, v80, v33
	v_sub_f32_e32 v35, v81, v35
	v_add_f32_e32 v33, v35, v33
	v_add_f32_e32 v37, v34, v33
	v_mul_f32_e32 v66, v37, v37
	v_mov_b32_e32 v36, 0x3ecc95a3
	v_fmac_f32_e32 v36, 0x3e9b6dac, v66
	v_mov_b32_e32 v35, 0x3f2aaada
	v_fmac_f32_e32 v35, v66, v36
	v_cvt_f32_i32_e32 v36, v70
	v_sub_f32_e32 v34, v37, v34
	v_sub_f32_e32 v33, v33, v34
	v_ldexp_f32 v67, v37, 1
	v_mul_f32_e32 v37, v37, v66
	v_mov_b32_e32 v34, 0x3f317218
	s_mov_b32 s46, 0x3f317218
	v_pk_mul_f32 v[34:35], v[36:37], v[34:35]
	v_fma_f32 v66, v36, s46, -v34
	v_fmac_f32_e32 v66, 0xb102e308, v36
	v_pk_add_f32 v[36:37], v[34:35], v[66:67]
	v_sub_f32_e32 v67, v37, v67
	v_ldexp_f32 v33, v33, 1
	v_sub_f32_e32 v67, v35, v67
	v_add_f32_e32 v69, v33, v67
	v_mov_b32_e32 v68, v34
	v_pk_add_f32 v[34:35], v[36:37], v[34:35] neg_lo:[0,1] neg_hi:[0,1]
	v_pk_add_f32 v[70:71], v[36:37], v[68:69]
	v_mov_b32_e32 v35, v71
	v_mov_b32_e32 v67, v36
	v_pk_add_f32 v[80:81], v[66:67], v[34:35] neg_lo:[0,1] neg_hi:[0,1]
	v_pk_add_f32 v[34:35], v[66:67], v[34:35]
	v_mov_b32_e32 v66, v35
	v_pk_add_f32 v[82:83], v[66:67], v[36:37] neg_lo:[0,1] neg_hi:[0,1]
	v_mov_b32_e32 v33, v82
	v_pk_add_f32 v[84:85], v[70:71], v[32:33] neg_lo:[0,1] neg_hi:[0,1]
	v_mov_b32_e32 v34, v71
	v_mov_b32_e32 v70, v37
	;; [unrolled: 1-line block ×4, first 2 shown]
	v_pk_add_f32 v[34:35], v[34:35], v[70:71] neg_lo:[0,1] neg_hi:[0,1]
	v_mov_b32_e32 v68, v69
	v_mov_b32_e32 v69, v36
	v_pk_add_f32 v[34:35], v[68:69], v[34:35] neg_lo:[0,1] neg_hi:[0,1]
	v_mov_b32_e32 v84, v80
	v_pk_add_f32 v[36:37], v[84:85], v[34:35]
	v_mov_b32_e32 v68, v37
	v_pk_add_f32 v[68:69], v[36:37], v[68:69]
	v_pk_add_f32 v[66:67], v[66:67], v[68:69]
	v_mov_b32_e32 v37, v66
	v_pk_add_f32 v[70:71], v[36:37], v[80:81] neg_lo:[0,1] neg_hi:[0,1]
	v_mov_b32_e32 v35, v68
	v_sub_f32_e32 v33, v36, v70
	v_pk_add_f32 v[34:35], v[34:35], v[70:71] neg_lo:[0,1] neg_hi:[0,1]
	v_sub_f32_e32 v33, v80, v33
	v_add_f32_e32 v33, v34, v33
	v_cmp_eq_f32_e64 s[46:47], s51, v51
	s_mov_b32 s51, 0x33800000
	v_add_f32_e32 v33, v33, v35
	v_cmp_lt_f32_e64 s[52:53], |v51|, s51
	v_add_f32_e32 v33, v66, v33
	s_or_b64 s[46:47], s[46:47], s[52:53]
	v_cndmask_b32_e64 v33, v33, v51, s[46:47]
	v_add_f32_e32 v13, v13, v33
	v_cvt_f16_f32_e32 v33, v13
	v_cvt_f32_f16_e32 v34, v33
.LBB381_298:
	s_or_b64 exec, exec, s[48:49]
	v_cvt_f32_f16_e32 v13, v14
	v_max_f32_e32 v35, v34, v34
	v_cmp_u_f16_e64 s[48:49], v33, v33
	v_cmp_u_f16_e64 s[46:47], v14, v14
	v_min_f32_e32 v36, v35, v13
	v_max_f32_e32 v35, v35, v13
	v_cndmask_b32_e64 v36, v36, v34, s[48:49]
	v_cndmask_b32_e64 v35, v35, v34, s[48:49]
	;; [unrolled: 1-line block ×4, first 2 shown]
	v_cmp_neq_f32_e64 s[48:49], v36, v35
	v_cmp_class_f32_e64 s[50:51], v36, s50
	s_or_b64 s[48:49], s[48:49], s[50:51]
	s_and_saveexec_b64 s[50:51], s[48:49]
	s_cbranch_execz .LBB381_300
; %bb.299:
	v_sub_f32_e32 v33, v36, v35
	s_mov_b32 s48, 0x3fb8aa3b
	v_mul_f32_e32 v34, 0x3fb8aa3b, v33
	v_fma_f32 v36, v33, s48, -v34
	v_rndne_f32_e32 v37, v34
	v_fmac_f32_e32 v36, 0x32a5705f, v33
	v_sub_f32_e32 v34, v34, v37
	v_add_f32_e32 v34, v34, v36
	v_exp_f32_e32 v34, v34
	v_cvt_i32_f32_e32 v36, v37
	s_mov_b32 s48, 0xc2ce8ed0
	v_cmp_ngt_f32_e64 s[48:49], s48, v33
	s_mov_b32 s52, 0x7f800000
	v_ldexp_f32 v34, v34, v36
	v_cndmask_b32_e64 v34, 0, v34, s[48:49]
	s_mov_b32 s48, 0x42b17218
	v_mov_b32_e32 v36, 0x7f800000
	v_cmp_nlt_f32_e64 s[48:49], s48, v33
	v_cndmask_b32_e64 v51, v36, v34, s[48:49]
	v_add_f32_e32 v33, 1.0, v51
	v_add_f32_e32 v34, -1.0, v33
	v_sub_f32_e32 v36, v34, v33
	v_add_f32_e32 v36, 1.0, v36
	v_sub_f32_e32 v34, v51, v34
	v_add_f32_e32 v34, v34, v36
	v_frexp_mant_f32_e32 v66, v33
	s_mov_b32 s48, 0x3f2aaaab
	v_cvt_f64_f32_e32 v[36:37], v33
	v_frexp_exp_i32_f64_e32 v36, v[36:37]
	v_cmp_gt_f32_e64 s[48:49], s48, v66
	v_subbrev_co_u32_e64 v80, s[48:49], 0, v36, s[48:49]
	v_sub_u32_e32 v36, 0, v80
	v_ldexp_f32 v33, v33, v36
	v_ldexp_f32 v34, v34, v36
	v_add_f32_e32 v36, -1.0, v33
	v_add_f32_e32 v37, 1.0, v36
	v_sub_f32_e32 v37, v33, v37
	v_add_f32_e32 v66, v34, v37
	v_add_f32_e32 v37, 1.0, v33
	v_add_f32_e32 v67, -1.0, v37
	v_sub_f32_e32 v33, v33, v67
	v_add_f32_e32 v33, v34, v33
	v_add_f32_e32 v34, v37, v33
	v_rcp_f32_e32 v81, v34
	v_sub_f32_e32 v37, v37, v34
	v_add_f32_e32 v33, v33, v37
	v_add_f32_e32 v37, v36, v66
	v_sub_f32_e32 v36, v36, v37
	v_mul_f32_e32 v83, v37, v81
	v_add_f32_e32 v82, v66, v36
	v_mul_f32_e32 v66, v34, v83
	v_fma_f32 v68, v83, v34, -v66
	v_fmac_f32_e32 v68, v83, v33
	v_add_f32_e32 v36, v66, v68
	v_sub_f32_e32 v67, v37, v36
	v_pk_add_f32 v[70:71], v[36:37], v[66:67] neg_lo:[0,1] neg_hi:[0,1]
	v_mov_b32_e32 v69, v36
	v_pk_add_f32 v[36:37], v[70:71], v[68:69] neg_lo:[0,1] neg_hi:[0,1]
	v_add_f32_e32 v37, v82, v37
	v_add_f32_e32 v36, v36, v37
	;; [unrolled: 1-line block ×3, first 2 shown]
	v_mul_f32_e32 v82, v81, v37
	v_mul_f32_e32 v66, v34, v82
	v_fma_f32 v68, v82, v34, -v66
	v_fmac_f32_e32 v68, v82, v33
	v_sub_f32_e32 v33, v67, v37
	v_add_f32_e32 v33, v36, v33
	v_add_f32_e32 v36, v66, v68
	v_sub_f32_e32 v67, v37, v36
	v_pk_add_f32 v[70:71], v[36:37], v[66:67] neg_lo:[0,1] neg_hi:[0,1]
	v_mov_b32_e32 v69, v36
	v_pk_add_f32 v[36:37], v[70:71], v[68:69] neg_lo:[0,1] neg_hi:[0,1]
	v_add_f32_e32 v33, v33, v37
	v_add_f32_e32 v33, v36, v33
	;; [unrolled: 1-line block ×4, first 2 shown]
	v_sub_f32_e32 v36, v34, v83
	v_mul_f32_e32 v33, v81, v33
	v_sub_f32_e32 v36, v82, v36
	v_add_f32_e32 v33, v36, v33
	v_add_f32_e32 v36, v34, v33
	v_mul_f32_e32 v67, v36, v36
	v_mov_b32_e32 v66, 0x3ecc95a3
	v_fmac_f32_e32 v66, 0x3e9b6dac, v67
	v_mov_b32_e32 v37, 0x3f2aaada
	v_fmac_f32_e32 v37, v67, v66
	v_cvt_f32_i32_e32 v66, v80
	v_sub_f32_e32 v34, v36, v34
	v_ldexp_f32 v69, v36, 1
	v_mul_f32_e32 v67, v36, v67
	v_mov_b32_e32 v36, 0x3f317218
	s_mov_b32 s48, 0x3f317218
	v_pk_mul_f32 v[36:37], v[66:67], v[36:37]
	v_fma_f32 v68, v66, s48, -v36
	v_fmac_f32_e32 v68, 0xb102e308, v66
	v_pk_add_f32 v[66:67], v[36:37], v[68:69]
	v_sub_f32_e32 v33, v33, v34
	v_sub_f32_e32 v34, v67, v69
	v_ldexp_f32 v33, v33, 1
	v_sub_f32_e32 v34, v37, v34
	v_add_f32_e32 v71, v33, v34
	v_mov_b32_e32 v70, v36
	v_pk_add_f32 v[36:37], v[66:67], v[36:37] neg_lo:[0,1] neg_hi:[0,1]
	v_pk_add_f32 v[80:81], v[66:67], v[70:71]
	v_mov_b32_e32 v37, v81
	v_mov_b32_e32 v69, v66
	v_pk_add_f32 v[82:83], v[68:69], v[36:37] neg_lo:[0,1] neg_hi:[0,1]
	v_pk_add_f32 v[36:37], v[68:69], v[36:37]
	v_mov_b32_e32 v34, v37
	v_pk_add_f32 v[68:69], v[34:35], v[66:67] neg_lo:[0,1] neg_hi:[0,1]
	v_mov_b32_e32 v33, v68
	v_pk_add_f32 v[84:85], v[80:81], v[32:33] neg_lo:[0,1] neg_hi:[0,1]
	v_mov_b32_e32 v36, v81
	v_mov_b32_e32 v80, v67
	v_mov_b32_e32 v81, v68
	v_mov_b32_e32 v83, v37
	v_pk_add_f32 v[36:37], v[36:37], v[80:81] neg_lo:[0,1] neg_hi:[0,1]
	v_mov_b32_e32 v68, v71
	v_mov_b32_e32 v69, v66
	v_pk_add_f32 v[36:37], v[68:69], v[36:37] neg_lo:[0,1] neg_hi:[0,1]
	v_mov_b32_e32 v84, v82
	v_pk_add_f32 v[66:67], v[84:85], v[36:37]
	v_mov_b32_e32 v68, v67
	v_pk_add_f32 v[68:69], v[66:67], v[68:69]
	v_pk_add_f32 v[70:71], v[34:35], v[68:69]
	v_mov_b32_e32 v67, v70
	v_pk_add_f32 v[80:81], v[66:67], v[82:83] neg_lo:[0,1] neg_hi:[0,1]
	v_mov_b32_e32 v37, v68
	v_sub_f32_e32 v33, v66, v80
	v_pk_add_f32 v[36:37], v[36:37], v[80:81] neg_lo:[0,1] neg_hi:[0,1]
	v_sub_f32_e32 v33, v82, v33
	v_add_f32_e32 v33, v36, v33
	v_cmp_eq_f32_e64 s[48:49], s52, v51
	s_mov_b32 s52, 0x33800000
	v_add_f32_e32 v33, v33, v37
	v_cmp_lt_f32_e64 s[52:53], |v51|, s52
	v_add_f32_e32 v33, v70, v33
	s_or_b64 s[48:49], s[48:49], s[52:53]
	v_cndmask_b32_e64 v33, v33, v51, s[48:49]
	v_add_f32_e32 v33, v35, v33
	v_cvt_f16_f32_e32 v33, v33
	v_cvt_f32_f16_e32 v34, v33
.LBB381_300:
	s_or_b64 exec, exec, s[50:51]
	v_cvt_f32_f16_sdwa v66, v14 dst_sel:DWORD dst_unused:UNUSED_PAD src0_sel:WORD_1
	v_max_f32_e32 v36, v34, v34
	v_cmp_u_f16_e64 s[50:51], v33, v33
	v_cmp_u_f16_sdwa s[48:49], v14, v14 src0_sel:WORD_1 src1_sel:WORD_1
	v_min_f32_e32 v35, v36, v66
	v_max_f32_e32 v14, v36, v66
	v_cndmask_b32_e64 v35, v35, v34, s[50:51]
	v_cndmask_b32_e64 v14, v14, v34, s[50:51]
	;; [unrolled: 1-line block ×4, first 2 shown]
	s_movk_i32 s56, 0x1f8
	v_cmp_neq_f32_e64 s[50:51], v35, v14
	v_cmp_class_f32_e64 s[52:53], v35, s56
	s_or_b64 s[50:51], s[50:51], s[52:53]
	s_and_saveexec_b64 s[52:53], s[50:51]
	s_cbranch_execz .LBB381_302
; %bb.301:
	v_sub_f32_e32 v33, v35, v14
	s_mov_b32 s50, 0x3fb8aa3b
	v_mul_f32_e32 v34, 0x3fb8aa3b, v33
	v_fma_f32 v35, v33, s50, -v34
	v_rndne_f32_e32 v36, v34
	v_fmac_f32_e32 v35, 0x32a5705f, v33
	v_sub_f32_e32 v34, v34, v36
	v_add_f32_e32 v34, v34, v35
	v_exp_f32_e32 v34, v34
	v_cvt_i32_f32_e32 v35, v36
	s_mov_b32 s50, 0xc2ce8ed0
	v_cmp_ngt_f32_e64 s[50:51], s50, v33
	s_mov_b32 s57, 0x7f800000
	v_ldexp_f32 v34, v34, v35
	v_cndmask_b32_e64 v34, 0, v34, s[50:51]
	s_mov_b32 s50, 0x42b17218
	v_mov_b32_e32 v35, 0x7f800000
	v_cmp_nlt_f32_e64 s[50:51], s50, v33
	v_cndmask_b32_e64 v51, v35, v34, s[50:51]
	v_add_f32_e32 v33, 1.0, v51
	v_add_f32_e32 v34, -1.0, v33
	v_sub_f32_e32 v35, v34, v33
	v_add_f32_e32 v35, 1.0, v35
	v_sub_f32_e32 v34, v51, v34
	v_add_f32_e32 v36, v34, v35
	v_frexp_mant_f32_e32 v37, v33
	s_mov_b32 s50, 0x3f2aaaab
	v_cvt_f64_f32_e32 v[34:35], v33
	v_frexp_exp_i32_f64_e32 v34, v[34:35]
	v_cmp_gt_f32_e64 s[50:51], s50, v37
	v_subbrev_co_u32_e64 v67, s[50:51], 0, v34, s[50:51]
	v_sub_u32_e32 v34, 0, v67
	v_ldexp_f32 v33, v33, v34
	v_ldexp_f32 v34, v36, v34
	v_add_f32_e32 v36, -1.0, v33
	v_add_f32_e32 v35, 1.0, v36
	v_sub_f32_e32 v35, v33, v35
	v_add_f32_e32 v37, v34, v35
	v_add_f32_e32 v35, 1.0, v33
	v_add_f32_e32 v68, -1.0, v35
	v_sub_f32_e32 v33, v33, v68
	v_add_f32_e32 v33, v34, v33
	v_add_f32_e32 v80, v35, v33
	v_rcp_f32_e32 v81, v80
	v_sub_f32_e32 v34, v35, v80
	v_add_f32_e32 v35, v36, v37
	v_add_f32_e32 v33, v33, v34
	v_mul_f32_e32 v83, v35, v81
	v_sub_f32_e32 v34, v36, v35
	v_mul_f32_e32 v36, v80, v83
	v_fma_f32 v68, v83, v80, -v36
	v_fmac_f32_e32 v68, v83, v33
	v_add_f32_e32 v82, v37, v34
	v_add_f32_e32 v34, v36, v68
	v_sub_f32_e32 v37, v35, v34
	v_pk_add_f32 v[70:71], v[34:35], v[36:37] neg_lo:[0,1] neg_hi:[0,1]
	v_mov_b32_e32 v69, v34
	v_pk_add_f32 v[34:35], v[70:71], v[68:69] neg_lo:[0,1] neg_hi:[0,1]
	v_add_f32_e32 v35, v82, v35
	v_add_f32_e32 v34, v34, v35
	;; [unrolled: 1-line block ×3, first 2 shown]
	v_mul_f32_e32 v82, v81, v35
	v_mul_f32_e32 v36, v80, v82
	v_fma_f32 v68, v82, v80, -v36
	v_fmac_f32_e32 v68, v82, v33
	v_sub_f32_e32 v33, v37, v35
	v_add_f32_e32 v33, v34, v33
	v_add_f32_e32 v34, v36, v68
	v_sub_f32_e32 v37, v35, v34
	v_pk_add_f32 v[70:71], v[34:35], v[36:37] neg_lo:[0,1] neg_hi:[0,1]
	v_mov_b32_e32 v69, v34
	v_pk_add_f32 v[34:35], v[70:71], v[68:69] neg_lo:[0,1] neg_hi:[0,1]
	v_add_f32_e32 v33, v33, v35
	v_add_f32_e32 v33, v34, v33
	;; [unrolled: 1-line block ×4, first 2 shown]
	v_sub_f32_e32 v35, v34, v83
	v_mul_f32_e32 v33, v81, v33
	v_sub_f32_e32 v35, v82, v35
	v_add_f32_e32 v33, v35, v33
	v_add_f32_e32 v37, v34, v33
	v_mul_f32_e32 v68, v37, v37
	v_mov_b32_e32 v36, 0x3ecc95a3
	v_fmac_f32_e32 v36, 0x3e9b6dac, v68
	v_mov_b32_e32 v35, 0x3f2aaada
	v_fmac_f32_e32 v35, v68, v36
	v_cvt_f32_i32_e32 v36, v67
	v_sub_f32_e32 v34, v37, v34
	v_sub_f32_e32 v33, v33, v34
	v_ldexp_f32 v69, v37, 1
	v_mul_f32_e32 v37, v37, v68
	v_mov_b32_e32 v34, 0x3f317218
	s_mov_b32 s50, 0x3f317218
	v_pk_mul_f32 v[34:35], v[36:37], v[34:35]
	v_fma_f32 v68, v36, s50, -v34
	v_fmac_f32_e32 v68, 0xb102e308, v36
	v_pk_add_f32 v[36:37], v[34:35], v[68:69]
	v_sub_f32_e32 v67, v37, v69
	v_ldexp_f32 v33, v33, 1
	v_sub_f32_e32 v67, v35, v67
	v_add_f32_e32 v71, v33, v67
	v_mov_b32_e32 v70, v34
	v_pk_add_f32 v[34:35], v[36:37], v[34:35] neg_lo:[0,1] neg_hi:[0,1]
	v_pk_add_f32 v[80:81], v[36:37], v[70:71]
	v_mov_b32_e32 v35, v81
	v_mov_b32_e32 v69, v36
	v_pk_add_f32 v[82:83], v[68:69], v[34:35] neg_lo:[0,1] neg_hi:[0,1]
	v_pk_add_f32 v[34:35], v[68:69], v[34:35]
	v_mov_b32_e32 v68, v35
	v_pk_add_f32 v[84:85], v[68:69], v[36:37] neg_lo:[0,1] neg_hi:[0,1]
	v_mov_b32_e32 v33, v84
	v_pk_add_f32 v[86:87], v[80:81], v[32:33] neg_lo:[0,1] neg_hi:[0,1]
	v_mov_b32_e32 v34, v81
	v_mov_b32_e32 v80, v37
	;; [unrolled: 1-line block ×4, first 2 shown]
	v_pk_add_f32 v[34:35], v[34:35], v[80:81] neg_lo:[0,1] neg_hi:[0,1]
	v_mov_b32_e32 v70, v71
	v_mov_b32_e32 v71, v36
	v_pk_add_f32 v[34:35], v[70:71], v[34:35] neg_lo:[0,1] neg_hi:[0,1]
	v_mov_b32_e32 v86, v82
	v_pk_add_f32 v[36:37], v[86:87], v[34:35]
	v_mov_b32_e32 v70, v37
	v_pk_add_f32 v[70:71], v[36:37], v[70:71]
	v_pk_add_f32 v[68:69], v[68:69], v[70:71]
	v_mov_b32_e32 v37, v68
	v_pk_add_f32 v[80:81], v[36:37], v[82:83] neg_lo:[0,1] neg_hi:[0,1]
	v_mov_b32_e32 v35, v70
	v_sub_f32_e32 v33, v36, v80
	v_pk_add_f32 v[34:35], v[34:35], v[80:81] neg_lo:[0,1] neg_hi:[0,1]
	v_sub_f32_e32 v33, v82, v33
	v_add_f32_e32 v33, v34, v33
	v_cmp_eq_f32_e64 s[50:51], s57, v51
	s_mov_b32 s57, 0x33800000
	v_add_f32_e32 v33, v33, v35
	v_cmp_lt_f32_e64 s[58:59], |v51|, s57
	v_add_f32_e32 v33, v68, v33
	s_or_b64 s[50:51], s[50:51], s[58:59]
	v_cndmask_b32_e64 v33, v33, v51, s[50:51]
	v_add_f32_e32 v14, v14, v33
	v_cvt_f16_f32_e32 v33, v14
	v_cvt_f32_f16_e32 v34, v33
.LBB381_302:
	s_or_b64 exec, exec, s[52:53]
	v_cvt_f32_f16_e32 v14, v15
	v_max_f32_e32 v35, v34, v34
	v_cmp_u_f16_e64 s[52:53], v33, v33
	v_cmp_u_f16_e64 s[50:51], v15, v15
	v_min_f32_e32 v36, v35, v14
	v_max_f32_e32 v35, v35, v14
	v_cndmask_b32_e64 v36, v36, v34, s[52:53]
	v_cndmask_b32_e64 v35, v35, v34, s[52:53]
	;; [unrolled: 1-line block ×4, first 2 shown]
	v_cmp_neq_f32_e64 s[52:53], v36, v35
	v_cmp_class_f32_e64 s[56:57], v36, s56
	s_or_b64 s[52:53], s[52:53], s[56:57]
	s_and_saveexec_b64 s[56:57], s[52:53]
	s_cbranch_execz .LBB381_304
; %bb.303:
	v_sub_f32_e32 v33, v36, v35
	s_mov_b32 s52, 0x3fb8aa3b
	v_mul_f32_e32 v34, 0x3fb8aa3b, v33
	v_fma_f32 v36, v33, s52, -v34
	v_rndne_f32_e32 v37, v34
	v_fmac_f32_e32 v36, 0x32a5705f, v33
	v_sub_f32_e32 v34, v34, v37
	v_add_f32_e32 v34, v34, v36
	v_exp_f32_e32 v34, v34
	v_cvt_i32_f32_e32 v36, v37
	s_mov_b32 s52, 0xc2ce8ed0
	v_cmp_ngt_f32_e64 s[52:53], s52, v33
	s_mov_b32 s58, 0x7f800000
	v_ldexp_f32 v34, v34, v36
	v_cndmask_b32_e64 v34, 0, v34, s[52:53]
	s_mov_b32 s52, 0x42b17218
	v_mov_b32_e32 v36, 0x7f800000
	v_cmp_nlt_f32_e64 s[52:53], s52, v33
	v_cndmask_b32_e64 v51, v36, v34, s[52:53]
	v_add_f32_e32 v33, 1.0, v51
	v_add_f32_e32 v34, -1.0, v33
	v_sub_f32_e32 v36, v34, v33
	v_add_f32_e32 v36, 1.0, v36
	v_sub_f32_e32 v34, v51, v34
	v_add_f32_e32 v34, v34, v36
	v_frexp_mant_f32_e32 v67, v33
	s_mov_b32 s52, 0x3f2aaaab
	v_cvt_f64_f32_e32 v[36:37], v33
	v_frexp_exp_i32_f64_e32 v36, v[36:37]
	v_cmp_gt_f32_e64 s[52:53], s52, v67
	v_subbrev_co_u32_e64 v67, s[52:53], 0, v36, s[52:53]
	v_sub_u32_e32 v36, 0, v67
	v_ldexp_f32 v33, v33, v36
	v_ldexp_f32 v34, v34, v36
	v_add_f32_e32 v36, -1.0, v33
	v_add_f32_e32 v37, 1.0, v36
	v_sub_f32_e32 v37, v33, v37
	v_add_f32_e32 v68, v34, v37
	v_add_f32_e32 v37, 1.0, v33
	v_add_f32_e32 v69, -1.0, v37
	v_sub_f32_e32 v33, v33, v69
	v_add_f32_e32 v33, v34, v33
	v_add_f32_e32 v34, v37, v33
	v_rcp_f32_e32 v82, v34
	v_sub_f32_e32 v37, v37, v34
	v_add_f32_e32 v33, v33, v37
	v_add_f32_e32 v37, v36, v68
	v_sub_f32_e32 v36, v36, v37
	v_mul_f32_e32 v84, v37, v82
	v_add_f32_e32 v83, v68, v36
	v_mul_f32_e32 v68, v34, v84
	v_fma_f32 v70, v84, v34, -v68
	v_fmac_f32_e32 v70, v84, v33
	v_add_f32_e32 v36, v68, v70
	v_sub_f32_e32 v69, v37, v36
	v_pk_add_f32 v[80:81], v[36:37], v[68:69] neg_lo:[0,1] neg_hi:[0,1]
	v_mov_b32_e32 v71, v36
	v_pk_add_f32 v[36:37], v[80:81], v[70:71] neg_lo:[0,1] neg_hi:[0,1]
	v_add_f32_e32 v37, v83, v37
	v_add_f32_e32 v36, v36, v37
	;; [unrolled: 1-line block ×3, first 2 shown]
	v_mul_f32_e32 v83, v82, v37
	v_mul_f32_e32 v68, v34, v83
	v_fma_f32 v70, v83, v34, -v68
	v_fmac_f32_e32 v70, v83, v33
	v_sub_f32_e32 v33, v69, v37
	v_add_f32_e32 v33, v36, v33
	v_add_f32_e32 v36, v68, v70
	v_sub_f32_e32 v69, v37, v36
	v_pk_add_f32 v[80:81], v[36:37], v[68:69] neg_lo:[0,1] neg_hi:[0,1]
	v_mov_b32_e32 v71, v36
	v_pk_add_f32 v[36:37], v[80:81], v[70:71] neg_lo:[0,1] neg_hi:[0,1]
	v_add_f32_e32 v33, v33, v37
	v_add_f32_e32 v33, v36, v33
	;; [unrolled: 1-line block ×4, first 2 shown]
	v_sub_f32_e32 v36, v34, v84
	v_mul_f32_e32 v33, v82, v33
	v_sub_f32_e32 v36, v83, v36
	v_add_f32_e32 v33, v36, v33
	v_add_f32_e32 v36, v34, v33
	v_mul_f32_e32 v69, v36, v36
	v_mov_b32_e32 v68, 0x3ecc95a3
	v_fmac_f32_e32 v68, 0x3e9b6dac, v69
	v_mov_b32_e32 v37, 0x3f2aaada
	v_fmac_f32_e32 v37, v69, v68
	v_cvt_f32_i32_e32 v68, v67
	v_sub_f32_e32 v34, v36, v34
	v_ldexp_f32 v71, v36, 1
	v_mul_f32_e32 v69, v36, v69
	v_mov_b32_e32 v36, 0x3f317218
	s_mov_b32 s52, 0x3f317218
	v_pk_mul_f32 v[36:37], v[68:69], v[36:37]
	v_fma_f32 v70, v68, s52, -v36
	v_fmac_f32_e32 v70, 0xb102e308, v68
	v_pk_add_f32 v[68:69], v[36:37], v[70:71]
	v_sub_f32_e32 v33, v33, v34
	v_sub_f32_e32 v34, v69, v71
	v_ldexp_f32 v33, v33, 1
	v_sub_f32_e32 v34, v37, v34
	v_add_f32_e32 v81, v33, v34
	v_mov_b32_e32 v80, v36
	v_pk_add_f32 v[36:37], v[68:69], v[36:37] neg_lo:[0,1] neg_hi:[0,1]
	v_pk_add_f32 v[82:83], v[68:69], v[80:81]
	v_mov_b32_e32 v37, v83
	v_mov_b32_e32 v71, v68
	v_pk_add_f32 v[84:85], v[70:71], v[36:37] neg_lo:[0,1] neg_hi:[0,1]
	v_pk_add_f32 v[36:37], v[70:71], v[36:37]
	v_mov_b32_e32 v34, v37
	v_pk_add_f32 v[70:71], v[34:35], v[68:69] neg_lo:[0,1] neg_hi:[0,1]
	v_mov_b32_e32 v33, v70
	v_pk_add_f32 v[86:87], v[82:83], v[32:33] neg_lo:[0,1] neg_hi:[0,1]
	v_mov_b32_e32 v36, v83
	v_mov_b32_e32 v82, v69
	;; [unrolled: 1-line block ×4, first 2 shown]
	v_pk_add_f32 v[36:37], v[36:37], v[82:83] neg_lo:[0,1] neg_hi:[0,1]
	v_mov_b32_e32 v70, v81
	v_mov_b32_e32 v71, v68
	v_pk_add_f32 v[36:37], v[70:71], v[36:37] neg_lo:[0,1] neg_hi:[0,1]
	v_mov_b32_e32 v86, v84
	v_pk_add_f32 v[68:69], v[86:87], v[36:37]
	v_mov_b32_e32 v70, v69
	v_pk_add_f32 v[70:71], v[68:69], v[70:71]
	v_pk_add_f32 v[80:81], v[34:35], v[70:71]
	v_mov_b32_e32 v69, v80
	v_pk_add_f32 v[82:83], v[68:69], v[84:85] neg_lo:[0,1] neg_hi:[0,1]
	v_mov_b32_e32 v37, v70
	v_sub_f32_e32 v33, v68, v82
	v_pk_add_f32 v[36:37], v[36:37], v[82:83] neg_lo:[0,1] neg_hi:[0,1]
	v_sub_f32_e32 v33, v84, v33
	v_add_f32_e32 v33, v36, v33
	v_cmp_eq_f32_e64 s[52:53], s58, v51
	s_mov_b32 s58, 0x33800000
	v_add_f32_e32 v33, v33, v37
	v_cmp_lt_f32_e64 s[58:59], |v51|, s58
	v_add_f32_e32 v33, v80, v33
	s_or_b64 s[52:53], s[52:53], s[58:59]
	v_cndmask_b32_e64 v33, v33, v51, s[52:53]
	v_add_f32_e32 v33, v35, v33
	v_cvt_f16_f32_e32 v33, v33
	v_cvt_f32_f16_e32 v34, v33
.LBB381_304:
	s_or_b64 exec, exec, s[56:57]
	v_cvt_f32_f16_sdwa v67, v15 dst_sel:DWORD dst_unused:UNUSED_PAD src0_sel:WORD_1
	v_max_f32_e32 v36, v34, v34
	v_cmp_u_f16_e64 s[56:57], v33, v33
	v_cmp_u_f16_sdwa s[52:53], v15, v15 src0_sel:WORD_1 src1_sel:WORD_1
	v_min_f32_e32 v35, v36, v67
	v_max_f32_e32 v15, v36, v67
	v_cndmask_b32_e64 v35, v35, v34, s[56:57]
	v_cndmask_b32_e64 v15, v15, v34, s[56:57]
	;; [unrolled: 1-line block ×4, first 2 shown]
	s_movk_i32 s58, 0x1f8
	v_cmp_neq_f32_e64 s[56:57], v35, v15
	v_cmp_class_f32_e64 s[58:59], v35, s58
	s_or_b64 s[56:57], s[56:57], s[58:59]
	s_and_saveexec_b64 s[58:59], s[56:57]
	s_cbranch_execz .LBB381_306
; %bb.305:
	v_sub_f32_e32 v33, v35, v15
	s_mov_b32 s56, 0x3fb8aa3b
	v_mul_f32_e32 v34, 0x3fb8aa3b, v33
	v_fma_f32 v35, v33, s56, -v34
	v_rndne_f32_e32 v36, v34
	v_fmac_f32_e32 v35, 0x32a5705f, v33
	v_sub_f32_e32 v34, v34, v36
	v_add_f32_e32 v34, v34, v35
	v_exp_f32_e32 v34, v34
	v_cvt_i32_f32_e32 v35, v36
	s_mov_b32 s56, 0xc2ce8ed0
	v_cmp_ngt_f32_e64 s[56:57], s56, v33
	s_mov_b32 s60, 0x7f800000
	v_ldexp_f32 v34, v34, v35
	v_cndmask_b32_e64 v34, 0, v34, s[56:57]
	s_mov_b32 s56, 0x42b17218
	v_mov_b32_e32 v35, 0x7f800000
	v_cmp_nlt_f32_e64 s[56:57], s56, v33
	v_cndmask_b32_e64 v51, v35, v34, s[56:57]
	v_add_f32_e32 v33, 1.0, v51
	v_add_f32_e32 v34, -1.0, v33
	v_sub_f32_e32 v35, v34, v33
	v_add_f32_e32 v35, 1.0, v35
	v_sub_f32_e32 v34, v51, v34
	v_add_f32_e32 v36, v34, v35
	v_frexp_mant_f32_e32 v37, v33
	s_mov_b32 s56, 0x3f2aaaab
	v_cvt_f64_f32_e32 v[34:35], v33
	v_frexp_exp_i32_f64_e32 v34, v[34:35]
	v_cmp_gt_f32_e64 s[56:57], s56, v37
	v_subbrev_co_u32_e64 v80, s[56:57], 0, v34, s[56:57]
	v_sub_u32_e32 v34, 0, v80
	v_ldexp_f32 v33, v33, v34
	v_ldexp_f32 v34, v36, v34
	v_add_f32_e32 v36, -1.0, v33
	v_add_f32_e32 v35, 1.0, v36
	v_sub_f32_e32 v35, v33, v35
	v_add_f32_e32 v37, v34, v35
	v_add_f32_e32 v35, 1.0, v33
	v_add_f32_e32 v68, -1.0, v35
	v_sub_f32_e32 v33, v33, v68
	v_add_f32_e32 v33, v34, v33
	v_add_f32_e32 v81, v35, v33
	v_rcp_f32_e32 v82, v81
	v_sub_f32_e32 v34, v35, v81
	v_add_f32_e32 v35, v36, v37
	v_add_f32_e32 v33, v33, v34
	v_mul_f32_e32 v84, v35, v82
	v_sub_f32_e32 v34, v36, v35
	v_mul_f32_e32 v36, v81, v84
	v_fma_f32 v68, v84, v81, -v36
	v_fmac_f32_e32 v68, v84, v33
	v_add_f32_e32 v83, v37, v34
	v_add_f32_e32 v34, v36, v68
	v_sub_f32_e32 v37, v35, v34
	v_pk_add_f32 v[70:71], v[34:35], v[36:37] neg_lo:[0,1] neg_hi:[0,1]
	v_mov_b32_e32 v69, v34
	v_pk_add_f32 v[34:35], v[70:71], v[68:69] neg_lo:[0,1] neg_hi:[0,1]
	v_add_f32_e32 v35, v83, v35
	v_add_f32_e32 v34, v34, v35
	;; [unrolled: 1-line block ×3, first 2 shown]
	v_mul_f32_e32 v83, v82, v35
	v_mul_f32_e32 v36, v81, v83
	v_fma_f32 v68, v83, v81, -v36
	v_fmac_f32_e32 v68, v83, v33
	v_sub_f32_e32 v33, v37, v35
	v_add_f32_e32 v33, v34, v33
	v_add_f32_e32 v34, v36, v68
	v_sub_f32_e32 v37, v35, v34
	v_pk_add_f32 v[70:71], v[34:35], v[36:37] neg_lo:[0,1] neg_hi:[0,1]
	v_mov_b32_e32 v69, v34
	v_pk_add_f32 v[34:35], v[70:71], v[68:69] neg_lo:[0,1] neg_hi:[0,1]
	v_add_f32_e32 v33, v33, v35
	v_add_f32_e32 v33, v34, v33
	v_add_f32_e32 v34, v84, v83
	v_add_f32_e32 v33, v37, v33
	v_sub_f32_e32 v35, v34, v84
	v_mul_f32_e32 v33, v82, v33
	v_sub_f32_e32 v35, v83, v35
	v_add_f32_e32 v33, v35, v33
	v_add_f32_e32 v37, v34, v33
	v_mul_f32_e32 v68, v37, v37
	v_mov_b32_e32 v36, 0x3ecc95a3
	v_fmac_f32_e32 v36, 0x3e9b6dac, v68
	v_mov_b32_e32 v35, 0x3f2aaada
	v_fmac_f32_e32 v35, v68, v36
	v_cvt_f32_i32_e32 v36, v80
	v_sub_f32_e32 v34, v37, v34
	v_sub_f32_e32 v33, v33, v34
	v_ldexp_f32 v69, v37, 1
	v_mul_f32_e32 v37, v37, v68
	v_mov_b32_e32 v34, 0x3f317218
	s_mov_b32 s56, 0x3f317218
	v_pk_mul_f32 v[34:35], v[36:37], v[34:35]
	v_fma_f32 v68, v36, s56, -v34
	v_fmac_f32_e32 v68, 0xb102e308, v36
	v_pk_add_f32 v[36:37], v[34:35], v[68:69]
	v_sub_f32_e32 v69, v37, v69
	v_ldexp_f32 v33, v33, 1
	v_sub_f32_e32 v69, v35, v69
	v_add_f32_e32 v71, v33, v69
	v_mov_b32_e32 v70, v34
	v_pk_add_f32 v[34:35], v[36:37], v[34:35] neg_lo:[0,1] neg_hi:[0,1]
	v_pk_add_f32 v[80:81], v[36:37], v[70:71]
	v_mov_b32_e32 v35, v81
	v_mov_b32_e32 v69, v36
	v_pk_add_f32 v[82:83], v[68:69], v[34:35] neg_lo:[0,1] neg_hi:[0,1]
	v_pk_add_f32 v[34:35], v[68:69], v[34:35]
	v_mov_b32_e32 v68, v35
	v_pk_add_f32 v[84:85], v[68:69], v[36:37] neg_lo:[0,1] neg_hi:[0,1]
	v_mov_b32_e32 v33, v84
	v_pk_add_f32 v[86:87], v[80:81], v[32:33] neg_lo:[0,1] neg_hi:[0,1]
	v_mov_b32_e32 v34, v81
	v_mov_b32_e32 v80, v37
	;; [unrolled: 1-line block ×4, first 2 shown]
	v_pk_add_f32 v[34:35], v[34:35], v[80:81] neg_lo:[0,1] neg_hi:[0,1]
	v_mov_b32_e32 v70, v71
	v_mov_b32_e32 v71, v36
	v_pk_add_f32 v[34:35], v[70:71], v[34:35] neg_lo:[0,1] neg_hi:[0,1]
	v_mov_b32_e32 v86, v82
	v_pk_add_f32 v[36:37], v[86:87], v[34:35]
	v_mov_b32_e32 v70, v37
	v_pk_add_f32 v[70:71], v[36:37], v[70:71]
	v_pk_add_f32 v[68:69], v[68:69], v[70:71]
	v_mov_b32_e32 v37, v68
	v_pk_add_f32 v[80:81], v[36:37], v[82:83] neg_lo:[0,1] neg_hi:[0,1]
	v_mov_b32_e32 v35, v70
	v_sub_f32_e32 v33, v36, v80
	v_pk_add_f32 v[34:35], v[34:35], v[80:81] neg_lo:[0,1] neg_hi:[0,1]
	v_sub_f32_e32 v33, v82, v33
	v_add_f32_e32 v33, v34, v33
	v_cmp_eq_f32_e64 s[56:57], s60, v51
	s_mov_b32 s60, 0x33800000
	v_add_f32_e32 v33, v33, v35
	v_cmp_lt_f32_e64 s[60:61], |v51|, s60
	v_add_f32_e32 v33, v68, v33
	s_or_b64 s[56:57], s[56:57], s[60:61]
	v_cndmask_b32_e64 v33, v33, v51, s[56:57]
	v_add_f32_e32 v15, v15, v33
	v_cvt_f16_f32_e32 v33, v15
.LBB381_306:
	s_or_b64 exec, exec, s[58:59]
	v_mbcnt_lo_u32_b32 v15, -1, 0
	v_mbcnt_hi_u32_b32 v15, -1, v15
	v_and_b32_e32 v34, 15, v15
	v_and_b32_e32 v35, 0xffff, v33
	v_cmp_ne_u32_e64 s[56:57], 0, v34
	s_nop 0
	v_mov_b32_dpp v36, v35 row_shr:1 row_mask:0xf bank_mask:0xf
	s_and_saveexec_b64 s[60:61], s[56:57]
	s_cbranch_execz .LBB381_310
; %bb.307:
	v_cvt_f32_f16_e32 v37, v36
	v_cvt_f32_f16_e32 v51, v33
	v_cmp_u_f16_e64 s[56:57], v36, v36
	v_cmp_u_f16_e64 s[58:59], v33, v33
	v_min_f32_e32 v35, v37, v51
	v_max_f32_e32 v33, v37, v51
	v_cndmask_b32_e64 v35, v35, v37, s[56:57]
	v_cndmask_b32_e64 v33, v33, v37, s[56:57]
	;; [unrolled: 1-line block ×4, first 2 shown]
	s_movk_i32 s58, 0x1f8
	v_cmp_neq_f32_e64 s[56:57], v35, v33
	v_cmp_class_f32_e64 s[58:59], v35, s58
	s_or_b64 s[56:57], s[56:57], s[58:59]
	s_and_saveexec_b64 s[58:59], s[56:57]
	s_cbranch_execz .LBB381_309
; %bb.308:
	v_sub_f32_e32 v35, v35, v33
	s_mov_b32 s56, 0x3fb8aa3b
	v_mul_f32_e32 v36, 0x3fb8aa3b, v35
	v_fma_f32 v37, v35, s56, -v36
	v_rndne_f32_e32 v51, v36
	v_fmac_f32_e32 v37, 0x32a5705f, v35
	v_sub_f32_e32 v36, v36, v51
	v_add_f32_e32 v36, v36, v37
	v_exp_f32_e32 v36, v36
	v_cvt_i32_f32_e32 v37, v51
	s_mov_b32 s56, 0xc2ce8ed0
	v_cmp_ngt_f32_e64 s[56:57], s56, v35
	s_mov_b32 s62, 0x7f800000
	v_ldexp_f32 v36, v36, v37
	v_cndmask_b32_e64 v36, 0, v36, s[56:57]
	s_mov_b32 s56, 0x42b17218
	v_mov_b32_e32 v37, 0x7f800000
	v_cmp_nlt_f32_e64 s[56:57], s56, v35
	v_cndmask_b32_e64 v51, v37, v36, s[56:57]
	v_add_f32_e32 v35, 1.0, v51
	v_add_f32_e32 v36, -1.0, v35
	v_sub_f32_e32 v37, v36, v35
	v_add_f32_e32 v37, 1.0, v37
	v_sub_f32_e32 v36, v51, v36
	v_add_f32_e32 v68, v36, v37
	v_frexp_mant_f32_e32 v69, v35
	s_mov_b32 s56, 0x3f2aaaab
	v_cvt_f64_f32_e32 v[36:37], v35
	v_frexp_exp_i32_f64_e32 v36, v[36:37]
	v_cmp_gt_f32_e64 s[56:57], s56, v69
	v_subbrev_co_u32_e64 v82, s[56:57], 0, v36, s[56:57]
	v_sub_u32_e32 v36, 0, v82
	v_ldexp_f32 v35, v35, v36
	v_ldexp_f32 v36, v68, v36
	v_add_f32_e32 v68, -1.0, v35
	v_add_f32_e32 v37, 1.0, v68
	v_sub_f32_e32 v37, v35, v37
	v_add_f32_e32 v69, v36, v37
	v_add_f32_e32 v37, 1.0, v35
	v_add_f32_e32 v70, -1.0, v37
	v_sub_f32_e32 v35, v35, v70
	v_add_f32_e32 v35, v36, v35
	v_add_f32_e32 v83, v37, v35
	v_rcp_f32_e32 v84, v83
	v_sub_f32_e32 v36, v37, v83
	v_add_f32_e32 v37, v68, v69
	v_add_f32_e32 v35, v35, v36
	v_mul_f32_e32 v86, v37, v84
	v_sub_f32_e32 v36, v68, v37
	v_mul_f32_e32 v68, v83, v86
	v_fma_f32 v70, v86, v83, -v68
	v_fmac_f32_e32 v70, v86, v35
	v_add_f32_e32 v85, v69, v36
	v_add_f32_e32 v36, v68, v70
	v_sub_f32_e32 v69, v37, v36
	v_pk_add_f32 v[80:81], v[36:37], v[68:69] neg_lo:[0,1] neg_hi:[0,1]
	v_mov_b32_e32 v71, v36
	v_pk_add_f32 v[36:37], v[80:81], v[70:71] neg_lo:[0,1] neg_hi:[0,1]
	v_add_f32_e32 v37, v85, v37
	v_add_f32_e32 v36, v36, v37
	;; [unrolled: 1-line block ×3, first 2 shown]
	v_mul_f32_e32 v85, v84, v37
	v_mul_f32_e32 v68, v83, v85
	v_fma_f32 v70, v85, v83, -v68
	v_fmac_f32_e32 v70, v85, v35
	v_sub_f32_e32 v35, v69, v37
	v_add_f32_e32 v35, v36, v35
	v_add_f32_e32 v36, v68, v70
	v_sub_f32_e32 v69, v37, v36
	v_pk_add_f32 v[80:81], v[36:37], v[68:69] neg_lo:[0,1] neg_hi:[0,1]
	v_mov_b32_e32 v71, v36
	v_pk_add_f32 v[36:37], v[80:81], v[70:71] neg_lo:[0,1] neg_hi:[0,1]
	v_add_f32_e32 v35, v35, v37
	v_add_f32_e32 v35, v36, v35
	;; [unrolled: 1-line block ×4, first 2 shown]
	v_sub_f32_e32 v37, v36, v86
	v_mul_f32_e32 v35, v84, v35
	v_sub_f32_e32 v37, v85, v37
	v_add_f32_e32 v35, v37, v35
	v_add_f32_e32 v69, v36, v35
	v_mul_f32_e32 v70, v69, v69
	v_mov_b32_e32 v68, 0x3ecc95a3
	v_fmac_f32_e32 v68, 0x3e9b6dac, v70
	v_mov_b32_e32 v37, 0x3f2aaada
	v_fmac_f32_e32 v37, v70, v68
	v_cvt_f32_i32_e32 v68, v82
	v_sub_f32_e32 v36, v69, v36
	v_sub_f32_e32 v35, v35, v36
	v_ldexp_f32 v71, v69, 1
	v_mul_f32_e32 v69, v69, v70
	v_mov_b32_e32 v36, 0x3f317218
	s_mov_b32 s56, 0x3f317218
	v_pk_mul_f32 v[36:37], v[68:69], v[36:37]
	v_fma_f32 v70, v68, s56, -v36
	v_fmac_f32_e32 v70, 0xb102e308, v68
	v_pk_add_f32 v[68:69], v[36:37], v[70:71]
	v_sub_f32_e32 v71, v69, v71
	v_ldexp_f32 v35, v35, 1
	v_sub_f32_e32 v71, v37, v71
	v_add_f32_e32 v81, v35, v71
	v_mov_b32_e32 v80, v36
	v_pk_add_f32 v[36:37], v[68:69], v[36:37] neg_lo:[0,1] neg_hi:[0,1]
	v_pk_add_f32 v[82:83], v[68:69], v[80:81]
	v_mov_b32_e32 v37, v83
	v_mov_b32_e32 v71, v68
	v_pk_add_f32 v[84:85], v[70:71], v[36:37] neg_lo:[0,1] neg_hi:[0,1]
	v_pk_add_f32 v[36:37], v[70:71], v[36:37]
	v_mov_b32_e32 v70, v37
	v_pk_add_f32 v[86:87], v[70:71], v[68:69] neg_lo:[0,1] neg_hi:[0,1]
	v_mov_b32_e32 v35, v86
	v_pk_add_f32 v[96:97], v[82:83], v[34:35] neg_lo:[0,1] neg_hi:[0,1]
	v_mov_b32_e32 v36, v83
	v_mov_b32_e32 v82, v69
	;; [unrolled: 1-line block ×4, first 2 shown]
	v_pk_add_f32 v[36:37], v[36:37], v[82:83] neg_lo:[0,1] neg_hi:[0,1]
	v_mov_b32_e32 v80, v81
	v_mov_b32_e32 v81, v68
	v_pk_add_f32 v[36:37], v[80:81], v[36:37] neg_lo:[0,1] neg_hi:[0,1]
	v_mov_b32_e32 v96, v84
	v_pk_add_f32 v[68:69], v[96:97], v[36:37]
	v_mov_b32_e32 v80, v69
	v_pk_add_f32 v[80:81], v[68:69], v[80:81]
	v_pk_add_f32 v[70:71], v[70:71], v[80:81]
	v_mov_b32_e32 v69, v70
	v_pk_add_f32 v[82:83], v[68:69], v[84:85] neg_lo:[0,1] neg_hi:[0,1]
	v_mov_b32_e32 v37, v80
	v_sub_f32_e32 v35, v68, v82
	v_pk_add_f32 v[36:37], v[36:37], v[82:83] neg_lo:[0,1] neg_hi:[0,1]
	v_sub_f32_e32 v35, v84, v35
	v_add_f32_e32 v35, v36, v35
	v_cmp_eq_f32_e64 s[56:57], s62, v51
	s_mov_b32 s62, 0x33800000
	v_add_f32_e32 v35, v35, v37
	v_cmp_lt_f32_e64 s[62:63], |v51|, s62
	v_add_f32_e32 v35, v70, v35
	s_or_b64 s[56:57], s[56:57], s[62:63]
	v_cndmask_b32_e64 v35, v35, v51, s[56:57]
	v_add_f32_e32 v33, v33, v35
	v_cvt_f16_f32_e32 v36, v33
.LBB381_309:
	s_or_b64 exec, exec, s[58:59]
	v_and_b32_e32 v35, 0xffff, v36
	v_mov_b32_e32 v33, v36
.LBB381_310:
	s_or_b64 exec, exec, s[60:61]
	v_mov_b32_dpp v36, v35 row_shr:2 row_mask:0xf bank_mask:0xf
	v_cmp_lt_u32_e64 s[56:57], 1, v34
	s_and_saveexec_b64 s[60:61], s[56:57]
	s_cbranch_execz .LBB381_314
; %bb.311:
	v_cvt_f32_f16_e32 v37, v36
	v_cvt_f32_f16_e32 v51, v33
	v_cmp_u_f16_e64 s[56:57], v36, v36
	v_cmp_u_f16_e64 s[58:59], v33, v33
	v_min_f32_e32 v35, v37, v51
	v_max_f32_e32 v33, v37, v51
	v_cndmask_b32_e64 v35, v35, v37, s[56:57]
	v_cndmask_b32_e64 v33, v33, v37, s[56:57]
	v_cndmask_b32_e64 v35, v35, v51, s[58:59]
	v_cndmask_b32_e64 v33, v33, v51, s[58:59]
	s_movk_i32 s58, 0x1f8
	v_cmp_neq_f32_e64 s[56:57], v35, v33
	v_cmp_class_f32_e64 s[58:59], v35, s58
	s_or_b64 s[56:57], s[56:57], s[58:59]
	s_and_saveexec_b64 s[58:59], s[56:57]
	s_cbranch_execz .LBB381_313
; %bb.312:
	v_sub_f32_e32 v35, v35, v33
	s_mov_b32 s56, 0x3fb8aa3b
	v_mul_f32_e32 v36, 0x3fb8aa3b, v35
	v_fma_f32 v37, v35, s56, -v36
	v_rndne_f32_e32 v51, v36
	v_fmac_f32_e32 v37, 0x32a5705f, v35
	v_sub_f32_e32 v36, v36, v51
	v_add_f32_e32 v36, v36, v37
	v_exp_f32_e32 v36, v36
	v_cvt_i32_f32_e32 v37, v51
	s_mov_b32 s56, 0xc2ce8ed0
	v_cmp_ngt_f32_e64 s[56:57], s56, v35
	s_mov_b32 s62, 0x7f800000
	v_ldexp_f32 v36, v36, v37
	v_cndmask_b32_e64 v36, 0, v36, s[56:57]
	s_mov_b32 s56, 0x42b17218
	v_mov_b32_e32 v37, 0x7f800000
	v_cmp_nlt_f32_e64 s[56:57], s56, v35
	v_cndmask_b32_e64 v51, v37, v36, s[56:57]
	v_add_f32_e32 v35, 1.0, v51
	v_add_f32_e32 v36, -1.0, v35
	v_sub_f32_e32 v37, v36, v35
	v_add_f32_e32 v37, 1.0, v37
	v_sub_f32_e32 v36, v51, v36
	v_add_f32_e32 v68, v36, v37
	v_frexp_mant_f32_e32 v69, v35
	s_mov_b32 s56, 0x3f2aaaab
	v_cvt_f64_f32_e32 v[36:37], v35
	v_frexp_exp_i32_f64_e32 v36, v[36:37]
	v_cmp_gt_f32_e64 s[56:57], s56, v69
	v_subbrev_co_u32_e64 v82, s[56:57], 0, v36, s[56:57]
	v_sub_u32_e32 v36, 0, v82
	v_ldexp_f32 v35, v35, v36
	v_ldexp_f32 v36, v68, v36
	v_add_f32_e32 v68, -1.0, v35
	v_add_f32_e32 v37, 1.0, v68
	v_sub_f32_e32 v37, v35, v37
	v_add_f32_e32 v69, v36, v37
	v_add_f32_e32 v37, 1.0, v35
	v_add_f32_e32 v70, -1.0, v37
	v_sub_f32_e32 v35, v35, v70
	v_add_f32_e32 v35, v36, v35
	v_add_f32_e32 v83, v37, v35
	v_rcp_f32_e32 v84, v83
	v_sub_f32_e32 v36, v37, v83
	v_add_f32_e32 v37, v68, v69
	v_add_f32_e32 v35, v35, v36
	v_mul_f32_e32 v86, v37, v84
	v_sub_f32_e32 v36, v68, v37
	v_mul_f32_e32 v68, v83, v86
	v_fma_f32 v70, v86, v83, -v68
	v_fmac_f32_e32 v70, v86, v35
	v_add_f32_e32 v85, v69, v36
	v_add_f32_e32 v36, v68, v70
	v_sub_f32_e32 v69, v37, v36
	v_pk_add_f32 v[80:81], v[36:37], v[68:69] neg_lo:[0,1] neg_hi:[0,1]
	v_mov_b32_e32 v71, v36
	v_pk_add_f32 v[36:37], v[80:81], v[70:71] neg_lo:[0,1] neg_hi:[0,1]
	v_add_f32_e32 v37, v85, v37
	v_add_f32_e32 v36, v36, v37
	;; [unrolled: 1-line block ×3, first 2 shown]
	v_mul_f32_e32 v85, v84, v37
	v_mul_f32_e32 v68, v83, v85
	v_fma_f32 v70, v85, v83, -v68
	v_fmac_f32_e32 v70, v85, v35
	v_sub_f32_e32 v35, v69, v37
	v_add_f32_e32 v35, v36, v35
	v_add_f32_e32 v36, v68, v70
	v_sub_f32_e32 v69, v37, v36
	v_pk_add_f32 v[80:81], v[36:37], v[68:69] neg_lo:[0,1] neg_hi:[0,1]
	v_mov_b32_e32 v71, v36
	v_pk_add_f32 v[36:37], v[80:81], v[70:71] neg_lo:[0,1] neg_hi:[0,1]
	v_add_f32_e32 v35, v35, v37
	v_add_f32_e32 v35, v36, v35
	v_add_f32_e32 v36, v86, v85
	v_add_f32_e32 v35, v69, v35
	v_sub_f32_e32 v37, v36, v86
	v_mul_f32_e32 v35, v84, v35
	v_sub_f32_e32 v37, v85, v37
	v_add_f32_e32 v35, v37, v35
	v_add_f32_e32 v69, v36, v35
	v_mul_f32_e32 v70, v69, v69
	v_mov_b32_e32 v68, 0x3ecc95a3
	v_fmac_f32_e32 v68, 0x3e9b6dac, v70
	v_mov_b32_e32 v37, 0x3f2aaada
	v_fmac_f32_e32 v37, v70, v68
	v_cvt_f32_i32_e32 v68, v82
	v_sub_f32_e32 v36, v69, v36
	v_sub_f32_e32 v35, v35, v36
	v_ldexp_f32 v71, v69, 1
	v_mul_f32_e32 v69, v69, v70
	v_mov_b32_e32 v36, 0x3f317218
	s_mov_b32 s56, 0x3f317218
	v_pk_mul_f32 v[36:37], v[68:69], v[36:37]
	v_fma_f32 v70, v68, s56, -v36
	v_fmac_f32_e32 v70, 0xb102e308, v68
	v_pk_add_f32 v[68:69], v[36:37], v[70:71]
	v_sub_f32_e32 v71, v69, v71
	v_ldexp_f32 v35, v35, 1
	v_sub_f32_e32 v71, v37, v71
	v_add_f32_e32 v81, v35, v71
	v_mov_b32_e32 v80, v36
	v_pk_add_f32 v[36:37], v[68:69], v[36:37] neg_lo:[0,1] neg_hi:[0,1]
	v_pk_add_f32 v[82:83], v[68:69], v[80:81]
	v_mov_b32_e32 v37, v83
	v_mov_b32_e32 v71, v68
	v_pk_add_f32 v[84:85], v[70:71], v[36:37] neg_lo:[0,1] neg_hi:[0,1]
	v_pk_add_f32 v[36:37], v[70:71], v[36:37]
	v_mov_b32_e32 v70, v37
	v_pk_add_f32 v[86:87], v[70:71], v[68:69] neg_lo:[0,1] neg_hi:[0,1]
	v_mov_b32_e32 v35, v86
	v_pk_add_f32 v[96:97], v[82:83], v[34:35] neg_lo:[0,1] neg_hi:[0,1]
	v_mov_b32_e32 v36, v83
	v_mov_b32_e32 v82, v69
	;; [unrolled: 1-line block ×4, first 2 shown]
	v_pk_add_f32 v[36:37], v[36:37], v[82:83] neg_lo:[0,1] neg_hi:[0,1]
	v_mov_b32_e32 v80, v81
	v_mov_b32_e32 v81, v68
	v_pk_add_f32 v[36:37], v[80:81], v[36:37] neg_lo:[0,1] neg_hi:[0,1]
	v_mov_b32_e32 v96, v84
	v_pk_add_f32 v[68:69], v[96:97], v[36:37]
	v_mov_b32_e32 v80, v69
	v_pk_add_f32 v[80:81], v[68:69], v[80:81]
	v_pk_add_f32 v[70:71], v[70:71], v[80:81]
	v_mov_b32_e32 v69, v70
	v_pk_add_f32 v[82:83], v[68:69], v[84:85] neg_lo:[0,1] neg_hi:[0,1]
	v_mov_b32_e32 v37, v80
	v_sub_f32_e32 v35, v68, v82
	v_pk_add_f32 v[36:37], v[36:37], v[82:83] neg_lo:[0,1] neg_hi:[0,1]
	v_sub_f32_e32 v35, v84, v35
	v_add_f32_e32 v35, v36, v35
	v_cmp_eq_f32_e64 s[56:57], s62, v51
	s_mov_b32 s62, 0x33800000
	v_add_f32_e32 v35, v35, v37
	v_cmp_lt_f32_e64 s[62:63], |v51|, s62
	v_add_f32_e32 v35, v70, v35
	s_or_b64 s[56:57], s[56:57], s[62:63]
	v_cndmask_b32_e64 v35, v35, v51, s[56:57]
	v_add_f32_e32 v33, v33, v35
	v_cvt_f16_f32_e32 v36, v33
.LBB381_313:
	s_or_b64 exec, exec, s[58:59]
	v_and_b32_e32 v35, 0xffff, v36
	v_mov_b32_e32 v33, v36
.LBB381_314:
	s_or_b64 exec, exec, s[60:61]
	v_mov_b32_dpp v36, v35 row_shr:4 row_mask:0xf bank_mask:0xf
	v_cmp_lt_u32_e64 s[56:57], 3, v34
	s_and_saveexec_b64 s[60:61], s[56:57]
	s_cbranch_execz .LBB381_318
; %bb.315:
	v_cvt_f32_f16_e32 v37, v36
	v_cvt_f32_f16_e32 v51, v33
	v_cmp_u_f16_e64 s[56:57], v36, v36
	v_cmp_u_f16_e64 s[58:59], v33, v33
	v_min_f32_e32 v35, v37, v51
	v_max_f32_e32 v33, v37, v51
	v_cndmask_b32_e64 v35, v35, v37, s[56:57]
	v_cndmask_b32_e64 v33, v33, v37, s[56:57]
	;; [unrolled: 1-line block ×4, first 2 shown]
	s_movk_i32 s58, 0x1f8
	v_cmp_neq_f32_e64 s[56:57], v35, v33
	v_cmp_class_f32_e64 s[58:59], v35, s58
	s_or_b64 s[56:57], s[56:57], s[58:59]
	s_and_saveexec_b64 s[58:59], s[56:57]
	s_cbranch_execz .LBB381_317
; %bb.316:
	v_sub_f32_e32 v35, v35, v33
	s_mov_b32 s56, 0x3fb8aa3b
	v_mul_f32_e32 v36, 0x3fb8aa3b, v35
	v_fma_f32 v37, v35, s56, -v36
	v_rndne_f32_e32 v51, v36
	v_fmac_f32_e32 v37, 0x32a5705f, v35
	v_sub_f32_e32 v36, v36, v51
	v_add_f32_e32 v36, v36, v37
	v_exp_f32_e32 v36, v36
	v_cvt_i32_f32_e32 v37, v51
	s_mov_b32 s56, 0xc2ce8ed0
	v_cmp_ngt_f32_e64 s[56:57], s56, v35
	s_mov_b32 s62, 0x7f800000
	v_ldexp_f32 v36, v36, v37
	v_cndmask_b32_e64 v36, 0, v36, s[56:57]
	s_mov_b32 s56, 0x42b17218
	v_mov_b32_e32 v37, 0x7f800000
	v_cmp_nlt_f32_e64 s[56:57], s56, v35
	v_cndmask_b32_e64 v51, v37, v36, s[56:57]
	v_add_f32_e32 v35, 1.0, v51
	v_add_f32_e32 v36, -1.0, v35
	v_sub_f32_e32 v37, v36, v35
	v_add_f32_e32 v37, 1.0, v37
	v_sub_f32_e32 v36, v51, v36
	v_add_f32_e32 v68, v36, v37
	v_frexp_mant_f32_e32 v69, v35
	s_mov_b32 s56, 0x3f2aaaab
	v_cvt_f64_f32_e32 v[36:37], v35
	v_frexp_exp_i32_f64_e32 v36, v[36:37]
	v_cmp_gt_f32_e64 s[56:57], s56, v69
	v_subbrev_co_u32_e64 v82, s[56:57], 0, v36, s[56:57]
	v_sub_u32_e32 v36, 0, v82
	v_ldexp_f32 v35, v35, v36
	v_ldexp_f32 v36, v68, v36
	v_add_f32_e32 v68, -1.0, v35
	v_add_f32_e32 v37, 1.0, v68
	v_sub_f32_e32 v37, v35, v37
	v_add_f32_e32 v69, v36, v37
	v_add_f32_e32 v37, 1.0, v35
	v_add_f32_e32 v70, -1.0, v37
	v_sub_f32_e32 v35, v35, v70
	v_add_f32_e32 v35, v36, v35
	v_add_f32_e32 v83, v37, v35
	v_rcp_f32_e32 v84, v83
	v_sub_f32_e32 v36, v37, v83
	v_add_f32_e32 v37, v68, v69
	v_add_f32_e32 v35, v35, v36
	v_mul_f32_e32 v86, v37, v84
	v_sub_f32_e32 v36, v68, v37
	v_mul_f32_e32 v68, v83, v86
	v_fma_f32 v70, v86, v83, -v68
	v_fmac_f32_e32 v70, v86, v35
	v_add_f32_e32 v85, v69, v36
	v_add_f32_e32 v36, v68, v70
	v_sub_f32_e32 v69, v37, v36
	v_pk_add_f32 v[80:81], v[36:37], v[68:69] neg_lo:[0,1] neg_hi:[0,1]
	v_mov_b32_e32 v71, v36
	v_pk_add_f32 v[36:37], v[80:81], v[70:71] neg_lo:[0,1] neg_hi:[0,1]
	v_add_f32_e32 v37, v85, v37
	v_add_f32_e32 v36, v36, v37
	;; [unrolled: 1-line block ×3, first 2 shown]
	v_mul_f32_e32 v85, v84, v37
	v_mul_f32_e32 v68, v83, v85
	v_fma_f32 v70, v85, v83, -v68
	v_fmac_f32_e32 v70, v85, v35
	v_sub_f32_e32 v35, v69, v37
	v_add_f32_e32 v35, v36, v35
	v_add_f32_e32 v36, v68, v70
	v_sub_f32_e32 v69, v37, v36
	v_pk_add_f32 v[80:81], v[36:37], v[68:69] neg_lo:[0,1] neg_hi:[0,1]
	v_mov_b32_e32 v71, v36
	v_pk_add_f32 v[36:37], v[80:81], v[70:71] neg_lo:[0,1] neg_hi:[0,1]
	v_add_f32_e32 v35, v35, v37
	v_add_f32_e32 v35, v36, v35
	;; [unrolled: 1-line block ×4, first 2 shown]
	v_sub_f32_e32 v37, v36, v86
	v_mul_f32_e32 v35, v84, v35
	v_sub_f32_e32 v37, v85, v37
	v_add_f32_e32 v35, v37, v35
	v_add_f32_e32 v69, v36, v35
	v_mul_f32_e32 v70, v69, v69
	v_mov_b32_e32 v68, 0x3ecc95a3
	v_fmac_f32_e32 v68, 0x3e9b6dac, v70
	v_mov_b32_e32 v37, 0x3f2aaada
	v_fmac_f32_e32 v37, v70, v68
	v_cvt_f32_i32_e32 v68, v82
	v_sub_f32_e32 v36, v69, v36
	v_sub_f32_e32 v35, v35, v36
	v_ldexp_f32 v71, v69, 1
	v_mul_f32_e32 v69, v69, v70
	v_mov_b32_e32 v36, 0x3f317218
	s_mov_b32 s56, 0x3f317218
	v_pk_mul_f32 v[36:37], v[68:69], v[36:37]
	v_fma_f32 v70, v68, s56, -v36
	v_fmac_f32_e32 v70, 0xb102e308, v68
	v_pk_add_f32 v[68:69], v[36:37], v[70:71]
	v_sub_f32_e32 v71, v69, v71
	v_ldexp_f32 v35, v35, 1
	v_sub_f32_e32 v71, v37, v71
	v_add_f32_e32 v81, v35, v71
	v_mov_b32_e32 v80, v36
	v_pk_add_f32 v[36:37], v[68:69], v[36:37] neg_lo:[0,1] neg_hi:[0,1]
	v_pk_add_f32 v[82:83], v[68:69], v[80:81]
	v_mov_b32_e32 v37, v83
	v_mov_b32_e32 v71, v68
	v_pk_add_f32 v[84:85], v[70:71], v[36:37] neg_lo:[0,1] neg_hi:[0,1]
	v_pk_add_f32 v[36:37], v[70:71], v[36:37]
	v_mov_b32_e32 v70, v37
	v_pk_add_f32 v[86:87], v[70:71], v[68:69] neg_lo:[0,1] neg_hi:[0,1]
	v_mov_b32_e32 v35, v86
	v_pk_add_f32 v[96:97], v[82:83], v[34:35] neg_lo:[0,1] neg_hi:[0,1]
	v_mov_b32_e32 v36, v83
	v_mov_b32_e32 v82, v69
	;; [unrolled: 1-line block ×4, first 2 shown]
	v_pk_add_f32 v[36:37], v[36:37], v[82:83] neg_lo:[0,1] neg_hi:[0,1]
	v_mov_b32_e32 v80, v81
	v_mov_b32_e32 v81, v68
	v_pk_add_f32 v[36:37], v[80:81], v[36:37] neg_lo:[0,1] neg_hi:[0,1]
	v_mov_b32_e32 v96, v84
	v_pk_add_f32 v[68:69], v[96:97], v[36:37]
	v_mov_b32_e32 v80, v69
	v_pk_add_f32 v[80:81], v[68:69], v[80:81]
	v_pk_add_f32 v[70:71], v[70:71], v[80:81]
	v_mov_b32_e32 v69, v70
	v_pk_add_f32 v[82:83], v[68:69], v[84:85] neg_lo:[0,1] neg_hi:[0,1]
	v_mov_b32_e32 v37, v80
	v_sub_f32_e32 v35, v68, v82
	v_pk_add_f32 v[36:37], v[36:37], v[82:83] neg_lo:[0,1] neg_hi:[0,1]
	v_sub_f32_e32 v35, v84, v35
	v_add_f32_e32 v35, v36, v35
	v_cmp_eq_f32_e64 s[56:57], s62, v51
	s_mov_b32 s62, 0x33800000
	v_add_f32_e32 v35, v35, v37
	v_cmp_lt_f32_e64 s[62:63], |v51|, s62
	v_add_f32_e32 v35, v70, v35
	s_or_b64 s[56:57], s[56:57], s[62:63]
	v_cndmask_b32_e64 v35, v35, v51, s[56:57]
	v_add_f32_e32 v33, v33, v35
	v_cvt_f16_f32_e32 v36, v33
.LBB381_317:
	s_or_b64 exec, exec, s[58:59]
	v_and_b32_e32 v35, 0xffff, v36
	v_mov_b32_e32 v33, v36
.LBB381_318:
	s_or_b64 exec, exec, s[60:61]
	v_mov_b32_dpp v36, v35 row_shr:8 row_mask:0xf bank_mask:0xf
	v_cmp_lt_u32_e64 s[56:57], 7, v34
	s_and_saveexec_b64 s[60:61], s[56:57]
	s_cbranch_execz .LBB381_322
; %bb.319:
	v_cvt_f32_f16_e32 v35, v36
	v_cvt_f32_f16_e32 v37, v33
	v_cmp_u_f16_e64 s[56:57], v36, v36
	v_cmp_u_f16_e64 s[58:59], v33, v33
	v_min_f32_e32 v34, v35, v37
	v_max_f32_e32 v33, v35, v37
	v_cndmask_b32_e64 v34, v34, v35, s[56:57]
	v_cndmask_b32_e64 v33, v33, v35, s[56:57]
	;; [unrolled: 1-line block ×4, first 2 shown]
	s_movk_i32 s58, 0x1f8
	v_cmp_neq_f32_e64 s[56:57], v34, v33
	v_cmp_class_f32_e64 s[58:59], v34, s58
	s_or_b64 s[56:57], s[56:57], s[58:59]
	s_and_saveexec_b64 s[58:59], s[56:57]
	s_cbranch_execz .LBB381_321
; %bb.320:
	v_sub_f32_e32 v34, v34, v33
	s_mov_b32 s56, 0x3fb8aa3b
	v_mul_f32_e32 v35, 0x3fb8aa3b, v34
	v_fma_f32 v36, v34, s56, -v35
	v_rndne_f32_e32 v37, v35
	v_fmac_f32_e32 v36, 0x32a5705f, v34
	v_sub_f32_e32 v35, v35, v37
	v_add_f32_e32 v35, v35, v36
	v_exp_f32_e32 v35, v35
	v_cvt_i32_f32_e32 v36, v37
	s_mov_b32 s56, 0xc2ce8ed0
	v_cmp_ngt_f32_e64 s[56:57], s56, v34
	s_mov_b32 s62, 0x7f800000
	v_ldexp_f32 v35, v35, v36
	v_cndmask_b32_e64 v35, 0, v35, s[56:57]
	s_mov_b32 s56, 0x42b17218
	v_mov_b32_e32 v36, 0x7f800000
	v_cmp_nlt_f32_e64 s[56:57], s56, v34
	v_cndmask_b32_e64 v96, v36, v35, s[56:57]
	v_add_f32_e32 v36, 1.0, v96
	v_add_f32_e32 v34, -1.0, v36
	v_sub_f32_e32 v35, v34, v36
	v_add_f32_e32 v35, 1.0, v35
	v_sub_f32_e32 v34, v96, v34
	v_add_f32_e32 v37, v34, v35
	v_frexp_mant_f32_e32 v51, v36
	s_mov_b32 s56, 0x3f2aaaab
	v_cvt_f64_f32_e32 v[34:35], v36
	v_frexp_exp_i32_f64_e32 v34, v[34:35]
	v_cmp_gt_f32_e64 s[56:57], s56, v51
	v_subbrev_co_u32_e64 v51, s[56:57], 0, v34, s[56:57]
	v_sub_u32_e32 v34, 0, v51
	v_ldexp_f32 v35, v36, v34
	v_add_f32_e32 v36, -1.0, v35
	v_add_f32_e32 v68, 1.0, v35
	v_ldexp_f32 v34, v37, v34
	v_add_f32_e32 v37, 1.0, v36
	v_add_f32_e32 v69, -1.0, v68
	v_sub_f32_e32 v37, v35, v37
	v_sub_f32_e32 v35, v35, v69
	v_add_f32_e32 v37, v34, v37
	v_add_f32_e32 v34, v34, v35
	;; [unrolled: 1-line block ×3, first 2 shown]
	v_rcp_f32_e32 v82, v80
	v_sub_f32_e32 v35, v68, v80
	v_add_f32_e32 v81, v34, v35
	v_add_f32_e32 v35, v36, v37
	v_mul_f32_e32 v84, v35, v82
	v_sub_f32_e32 v34, v36, v35
	v_mul_f32_e32 v36, v80, v84
	v_fma_f32 v68, v84, v80, -v36
	v_fmac_f32_e32 v68, v84, v81
	v_add_f32_e32 v83, v37, v34
	v_add_f32_e32 v34, v36, v68
	v_sub_f32_e32 v37, v35, v34
	v_pk_add_f32 v[70:71], v[34:35], v[36:37] neg_lo:[0,1] neg_hi:[0,1]
	v_mov_b32_e32 v69, v34
	v_pk_add_f32 v[34:35], v[70:71], v[68:69] neg_lo:[0,1] neg_hi:[0,1]
	v_add_f32_e32 v35, v83, v35
	v_add_f32_e32 v34, v34, v35
	;; [unrolled: 1-line block ×3, first 2 shown]
	v_mul_f32_e32 v83, v82, v35
	v_mul_f32_e32 v36, v80, v83
	v_fma_f32 v68, v83, v80, -v36
	v_fmac_f32_e32 v68, v83, v81
	v_sub_f32_e32 v37, v37, v35
	v_add_f32_e32 v80, v34, v37
	v_add_f32_e32 v34, v36, v68
	v_sub_f32_e32 v37, v35, v34
	v_pk_add_f32 v[70:71], v[34:35], v[36:37] neg_lo:[0,1] neg_hi:[0,1]
	v_mov_b32_e32 v69, v34
	v_pk_add_f32 v[34:35], v[70:71], v[68:69] neg_lo:[0,1] neg_hi:[0,1]
	v_add_f32_e32 v35, v80, v35
	v_add_f32_e32 v34, v34, v35
	;; [unrolled: 1-line block ×4, first 2 shown]
	v_sub_f32_e32 v35, v37, v84
	v_mul_f32_e32 v34, v82, v34
	v_sub_f32_e32 v35, v83, v35
	v_add_f32_e32 v34, v35, v34
	v_add_f32_e32 v68, v37, v34
	v_mul_f32_e32 v70, v68, v68
	v_mov_b32_e32 v36, 0x3ecc95a3
	v_fmac_f32_e32 v36, 0x3e9b6dac, v70
	v_mov_b32_e32 v35, 0x3f2aaada
	v_fmac_f32_e32 v35, v70, v36
	v_cvt_f32_i32_e32 v36, v51
	v_sub_f32_e32 v37, v68, v37
	v_sub_f32_e32 v34, v34, v37
	v_ldexp_f32 v51, v34, 1
	v_mul_f32_e32 v37, v68, v70
	v_mov_b32_e32 v34, 0x3f317218
	s_mov_b32 s56, 0x3f317218
	v_pk_mul_f32 v[34:35], v[36:37], v[34:35]
	v_ldexp_f32 v69, v68, 1
	v_fma_f32 v68, v36, s56, -v34
	v_fmac_f32_e32 v68, 0xb102e308, v36
	v_pk_add_f32 v[36:37], v[34:35], v[68:69]
	v_sub_f32_e32 v69, v37, v69
	v_sub_f32_e32 v69, v35, v69
	v_add_f32_e32 v71, v51, v69
	v_mov_b32_e32 v70, v34
	v_pk_add_f32 v[34:35], v[36:37], v[34:35] neg_lo:[0,1] neg_hi:[0,1]
	v_pk_add_f32 v[80:81], v[36:37], v[70:71]
	v_mov_b32_e32 v35, v81
	v_mov_b32_e32 v69, v36
	v_pk_add_f32 v[82:83], v[68:69], v[34:35] neg_lo:[0,1] neg_hi:[0,1]
	v_pk_add_f32 v[34:35], v[68:69], v[34:35]
	v_mov_b32_e32 v68, v35
	v_pk_add_f32 v[84:85], v[68:69], v[36:37] neg_lo:[0,1] neg_hi:[0,1]
	v_mov_b32_e32 v51, v84
	v_pk_add_f32 v[86:87], v[80:81], v[50:51] neg_lo:[0,1] neg_hi:[0,1]
	v_mov_b32_e32 v34, v81
	v_mov_b32_e32 v80, v37
	;; [unrolled: 1-line block ×4, first 2 shown]
	v_pk_add_f32 v[34:35], v[34:35], v[80:81] neg_lo:[0,1] neg_hi:[0,1]
	v_mov_b32_e32 v70, v71
	v_mov_b32_e32 v71, v36
	v_pk_add_f32 v[34:35], v[70:71], v[34:35] neg_lo:[0,1] neg_hi:[0,1]
	v_mov_b32_e32 v86, v82
	v_pk_add_f32 v[36:37], v[86:87], v[34:35]
	v_mov_b32_e32 v70, v37
	v_pk_add_f32 v[70:71], v[36:37], v[70:71]
	v_pk_add_f32 v[68:69], v[68:69], v[70:71]
	v_mov_b32_e32 v37, v68
	v_pk_add_f32 v[80:81], v[36:37], v[82:83] neg_lo:[0,1] neg_hi:[0,1]
	v_mov_b32_e32 v35, v70
	v_sub_f32_e32 v36, v36, v80
	v_pk_add_f32 v[34:35], v[34:35], v[80:81] neg_lo:[0,1] neg_hi:[0,1]
	v_sub_f32_e32 v36, v82, v36
	v_add_f32_e32 v34, v34, v36
	v_cmp_eq_f32_e64 s[56:57], s62, v96
	s_mov_b32 s62, 0x33800000
	v_add_f32_e32 v34, v34, v35
	v_cmp_lt_f32_e64 s[62:63], |v96|, s62
	v_add_f32_e32 v34, v68, v34
	s_or_b64 s[56:57], s[56:57], s[62:63]
	v_cndmask_b32_e64 v34, v34, v96, s[56:57]
	v_add_f32_e32 v33, v33, v34
	v_cvt_f16_f32_e32 v36, v33
.LBB381_321:
	s_or_b64 exec, exec, s[58:59]
	v_and_b32_e32 v35, 0xffff, v36
	v_mov_b32_e32 v33, v36
.LBB381_322:
	s_or_b64 exec, exec, s[60:61]
	v_and_b32_e32 v36, 16, v15
	v_mov_b32_dpp v34, v35 row_bcast:15 row_mask:0xf bank_mask:0xf
	v_cmp_ne_u32_e64 s[56:57], 0, v36
	s_and_saveexec_b64 s[60:61], s[56:57]
	s_cbranch_execz .LBB381_326
; %bb.323:
	v_cvt_f32_f16_e32 v36, v34
	v_cvt_f32_f16_e32 v37, v33
	v_cmp_u_f16_e64 s[56:57], v34, v34
	v_cmp_u_f16_e64 s[58:59], v33, v33
	v_min_f32_e32 v35, v36, v37
	v_max_f32_e32 v33, v36, v37
	v_cndmask_b32_e64 v35, v35, v36, s[56:57]
	v_cndmask_b32_e64 v33, v33, v36, s[56:57]
	;; [unrolled: 1-line block ×4, first 2 shown]
	s_movk_i32 s58, 0x1f8
	v_cmp_neq_f32_e64 s[56:57], v35, v33
	v_cmp_class_f32_e64 s[58:59], v35, s58
	s_or_b64 s[56:57], s[56:57], s[58:59]
	s_and_saveexec_b64 s[58:59], s[56:57]
	s_cbranch_execz .LBB381_325
; %bb.324:
	v_sub_f32_e32 v34, v35, v33
	s_mov_b32 s56, 0x3fb8aa3b
	v_mul_f32_e32 v35, 0x3fb8aa3b, v34
	v_fma_f32 v36, v34, s56, -v35
	v_rndne_f32_e32 v37, v35
	v_fmac_f32_e32 v36, 0x32a5705f, v34
	v_sub_f32_e32 v35, v35, v37
	v_add_f32_e32 v35, v35, v36
	v_exp_f32_e32 v35, v35
	v_cvt_i32_f32_e32 v36, v37
	s_mov_b32 s56, 0xc2ce8ed0
	v_cmp_ngt_f32_e64 s[56:57], s56, v34
	s_mov_b32 s62, 0x7f800000
	v_ldexp_f32 v35, v35, v36
	v_cndmask_b32_e64 v35, 0, v35, s[56:57]
	s_mov_b32 s56, 0x42b17218
	v_mov_b32_e32 v36, 0x7f800000
	v_cmp_nlt_f32_e64 s[56:57], s56, v34
	v_cndmask_b32_e64 v96, v36, v35, s[56:57]
	v_add_f32_e32 v36, 1.0, v96
	v_add_f32_e32 v34, -1.0, v36
	v_sub_f32_e32 v35, v34, v36
	v_add_f32_e32 v35, 1.0, v35
	v_sub_f32_e32 v34, v96, v34
	v_add_f32_e32 v37, v34, v35
	v_frexp_mant_f32_e32 v51, v36
	s_mov_b32 s56, 0x3f2aaaab
	v_cvt_f64_f32_e32 v[34:35], v36
	v_frexp_exp_i32_f64_e32 v34, v[34:35]
	v_cmp_gt_f32_e64 s[56:57], s56, v51
	v_subbrev_co_u32_e64 v51, s[56:57], 0, v34, s[56:57]
	v_sub_u32_e32 v34, 0, v51
	v_ldexp_f32 v35, v36, v34
	v_add_f32_e32 v36, -1.0, v35
	v_add_f32_e32 v68, 1.0, v35
	v_ldexp_f32 v34, v37, v34
	v_add_f32_e32 v37, 1.0, v36
	v_add_f32_e32 v69, -1.0, v68
	v_sub_f32_e32 v37, v35, v37
	v_sub_f32_e32 v35, v35, v69
	v_add_f32_e32 v37, v34, v37
	v_add_f32_e32 v34, v34, v35
	;; [unrolled: 1-line block ×3, first 2 shown]
	v_rcp_f32_e32 v82, v80
	v_sub_f32_e32 v35, v68, v80
	v_add_f32_e32 v81, v34, v35
	v_add_f32_e32 v35, v36, v37
	v_mul_f32_e32 v84, v35, v82
	v_sub_f32_e32 v34, v36, v35
	v_mul_f32_e32 v36, v80, v84
	v_fma_f32 v68, v84, v80, -v36
	v_fmac_f32_e32 v68, v84, v81
	v_add_f32_e32 v83, v37, v34
	v_add_f32_e32 v34, v36, v68
	v_sub_f32_e32 v37, v35, v34
	v_pk_add_f32 v[70:71], v[34:35], v[36:37] neg_lo:[0,1] neg_hi:[0,1]
	v_mov_b32_e32 v69, v34
	v_pk_add_f32 v[34:35], v[70:71], v[68:69] neg_lo:[0,1] neg_hi:[0,1]
	v_add_f32_e32 v35, v83, v35
	v_add_f32_e32 v34, v34, v35
	;; [unrolled: 1-line block ×3, first 2 shown]
	v_mul_f32_e32 v83, v82, v35
	v_mul_f32_e32 v36, v80, v83
	v_fma_f32 v68, v83, v80, -v36
	v_fmac_f32_e32 v68, v83, v81
	v_sub_f32_e32 v37, v37, v35
	v_add_f32_e32 v80, v34, v37
	v_add_f32_e32 v34, v36, v68
	v_sub_f32_e32 v37, v35, v34
	v_pk_add_f32 v[70:71], v[34:35], v[36:37] neg_lo:[0,1] neg_hi:[0,1]
	v_mov_b32_e32 v69, v34
	v_pk_add_f32 v[34:35], v[70:71], v[68:69] neg_lo:[0,1] neg_hi:[0,1]
	v_add_f32_e32 v35, v80, v35
	v_add_f32_e32 v34, v34, v35
	;; [unrolled: 1-line block ×4, first 2 shown]
	v_sub_f32_e32 v35, v37, v84
	v_mul_f32_e32 v34, v82, v34
	v_sub_f32_e32 v35, v83, v35
	v_add_f32_e32 v34, v35, v34
	v_add_f32_e32 v68, v37, v34
	v_mul_f32_e32 v70, v68, v68
	v_mov_b32_e32 v36, 0x3ecc95a3
	v_fmac_f32_e32 v36, 0x3e9b6dac, v70
	v_mov_b32_e32 v35, 0x3f2aaada
	v_fmac_f32_e32 v35, v70, v36
	v_cvt_f32_i32_e32 v36, v51
	v_sub_f32_e32 v37, v68, v37
	v_sub_f32_e32 v34, v34, v37
	v_ldexp_f32 v51, v34, 1
	v_mul_f32_e32 v37, v68, v70
	v_mov_b32_e32 v34, 0x3f317218
	s_mov_b32 s56, 0x3f317218
	v_pk_mul_f32 v[34:35], v[36:37], v[34:35]
	v_ldexp_f32 v69, v68, 1
	v_fma_f32 v68, v36, s56, -v34
	v_fmac_f32_e32 v68, 0xb102e308, v36
	v_pk_add_f32 v[36:37], v[34:35], v[68:69]
	v_sub_f32_e32 v69, v37, v69
	v_sub_f32_e32 v69, v35, v69
	v_add_f32_e32 v71, v51, v69
	v_mov_b32_e32 v70, v34
	v_pk_add_f32 v[34:35], v[36:37], v[34:35] neg_lo:[0,1] neg_hi:[0,1]
	v_pk_add_f32 v[80:81], v[36:37], v[70:71]
	v_mov_b32_e32 v35, v81
	v_mov_b32_e32 v69, v36
	v_pk_add_f32 v[82:83], v[68:69], v[34:35] neg_lo:[0,1] neg_hi:[0,1]
	v_pk_add_f32 v[34:35], v[68:69], v[34:35]
	v_mov_b32_e32 v68, v35
	v_pk_add_f32 v[84:85], v[68:69], v[36:37] neg_lo:[0,1] neg_hi:[0,1]
	v_mov_b32_e32 v51, v84
	v_pk_add_f32 v[86:87], v[80:81], v[50:51] neg_lo:[0,1] neg_hi:[0,1]
	v_mov_b32_e32 v34, v81
	v_mov_b32_e32 v80, v37
	;; [unrolled: 1-line block ×4, first 2 shown]
	v_pk_add_f32 v[34:35], v[34:35], v[80:81] neg_lo:[0,1] neg_hi:[0,1]
	v_mov_b32_e32 v70, v71
	v_mov_b32_e32 v71, v36
	v_pk_add_f32 v[34:35], v[70:71], v[34:35] neg_lo:[0,1] neg_hi:[0,1]
	v_mov_b32_e32 v86, v82
	v_pk_add_f32 v[36:37], v[86:87], v[34:35]
	v_mov_b32_e32 v70, v37
	v_pk_add_f32 v[70:71], v[36:37], v[70:71]
	v_pk_add_f32 v[68:69], v[68:69], v[70:71]
	v_mov_b32_e32 v37, v68
	v_pk_add_f32 v[80:81], v[36:37], v[82:83] neg_lo:[0,1] neg_hi:[0,1]
	v_mov_b32_e32 v35, v70
	v_sub_f32_e32 v36, v36, v80
	v_pk_add_f32 v[34:35], v[34:35], v[80:81] neg_lo:[0,1] neg_hi:[0,1]
	v_sub_f32_e32 v36, v82, v36
	v_add_f32_e32 v34, v34, v36
	v_cmp_eq_f32_e64 s[56:57], s62, v96
	s_mov_b32 s62, 0x33800000
	v_add_f32_e32 v34, v34, v35
	v_cmp_lt_f32_e64 s[62:63], |v96|, s62
	v_add_f32_e32 v34, v68, v34
	s_or_b64 s[56:57], s[56:57], s[62:63]
	v_cndmask_b32_e64 v34, v34, v96, s[56:57]
	v_add_f32_e32 v33, v33, v34
	v_cvt_f16_f32_e32 v34, v33
.LBB381_325:
	s_or_b64 exec, exec, s[58:59]
	v_and_b32_e32 v35, 0xffff, v34
	v_mov_b32_e32 v33, v34
.LBB381_326:
	s_or_b64 exec, exec, s[60:61]
	v_mov_b32_dpp v34, v35 row_bcast:31 row_mask:0xf bank_mask:0xf
	v_cmp_lt_u32_e64 s[56:57], 31, v15
	s_and_saveexec_b64 s[60:61], s[56:57]
	s_cbranch_execz .LBB381_330
; %bb.327:
	v_cvt_f32_f16_e32 v36, v34
	v_cvt_f32_f16_e32 v37, v33
	v_cmp_u_f16_e64 s[56:57], v34, v34
	v_cmp_u_f16_e64 s[58:59], v33, v33
	v_min_f32_e32 v35, v36, v37
	v_max_f32_e32 v33, v36, v37
	v_cndmask_b32_e64 v35, v35, v36, s[56:57]
	v_cndmask_b32_e64 v33, v33, v36, s[56:57]
	;; [unrolled: 1-line block ×4, first 2 shown]
	s_movk_i32 s58, 0x1f8
	v_cmp_neq_f32_e64 s[56:57], v35, v33
	v_cmp_class_f32_e64 s[58:59], v35, s58
	s_or_b64 s[56:57], s[56:57], s[58:59]
	s_and_saveexec_b64 s[58:59], s[56:57]
	s_cbranch_execz .LBB381_329
; %bb.328:
	v_sub_f32_e32 v34, v35, v33
	s_mov_b32 s56, 0x3fb8aa3b
	v_mul_f32_e32 v35, 0x3fb8aa3b, v34
	v_fma_f32 v36, v34, s56, -v35
	v_rndne_f32_e32 v37, v35
	v_fmac_f32_e32 v36, 0x32a5705f, v34
	v_sub_f32_e32 v35, v35, v37
	v_add_f32_e32 v35, v35, v36
	v_exp_f32_e32 v35, v35
	v_cvt_i32_f32_e32 v36, v37
	s_mov_b32 s56, 0xc2ce8ed0
	v_cmp_ngt_f32_e64 s[56:57], s56, v34
	s_mov_b32 s62, 0x7f800000
	v_ldexp_f32 v35, v35, v36
	v_cndmask_b32_e64 v35, 0, v35, s[56:57]
	s_mov_b32 s56, 0x42b17218
	v_mov_b32_e32 v36, 0x7f800000
	v_cmp_nlt_f32_e64 s[56:57], s56, v34
	v_cndmask_b32_e64 v96, v36, v35, s[56:57]
	v_add_f32_e32 v36, 1.0, v96
	v_add_f32_e32 v34, -1.0, v36
	v_sub_f32_e32 v35, v34, v36
	v_add_f32_e32 v35, 1.0, v35
	v_sub_f32_e32 v34, v96, v34
	v_add_f32_e32 v37, v34, v35
	v_frexp_mant_f32_e32 v51, v36
	s_mov_b32 s56, 0x3f2aaaab
	v_cvt_f64_f32_e32 v[34:35], v36
	v_frexp_exp_i32_f64_e32 v34, v[34:35]
	v_cmp_gt_f32_e64 s[56:57], s56, v51
	v_subbrev_co_u32_e64 v51, s[56:57], 0, v34, s[56:57]
	v_sub_u32_e32 v34, 0, v51
	v_ldexp_f32 v35, v36, v34
	v_add_f32_e32 v36, -1.0, v35
	v_add_f32_e32 v68, 1.0, v35
	v_ldexp_f32 v34, v37, v34
	v_add_f32_e32 v37, 1.0, v36
	v_add_f32_e32 v69, -1.0, v68
	v_sub_f32_e32 v37, v35, v37
	v_sub_f32_e32 v35, v35, v69
	v_add_f32_e32 v37, v34, v37
	v_add_f32_e32 v34, v34, v35
	v_add_f32_e32 v80, v68, v34
	v_rcp_f32_e32 v82, v80
	v_sub_f32_e32 v35, v68, v80
	v_add_f32_e32 v81, v34, v35
	v_add_f32_e32 v35, v36, v37
	v_mul_f32_e32 v84, v35, v82
	v_sub_f32_e32 v34, v36, v35
	v_mul_f32_e32 v36, v80, v84
	v_fma_f32 v68, v84, v80, -v36
	v_fmac_f32_e32 v68, v84, v81
	v_add_f32_e32 v83, v37, v34
	v_add_f32_e32 v34, v36, v68
	v_sub_f32_e32 v37, v35, v34
	v_pk_add_f32 v[70:71], v[34:35], v[36:37] neg_lo:[0,1] neg_hi:[0,1]
	v_mov_b32_e32 v69, v34
	v_pk_add_f32 v[34:35], v[70:71], v[68:69] neg_lo:[0,1] neg_hi:[0,1]
	v_add_f32_e32 v35, v83, v35
	v_add_f32_e32 v34, v34, v35
	;; [unrolled: 1-line block ×3, first 2 shown]
	v_mul_f32_e32 v83, v82, v35
	v_mul_f32_e32 v36, v80, v83
	v_fma_f32 v68, v83, v80, -v36
	v_fmac_f32_e32 v68, v83, v81
	v_sub_f32_e32 v37, v37, v35
	v_add_f32_e32 v80, v34, v37
	v_add_f32_e32 v34, v36, v68
	v_sub_f32_e32 v37, v35, v34
	v_pk_add_f32 v[70:71], v[34:35], v[36:37] neg_lo:[0,1] neg_hi:[0,1]
	v_mov_b32_e32 v69, v34
	v_pk_add_f32 v[34:35], v[70:71], v[68:69] neg_lo:[0,1] neg_hi:[0,1]
	v_add_f32_e32 v35, v80, v35
	v_add_f32_e32 v34, v34, v35
	;; [unrolled: 1-line block ×4, first 2 shown]
	v_sub_f32_e32 v35, v37, v84
	v_mul_f32_e32 v34, v82, v34
	v_sub_f32_e32 v35, v83, v35
	v_add_f32_e32 v34, v35, v34
	v_add_f32_e32 v68, v37, v34
	v_mul_f32_e32 v70, v68, v68
	v_mov_b32_e32 v36, 0x3ecc95a3
	v_fmac_f32_e32 v36, 0x3e9b6dac, v70
	v_mov_b32_e32 v35, 0x3f2aaada
	v_fmac_f32_e32 v35, v70, v36
	v_cvt_f32_i32_e32 v36, v51
	v_sub_f32_e32 v37, v68, v37
	v_sub_f32_e32 v34, v34, v37
	v_ldexp_f32 v51, v34, 1
	v_mul_f32_e32 v37, v68, v70
	v_mov_b32_e32 v34, 0x3f317218
	s_mov_b32 s56, 0x3f317218
	v_pk_mul_f32 v[34:35], v[36:37], v[34:35]
	v_ldexp_f32 v69, v68, 1
	v_fma_f32 v68, v36, s56, -v34
	v_fmac_f32_e32 v68, 0xb102e308, v36
	v_pk_add_f32 v[36:37], v[34:35], v[68:69]
	v_sub_f32_e32 v69, v37, v69
	v_sub_f32_e32 v69, v35, v69
	v_add_f32_e32 v71, v51, v69
	v_mov_b32_e32 v70, v34
	v_pk_add_f32 v[34:35], v[36:37], v[34:35] neg_lo:[0,1] neg_hi:[0,1]
	v_pk_add_f32 v[80:81], v[36:37], v[70:71]
	v_mov_b32_e32 v35, v81
	v_mov_b32_e32 v69, v36
	v_pk_add_f32 v[82:83], v[68:69], v[34:35] neg_lo:[0,1] neg_hi:[0,1]
	v_pk_add_f32 v[34:35], v[68:69], v[34:35]
	v_mov_b32_e32 v68, v35
	v_pk_add_f32 v[84:85], v[68:69], v[36:37] neg_lo:[0,1] neg_hi:[0,1]
	v_mov_b32_e32 v51, v84
	v_pk_add_f32 v[86:87], v[80:81], v[50:51] neg_lo:[0,1] neg_hi:[0,1]
	v_mov_b32_e32 v34, v81
	v_mov_b32_e32 v80, v37
	;; [unrolled: 1-line block ×4, first 2 shown]
	v_pk_add_f32 v[34:35], v[34:35], v[80:81] neg_lo:[0,1] neg_hi:[0,1]
	v_mov_b32_e32 v70, v71
	v_mov_b32_e32 v71, v36
	v_pk_add_f32 v[34:35], v[70:71], v[34:35] neg_lo:[0,1] neg_hi:[0,1]
	v_mov_b32_e32 v86, v82
	v_pk_add_f32 v[36:37], v[86:87], v[34:35]
	v_mov_b32_e32 v70, v37
	v_pk_add_f32 v[70:71], v[36:37], v[70:71]
	v_pk_add_f32 v[68:69], v[68:69], v[70:71]
	v_mov_b32_e32 v37, v68
	v_pk_add_f32 v[80:81], v[36:37], v[82:83] neg_lo:[0,1] neg_hi:[0,1]
	v_mov_b32_e32 v35, v70
	v_sub_f32_e32 v36, v36, v80
	v_pk_add_f32 v[34:35], v[34:35], v[80:81] neg_lo:[0,1] neg_hi:[0,1]
	v_sub_f32_e32 v36, v82, v36
	v_add_f32_e32 v34, v34, v36
	v_cmp_eq_f32_e64 s[56:57], s62, v96
	s_mov_b32 s62, 0x33800000
	v_add_f32_e32 v34, v34, v35
	v_cmp_lt_f32_e64 s[62:63], |v96|, s62
	v_add_f32_e32 v34, v68, v34
	s_or_b64 s[56:57], s[56:57], s[62:63]
	v_cndmask_b32_e64 v34, v34, v96, s[56:57]
	v_add_f32_e32 v33, v33, v34
	v_cvt_f16_f32_e32 v34, v33
.LBB381_329:
	s_or_b64 exec, exec, s[58:59]
	v_mov_b32_e32 v33, v34
.LBB381_330:
	s_or_b64 exec, exec, s[60:61]
	v_cmp_eq_u32_e64 s[56:57], 63, v28
	s_and_saveexec_b64 s[58:59], s[56:57]
	s_cbranch_execz .LBB381_332
; %bb.331:
	v_mov_b32_e32 v34, 0
	ds_write_b16 v34, v33
.LBB381_332:
	s_or_b64 exec, exec, s[58:59]
	v_add_u32_e32 v34, -1, v15
	v_and_b32_e32 v35, 64, v15
	v_cmp_lt_i32_e64 s[58:59], v34, v35
	v_cndmask_b32_e64 v15, v34, v15, s[58:59]
	v_and_b32_e32 v33, 0xffff, v33
	v_lshlrev_b32_e32 v15, 2, v15
	ds_bpermute_b32 v33, v15, v33
	v_mov_b32_e32 v15, v30
	s_waitcnt lgkmcnt(0)
	; wave barrier
	s_waitcnt lgkmcnt(0)
	s_and_saveexec_b64 s[58:59], s[6:7]
	s_cbranch_execz .LBB381_336
; %bb.333:
	v_cvt_f32_f16_e32 v34, v33
	v_max_f32_e32 v15, v2, v2
	v_cmp_u_f16_e64 s[6:7], v33, v33
	v_min_f32_e32 v30, v34, v15
	v_max_f32_e32 v31, v34, v15
	v_cndmask_b32_e64 v15, v30, v34, s[6:7]
	v_cndmask_b32_e64 v30, v31, v34, s[6:7]
	;; [unrolled: 1-line block ×4, first 2 shown]
	s_movk_i32 s54, 0x1f8
	v_cmp_neq_f32_e64 s[6:7], v15, v2
	v_cmp_class_f32_e64 s[54:55], v15, s54
	s_or_b64 s[6:7], s[6:7], s[54:55]
	s_and_saveexec_b64 s[54:55], s[6:7]
	s_cbranch_execz .LBB381_335
; %bb.334:
	v_sub_f32_e32 v15, v15, v2
	s_mov_b32 s6, 0x3fb8aa3b
	v_mul_f32_e32 v30, 0x3fb8aa3b, v15
	v_fma_f32 v31, v15, s6, -v30
	v_rndne_f32_e32 v32, v30
	v_fmac_f32_e32 v31, 0x32a5705f, v15
	v_sub_f32_e32 v30, v30, v32
	v_add_f32_e32 v30, v30, v31
	v_exp_f32_e32 v30, v30
	v_cvt_i32_f32_e32 v31, v32
	s_mov_b32 s6, 0xc2ce8ed0
	v_cmp_ngt_f32_e64 s[6:7], s6, v15
	s_mov_b32 s60, 0x7f800000
	v_ldexp_f32 v30, v30, v31
	v_cndmask_b32_e64 v30, 0, v30, s[6:7]
	s_mov_b32 s6, 0x42b17218
	v_mov_b32_e32 v31, 0x7f800000
	v_cmp_nlt_f32_e64 s[6:7], s6, v15
	v_cndmask_b32_e64 v51, v31, v30, s[6:7]
	v_add_f32_e32 v15, 1.0, v51
	v_add_f32_e32 v30, -1.0, v15
	v_sub_f32_e32 v31, v30, v15
	v_add_f32_e32 v31, 1.0, v31
	v_sub_f32_e32 v30, v51, v30
	v_add_f32_e32 v32, v30, v31
	v_frexp_mant_f32_e32 v33, v15
	s_mov_b32 s6, 0x3f2aaaab
	v_cvt_f64_f32_e32 v[30:31], v15
	v_frexp_exp_i32_f64_e32 v30, v[30:31]
	v_cmp_gt_f32_e64 s[6:7], s6, v33
	v_subbrev_co_u32_e64 v68, s[6:7], 0, v30, s[6:7]
	v_sub_u32_e32 v30, 0, v68
	v_ldexp_f32 v15, v15, v30
	v_ldexp_f32 v30, v32, v30
	v_add_f32_e32 v32, -1.0, v15
	v_add_f32_e32 v31, 1.0, v32
	v_sub_f32_e32 v31, v15, v31
	v_add_f32_e32 v33, v30, v31
	v_add_f32_e32 v31, 1.0, v15
	v_add_f32_e32 v34, -1.0, v31
	v_sub_f32_e32 v15, v15, v34
	v_add_f32_e32 v15, v30, v15
	v_add_f32_e32 v69, v31, v15
	v_rcp_f32_e32 v70, v69
	v_sub_f32_e32 v30, v31, v69
	v_add_f32_e32 v31, v32, v33
	v_add_f32_e32 v15, v15, v30
	v_mul_f32_e32 v80, v31, v70
	v_sub_f32_e32 v30, v32, v31
	v_mul_f32_e32 v32, v69, v80
	v_fma_f32 v34, v80, v69, -v32
	v_fmac_f32_e32 v34, v80, v15
	v_add_f32_e32 v71, v33, v30
	v_add_f32_e32 v30, v32, v34
	v_sub_f32_e32 v33, v31, v30
	v_pk_add_f32 v[36:37], v[30:31], v[32:33] neg_lo:[0,1] neg_hi:[0,1]
	v_mov_b32_e32 v35, v30
	v_pk_add_f32 v[30:31], v[36:37], v[34:35] neg_lo:[0,1] neg_hi:[0,1]
	v_add_f32_e32 v31, v71, v31
	v_add_f32_e32 v30, v30, v31
	;; [unrolled: 1-line block ×3, first 2 shown]
	v_mul_f32_e32 v71, v70, v31
	v_mul_f32_e32 v32, v69, v71
	v_fma_f32 v34, v71, v69, -v32
	v_fmac_f32_e32 v34, v71, v15
	v_sub_f32_e32 v15, v33, v31
	v_add_f32_e32 v15, v30, v15
	v_add_f32_e32 v30, v32, v34
	v_sub_f32_e32 v33, v31, v30
	v_pk_add_f32 v[36:37], v[30:31], v[32:33] neg_lo:[0,1] neg_hi:[0,1]
	v_mov_b32_e32 v35, v30
	v_pk_add_f32 v[30:31], v[36:37], v[34:35] neg_lo:[0,1] neg_hi:[0,1]
	v_add_f32_e32 v15, v15, v31
	v_add_f32_e32 v15, v30, v15
	;; [unrolled: 1-line block ×4, first 2 shown]
	v_sub_f32_e32 v31, v30, v80
	v_mul_f32_e32 v15, v70, v15
	v_sub_f32_e32 v31, v71, v31
	v_add_f32_e32 v15, v31, v15
	v_add_f32_e32 v33, v30, v15
	v_mul_f32_e32 v34, v33, v33
	v_mov_b32_e32 v32, 0x3ecc95a3
	v_fmac_f32_e32 v32, 0x3e9b6dac, v34
	v_mov_b32_e32 v31, 0x3f2aaada
	v_fmac_f32_e32 v31, v34, v32
	v_cvt_f32_i32_e32 v32, v68
	v_sub_f32_e32 v30, v33, v30
	v_sub_f32_e32 v15, v15, v30
	v_ldexp_f32 v35, v33, 1
	v_mul_f32_e32 v33, v33, v34
	v_mov_b32_e32 v30, 0x3f317218
	s_mov_b32 s6, 0x3f317218
	v_pk_mul_f32 v[30:31], v[32:33], v[30:31]
	v_fma_f32 v34, v32, s6, -v30
	v_fmac_f32_e32 v34, 0xb102e308, v32
	v_pk_add_f32 v[32:33], v[30:31], v[34:35]
	v_sub_f32_e32 v35, v33, v35
	v_ldexp_f32 v15, v15, 1
	v_sub_f32_e32 v35, v31, v35
	v_add_f32_e32 v37, v15, v35
	v_mov_b32_e32 v36, v30
	v_pk_add_f32 v[30:31], v[32:33], v[30:31] neg_lo:[0,1] neg_hi:[0,1]
	v_pk_add_f32 v[68:69], v[32:33], v[36:37]
	v_mov_b32_e32 v31, v69
	v_mov_b32_e32 v35, v32
	v_pk_add_f32 v[70:71], v[34:35], v[30:31] neg_lo:[0,1] neg_hi:[0,1]
	v_pk_add_f32 v[30:31], v[34:35], v[30:31]
	v_mov_b32_e32 v34, v31
	v_pk_add_f32 v[80:81], v[34:35], v[32:33] neg_lo:[0,1] neg_hi:[0,1]
	v_mov_b32_e32 v15, v80
	v_pk_add_f32 v[82:83], v[68:69], v[14:15] neg_lo:[0,1] neg_hi:[0,1]
	v_mov_b32_e32 v30, v69
	v_mov_b32_e32 v68, v33
	;; [unrolled: 1-line block ×4, first 2 shown]
	v_pk_add_f32 v[30:31], v[30:31], v[68:69] neg_lo:[0,1] neg_hi:[0,1]
	v_mov_b32_e32 v36, v37
	v_mov_b32_e32 v37, v32
	v_pk_add_f32 v[30:31], v[36:37], v[30:31] neg_lo:[0,1] neg_hi:[0,1]
	v_mov_b32_e32 v82, v70
	v_pk_add_f32 v[32:33], v[82:83], v[30:31]
	v_mov_b32_e32 v36, v33
	v_pk_add_f32 v[36:37], v[32:33], v[36:37]
	v_pk_add_f32 v[34:35], v[34:35], v[36:37]
	v_mov_b32_e32 v33, v34
	v_pk_add_f32 v[68:69], v[32:33], v[70:71] neg_lo:[0,1] neg_hi:[0,1]
	v_mov_b32_e32 v31, v36
	v_sub_f32_e32 v15, v32, v68
	v_pk_add_f32 v[30:31], v[30:31], v[68:69] neg_lo:[0,1] neg_hi:[0,1]
	v_sub_f32_e32 v15, v70, v15
	v_add_f32_e32 v15, v30, v15
	v_cmp_eq_f32_e64 s[6:7], s60, v51
	s_mov_b32 s60, 0x33800000
	v_add_f32_e32 v15, v15, v31
	v_cmp_lt_f32_e64 s[60:61], |v51|, s60
	v_add_f32_e32 v15, v34, v15
	s_or_b64 s[6:7], s[6:7], s[60:61]
	v_cndmask_b32_e64 v15, v15, v51, s[6:7]
	v_add_f32_e32 v2, v2, v15
	v_cvt_f16_f32_e32 v33, v2
	v_cvt_f32_f16_e32 v34, v33
.LBB381_335:
	s_or_b64 exec, exec, s[54:55]
	v_max_f32_e32 v2, v50, v50
	v_max_f32_e32 v15, v34, v34
	v_min_f32_e32 v31, v15, v2
	v_max_f32_e32 v32, v15, v2
	v_mov_b32_e32 v30, v33
	v_mov_b32_e32 v15, v33
	;; [unrolled: 1-line block ×3, first 2 shown]
	;;#ASMSTART
	;;#ASMEND
.LBB381_336:
	s_or_b64 exec, exec, s[58:59]
	v_cmp_u_f16_e64 s[6:7], v15, v15
	v_cndmask_b32_e64 v31, v31, v2, s[6:7]
	v_cndmask_b32_e32 v33, v31, v50, vcc
	v_cndmask_b32_e64 v31, v32, v2, s[6:7]
	v_cndmask_b32_e32 v32, v31, v50, vcc
	s_movk_i32 s54, 0x1f8
	v_cmp_neq_f32_e32 vcc, v33, v32
	v_cmp_class_f32_e64 s[6:7], v33, s54
	s_or_b64 vcc, vcc, s[6:7]
	v_mov_b32_e32 v31, v30
	s_and_saveexec_b64 s[6:7], vcc
	s_cbranch_execz .LBB381_338
; %bb.337:
	v_sub_f32_e32 v2, v33, v32
	s_mov_b32 s55, 0x3fb8aa3b
	v_mul_f32_e32 v15, 0x3fb8aa3b, v2
	v_fma_f32 v31, v2, s55, -v15
	v_rndne_f32_e32 v33, v15
	v_fmac_f32_e32 v31, 0x32a5705f, v2
	v_sub_f32_e32 v15, v15, v33
	v_add_f32_e32 v15, v15, v31
	v_exp_f32_e32 v15, v15
	v_cvt_i32_f32_e32 v31, v33
	s_mov_b32 s55, 0xc2ce8ed0
	v_cmp_ngt_f32_e32 vcc, s55, v2
	s_mov_b32 s55, 0x42b17218
	v_ldexp_f32 v15, v15, v31
	v_cndmask_b32_e32 v15, 0, v15, vcc
	v_mov_b32_e32 v31, 0x7f800000
	v_cmp_nlt_f32_e32 vcc, s55, v2
	v_cndmask_b32_e32 v31, v31, v15, vcc
	v_add_f32_e32 v2, 1.0, v31
	v_add_f32_e32 v15, -1.0, v2
	v_sub_f32_e32 v33, v15, v2
	v_add_f32_e32 v33, 1.0, v33
	v_sub_f32_e32 v15, v31, v15
	v_add_f32_e32 v15, v15, v33
	v_frexp_mant_f32_e32 v33, v2
	s_mov_b32 s55, 0x3f2aaaab
	v_cvt_f64_f32_e32 v[34:35], v2
	v_frexp_exp_i32_f64_e32 v34, v[34:35]
	v_cmp_gt_f32_e32 vcc, s55, v33
	v_subbrev_co_u32_e32 v33, vcc, 0, v34, vcc
	v_sub_u32_e32 v34, 0, v33
	v_ldexp_f32 v2, v2, v34
	v_ldexp_f32 v15, v15, v34
	v_add_f32_e32 v34, -1.0, v2
	v_add_f32_e32 v35, 1.0, v34
	v_sub_f32_e32 v35, v2, v35
	v_add_f32_e32 v36, v15, v35
	v_add_f32_e32 v35, 1.0, v2
	v_add_f32_e32 v37, -1.0, v35
	v_sub_f32_e32 v2, v2, v37
	v_add_f32_e32 v2, v15, v2
	v_add_f32_e32 v15, v35, v2
	v_rcp_f32_e32 v70, v15
	v_sub_f32_e32 v35, v35, v15
	v_add_f32_e32 v2, v2, v35
	v_add_f32_e32 v35, v34, v36
	v_sub_f32_e32 v34, v34, v35
	v_mul_f32_e32 v80, v35, v70
	v_add_f32_e32 v71, v36, v34
	v_mul_f32_e32 v36, v15, v80
	v_fma_f32 v50, v80, v15, -v36
	v_fmac_f32_e32 v50, v80, v2
	v_add_f32_e32 v34, v36, v50
	v_sub_f32_e32 v37, v35, v34
	v_pk_add_f32 v[68:69], v[34:35], v[36:37] neg_lo:[0,1] neg_hi:[0,1]
	v_mov_b32_e32 v51, v34
	v_pk_add_f32 v[34:35], v[68:69], v[50:51] neg_lo:[0,1] neg_hi:[0,1]
	v_add_f32_e32 v35, v71, v35
	v_add_f32_e32 v34, v34, v35
	;; [unrolled: 1-line block ×3, first 2 shown]
	v_mul_f32_e32 v71, v70, v35
	v_mul_f32_e32 v36, v15, v71
	v_fma_f32 v50, v71, v15, -v36
	v_fmac_f32_e32 v50, v71, v2
	v_sub_f32_e32 v2, v37, v35
	v_add_f32_e32 v2, v34, v2
	v_add_f32_e32 v34, v36, v50
	v_sub_f32_e32 v37, v35, v34
	v_pk_add_f32 v[68:69], v[34:35], v[36:37] neg_lo:[0,1] neg_hi:[0,1]
	v_mov_b32_e32 v51, v34
	v_pk_add_f32 v[34:35], v[68:69], v[50:51] neg_lo:[0,1] neg_hi:[0,1]
	v_add_f32_e32 v2, v2, v35
	v_add_f32_e32 v2, v34, v2
	v_add_f32_e32 v15, v80, v71
	v_add_f32_e32 v2, v37, v2
	v_sub_f32_e32 v34, v15, v80
	v_mul_f32_e32 v2, v70, v2
	v_sub_f32_e32 v34, v71, v34
	v_add_f32_e32 v2, v34, v2
	v_add_f32_e32 v34, v15, v2
	v_mul_f32_e32 v37, v34, v34
	v_mov_b32_e32 v36, 0x3ecc95a3
	v_fmac_f32_e32 v36, 0x3e9b6dac, v37
	v_mov_b32_e32 v35, 0x3f2aaada
	v_fmac_f32_e32 v35, v37, v36
	v_cvt_f32_i32_e32 v36, v33
	v_sub_f32_e32 v15, v34, v15
	v_ldexp_f32 v51, v34, 1
	v_mul_f32_e32 v37, v34, v37
	v_mov_b32_e32 v34, 0x3f317218
	s_mov_b32 s55, 0x3f317218
	v_pk_mul_f32 v[34:35], v[36:37], v[34:35]
	v_fma_f32 v50, v36, s55, -v34
	v_fmac_f32_e32 v50, 0xb102e308, v36
	v_pk_add_f32 v[36:37], v[34:35], v[50:51]
	v_sub_f32_e32 v2, v2, v15
	v_sub_f32_e32 v15, v37, v51
	v_ldexp_f32 v2, v2, 1
	v_sub_f32_e32 v15, v35, v15
	v_add_f32_e32 v69, v2, v15
	v_mov_b32_e32 v68, v34
	v_pk_add_f32 v[34:35], v[36:37], v[34:35] neg_lo:[0,1] neg_hi:[0,1]
	v_pk_add_f32 v[70:71], v[36:37], v[68:69]
	v_mov_b32_e32 v35, v71
	v_mov_b32_e32 v51, v36
	v_pk_add_f32 v[80:81], v[50:51], v[34:35] neg_lo:[0,1] neg_hi:[0,1]
	v_pk_add_f32 v[34:35], v[50:51], v[34:35]
	v_mov_b32_e32 v2, v35
	v_pk_add_f32 v[50:51], v[2:3], v[36:37] neg_lo:[0,1] neg_hi:[0,1]
	v_mov_b32_e32 v15, v50
	v_pk_add_f32 v[82:83], v[70:71], v[14:15] neg_lo:[0,1] neg_hi:[0,1]
	v_mov_b32_e32 v34, v71
	v_mov_b32_e32 v70, v37
	;; [unrolled: 1-line block ×4, first 2 shown]
	v_pk_add_f32 v[34:35], v[34:35], v[70:71] neg_lo:[0,1] neg_hi:[0,1]
	v_mov_b32_e32 v50, v69
	v_mov_b32_e32 v51, v36
	v_pk_add_f32 v[34:35], v[50:51], v[34:35] neg_lo:[0,1] neg_hi:[0,1]
	v_mov_b32_e32 v82, v80
	v_pk_add_f32 v[36:37], v[82:83], v[34:35]
	v_mov_b32_e32 v50, v37
	v_pk_add_f32 v[50:51], v[36:37], v[50:51]
	v_pk_add_f32 v[68:69], v[2:3], v[50:51]
	v_mov_b32_e32 v37, v68
	v_pk_add_f32 v[70:71], v[36:37], v[80:81] neg_lo:[0,1] neg_hi:[0,1]
	v_mov_b32_e32 v35, v50
	v_sub_f32_e32 v2, v36, v70
	v_pk_add_f32 v[34:35], v[34:35], v[70:71] neg_lo:[0,1] neg_hi:[0,1]
	v_sub_f32_e32 v2, v80, v2
	s_mov_b32 s58, 0x7f800000
	v_add_f32_e32 v2, v34, v2
	s_mov_b32 s55, 0x33800000
	v_add_f32_e32 v2, v2, v35
	v_cmp_eq_f32_e32 vcc, s58, v31
	v_cmp_lt_f32_e64 s[58:59], |v31|, s55
	v_add_f32_e32 v2, v68, v2
	s_or_b64 vcc, vcc, s[58:59]
	v_cndmask_b32_e32 v2, v2, v31, vcc
	v_add_f32_e32 v2, v32, v2
	v_cvt_f16_f32_e32 v15, v2
	v_cvt_f32_f16_e32 v2, v15
	v_mov_b32_e32 v31, v15
.LBB381_338:
	s_or_b64 exec, exec, s[6:7]
	v_max_f32_e32 v32, v3, v3
	v_max_f32_e32 v34, v2, v2
	v_min_f32_e32 v33, v34, v32
	v_cmp_u_f16_e32 vcc, v15, v15
	v_max_f32_e32 v32, v34, v32
	v_cndmask_b32_e32 v33, v33, v2, vcc
	v_cndmask_b32_e32 v32, v32, v2, vcc
	v_cndmask_b32_e64 v33, v33, v3, s[8:9]
	v_cndmask_b32_e64 v3, v32, v3, s[8:9]
	v_cmp_neq_f32_e32 vcc, v33, v3
	v_cmp_class_f32_e64 s[6:7], v33, s54
	s_or_b64 s[8:9], vcc, s[6:7]
	v_mov_b32_e32 v32, v31
	s_and_saveexec_b64 s[6:7], s[8:9]
	s_cbranch_execz .LBB381_340
; %bb.339:
	v_sub_f32_e32 v2, v33, v3
	s_mov_b32 s8, 0x3fb8aa3b
	v_mul_f32_e32 v15, 0x3fb8aa3b, v2
	v_fma_f32 v32, v2, s8, -v15
	v_rndne_f32_e32 v33, v15
	v_fmac_f32_e32 v32, 0x32a5705f, v2
	v_sub_f32_e32 v15, v15, v33
	v_add_f32_e32 v15, v15, v32
	v_exp_f32_e32 v15, v15
	v_cvt_i32_f32_e32 v32, v33
	s_mov_b32 s8, 0xc2ce8ed0
	v_cmp_ngt_f32_e32 vcc, s8, v2
	s_mov_b32 s8, 0x42b17218
	v_ldexp_f32 v15, v15, v32
	v_cndmask_b32_e32 v15, 0, v15, vcc
	v_mov_b32_e32 v32, 0x7f800000
	v_cmp_nlt_f32_e32 vcc, s8, v2
	v_cndmask_b32_e32 v82, v32, v15, vcc
	v_add_f32_e32 v2, 1.0, v82
	v_add_f32_e32 v15, -1.0, v2
	v_sub_f32_e32 v32, v15, v2
	v_add_f32_e32 v32, 1.0, v32
	v_sub_f32_e32 v15, v82, v15
	v_add_f32_e32 v15, v15, v32
	v_frexp_mant_f32_e32 v34, v2
	s_mov_b32 s8, 0x3f2aaaab
	v_cvt_f64_f32_e32 v[32:33], v2
	v_frexp_exp_i32_f64_e32 v32, v[32:33]
	v_cmp_gt_f32_e32 vcc, s8, v34
	v_subbrev_co_u32_e32 v68, vcc, 0, v32, vcc
	v_sub_u32_e32 v32, 0, v68
	v_ldexp_f32 v2, v2, v32
	v_ldexp_f32 v15, v15, v32
	v_add_f32_e32 v32, -1.0, v2
	v_add_f32_e32 v33, 1.0, v32
	v_sub_f32_e32 v33, v2, v33
	v_add_f32_e32 v34, v15, v33
	v_add_f32_e32 v33, 1.0, v2
	v_add_f32_e32 v35, -1.0, v33
	v_sub_f32_e32 v2, v2, v35
	v_add_f32_e32 v2, v15, v2
	v_add_f32_e32 v15, v33, v2
	v_rcp_f32_e32 v69, v15
	v_sub_f32_e32 v33, v33, v15
	v_add_f32_e32 v2, v2, v33
	v_add_f32_e32 v33, v32, v34
	v_sub_f32_e32 v32, v32, v33
	v_mul_f32_e32 v71, v33, v69
	v_add_f32_e32 v70, v34, v32
	v_mul_f32_e32 v34, v15, v71
	v_fma_f32 v36, v71, v15, -v34
	v_fmac_f32_e32 v36, v71, v2
	v_add_f32_e32 v32, v34, v36
	v_sub_f32_e32 v35, v33, v32
	v_pk_add_f32 v[50:51], v[32:33], v[34:35] neg_lo:[0,1] neg_hi:[0,1]
	v_mov_b32_e32 v37, v32
	v_pk_add_f32 v[32:33], v[50:51], v[36:37] neg_lo:[0,1] neg_hi:[0,1]
	v_add_f32_e32 v33, v70, v33
	v_add_f32_e32 v32, v32, v33
	;; [unrolled: 1-line block ×3, first 2 shown]
	v_mul_f32_e32 v70, v69, v33
	v_mul_f32_e32 v34, v15, v70
	v_fma_f32 v36, v70, v15, -v34
	v_fmac_f32_e32 v36, v70, v2
	v_sub_f32_e32 v2, v35, v33
	v_add_f32_e32 v2, v32, v2
	v_add_f32_e32 v32, v34, v36
	v_sub_f32_e32 v35, v33, v32
	v_pk_add_f32 v[50:51], v[32:33], v[34:35] neg_lo:[0,1] neg_hi:[0,1]
	v_mov_b32_e32 v37, v32
	v_pk_add_f32 v[32:33], v[50:51], v[36:37] neg_lo:[0,1] neg_hi:[0,1]
	v_add_f32_e32 v2, v2, v33
	v_add_f32_e32 v2, v32, v2
	v_add_f32_e32 v15, v71, v70
	v_add_f32_e32 v2, v35, v2
	v_sub_f32_e32 v32, v15, v71
	v_mul_f32_e32 v2, v69, v2
	v_sub_f32_e32 v32, v70, v32
	v_add_f32_e32 v2, v32, v2
	v_add_f32_e32 v32, v15, v2
	v_mul_f32_e32 v35, v32, v32
	v_mov_b32_e32 v34, 0x3ecc95a3
	v_fmac_f32_e32 v34, 0x3e9b6dac, v35
	v_mov_b32_e32 v33, 0x3f2aaada
	v_fmac_f32_e32 v33, v35, v34
	v_cvt_f32_i32_e32 v34, v68
	v_sub_f32_e32 v15, v32, v15
	v_ldexp_f32 v37, v32, 1
	v_mul_f32_e32 v35, v32, v35
	v_mov_b32_e32 v32, 0x3f317218
	s_mov_b32 s8, 0x3f317218
	v_pk_mul_f32 v[32:33], v[34:35], v[32:33]
	v_fma_f32 v36, v34, s8, -v32
	v_fmac_f32_e32 v36, 0xb102e308, v34
	v_pk_add_f32 v[34:35], v[32:33], v[36:37]
	v_sub_f32_e32 v2, v2, v15
	v_sub_f32_e32 v15, v35, v37
	v_ldexp_f32 v2, v2, 1
	v_sub_f32_e32 v15, v33, v15
	v_add_f32_e32 v51, v2, v15
	v_mov_b32_e32 v50, v32
	v_pk_add_f32 v[32:33], v[34:35], v[32:33] neg_lo:[0,1] neg_hi:[0,1]
	v_pk_add_f32 v[68:69], v[34:35], v[50:51]
	v_mov_b32_e32 v33, v69
	v_mov_b32_e32 v37, v34
	v_pk_add_f32 v[70:71], v[36:37], v[32:33] neg_lo:[0,1] neg_hi:[0,1]
	v_pk_add_f32 v[32:33], v[36:37], v[32:33]
	v_mov_b32_e32 v2, v33
	v_pk_add_f32 v[36:37], v[2:3], v[34:35] neg_lo:[0,1] neg_hi:[0,1]
	v_mov_b32_e32 v15, v36
	v_pk_add_f32 v[80:81], v[68:69], v[14:15] neg_lo:[0,1] neg_hi:[0,1]
	v_mov_b32_e32 v32, v69
	v_mov_b32_e32 v68, v35
	;; [unrolled: 1-line block ×4, first 2 shown]
	v_pk_add_f32 v[32:33], v[32:33], v[68:69] neg_lo:[0,1] neg_hi:[0,1]
	v_mov_b32_e32 v36, v51
	v_mov_b32_e32 v37, v34
	v_pk_add_f32 v[32:33], v[36:37], v[32:33] neg_lo:[0,1] neg_hi:[0,1]
	v_mov_b32_e32 v80, v70
	v_pk_add_f32 v[34:35], v[80:81], v[32:33]
	v_mov_b32_e32 v36, v35
	v_pk_add_f32 v[36:37], v[34:35], v[36:37]
	v_pk_add_f32 v[50:51], v[2:3], v[36:37]
	v_mov_b32_e32 v35, v50
	v_pk_add_f32 v[68:69], v[34:35], v[70:71] neg_lo:[0,1] neg_hi:[0,1]
	v_mov_b32_e32 v33, v36
	v_sub_f32_e32 v2, v34, v68
	v_pk_add_f32 v[32:33], v[32:33], v[68:69] neg_lo:[0,1] neg_hi:[0,1]
	v_sub_f32_e32 v2, v70, v2
	s_mov_b32 s9, 0x7f800000
	v_add_f32_e32 v2, v32, v2
	s_mov_b32 s8, 0x33800000
	v_add_f32_e32 v2, v2, v33
	v_cmp_eq_f32_e32 vcc, s9, v82
	v_cmp_lt_f32_e64 s[8:9], |v82|, s8
	v_add_f32_e32 v2, v50, v2
	s_or_b64 vcc, vcc, s[8:9]
	v_cndmask_b32_e32 v2, v2, v82, vcc
	v_add_f32_e32 v2, v3, v2
	v_cvt_f16_f32_e32 v15, v2
	v_cvt_f32_f16_e32 v2, v15
	v_mov_b32_e32 v32, v15
.LBB381_340:
	s_or_b64 exec, exec, s[6:7]
	v_max_f32_e32 v3, v6, v6
	v_max_f32_e32 v33, v2, v2
	v_min_f32_e32 v34, v33, v3
	v_cmp_u_f16_e32 vcc, v15, v15
	v_max_f32_e32 v3, v33, v3
	v_cndmask_b32_e32 v34, v34, v2, vcc
	v_cndmask_b32_e32 v3, v3, v2, vcc
	v_cndmask_b32_e64 v34, v34, v6, s[10:11]
	v_cndmask_b32_e64 v3, v3, v6, s[10:11]
	s_movk_i32 s8, 0x1f8
	v_cmp_neq_f32_e32 vcc, v34, v3
	v_cmp_class_f32_e64 s[6:7], v34, s8
	s_or_b64 s[10:11], vcc, s[6:7]
	v_mov_b32_e32 v33, v32
	s_and_saveexec_b64 s[6:7], s[10:11]
	s_cbranch_execz .LBB381_342
; %bb.341:
	v_sub_f32_e32 v2, v34, v3
	s_mov_b32 s9, 0x3fb8aa3b
	v_mul_f32_e32 v6, 0x3fb8aa3b, v2
	v_fma_f32 v15, v2, s9, -v6
	v_rndne_f32_e32 v33, v6
	v_fmac_f32_e32 v15, 0x32a5705f, v2
	v_sub_f32_e32 v6, v6, v33
	v_add_f32_e32 v6, v6, v15
	v_exp_f32_e32 v6, v6
	v_cvt_i32_f32_e32 v15, v33
	s_mov_b32 s9, 0xc2ce8ed0
	v_cmp_ngt_f32_e32 vcc, s9, v2
	s_mov_b32 s9, 0x42b17218
	v_ldexp_f32 v6, v6, v15
	v_cndmask_b32_e32 v6, 0, v6, vcc
	v_mov_b32_e32 v15, 0x7f800000
	v_cmp_nlt_f32_e32 vcc, s9, v2
	v_cndmask_b32_e32 v33, v15, v6, vcc
	v_add_f32_e32 v2, 1.0, v33
	v_add_f32_e32 v6, -1.0, v2
	v_sub_f32_e32 v15, v6, v2
	v_add_f32_e32 v15, 1.0, v15
	v_sub_f32_e32 v6, v33, v6
	v_add_f32_e32 v6, v6, v15
	v_frexp_mant_f32_e32 v15, v2
	s_mov_b32 s9, 0x3f2aaaab
	v_cvt_f64_f32_e32 v[34:35], v2
	v_frexp_exp_i32_f64_e32 v34, v[34:35]
	v_cmp_gt_f32_e32 vcc, s9, v15
	v_subbrev_co_u32_e32 v15, vcc, 0, v34, vcc
	v_sub_u32_e32 v34, 0, v15
	v_ldexp_f32 v2, v2, v34
	v_ldexp_f32 v6, v6, v34
	v_add_f32_e32 v34, -1.0, v2
	v_add_f32_e32 v35, 1.0, v34
	v_sub_f32_e32 v35, v2, v35
	v_add_f32_e32 v36, v6, v35
	v_add_f32_e32 v35, 1.0, v2
	v_add_f32_e32 v37, -1.0, v35
	v_sub_f32_e32 v2, v2, v37
	v_add_f32_e32 v2, v6, v2
	v_add_f32_e32 v6, v35, v2
	v_rcp_f32_e32 v70, v6
	v_sub_f32_e32 v35, v35, v6
	v_add_f32_e32 v2, v2, v35
	v_add_f32_e32 v35, v34, v36
	v_sub_f32_e32 v34, v34, v35
	v_mul_f32_e32 v80, v35, v70
	v_add_f32_e32 v71, v36, v34
	v_mul_f32_e32 v36, v6, v80
	v_fma_f32 v50, v80, v6, -v36
	v_fmac_f32_e32 v50, v80, v2
	v_add_f32_e32 v34, v36, v50
	v_sub_f32_e32 v37, v35, v34
	v_pk_add_f32 v[68:69], v[34:35], v[36:37] neg_lo:[0,1] neg_hi:[0,1]
	v_mov_b32_e32 v51, v34
	v_pk_add_f32 v[34:35], v[68:69], v[50:51] neg_lo:[0,1] neg_hi:[0,1]
	v_add_f32_e32 v35, v71, v35
	v_add_f32_e32 v34, v34, v35
	;; [unrolled: 1-line block ×3, first 2 shown]
	v_mul_f32_e32 v71, v70, v35
	v_mul_f32_e32 v36, v6, v71
	v_fma_f32 v50, v71, v6, -v36
	v_fmac_f32_e32 v50, v71, v2
	v_sub_f32_e32 v2, v37, v35
	v_add_f32_e32 v2, v34, v2
	v_add_f32_e32 v34, v36, v50
	v_sub_f32_e32 v37, v35, v34
	v_pk_add_f32 v[68:69], v[34:35], v[36:37] neg_lo:[0,1] neg_hi:[0,1]
	v_mov_b32_e32 v51, v34
	v_pk_add_f32 v[34:35], v[68:69], v[50:51] neg_lo:[0,1] neg_hi:[0,1]
	v_add_f32_e32 v2, v2, v35
	v_add_f32_e32 v2, v34, v2
	;; [unrolled: 1-line block ×4, first 2 shown]
	v_sub_f32_e32 v34, v6, v80
	v_mul_f32_e32 v2, v70, v2
	v_sub_f32_e32 v34, v71, v34
	v_add_f32_e32 v2, v34, v2
	v_add_f32_e32 v34, v6, v2
	v_mul_f32_e32 v37, v34, v34
	v_mov_b32_e32 v36, 0x3ecc95a3
	v_fmac_f32_e32 v36, 0x3e9b6dac, v37
	v_mov_b32_e32 v35, 0x3f2aaada
	v_fmac_f32_e32 v35, v37, v36
	v_cvt_f32_i32_e32 v36, v15
	v_sub_f32_e32 v6, v34, v6
	v_ldexp_f32 v51, v34, 1
	v_mul_f32_e32 v37, v34, v37
	v_mov_b32_e32 v34, 0x3f317218
	s_mov_b32 s9, 0x3f317218
	v_pk_mul_f32 v[34:35], v[36:37], v[34:35]
	v_fma_f32 v50, v36, s9, -v34
	v_fmac_f32_e32 v50, 0xb102e308, v36
	v_pk_add_f32 v[36:37], v[34:35], v[50:51]
	v_sub_f32_e32 v2, v2, v6
	v_sub_f32_e32 v6, v37, v51
	v_ldexp_f32 v2, v2, 1
	v_sub_f32_e32 v6, v35, v6
	v_add_f32_e32 v69, v2, v6
	v_mov_b32_e32 v68, v34
	v_pk_add_f32 v[34:35], v[36:37], v[34:35] neg_lo:[0,1] neg_hi:[0,1]
	v_pk_add_f32 v[70:71], v[36:37], v[68:69]
	v_mov_b32_e32 v35, v71
	v_mov_b32_e32 v51, v36
	v_pk_add_f32 v[80:81], v[50:51], v[34:35] neg_lo:[0,1] neg_hi:[0,1]
	v_pk_add_f32 v[34:35], v[50:51], v[34:35]
	v_mov_b32_e32 v2, v35
	v_pk_add_f32 v[50:51], v[2:3], v[36:37] neg_lo:[0,1] neg_hi:[0,1]
	v_mov_b32_e32 v15, v50
	v_pk_add_f32 v[82:83], v[70:71], v[14:15] neg_lo:[0,1] neg_hi:[0,1]
	v_mov_b32_e32 v34, v71
	v_mov_b32_e32 v70, v37
	;; [unrolled: 1-line block ×4, first 2 shown]
	v_pk_add_f32 v[34:35], v[34:35], v[70:71] neg_lo:[0,1] neg_hi:[0,1]
	v_mov_b32_e32 v50, v69
	v_mov_b32_e32 v51, v36
	v_pk_add_f32 v[34:35], v[50:51], v[34:35] neg_lo:[0,1] neg_hi:[0,1]
	v_mov_b32_e32 v82, v80
	v_pk_add_f32 v[36:37], v[82:83], v[34:35]
	v_mov_b32_e32 v6, v37
	v_pk_add_f32 v[50:51], v[36:37], v[6:7]
	v_pk_add_f32 v[68:69], v[2:3], v[50:51]
	v_mov_b32_e32 v37, v68
	v_pk_add_f32 v[70:71], v[36:37], v[80:81] neg_lo:[0,1] neg_hi:[0,1]
	v_mov_b32_e32 v35, v50
	v_sub_f32_e32 v2, v36, v70
	v_pk_add_f32 v[34:35], v[34:35], v[70:71] neg_lo:[0,1] neg_hi:[0,1]
	v_sub_f32_e32 v2, v80, v2
	s_mov_b32 s10, 0x7f800000
	v_add_f32_e32 v2, v34, v2
	s_mov_b32 s9, 0x33800000
	v_add_f32_e32 v2, v2, v35
	v_cmp_eq_f32_e32 vcc, s10, v33
	v_cmp_lt_f32_e64 s[10:11], |v33|, s9
	v_add_f32_e32 v2, v68, v2
	s_or_b64 vcc, vcc, s[10:11]
	v_cndmask_b32_e32 v2, v2, v33, vcc
	v_add_f32_e32 v2, v3, v2
	v_cvt_f16_f32_e32 v15, v2
	v_cvt_f32_f16_e32 v2, v15
	v_mov_b32_e32 v33, v15
.LBB381_342:
	s_or_b64 exec, exec, s[6:7]
	v_max_f32_e32 v3, v7, v7
	v_max_f32_e32 v34, v2, v2
	v_min_f32_e32 v6, v34, v3
	v_cmp_u_f16_e32 vcc, v15, v15
	v_max_f32_e32 v3, v34, v3
	v_cndmask_b32_e32 v6, v6, v2, vcc
	v_cndmask_b32_e32 v3, v3, v2, vcc
	v_cndmask_b32_e64 v6, v6, v7, s[12:13]
	v_cndmask_b32_e64 v3, v3, v7, s[12:13]
	v_cmp_neq_f32_e32 vcc, v6, v3
	v_cmp_class_f32_e64 s[6:7], v6, s8
	s_or_b64 s[8:9], vcc, s[6:7]
	v_mov_b32_e32 v34, v33
	s_and_saveexec_b64 s[6:7], s[8:9]
	s_cbranch_execz .LBB381_344
; %bb.343:
	v_sub_f32_e32 v2, v6, v3
	s_mov_b32 s8, 0x3fb8aa3b
	v_mul_f32_e32 v6, 0x3fb8aa3b, v2
	v_fma_f32 v7, v2, s8, -v6
	v_rndne_f32_e32 v15, v6
	v_fmac_f32_e32 v7, 0x32a5705f, v2
	v_sub_f32_e32 v6, v6, v15
	v_add_f32_e32 v6, v6, v7
	v_exp_f32_e32 v6, v6
	v_cvt_i32_f32_e32 v7, v15
	s_mov_b32 s8, 0xc2ce8ed0
	v_cmp_ngt_f32_e32 vcc, s8, v2
	s_mov_b32 s8, 0x42b17218
	v_ldexp_f32 v6, v6, v7
	v_cndmask_b32_e32 v6, 0, v6, vcc
	v_mov_b32_e32 v7, 0x7f800000
	v_cmp_nlt_f32_e32 vcc, s8, v2
	v_cndmask_b32_e32 v82, v7, v6, vcc
	v_add_f32_e32 v2, 1.0, v82
	v_add_f32_e32 v6, -1.0, v2
	v_sub_f32_e32 v7, v6, v2
	v_add_f32_e32 v7, 1.0, v7
	v_sub_f32_e32 v6, v82, v6
	v_add_f32_e32 v15, v6, v7
	v_frexp_mant_f32_e32 v34, v2
	s_mov_b32 s8, 0x3f2aaaab
	v_cvt_f64_f32_e32 v[6:7], v2
	v_frexp_exp_i32_f64_e32 v6, v[6:7]
	v_cmp_gt_f32_e32 vcc, s8, v34
	v_subbrev_co_u32_e32 v68, vcc, 0, v6, vcc
	v_sub_u32_e32 v6, 0, v68
	v_ldexp_f32 v2, v2, v6
	v_ldexp_f32 v6, v15, v6
	v_add_f32_e32 v15, -1.0, v2
	v_add_f32_e32 v7, 1.0, v15
	v_sub_f32_e32 v7, v2, v7
	v_add_f32_e32 v34, v6, v7
	v_add_f32_e32 v7, 1.0, v2
	v_add_f32_e32 v35, -1.0, v7
	v_sub_f32_e32 v2, v2, v35
	v_add_f32_e32 v2, v6, v2
	v_add_f32_e32 v69, v7, v2
	v_rcp_f32_e32 v70, v69
	v_sub_f32_e32 v6, v7, v69
	v_add_f32_e32 v7, v15, v34
	v_add_f32_e32 v2, v2, v6
	v_sub_f32_e32 v6, v15, v7
	v_mul_f32_e32 v71, v7, v70
	v_add_f32_e32 v15, v34, v6
	v_mul_f32_e32 v34, v69, v71
	v_fma_f32 v36, v71, v69, -v34
	v_fmac_f32_e32 v36, v71, v2
	v_add_f32_e32 v6, v34, v36
	v_sub_f32_e32 v35, v7, v6
	v_pk_add_f32 v[50:51], v[6:7], v[34:35] neg_lo:[0,1] neg_hi:[0,1]
	v_mov_b32_e32 v37, v6
	v_pk_add_f32 v[6:7], v[50:51], v[36:37] neg_lo:[0,1] neg_hi:[0,1]
	v_add_f32_e32 v7, v15, v7
	v_add_f32_e32 v6, v6, v7
	;; [unrolled: 1-line block ×3, first 2 shown]
	v_mul_f32_e32 v15, v70, v7
	v_mul_f32_e32 v34, v69, v15
	v_fma_f32 v36, v15, v69, -v34
	v_fmac_f32_e32 v36, v15, v2
	v_sub_f32_e32 v2, v35, v7
	v_add_f32_e32 v2, v6, v2
	v_add_f32_e32 v6, v34, v36
	v_sub_f32_e32 v35, v7, v6
	v_pk_add_f32 v[50:51], v[6:7], v[34:35] neg_lo:[0,1] neg_hi:[0,1]
	v_mov_b32_e32 v37, v6
	v_pk_add_f32 v[6:7], v[50:51], v[36:37] neg_lo:[0,1] neg_hi:[0,1]
	v_add_f32_e32 v2, v2, v7
	v_add_f32_e32 v2, v6, v2
	;; [unrolled: 1-line block ×4, first 2 shown]
	v_sub_f32_e32 v7, v6, v71
	v_mul_f32_e32 v2, v70, v2
	v_sub_f32_e32 v7, v15, v7
	v_add_f32_e32 v2, v7, v2
	v_add_f32_e32 v15, v6, v2
	v_mul_f32_e32 v35, v15, v15
	v_mov_b32_e32 v34, 0x3ecc95a3
	v_fmac_f32_e32 v34, 0x3e9b6dac, v35
	v_mov_b32_e32 v7, 0x3f2aaada
	v_fmac_f32_e32 v7, v35, v34
	v_cvt_f32_i32_e32 v34, v68
	v_sub_f32_e32 v6, v15, v6
	v_sub_f32_e32 v2, v2, v6
	v_mul_f32_e32 v35, v15, v35
	v_mov_b32_e32 v6, 0x3f317218
	s_mov_b32 s8, 0x3f317218
	v_pk_mul_f32 v[6:7], v[34:35], v[6:7]
	v_fma_f32 v36, v34, s8, -v6
	v_ldexp_f32 v37, v15, 1
	v_fmac_f32_e32 v36, 0xb102e308, v34
	v_pk_add_f32 v[34:35], v[6:7], v[36:37]
	v_sub_f32_e32 v15, v35, v37
	v_ldexp_f32 v2, v2, 1
	v_sub_f32_e32 v15, v7, v15
	v_add_f32_e32 v51, v2, v15
	v_mov_b32_e32 v50, v6
	v_pk_add_f32 v[6:7], v[34:35], v[6:7] neg_lo:[0,1] neg_hi:[0,1]
	v_pk_add_f32 v[68:69], v[34:35], v[50:51]
	v_mov_b32_e32 v7, v69
	v_mov_b32_e32 v37, v34
	v_pk_add_f32 v[70:71], v[36:37], v[6:7] neg_lo:[0,1] neg_hi:[0,1]
	v_pk_add_f32 v[6:7], v[36:37], v[6:7]
	v_mov_b32_e32 v2, v7
	v_pk_add_f32 v[36:37], v[2:3], v[34:35] neg_lo:[0,1] neg_hi:[0,1]
	v_mov_b32_e32 v15, v36
	v_pk_add_f32 v[80:81], v[68:69], v[14:15] neg_lo:[0,1] neg_hi:[0,1]
	v_mov_b32_e32 v6, v69
	v_mov_b32_e32 v68, v35
	;; [unrolled: 1-line block ×4, first 2 shown]
	v_pk_add_f32 v[6:7], v[6:7], v[68:69] neg_lo:[0,1] neg_hi:[0,1]
	v_mov_b32_e32 v36, v51
	v_mov_b32_e32 v37, v34
	v_pk_add_f32 v[6:7], v[36:37], v[6:7] neg_lo:[0,1] neg_hi:[0,1]
	v_mov_b32_e32 v80, v70
	v_pk_add_f32 v[34:35], v[80:81], v[6:7]
	v_mov_b32_e32 v36, v35
	v_pk_add_f32 v[36:37], v[34:35], v[36:37]
	v_pk_add_f32 v[50:51], v[2:3], v[36:37]
	v_mov_b32_e32 v35, v50
	v_pk_add_f32 v[68:69], v[34:35], v[70:71] neg_lo:[0,1] neg_hi:[0,1]
	v_mov_b32_e32 v7, v36
	v_sub_f32_e32 v2, v34, v68
	v_pk_add_f32 v[6:7], v[6:7], v[68:69] neg_lo:[0,1] neg_hi:[0,1]
	v_sub_f32_e32 v2, v70, v2
	s_mov_b32 s9, 0x7f800000
	v_add_f32_e32 v2, v6, v2
	s_mov_b32 s8, 0x33800000
	v_add_f32_e32 v2, v2, v7
	v_cmp_eq_f32_e32 vcc, s9, v82
	v_cmp_lt_f32_e64 s[8:9], |v82|, s8
	v_add_f32_e32 v2, v50, v2
	s_or_b64 vcc, vcc, s[8:9]
	v_cndmask_b32_e32 v2, v2, v82, vcc
	v_add_f32_e32 v2, v3, v2
	v_cvt_f16_f32_e32 v15, v2
	v_cvt_f32_f16_e32 v2, v15
	v_mov_b32_e32 v34, v15
.LBB381_344:
	s_or_b64 exec, exec, s[6:7]
	v_max_f32_e32 v3, v20, v20
	v_max_f32_e32 v7, v2, v2
	v_min_f32_e32 v6, v7, v3
	v_cmp_u_f16_e32 vcc, v15, v15
	v_max_f32_e32 v3, v7, v3
	v_cndmask_b32_e32 v6, v6, v2, vcc
	v_cndmask_b32_e32 v3, v3, v2, vcc
	v_cndmask_b32_e64 v6, v6, v20, s[14:15]
	v_cndmask_b32_e64 v3, v3, v20, s[14:15]
	s_movk_i32 s8, 0x1f8
	v_cmp_neq_f32_e32 vcc, v6, v3
	v_cmp_class_f32_e64 s[6:7], v6, s8
	s_or_b64 s[10:11], vcc, s[6:7]
	v_mov_b32_e32 v35, v34
	s_and_saveexec_b64 s[6:7], s[10:11]
	s_cbranch_execz .LBB381_346
; %bb.345:
	v_sub_f32_e32 v2, v6, v3
	s_mov_b32 s9, 0x3fb8aa3b
	v_mul_f32_e32 v6, 0x3fb8aa3b, v2
	v_fma_f32 v7, v2, s9, -v6
	v_rndne_f32_e32 v15, v6
	v_fmac_f32_e32 v7, 0x32a5705f, v2
	v_sub_f32_e32 v6, v6, v15
	v_add_f32_e32 v6, v6, v7
	v_exp_f32_e32 v6, v6
	v_cvt_i32_f32_e32 v7, v15
	s_mov_b32 s9, 0xc2ce8ed0
	v_cmp_ngt_f32_e32 vcc, s9, v2
	s_mov_b32 s9, 0x42b17218
	v_ldexp_f32 v6, v6, v7
	v_cndmask_b32_e32 v6, 0, v6, vcc
	v_mov_b32_e32 v7, 0x7f800000
	v_cmp_nlt_f32_e32 vcc, s9, v2
	v_cndmask_b32_e32 v35, v7, v6, vcc
	v_add_f32_e32 v2, 1.0, v35
	v_add_f32_e32 v6, -1.0, v2
	v_sub_f32_e32 v7, v6, v2
	v_add_f32_e32 v7, 1.0, v7
	v_sub_f32_e32 v6, v35, v6
	v_add_f32_e32 v15, v6, v7
	v_frexp_mant_f32_e32 v20, v2
	s_mov_b32 s9, 0x3f2aaaab
	v_cvt_f64_f32_e32 v[6:7], v2
	v_frexp_exp_i32_f64_e32 v6, v[6:7]
	v_cmp_gt_f32_e32 vcc, s9, v20
	v_subbrev_co_u32_e32 v20, vcc, 0, v6, vcc
	v_sub_u32_e32 v6, 0, v20
	v_ldexp_f32 v2, v2, v6
	v_ldexp_f32 v6, v15, v6
	v_add_f32_e32 v15, -1.0, v2
	v_add_f32_e32 v7, 1.0, v15
	v_sub_f32_e32 v7, v2, v7
	v_add_f32_e32 v36, v6, v7
	v_add_f32_e32 v7, 1.0, v2
	v_add_f32_e32 v37, -1.0, v7
	v_sub_f32_e32 v2, v2, v37
	v_add_f32_e32 v2, v6, v2
	v_add_f32_e32 v70, v7, v2
	v_rcp_f32_e32 v71, v70
	v_sub_f32_e32 v6, v7, v70
	v_add_f32_e32 v7, v15, v36
	v_add_f32_e32 v2, v2, v6
	v_sub_f32_e32 v6, v15, v7
	v_mul_f32_e32 v80, v7, v71
	v_add_f32_e32 v15, v36, v6
	v_mul_f32_e32 v36, v70, v80
	v_fma_f32 v50, v80, v70, -v36
	v_fmac_f32_e32 v50, v80, v2
	v_add_f32_e32 v6, v36, v50
	v_sub_f32_e32 v37, v7, v6
	v_pk_add_f32 v[68:69], v[6:7], v[36:37] neg_lo:[0,1] neg_hi:[0,1]
	v_mov_b32_e32 v51, v6
	v_pk_add_f32 v[6:7], v[68:69], v[50:51] neg_lo:[0,1] neg_hi:[0,1]
	v_add_f32_e32 v7, v15, v7
	v_add_f32_e32 v6, v6, v7
	;; [unrolled: 1-line block ×3, first 2 shown]
	v_mul_f32_e32 v15, v71, v7
	v_mul_f32_e32 v36, v70, v15
	v_fma_f32 v50, v15, v70, -v36
	v_fmac_f32_e32 v50, v15, v2
	v_sub_f32_e32 v2, v37, v7
	v_add_f32_e32 v2, v6, v2
	v_add_f32_e32 v6, v36, v50
	v_sub_f32_e32 v37, v7, v6
	v_pk_add_f32 v[68:69], v[6:7], v[36:37] neg_lo:[0,1] neg_hi:[0,1]
	v_mov_b32_e32 v51, v6
	v_pk_add_f32 v[6:7], v[68:69], v[50:51] neg_lo:[0,1] neg_hi:[0,1]
	v_add_f32_e32 v2, v2, v7
	v_add_f32_e32 v2, v6, v2
	;; [unrolled: 1-line block ×4, first 2 shown]
	v_sub_f32_e32 v7, v6, v80
	v_mul_f32_e32 v2, v71, v2
	v_sub_f32_e32 v7, v15, v7
	v_add_f32_e32 v2, v7, v2
	v_add_f32_e32 v15, v6, v2
	v_mul_f32_e32 v37, v15, v15
	v_mov_b32_e32 v36, 0x3ecc95a3
	v_fmac_f32_e32 v36, 0x3e9b6dac, v37
	v_mov_b32_e32 v7, 0x3f2aaada
	v_fmac_f32_e32 v7, v37, v36
	v_cvt_f32_i32_e32 v36, v20
	v_sub_f32_e32 v6, v15, v6
	v_sub_f32_e32 v2, v2, v6
	v_mul_f32_e32 v37, v15, v37
	v_mov_b32_e32 v6, 0x3f317218
	s_mov_b32 s9, 0x3f317218
	v_pk_mul_f32 v[6:7], v[36:37], v[6:7]
	v_fma_f32 v50, v36, s9, -v6
	v_ldexp_f32 v51, v15, 1
	v_fmac_f32_e32 v50, 0xb102e308, v36
	v_pk_add_f32 v[36:37], v[6:7], v[50:51]
	v_sub_f32_e32 v15, v37, v51
	v_ldexp_f32 v2, v2, 1
	v_sub_f32_e32 v15, v7, v15
	v_add_f32_e32 v69, v2, v15
	v_mov_b32_e32 v68, v6
	v_pk_add_f32 v[6:7], v[36:37], v[6:7] neg_lo:[0,1] neg_hi:[0,1]
	v_pk_add_f32 v[70:71], v[36:37], v[68:69]
	v_mov_b32_e32 v7, v71
	v_mov_b32_e32 v51, v36
	v_pk_add_f32 v[80:81], v[50:51], v[6:7] neg_lo:[0,1] neg_hi:[0,1]
	v_pk_add_f32 v[6:7], v[50:51], v[6:7]
	v_mov_b32_e32 v2, v7
	v_pk_add_f32 v[50:51], v[2:3], v[36:37] neg_lo:[0,1] neg_hi:[0,1]
	v_mov_b32_e32 v15, v50
	v_pk_add_f32 v[82:83], v[70:71], v[14:15] neg_lo:[0,1] neg_hi:[0,1]
	v_mov_b32_e32 v6, v71
	v_mov_b32_e32 v70, v37
	;; [unrolled: 1-line block ×4, first 2 shown]
	v_pk_add_f32 v[6:7], v[6:7], v[70:71] neg_lo:[0,1] neg_hi:[0,1]
	v_mov_b32_e32 v50, v69
	v_mov_b32_e32 v51, v36
	v_pk_add_f32 v[6:7], v[50:51], v[6:7] neg_lo:[0,1] neg_hi:[0,1]
	v_mov_b32_e32 v82, v80
	v_pk_add_f32 v[36:37], v[82:83], v[6:7]
	v_mov_b32_e32 v20, v37
	v_pk_add_f32 v[50:51], v[36:37], v[20:21]
	v_pk_add_f32 v[68:69], v[2:3], v[50:51]
	v_mov_b32_e32 v37, v68
	v_pk_add_f32 v[70:71], v[36:37], v[80:81] neg_lo:[0,1] neg_hi:[0,1]
	v_mov_b32_e32 v7, v50
	v_sub_f32_e32 v2, v36, v70
	v_pk_add_f32 v[6:7], v[6:7], v[70:71] neg_lo:[0,1] neg_hi:[0,1]
	v_sub_f32_e32 v2, v80, v2
	s_mov_b32 s10, 0x7f800000
	v_add_f32_e32 v2, v6, v2
	s_mov_b32 s9, 0x33800000
	v_add_f32_e32 v2, v2, v7
	v_cmp_eq_f32_e32 vcc, s10, v35
	v_cmp_lt_f32_e64 s[10:11], |v35|, s9
	v_add_f32_e32 v2, v68, v2
	s_or_b64 vcc, vcc, s[10:11]
	v_cndmask_b32_e32 v2, v2, v35, vcc
	v_add_f32_e32 v2, v3, v2
	v_cvt_f16_f32_e32 v15, v2
	v_cvt_f32_f16_e32 v2, v15
	v_mov_b32_e32 v35, v15
.LBB381_346:
	s_or_b64 exec, exec, s[6:7]
	v_max_f32_e32 v3, v21, v21
	v_max_f32_e32 v7, v2, v2
	v_min_f32_e32 v6, v7, v3
	v_cmp_u_f16_e32 vcc, v15, v15
	v_max_f32_e32 v3, v7, v3
	v_cndmask_b32_e32 v6, v6, v2, vcc
	v_cndmask_b32_e32 v3, v3, v2, vcc
	v_cndmask_b32_e64 v6, v6, v21, s[16:17]
	v_cndmask_b32_e64 v3, v3, v21, s[16:17]
	v_cmp_neq_f32_e32 vcc, v6, v3
	v_cmp_class_f32_e64 s[6:7], v6, s8
	s_or_b64 s[8:9], vcc, s[6:7]
	v_mov_b32_e32 v36, v35
	s_and_saveexec_b64 s[6:7], s[8:9]
	s_cbranch_execz .LBB381_348
; %bb.347:
	v_sub_f32_e32 v2, v6, v3
	s_mov_b32 s8, 0x3fb8aa3b
	v_mul_f32_e32 v6, 0x3fb8aa3b, v2
	v_fma_f32 v7, v2, s8, -v6
	v_rndne_f32_e32 v15, v6
	v_fmac_f32_e32 v7, 0x32a5705f, v2
	v_sub_f32_e32 v6, v6, v15
	v_add_f32_e32 v6, v6, v7
	v_exp_f32_e32 v6, v6
	v_cvt_i32_f32_e32 v7, v15
	s_mov_b32 s8, 0xc2ce8ed0
	v_cmp_ngt_f32_e32 vcc, s8, v2
	s_mov_b32 s8, 0x42b17218
	v_ldexp_f32 v6, v6, v7
	v_cndmask_b32_e32 v6, 0, v6, vcc
	v_mov_b32_e32 v7, 0x7f800000
	v_cmp_nlt_f32_e32 vcc, s8, v2
	v_cndmask_b32_e32 v82, v7, v6, vcc
	v_add_f32_e32 v2, 1.0, v82
	v_add_f32_e32 v6, -1.0, v2
	v_sub_f32_e32 v7, v6, v2
	v_add_f32_e32 v7, 1.0, v7
	v_sub_f32_e32 v6, v82, v6
	v_add_f32_e32 v15, v6, v7
	v_frexp_mant_f32_e32 v20, v2
	s_mov_b32 s8, 0x3f2aaaab
	v_cvt_f64_f32_e32 v[6:7], v2
	v_frexp_exp_i32_f64_e32 v6, v[6:7]
	v_cmp_gt_f32_e32 vcc, s8, v20
	v_subbrev_co_u32_e32 v68, vcc, 0, v6, vcc
	v_sub_u32_e32 v6, 0, v68
	v_ldexp_f32 v2, v2, v6
	v_ldexp_f32 v6, v15, v6
	v_add_f32_e32 v15, -1.0, v2
	v_add_f32_e32 v7, 1.0, v15
	v_sub_f32_e32 v7, v2, v7
	v_add_f32_e32 v20, v6, v7
	v_add_f32_e32 v7, 1.0, v2
	v_add_f32_e32 v21, -1.0, v7
	v_sub_f32_e32 v2, v2, v21
	v_add_f32_e32 v2, v6, v2
	v_add_f32_e32 v69, v7, v2
	v_rcp_f32_e32 v70, v69
	v_sub_f32_e32 v6, v7, v69
	v_add_f32_e32 v7, v15, v20
	v_add_f32_e32 v2, v2, v6
	v_sub_f32_e32 v6, v15, v7
	v_mul_f32_e32 v71, v7, v70
	v_add_f32_e32 v15, v20, v6
	v_mul_f32_e32 v20, v69, v71
	v_fma_f32 v36, v71, v69, -v20
	v_fmac_f32_e32 v36, v71, v2
	v_add_f32_e32 v6, v20, v36
	v_sub_f32_e32 v21, v7, v6
	v_pk_add_f32 v[50:51], v[6:7], v[20:21] neg_lo:[0,1] neg_hi:[0,1]
	v_mov_b32_e32 v37, v6
	v_pk_add_f32 v[6:7], v[50:51], v[36:37] neg_lo:[0,1] neg_hi:[0,1]
	v_add_f32_e32 v7, v15, v7
	v_add_f32_e32 v6, v6, v7
	;; [unrolled: 1-line block ×3, first 2 shown]
	v_mul_f32_e32 v15, v70, v7
	v_mul_f32_e32 v20, v69, v15
	v_fma_f32 v36, v15, v69, -v20
	v_fmac_f32_e32 v36, v15, v2
	v_sub_f32_e32 v2, v21, v7
	v_add_f32_e32 v2, v6, v2
	v_add_f32_e32 v6, v20, v36
	v_sub_f32_e32 v21, v7, v6
	v_pk_add_f32 v[50:51], v[6:7], v[20:21] neg_lo:[0,1] neg_hi:[0,1]
	v_mov_b32_e32 v37, v6
	v_pk_add_f32 v[6:7], v[50:51], v[36:37] neg_lo:[0,1] neg_hi:[0,1]
	v_add_f32_e32 v2, v2, v7
	v_add_f32_e32 v2, v6, v2
	;; [unrolled: 1-line block ×4, first 2 shown]
	v_sub_f32_e32 v7, v6, v71
	v_mul_f32_e32 v2, v70, v2
	v_sub_f32_e32 v7, v15, v7
	v_add_f32_e32 v2, v7, v2
	v_add_f32_e32 v15, v6, v2
	v_mul_f32_e32 v21, v15, v15
	v_mov_b32_e32 v20, 0x3ecc95a3
	v_fmac_f32_e32 v20, 0x3e9b6dac, v21
	v_mov_b32_e32 v7, 0x3f2aaada
	v_fmac_f32_e32 v7, v21, v20
	v_cvt_f32_i32_e32 v20, v68
	v_sub_f32_e32 v6, v15, v6
	v_sub_f32_e32 v2, v2, v6
	v_mul_f32_e32 v21, v15, v21
	v_mov_b32_e32 v6, 0x3f317218
	s_mov_b32 s8, 0x3f317218
	v_pk_mul_f32 v[6:7], v[20:21], v[6:7]
	v_fma_f32 v36, v20, s8, -v6
	v_ldexp_f32 v37, v15, 1
	v_fmac_f32_e32 v36, 0xb102e308, v20
	v_pk_add_f32 v[20:21], v[6:7], v[36:37]
	v_sub_f32_e32 v15, v21, v37
	v_ldexp_f32 v2, v2, 1
	v_sub_f32_e32 v15, v7, v15
	v_add_f32_e32 v51, v2, v15
	v_mov_b32_e32 v50, v6
	v_pk_add_f32 v[6:7], v[20:21], v[6:7] neg_lo:[0,1] neg_hi:[0,1]
	v_pk_add_f32 v[68:69], v[20:21], v[50:51]
	v_mov_b32_e32 v7, v69
	v_mov_b32_e32 v37, v20
	v_pk_add_f32 v[70:71], v[36:37], v[6:7] neg_lo:[0,1] neg_hi:[0,1]
	v_pk_add_f32 v[6:7], v[36:37], v[6:7]
	v_mov_b32_e32 v2, v7
	v_pk_add_f32 v[36:37], v[2:3], v[20:21] neg_lo:[0,1] neg_hi:[0,1]
	v_mov_b32_e32 v15, v36
	v_pk_add_f32 v[80:81], v[68:69], v[14:15] neg_lo:[0,1] neg_hi:[0,1]
	v_mov_b32_e32 v6, v69
	v_mov_b32_e32 v68, v21
	;; [unrolled: 1-line block ×4, first 2 shown]
	v_pk_add_f32 v[6:7], v[6:7], v[68:69] neg_lo:[0,1] neg_hi:[0,1]
	v_mov_b32_e32 v36, v51
	v_mov_b32_e32 v37, v20
	v_pk_add_f32 v[6:7], v[36:37], v[6:7] neg_lo:[0,1] neg_hi:[0,1]
	v_mov_b32_e32 v80, v70
	v_pk_add_f32 v[20:21], v[80:81], v[6:7]
	v_mov_b32_e32 v36, v21
	v_pk_add_f32 v[36:37], v[20:21], v[36:37]
	v_pk_add_f32 v[50:51], v[2:3], v[36:37]
	v_mov_b32_e32 v21, v50
	v_pk_add_f32 v[68:69], v[20:21], v[70:71] neg_lo:[0,1] neg_hi:[0,1]
	v_mov_b32_e32 v7, v36
	v_sub_f32_e32 v2, v20, v68
	v_pk_add_f32 v[6:7], v[6:7], v[68:69] neg_lo:[0,1] neg_hi:[0,1]
	v_sub_f32_e32 v2, v70, v2
	s_mov_b32 s9, 0x7f800000
	v_add_f32_e32 v2, v6, v2
	s_mov_b32 s8, 0x33800000
	v_add_f32_e32 v2, v2, v7
	v_cmp_eq_f32_e32 vcc, s9, v82
	v_cmp_lt_f32_e64 s[8:9], |v82|, s8
	v_add_f32_e32 v2, v50, v2
	s_or_b64 vcc, vcc, s[8:9]
	v_cndmask_b32_e32 v2, v2, v82, vcc
	v_add_f32_e32 v2, v3, v2
	v_cvt_f16_f32_e32 v15, v2
	v_cvt_f32_f16_e32 v2, v15
	v_mov_b32_e32 v36, v15
.LBB381_348:
	s_or_b64 exec, exec, s[6:7]
	v_max_f32_e32 v3, v22, v22
	v_max_f32_e32 v7, v2, v2
	v_min_f32_e32 v6, v7, v3
	v_cmp_u_f16_e32 vcc, v15, v15
	v_max_f32_e32 v3, v7, v3
	v_cndmask_b32_e32 v6, v6, v2, vcc
	v_cndmask_b32_e32 v3, v3, v2, vcc
	v_cndmask_b32_e64 v6, v6, v22, s[18:19]
	v_cndmask_b32_e64 v3, v3, v22, s[18:19]
	s_movk_i32 s8, 0x1f8
	v_cmp_neq_f32_e32 vcc, v6, v3
	v_cmp_class_f32_e64 s[6:7], v6, s8
	s_or_b64 s[10:11], vcc, s[6:7]
	v_mov_b32_e32 v37, v36
	s_and_saveexec_b64 s[6:7], s[10:11]
	s_cbranch_execz .LBB381_350
; %bb.349:
	v_sub_f32_e32 v2, v6, v3
	s_mov_b32 s9, 0x3fb8aa3b
	v_mul_f32_e32 v6, 0x3fb8aa3b, v2
	v_fma_f32 v7, v2, s9, -v6
	v_rndne_f32_e32 v15, v6
	v_fmac_f32_e32 v7, 0x32a5705f, v2
	v_sub_f32_e32 v6, v6, v15
	v_add_f32_e32 v6, v6, v7
	v_exp_f32_e32 v6, v6
	v_cvt_i32_f32_e32 v7, v15
	s_mov_b32 s9, 0xc2ce8ed0
	v_cmp_ngt_f32_e32 vcc, s9, v2
	s_mov_b32 s9, 0x42b17218
	v_ldexp_f32 v6, v6, v7
	v_cndmask_b32_e32 v6, 0, v6, vcc
	v_mov_b32_e32 v7, 0x7f800000
	v_cmp_nlt_f32_e32 vcc, s9, v2
	v_cndmask_b32_e32 v37, v7, v6, vcc
	v_add_f32_e32 v2, 1.0, v37
	v_add_f32_e32 v6, -1.0, v2
	v_sub_f32_e32 v7, v6, v2
	v_add_f32_e32 v7, 1.0, v7
	v_sub_f32_e32 v6, v37, v6
	v_add_f32_e32 v15, v6, v7
	v_frexp_mant_f32_e32 v20, v2
	s_mov_b32 s9, 0x3f2aaaab
	v_cvt_f64_f32_e32 v[6:7], v2
	v_frexp_exp_i32_f64_e32 v6, v[6:7]
	v_cmp_gt_f32_e32 vcc, s9, v20
	v_subbrev_co_u32_e32 v22, vcc, 0, v6, vcc
	v_sub_u32_e32 v6, 0, v22
	v_ldexp_f32 v2, v2, v6
	v_ldexp_f32 v6, v15, v6
	v_add_f32_e32 v15, -1.0, v2
	v_add_f32_e32 v7, 1.0, v15
	v_sub_f32_e32 v7, v2, v7
	v_add_f32_e32 v20, v6, v7
	v_add_f32_e32 v7, 1.0, v2
	v_add_f32_e32 v21, -1.0, v7
	v_sub_f32_e32 v2, v2, v21
	v_add_f32_e32 v2, v6, v2
	v_add_f32_e32 v70, v7, v2
	v_rcp_f32_e32 v71, v70
	v_sub_f32_e32 v6, v7, v70
	v_add_f32_e32 v7, v15, v20
	v_add_f32_e32 v2, v2, v6
	v_sub_f32_e32 v6, v15, v7
	v_mul_f32_e32 v80, v7, v71
	v_add_f32_e32 v15, v20, v6
	v_mul_f32_e32 v20, v70, v80
	v_fma_f32 v50, v80, v70, -v20
	v_fmac_f32_e32 v50, v80, v2
	v_add_f32_e32 v6, v20, v50
	v_sub_f32_e32 v21, v7, v6
	v_pk_add_f32 v[68:69], v[6:7], v[20:21] neg_lo:[0,1] neg_hi:[0,1]
	v_mov_b32_e32 v51, v6
	v_pk_add_f32 v[6:7], v[68:69], v[50:51] neg_lo:[0,1] neg_hi:[0,1]
	v_add_f32_e32 v7, v15, v7
	v_add_f32_e32 v6, v6, v7
	;; [unrolled: 1-line block ×3, first 2 shown]
	v_mul_f32_e32 v15, v71, v7
	v_mul_f32_e32 v20, v70, v15
	v_fma_f32 v50, v15, v70, -v20
	v_fmac_f32_e32 v50, v15, v2
	v_sub_f32_e32 v2, v21, v7
	v_add_f32_e32 v2, v6, v2
	v_add_f32_e32 v6, v20, v50
	v_sub_f32_e32 v21, v7, v6
	v_pk_add_f32 v[68:69], v[6:7], v[20:21] neg_lo:[0,1] neg_hi:[0,1]
	v_mov_b32_e32 v51, v6
	v_pk_add_f32 v[6:7], v[68:69], v[50:51] neg_lo:[0,1] neg_hi:[0,1]
	v_add_f32_e32 v2, v2, v7
	v_add_f32_e32 v2, v6, v2
	;; [unrolled: 1-line block ×4, first 2 shown]
	v_sub_f32_e32 v7, v6, v80
	v_mul_f32_e32 v2, v71, v2
	v_sub_f32_e32 v7, v15, v7
	v_add_f32_e32 v2, v7, v2
	v_add_f32_e32 v15, v6, v2
	v_mul_f32_e32 v21, v15, v15
	v_mov_b32_e32 v20, 0x3ecc95a3
	v_fmac_f32_e32 v20, 0x3e9b6dac, v21
	v_mov_b32_e32 v7, 0x3f2aaada
	v_fmac_f32_e32 v7, v21, v20
	v_cvt_f32_i32_e32 v20, v22
	v_sub_f32_e32 v6, v15, v6
	v_sub_f32_e32 v2, v2, v6
	v_mul_f32_e32 v21, v15, v21
	v_mov_b32_e32 v6, 0x3f317218
	s_mov_b32 s9, 0x3f317218
	v_pk_mul_f32 v[6:7], v[20:21], v[6:7]
	v_fma_f32 v50, v20, s9, -v6
	v_ldexp_f32 v51, v15, 1
	v_fmac_f32_e32 v50, 0xb102e308, v20
	v_pk_add_f32 v[20:21], v[6:7], v[50:51]
	v_sub_f32_e32 v15, v21, v51
	v_ldexp_f32 v2, v2, 1
	v_sub_f32_e32 v15, v7, v15
	v_add_f32_e32 v69, v2, v15
	v_mov_b32_e32 v68, v6
	v_pk_add_f32 v[6:7], v[20:21], v[6:7] neg_lo:[0,1] neg_hi:[0,1]
	v_pk_add_f32 v[70:71], v[20:21], v[68:69]
	v_mov_b32_e32 v7, v71
	v_mov_b32_e32 v51, v20
	v_pk_add_f32 v[80:81], v[50:51], v[6:7] neg_lo:[0,1] neg_hi:[0,1]
	v_pk_add_f32 v[6:7], v[50:51], v[6:7]
	v_mov_b32_e32 v2, v7
	v_pk_add_f32 v[50:51], v[2:3], v[20:21] neg_lo:[0,1] neg_hi:[0,1]
	v_mov_b32_e32 v15, v50
	v_pk_add_f32 v[82:83], v[70:71], v[14:15] neg_lo:[0,1] neg_hi:[0,1]
	v_mov_b32_e32 v6, v71
	v_mov_b32_e32 v70, v21
	;; [unrolled: 1-line block ×4, first 2 shown]
	v_pk_add_f32 v[6:7], v[6:7], v[70:71] neg_lo:[0,1] neg_hi:[0,1]
	v_mov_b32_e32 v50, v69
	v_mov_b32_e32 v51, v20
	v_pk_add_f32 v[6:7], v[50:51], v[6:7] neg_lo:[0,1] neg_hi:[0,1]
	v_mov_b32_e32 v82, v80
	v_pk_add_f32 v[20:21], v[82:83], v[6:7]
	v_mov_b32_e32 v22, v21
	v_pk_add_f32 v[50:51], v[20:21], v[22:23]
	v_pk_add_f32 v[68:69], v[2:3], v[50:51]
	v_mov_b32_e32 v21, v68
	v_pk_add_f32 v[70:71], v[20:21], v[80:81] neg_lo:[0,1] neg_hi:[0,1]
	v_mov_b32_e32 v7, v50
	v_sub_f32_e32 v2, v20, v70
	v_pk_add_f32 v[6:7], v[6:7], v[70:71] neg_lo:[0,1] neg_hi:[0,1]
	v_sub_f32_e32 v2, v80, v2
	s_mov_b32 s10, 0x7f800000
	v_add_f32_e32 v2, v6, v2
	s_mov_b32 s9, 0x33800000
	v_add_f32_e32 v2, v2, v7
	v_cmp_eq_f32_e32 vcc, s10, v37
	v_cmp_lt_f32_e64 s[10:11], |v37|, s9
	v_add_f32_e32 v2, v68, v2
	s_or_b64 vcc, vcc, s[10:11]
	v_cndmask_b32_e32 v2, v2, v37, vcc
	v_add_f32_e32 v2, v3, v2
	v_cvt_f16_f32_e32 v15, v2
	v_cvt_f32_f16_e32 v2, v15
	v_mov_b32_e32 v37, v15
.LBB381_350:
	s_or_b64 exec, exec, s[6:7]
	v_max_f32_e32 v3, v23, v23
	v_max_f32_e32 v7, v2, v2
	v_min_f32_e32 v6, v7, v3
	v_cmp_u_f16_e32 vcc, v15, v15
	v_max_f32_e32 v3, v7, v3
	v_cndmask_b32_e32 v6, v6, v2, vcc
	v_cndmask_b32_e32 v3, v3, v2, vcc
	v_cndmask_b32_e64 v6, v6, v23, s[20:21]
	v_cndmask_b32_e64 v3, v3, v23, s[20:21]
	v_cmp_neq_f32_e32 vcc, v6, v3
	v_cmp_class_f32_e64 s[6:7], v6, s8
	s_or_b64 s[8:9], vcc, s[6:7]
	v_mov_b32_e32 v51, v37
	s_and_saveexec_b64 s[6:7], s[8:9]
	s_cbranch_execz .LBB381_352
; %bb.351:
	v_sub_f32_e32 v2, v6, v3
	s_mov_b32 s8, 0x3fb8aa3b
	v_mul_f32_e32 v6, 0x3fb8aa3b, v2
	v_fma_f32 v7, v2, s8, -v6
	v_rndne_f32_e32 v15, v6
	v_fmac_f32_e32 v7, 0x32a5705f, v2
	v_sub_f32_e32 v6, v6, v15
	v_add_f32_e32 v6, v6, v7
	v_exp_f32_e32 v6, v6
	v_cvt_i32_f32_e32 v7, v15
	s_mov_b32 s8, 0xc2ce8ed0
	v_cmp_ngt_f32_e32 vcc, s8, v2
	s_mov_b32 s8, 0x42b17218
	v_ldexp_f32 v6, v6, v7
	v_cndmask_b32_e32 v6, 0, v6, vcc
	v_mov_b32_e32 v7, 0x7f800000
	v_cmp_nlt_f32_e32 vcc, s8, v2
	v_cndmask_b32_e32 v82, v7, v6, vcc
	v_add_f32_e32 v2, 1.0, v82
	v_add_f32_e32 v6, -1.0, v2
	v_sub_f32_e32 v7, v6, v2
	v_add_f32_e32 v7, 1.0, v7
	v_sub_f32_e32 v6, v82, v6
	v_add_f32_e32 v15, v6, v7
	v_frexp_mant_f32_e32 v20, v2
	s_mov_b32 s8, 0x3f2aaaab
	v_cvt_f64_f32_e32 v[6:7], v2
	v_frexp_exp_i32_f64_e32 v6, v[6:7]
	v_cmp_gt_f32_e32 vcc, s8, v20
	v_subbrev_co_u32_e32 v68, vcc, 0, v6, vcc
	v_sub_u32_e32 v6, 0, v68
	v_ldexp_f32 v2, v2, v6
	v_ldexp_f32 v6, v15, v6
	v_add_f32_e32 v15, -1.0, v2
	v_add_f32_e32 v7, 1.0, v15
	v_sub_f32_e32 v7, v2, v7
	v_add_f32_e32 v20, v6, v7
	v_add_f32_e32 v7, 1.0, v2
	v_add_f32_e32 v21, -1.0, v7
	v_sub_f32_e32 v2, v2, v21
	v_add_f32_e32 v2, v6, v2
	v_add_f32_e32 v69, v7, v2
	v_rcp_f32_e32 v70, v69
	v_sub_f32_e32 v6, v7, v69
	v_add_f32_e32 v7, v15, v20
	v_add_f32_e32 v2, v2, v6
	v_sub_f32_e32 v6, v15, v7
	v_mul_f32_e32 v71, v7, v70
	v_add_f32_e32 v15, v20, v6
	v_mul_f32_e32 v20, v69, v71
	v_fma_f32 v22, v71, v69, -v20
	v_fmac_f32_e32 v22, v71, v2
	v_add_f32_e32 v6, v20, v22
	v_sub_f32_e32 v21, v7, v6
	v_pk_add_f32 v[50:51], v[6:7], v[20:21] neg_lo:[0,1] neg_hi:[0,1]
	v_mov_b32_e32 v23, v6
	v_pk_add_f32 v[6:7], v[50:51], v[22:23] neg_lo:[0,1] neg_hi:[0,1]
	v_add_f32_e32 v7, v15, v7
	v_add_f32_e32 v6, v6, v7
	;; [unrolled: 1-line block ×3, first 2 shown]
	v_mul_f32_e32 v15, v70, v7
	v_mul_f32_e32 v20, v69, v15
	v_fma_f32 v22, v15, v69, -v20
	v_fmac_f32_e32 v22, v15, v2
	v_sub_f32_e32 v2, v21, v7
	v_add_f32_e32 v2, v6, v2
	v_add_f32_e32 v6, v20, v22
	v_sub_f32_e32 v21, v7, v6
	v_pk_add_f32 v[50:51], v[6:7], v[20:21] neg_lo:[0,1] neg_hi:[0,1]
	v_mov_b32_e32 v23, v6
	v_pk_add_f32 v[6:7], v[50:51], v[22:23] neg_lo:[0,1] neg_hi:[0,1]
	v_add_f32_e32 v2, v2, v7
	v_add_f32_e32 v2, v6, v2
	;; [unrolled: 1-line block ×4, first 2 shown]
	v_sub_f32_e32 v7, v6, v71
	v_mul_f32_e32 v2, v70, v2
	v_sub_f32_e32 v7, v15, v7
	v_add_f32_e32 v2, v7, v2
	v_add_f32_e32 v15, v6, v2
	v_mul_f32_e32 v21, v15, v15
	v_mov_b32_e32 v20, 0x3ecc95a3
	v_fmac_f32_e32 v20, 0x3e9b6dac, v21
	v_mov_b32_e32 v7, 0x3f2aaada
	v_fmac_f32_e32 v7, v21, v20
	v_cvt_f32_i32_e32 v20, v68
	v_sub_f32_e32 v6, v15, v6
	v_sub_f32_e32 v2, v2, v6
	v_mul_f32_e32 v21, v15, v21
	v_mov_b32_e32 v6, 0x3f317218
	s_mov_b32 s8, 0x3f317218
	v_pk_mul_f32 v[6:7], v[20:21], v[6:7]
	v_fma_f32 v22, v20, s8, -v6
	v_ldexp_f32 v23, v15, 1
	v_fmac_f32_e32 v22, 0xb102e308, v20
	v_pk_add_f32 v[20:21], v[6:7], v[22:23]
	v_sub_f32_e32 v15, v21, v23
	v_ldexp_f32 v2, v2, 1
	v_sub_f32_e32 v15, v7, v15
	v_add_f32_e32 v51, v2, v15
	v_mov_b32_e32 v50, v6
	v_pk_add_f32 v[6:7], v[20:21], v[6:7] neg_lo:[0,1] neg_hi:[0,1]
	v_pk_add_f32 v[68:69], v[20:21], v[50:51]
	v_mov_b32_e32 v7, v69
	v_mov_b32_e32 v23, v20
	v_pk_add_f32 v[70:71], v[22:23], v[6:7] neg_lo:[0,1] neg_hi:[0,1]
	v_pk_add_f32 v[6:7], v[22:23], v[6:7]
	v_mov_b32_e32 v2, v7
	v_pk_add_f32 v[22:23], v[2:3], v[20:21] neg_lo:[0,1] neg_hi:[0,1]
	v_mov_b32_e32 v15, v22
	v_pk_add_f32 v[80:81], v[68:69], v[14:15] neg_lo:[0,1] neg_hi:[0,1]
	v_mov_b32_e32 v6, v69
	v_mov_b32_e32 v68, v21
	;; [unrolled: 1-line block ×4, first 2 shown]
	v_pk_add_f32 v[6:7], v[6:7], v[68:69] neg_lo:[0,1] neg_hi:[0,1]
	v_mov_b32_e32 v22, v51
	v_mov_b32_e32 v23, v20
	v_pk_add_f32 v[6:7], v[22:23], v[6:7] neg_lo:[0,1] neg_hi:[0,1]
	v_mov_b32_e32 v80, v70
	v_pk_add_f32 v[20:21], v[80:81], v[6:7]
	v_mov_b32_e32 v22, v21
	v_pk_add_f32 v[22:23], v[20:21], v[22:23]
	v_pk_add_f32 v[50:51], v[2:3], v[22:23]
	v_mov_b32_e32 v21, v50
	v_pk_add_f32 v[68:69], v[20:21], v[70:71] neg_lo:[0,1] neg_hi:[0,1]
	v_mov_b32_e32 v7, v22
	v_sub_f32_e32 v2, v20, v68
	v_pk_add_f32 v[6:7], v[6:7], v[68:69] neg_lo:[0,1] neg_hi:[0,1]
	v_sub_f32_e32 v2, v70, v2
	s_mov_b32 s9, 0x7f800000
	v_add_f32_e32 v2, v6, v2
	s_mov_b32 s8, 0x33800000
	v_add_f32_e32 v2, v2, v7
	v_cmp_eq_f32_e32 vcc, s9, v82
	v_cmp_lt_f32_e64 s[8:9], |v82|, s8
	v_add_f32_e32 v2, v50, v2
	s_or_b64 vcc, vcc, s[8:9]
	v_cndmask_b32_e32 v2, v2, v82, vcc
	v_add_f32_e32 v2, v3, v2
	v_cvt_f16_f32_e32 v15, v2
	v_cvt_f32_f16_e32 v2, v15
	v_mov_b32_e32 v51, v15
.LBB381_352:
	s_or_b64 exec, exec, s[6:7]
	v_max_f32_e32 v3, v52, v52
	v_max_f32_e32 v7, v2, v2
	v_min_f32_e32 v6, v7, v3
	v_cmp_u_f16_e32 vcc, v15, v15
	v_max_f32_e32 v3, v7, v3
	v_cndmask_b32_e32 v6, v6, v2, vcc
	v_cndmask_b32_e32 v3, v3, v2, vcc
	v_cndmask_b32_e64 v6, v6, v52, s[22:23]
	v_cndmask_b32_e64 v3, v3, v52, s[22:23]
	s_movk_i32 s8, 0x1f8
	v_cmp_neq_f32_e32 vcc, v6, v3
	v_cmp_class_f32_e64 s[6:7], v6, s8
	s_or_b64 s[10:11], vcc, s[6:7]
	v_mov_b32_e32 v52, v51
	s_and_saveexec_b64 s[6:7], s[10:11]
	s_cbranch_execz .LBB381_354
; %bb.353:
	v_sub_f32_e32 v2, v6, v3
	s_mov_b32 s9, 0x3fb8aa3b
	v_mul_f32_e32 v6, 0x3fb8aa3b, v2
	v_fma_f32 v7, v2, s9, -v6
	v_rndne_f32_e32 v15, v6
	v_fmac_f32_e32 v7, 0x32a5705f, v2
	v_sub_f32_e32 v6, v6, v15
	v_add_f32_e32 v6, v6, v7
	v_exp_f32_e32 v6, v6
	v_cvt_i32_f32_e32 v7, v15
	s_mov_b32 s9, 0xc2ce8ed0
	v_cmp_ngt_f32_e32 vcc, s9, v2
	s_mov_b32 s9, 0x42b17218
	v_ldexp_f32 v6, v6, v7
	v_cndmask_b32_e32 v6, 0, v6, vcc
	v_mov_b32_e32 v7, 0x7f800000
	v_cmp_nlt_f32_e32 vcc, s9, v2
	v_cndmask_b32_e32 v50, v7, v6, vcc
	v_add_f32_e32 v2, 1.0, v50
	v_add_f32_e32 v6, -1.0, v2
	v_sub_f32_e32 v7, v6, v2
	v_add_f32_e32 v7, 1.0, v7
	v_sub_f32_e32 v6, v50, v6
	v_add_f32_e32 v15, v6, v7
	v_frexp_mant_f32_e32 v20, v2
	s_mov_b32 s9, 0x3f2aaaab
	v_cvt_f64_f32_e32 v[6:7], v2
	v_frexp_exp_i32_f64_e32 v6, v[6:7]
	v_cmp_gt_f32_e32 vcc, s9, v20
	v_subbrev_co_u32_e32 v52, vcc, 0, v6, vcc
	v_sub_u32_e32 v6, 0, v52
	v_ldexp_f32 v2, v2, v6
	v_ldexp_f32 v6, v15, v6
	v_add_f32_e32 v15, -1.0, v2
	v_add_f32_e32 v7, 1.0, v15
	v_sub_f32_e32 v7, v2, v7
	v_add_f32_e32 v20, v6, v7
	v_add_f32_e32 v7, 1.0, v2
	v_add_f32_e32 v21, -1.0, v7
	v_sub_f32_e32 v2, v2, v21
	v_add_f32_e32 v2, v6, v2
	v_add_f32_e32 v70, v7, v2
	v_rcp_f32_e32 v71, v70
	v_sub_f32_e32 v6, v7, v70
	v_add_f32_e32 v7, v15, v20
	v_add_f32_e32 v2, v2, v6
	v_sub_f32_e32 v6, v15, v7
	v_mul_f32_e32 v80, v7, v71
	v_add_f32_e32 v15, v20, v6
	v_mul_f32_e32 v20, v70, v80
	v_fma_f32 v22, v80, v70, -v20
	v_fmac_f32_e32 v22, v80, v2
	v_add_f32_e32 v6, v20, v22
	v_sub_f32_e32 v21, v7, v6
	v_pk_add_f32 v[68:69], v[6:7], v[20:21] neg_lo:[0,1] neg_hi:[0,1]
	v_mov_b32_e32 v23, v6
	v_pk_add_f32 v[6:7], v[68:69], v[22:23] neg_lo:[0,1] neg_hi:[0,1]
	v_add_f32_e32 v7, v15, v7
	v_add_f32_e32 v6, v6, v7
	;; [unrolled: 1-line block ×3, first 2 shown]
	v_mul_f32_e32 v15, v71, v7
	v_mul_f32_e32 v20, v70, v15
	v_fma_f32 v22, v15, v70, -v20
	v_fmac_f32_e32 v22, v15, v2
	v_sub_f32_e32 v2, v21, v7
	v_add_f32_e32 v2, v6, v2
	v_add_f32_e32 v6, v20, v22
	v_sub_f32_e32 v21, v7, v6
	v_pk_add_f32 v[68:69], v[6:7], v[20:21] neg_lo:[0,1] neg_hi:[0,1]
	v_mov_b32_e32 v23, v6
	v_pk_add_f32 v[6:7], v[68:69], v[22:23] neg_lo:[0,1] neg_hi:[0,1]
	v_add_f32_e32 v2, v2, v7
	v_add_f32_e32 v2, v6, v2
	;; [unrolled: 1-line block ×4, first 2 shown]
	v_sub_f32_e32 v7, v6, v80
	v_mul_f32_e32 v2, v71, v2
	v_sub_f32_e32 v7, v15, v7
	v_add_f32_e32 v2, v7, v2
	v_add_f32_e32 v15, v6, v2
	v_mul_f32_e32 v21, v15, v15
	v_mov_b32_e32 v20, 0x3ecc95a3
	v_fmac_f32_e32 v20, 0x3e9b6dac, v21
	v_mov_b32_e32 v7, 0x3f2aaada
	v_fmac_f32_e32 v7, v21, v20
	v_cvt_f32_i32_e32 v20, v52
	v_sub_f32_e32 v6, v15, v6
	v_sub_f32_e32 v2, v2, v6
	v_mul_f32_e32 v21, v15, v21
	v_mov_b32_e32 v6, 0x3f317218
	s_mov_b32 s9, 0x3f317218
	v_pk_mul_f32 v[6:7], v[20:21], v[6:7]
	v_fma_f32 v22, v20, s9, -v6
	v_ldexp_f32 v23, v15, 1
	v_fmac_f32_e32 v22, 0xb102e308, v20
	v_pk_add_f32 v[20:21], v[6:7], v[22:23]
	v_sub_f32_e32 v15, v21, v23
	v_ldexp_f32 v2, v2, 1
	v_sub_f32_e32 v15, v7, v15
	v_add_f32_e32 v69, v2, v15
	v_mov_b32_e32 v68, v6
	v_pk_add_f32 v[6:7], v[20:21], v[6:7] neg_lo:[0,1] neg_hi:[0,1]
	v_pk_add_f32 v[70:71], v[20:21], v[68:69]
	v_mov_b32_e32 v7, v71
	v_mov_b32_e32 v23, v20
	v_pk_add_f32 v[80:81], v[22:23], v[6:7] neg_lo:[0,1] neg_hi:[0,1]
	v_pk_add_f32 v[6:7], v[22:23], v[6:7]
	v_mov_b32_e32 v2, v7
	v_pk_add_f32 v[22:23], v[2:3], v[20:21] neg_lo:[0,1] neg_hi:[0,1]
	v_mov_b32_e32 v15, v22
	v_pk_add_f32 v[82:83], v[70:71], v[14:15] neg_lo:[0,1] neg_hi:[0,1]
	v_mov_b32_e32 v6, v71
	v_mov_b32_e32 v70, v21
	;; [unrolled: 1-line block ×4, first 2 shown]
	v_pk_add_f32 v[6:7], v[6:7], v[70:71] neg_lo:[0,1] neg_hi:[0,1]
	v_mov_b32_e32 v22, v69
	v_mov_b32_e32 v23, v20
	v_pk_add_f32 v[6:7], v[22:23], v[6:7] neg_lo:[0,1] neg_hi:[0,1]
	v_mov_b32_e32 v82, v80
	v_pk_add_f32 v[20:21], v[82:83], v[6:7]
	v_mov_b32_e32 v22, v21
	v_pk_add_f32 v[22:23], v[20:21], v[22:23]
	v_pk_add_f32 v[68:69], v[2:3], v[22:23]
	v_mov_b32_e32 v21, v68
	v_pk_add_f32 v[70:71], v[20:21], v[80:81] neg_lo:[0,1] neg_hi:[0,1]
	v_mov_b32_e32 v7, v22
	v_sub_f32_e32 v2, v20, v70
	v_pk_add_f32 v[6:7], v[6:7], v[70:71] neg_lo:[0,1] neg_hi:[0,1]
	v_sub_f32_e32 v2, v80, v2
	s_mov_b32 s10, 0x7f800000
	v_add_f32_e32 v2, v6, v2
	s_mov_b32 s9, 0x33800000
	v_add_f32_e32 v2, v2, v7
	v_cmp_eq_f32_e32 vcc, s10, v50
	v_cmp_lt_f32_e64 s[10:11], |v50|, s9
	v_add_f32_e32 v2, v68, v2
	s_or_b64 vcc, vcc, s[10:11]
	v_cndmask_b32_e32 v2, v2, v50, vcc
	v_add_f32_e32 v2, v3, v2
	v_cvt_f16_f32_e32 v15, v2
	v_cvt_f32_f16_e32 v2, v15
	v_mov_b32_e32 v52, v15
.LBB381_354:
	s_or_b64 exec, exec, s[6:7]
	v_max_f32_e32 v3, v16, v16
	v_max_f32_e32 v7, v2, v2
	v_min_f32_e32 v6, v7, v3
	v_cmp_u_f16_e32 vcc, v15, v15
	v_max_f32_e32 v3, v7, v3
	v_cndmask_b32_e32 v6, v6, v2, vcc
	v_cndmask_b32_e32 v3, v3, v2, vcc
	v_cndmask_b32_e64 v6, v6, v16, s[24:25]
	v_cndmask_b32_e64 v3, v3, v16, s[24:25]
	v_cmp_neq_f32_e32 vcc, v6, v3
	v_cmp_class_f32_e64 s[6:7], v6, s8
	s_or_b64 s[8:9], vcc, s[6:7]
	v_mov_b32_e32 v97, v52
	s_and_saveexec_b64 s[6:7], s[8:9]
	s_cbranch_execz .LBB381_356
; %bb.355:
	v_sub_f32_e32 v2, v6, v3
	s_mov_b32 s8, 0x3fb8aa3b
	v_mul_f32_e32 v6, 0x3fb8aa3b, v2
	v_fma_f32 v7, v2, s8, -v6
	v_rndne_f32_e32 v15, v6
	v_fmac_f32_e32 v7, 0x32a5705f, v2
	v_sub_f32_e32 v6, v6, v15
	v_add_f32_e32 v6, v6, v7
	v_exp_f32_e32 v6, v6
	v_cvt_i32_f32_e32 v7, v15
	s_mov_b32 s8, 0xc2ce8ed0
	v_cmp_ngt_f32_e32 vcc, s8, v2
	s_mov_b32 s8, 0x42b17218
	v_ldexp_f32 v6, v6, v7
	v_cndmask_b32_e32 v6, 0, v6, vcc
	v_mov_b32_e32 v7, 0x7f800000
	v_cmp_nlt_f32_e32 vcc, s8, v2
	v_cndmask_b32_e32 v50, v7, v6, vcc
	v_add_f32_e32 v2, 1.0, v50
	v_add_f32_e32 v6, -1.0, v2
	v_sub_f32_e32 v7, v6, v2
	v_add_f32_e32 v7, 1.0, v7
	v_sub_f32_e32 v6, v50, v6
	v_add_f32_e32 v15, v6, v7
	v_frexp_mant_f32_e32 v16, v2
	s_mov_b32 s8, 0x3f2aaaab
	v_cvt_f64_f32_e32 v[6:7], v2
	v_frexp_exp_i32_f64_e32 v6, v[6:7]
	v_cmp_gt_f32_e32 vcc, s8, v16
	v_subbrev_co_u32_e32 v16, vcc, 0, v6, vcc
	v_sub_u32_e32 v6, 0, v16
	v_ldexp_f32 v2, v2, v6
	v_ldexp_f32 v6, v15, v6
	v_add_f32_e32 v15, -1.0, v2
	v_add_f32_e32 v7, 1.0, v15
	v_sub_f32_e32 v7, v2, v7
	v_add_f32_e32 v20, v6, v7
	v_add_f32_e32 v7, 1.0, v2
	v_add_f32_e32 v21, -1.0, v7
	v_sub_f32_e32 v2, v2, v21
	v_add_f32_e32 v2, v6, v2
	v_add_f32_e32 v70, v7, v2
	v_rcp_f32_e32 v71, v70
	v_sub_f32_e32 v6, v7, v70
	v_add_f32_e32 v7, v15, v20
	v_add_f32_e32 v2, v2, v6
	v_sub_f32_e32 v6, v15, v7
	v_mul_f32_e32 v80, v7, v71
	v_add_f32_e32 v15, v20, v6
	v_mul_f32_e32 v20, v70, v80
	v_fma_f32 v22, v80, v70, -v20
	v_fmac_f32_e32 v22, v80, v2
	v_add_f32_e32 v6, v20, v22
	v_sub_f32_e32 v21, v7, v6
	v_pk_add_f32 v[68:69], v[6:7], v[20:21] neg_lo:[0,1] neg_hi:[0,1]
	v_mov_b32_e32 v23, v6
	v_pk_add_f32 v[6:7], v[68:69], v[22:23] neg_lo:[0,1] neg_hi:[0,1]
	v_add_f32_e32 v7, v15, v7
	v_add_f32_e32 v6, v6, v7
	;; [unrolled: 1-line block ×3, first 2 shown]
	v_mul_f32_e32 v15, v71, v7
	v_mul_f32_e32 v20, v70, v15
	v_fma_f32 v22, v15, v70, -v20
	v_fmac_f32_e32 v22, v15, v2
	v_sub_f32_e32 v2, v21, v7
	v_add_f32_e32 v2, v6, v2
	v_add_f32_e32 v6, v20, v22
	v_sub_f32_e32 v21, v7, v6
	v_pk_add_f32 v[68:69], v[6:7], v[20:21] neg_lo:[0,1] neg_hi:[0,1]
	v_mov_b32_e32 v23, v6
	v_pk_add_f32 v[6:7], v[68:69], v[22:23] neg_lo:[0,1] neg_hi:[0,1]
	v_add_f32_e32 v2, v2, v7
	v_add_f32_e32 v2, v6, v2
	;; [unrolled: 1-line block ×4, first 2 shown]
	v_sub_f32_e32 v7, v6, v80
	v_mul_f32_e32 v2, v71, v2
	v_sub_f32_e32 v7, v15, v7
	v_add_f32_e32 v2, v7, v2
	v_add_f32_e32 v15, v6, v2
	v_mul_f32_e32 v21, v15, v15
	v_mov_b32_e32 v20, 0x3ecc95a3
	v_fmac_f32_e32 v20, 0x3e9b6dac, v21
	v_mov_b32_e32 v7, 0x3f2aaada
	v_fmac_f32_e32 v7, v21, v20
	v_cvt_f32_i32_e32 v20, v16
	v_sub_f32_e32 v6, v15, v6
	v_sub_f32_e32 v2, v2, v6
	v_mul_f32_e32 v21, v15, v21
	v_mov_b32_e32 v6, 0x3f317218
	s_mov_b32 s8, 0x3f317218
	v_pk_mul_f32 v[6:7], v[20:21], v[6:7]
	v_fma_f32 v22, v20, s8, -v6
	v_ldexp_f32 v23, v15, 1
	v_fmac_f32_e32 v22, 0xb102e308, v20
	v_pk_add_f32 v[20:21], v[6:7], v[22:23]
	v_sub_f32_e32 v15, v21, v23
	v_ldexp_f32 v2, v2, 1
	v_sub_f32_e32 v15, v7, v15
	v_add_f32_e32 v69, v2, v15
	v_mov_b32_e32 v68, v6
	v_pk_add_f32 v[6:7], v[20:21], v[6:7] neg_lo:[0,1] neg_hi:[0,1]
	v_pk_add_f32 v[70:71], v[20:21], v[68:69]
	v_mov_b32_e32 v7, v71
	v_mov_b32_e32 v23, v20
	v_pk_add_f32 v[80:81], v[22:23], v[6:7] neg_lo:[0,1] neg_hi:[0,1]
	v_pk_add_f32 v[6:7], v[22:23], v[6:7]
	v_mov_b32_e32 v2, v7
	v_pk_add_f32 v[22:23], v[2:3], v[20:21] neg_lo:[0,1] neg_hi:[0,1]
	v_mov_b32_e32 v15, v22
	v_pk_add_f32 v[82:83], v[70:71], v[14:15] neg_lo:[0,1] neg_hi:[0,1]
	v_mov_b32_e32 v6, v71
	v_mov_b32_e32 v70, v21
	;; [unrolled: 1-line block ×4, first 2 shown]
	v_pk_add_f32 v[6:7], v[6:7], v[70:71] neg_lo:[0,1] neg_hi:[0,1]
	v_mov_b32_e32 v22, v69
	v_mov_b32_e32 v23, v20
	v_pk_add_f32 v[6:7], v[22:23], v[6:7] neg_lo:[0,1] neg_hi:[0,1]
	v_mov_b32_e32 v82, v80
	v_pk_add_f32 v[20:21], v[82:83], v[6:7]
	v_mov_b32_e32 v16, v21
	v_pk_add_f32 v[22:23], v[20:21], v[16:17]
	v_pk_add_f32 v[68:69], v[2:3], v[22:23]
	v_mov_b32_e32 v21, v68
	v_pk_add_f32 v[70:71], v[20:21], v[80:81] neg_lo:[0,1] neg_hi:[0,1]
	v_mov_b32_e32 v7, v22
	v_sub_f32_e32 v2, v20, v70
	v_pk_add_f32 v[6:7], v[6:7], v[70:71] neg_lo:[0,1] neg_hi:[0,1]
	v_sub_f32_e32 v2, v80, v2
	s_mov_b32 s9, 0x7f800000
	v_add_f32_e32 v2, v6, v2
	s_mov_b32 s8, 0x33800000
	v_add_f32_e32 v2, v2, v7
	v_cmp_eq_f32_e32 vcc, s9, v50
	v_cmp_lt_f32_e64 s[8:9], |v50|, s8
	v_add_f32_e32 v2, v68, v2
	s_or_b64 vcc, vcc, s[8:9]
	v_cndmask_b32_e32 v2, v2, v50, vcc
	v_add_f32_e32 v2, v3, v2
	v_cvt_f16_f32_e32 v15, v2
	v_cvt_f32_f16_e32 v2, v15
	v_mov_b32_e32 v97, v15
.LBB381_356:
	s_or_b64 exec, exec, s[6:7]
	v_max_f32_e32 v3, v53, v53
	v_max_f32_e32 v7, v2, v2
	v_min_f32_e32 v6, v7, v3
	v_cmp_u_f16_e32 vcc, v15, v15
	v_max_f32_e32 v3, v7, v3
	v_cndmask_b32_e32 v6, v6, v2, vcc
	v_cndmask_b32_e32 v3, v3, v2, vcc
	v_cndmask_b32_e64 v6, v6, v53, s[26:27]
	v_cndmask_b32_e64 v3, v3, v53, s[26:27]
	s_movk_i32 s8, 0x1f8
	v_cmp_neq_f32_e32 vcc, v6, v3
	v_cmp_class_f32_e64 s[6:7], v6, s8
	s_or_b64 s[10:11], vcc, s[6:7]
	v_mov_b32_e32 v53, v97
	s_and_saveexec_b64 s[6:7], s[10:11]
	s_cbranch_execz .LBB381_358
; %bb.357:
	v_sub_f32_e32 v2, v6, v3
	s_mov_b32 s9, 0x3fb8aa3b
	v_mul_f32_e32 v6, 0x3fb8aa3b, v2
	v_fma_f32 v7, v2, s9, -v6
	v_rndne_f32_e32 v15, v6
	v_fmac_f32_e32 v7, 0x32a5705f, v2
	v_sub_f32_e32 v6, v6, v15
	v_add_f32_e32 v6, v6, v7
	v_exp_f32_e32 v6, v6
	v_cvt_i32_f32_e32 v7, v15
	s_mov_b32 s9, 0xc2ce8ed0
	v_cmp_ngt_f32_e32 vcc, s9, v2
	s_mov_b32 s9, 0x42b17218
	v_ldexp_f32 v6, v6, v7
	v_cndmask_b32_e32 v6, 0, v6, vcc
	v_mov_b32_e32 v7, 0x7f800000
	v_cmp_nlt_f32_e32 vcc, s9, v2
	v_cndmask_b32_e32 v50, v7, v6, vcc
	v_add_f32_e32 v2, 1.0, v50
	v_add_f32_e32 v6, -1.0, v2
	v_sub_f32_e32 v7, v6, v2
	v_add_f32_e32 v7, 1.0, v7
	v_sub_f32_e32 v6, v50, v6
	v_add_f32_e32 v15, v6, v7
	v_frexp_mant_f32_e32 v16, v2
	s_mov_b32 s9, 0x3f2aaaab
	v_cvt_f64_f32_e32 v[6:7], v2
	v_frexp_exp_i32_f64_e32 v6, v[6:7]
	v_cmp_gt_f32_e32 vcc, s9, v16
	v_subbrev_co_u32_e32 v16, vcc, 0, v6, vcc
	v_sub_u32_e32 v6, 0, v16
	v_ldexp_f32 v2, v2, v6
	v_ldexp_f32 v6, v15, v6
	v_add_f32_e32 v15, -1.0, v2
	v_add_f32_e32 v7, 1.0, v15
	v_sub_f32_e32 v7, v2, v7
	v_add_f32_e32 v20, v6, v7
	v_add_f32_e32 v7, 1.0, v2
	v_add_f32_e32 v21, -1.0, v7
	v_sub_f32_e32 v2, v2, v21
	v_add_f32_e32 v2, v6, v2
	v_add_f32_e32 v53, v7, v2
	v_rcp_f32_e32 v70, v53
	v_sub_f32_e32 v6, v7, v53
	v_add_f32_e32 v7, v15, v20
	v_add_f32_e32 v2, v2, v6
	v_sub_f32_e32 v6, v15, v7
	v_mul_f32_e32 v71, v7, v70
	v_add_f32_e32 v15, v20, v6
	v_mul_f32_e32 v20, v53, v71
	v_fma_f32 v22, v71, v53, -v20
	v_fmac_f32_e32 v22, v71, v2
	v_add_f32_e32 v6, v20, v22
	v_sub_f32_e32 v21, v7, v6
	v_pk_add_f32 v[68:69], v[6:7], v[20:21] neg_lo:[0,1] neg_hi:[0,1]
	v_mov_b32_e32 v23, v6
	v_pk_add_f32 v[6:7], v[68:69], v[22:23] neg_lo:[0,1] neg_hi:[0,1]
	v_add_f32_e32 v7, v15, v7
	v_add_f32_e32 v6, v6, v7
	;; [unrolled: 1-line block ×3, first 2 shown]
	v_mul_f32_e32 v15, v70, v7
	v_mul_f32_e32 v20, v53, v15
	v_fma_f32 v22, v15, v53, -v20
	v_fmac_f32_e32 v22, v15, v2
	v_sub_f32_e32 v2, v21, v7
	v_add_f32_e32 v2, v6, v2
	v_add_f32_e32 v6, v20, v22
	v_sub_f32_e32 v21, v7, v6
	v_pk_add_f32 v[68:69], v[6:7], v[20:21] neg_lo:[0,1] neg_hi:[0,1]
	v_mov_b32_e32 v23, v6
	v_pk_add_f32 v[6:7], v[68:69], v[22:23] neg_lo:[0,1] neg_hi:[0,1]
	v_add_f32_e32 v2, v2, v7
	v_add_f32_e32 v2, v6, v2
	;; [unrolled: 1-line block ×4, first 2 shown]
	v_sub_f32_e32 v7, v6, v71
	v_mul_f32_e32 v2, v70, v2
	v_sub_f32_e32 v7, v15, v7
	v_add_f32_e32 v2, v7, v2
	v_add_f32_e32 v15, v6, v2
	v_mul_f32_e32 v21, v15, v15
	v_mov_b32_e32 v20, 0x3ecc95a3
	v_fmac_f32_e32 v20, 0x3e9b6dac, v21
	v_mov_b32_e32 v7, 0x3f2aaada
	v_fmac_f32_e32 v7, v21, v20
	v_cvt_f32_i32_e32 v20, v16
	v_sub_f32_e32 v6, v15, v6
	v_sub_f32_e32 v2, v2, v6
	v_mul_f32_e32 v21, v15, v21
	v_mov_b32_e32 v6, 0x3f317218
	s_mov_b32 s9, 0x3f317218
	v_pk_mul_f32 v[6:7], v[20:21], v[6:7]
	v_fma_f32 v22, v20, s9, -v6
	v_ldexp_f32 v23, v15, 1
	v_fmac_f32_e32 v22, 0xb102e308, v20
	v_pk_add_f32 v[20:21], v[6:7], v[22:23]
	v_sub_f32_e32 v15, v21, v23
	v_ldexp_f32 v2, v2, 1
	v_sub_f32_e32 v15, v7, v15
	v_add_f32_e32 v69, v2, v15
	v_mov_b32_e32 v68, v6
	v_pk_add_f32 v[6:7], v[20:21], v[6:7] neg_lo:[0,1] neg_hi:[0,1]
	v_pk_add_f32 v[70:71], v[20:21], v[68:69]
	v_mov_b32_e32 v7, v71
	v_mov_b32_e32 v23, v20
	v_pk_add_f32 v[80:81], v[22:23], v[6:7] neg_lo:[0,1] neg_hi:[0,1]
	v_pk_add_f32 v[6:7], v[22:23], v[6:7]
	v_mov_b32_e32 v2, v7
	v_pk_add_f32 v[22:23], v[2:3], v[20:21] neg_lo:[0,1] neg_hi:[0,1]
	v_mov_b32_e32 v15, v22
	v_pk_add_f32 v[82:83], v[70:71], v[14:15] neg_lo:[0,1] neg_hi:[0,1]
	v_mov_b32_e32 v6, v71
	v_mov_b32_e32 v70, v21
	;; [unrolled: 1-line block ×4, first 2 shown]
	v_pk_add_f32 v[6:7], v[6:7], v[70:71] neg_lo:[0,1] neg_hi:[0,1]
	v_mov_b32_e32 v22, v69
	v_mov_b32_e32 v23, v20
	v_pk_add_f32 v[6:7], v[22:23], v[6:7] neg_lo:[0,1] neg_hi:[0,1]
	v_mov_b32_e32 v82, v80
	v_pk_add_f32 v[20:21], v[82:83], v[6:7]
	v_mov_b32_e32 v16, v21
	v_pk_add_f32 v[22:23], v[20:21], v[16:17]
	v_pk_add_f32 v[68:69], v[2:3], v[22:23]
	v_mov_b32_e32 v21, v68
	v_pk_add_f32 v[70:71], v[20:21], v[80:81] neg_lo:[0,1] neg_hi:[0,1]
	v_mov_b32_e32 v7, v22
	v_sub_f32_e32 v2, v20, v70
	v_pk_add_f32 v[6:7], v[6:7], v[70:71] neg_lo:[0,1] neg_hi:[0,1]
	v_sub_f32_e32 v2, v80, v2
	s_mov_b32 s10, 0x7f800000
	v_add_f32_e32 v2, v6, v2
	s_mov_b32 s9, 0x33800000
	v_add_f32_e32 v2, v2, v7
	v_cmp_eq_f32_e32 vcc, s10, v50
	v_cmp_lt_f32_e64 s[10:11], |v50|, s9
	v_add_f32_e32 v2, v68, v2
	s_or_b64 vcc, vcc, s[10:11]
	v_cndmask_b32_e32 v2, v2, v50, vcc
	v_add_f32_e32 v2, v3, v2
	v_cvt_f16_f32_e32 v15, v2
	v_cvt_f32_f16_e32 v2, v15
	v_mov_b32_e32 v53, v15
.LBB381_358:
	s_or_b64 exec, exec, s[6:7]
	v_max_f32_e32 v3, v17, v17
	v_max_f32_e32 v7, v2, v2
	v_min_f32_e32 v6, v7, v3
	v_cmp_u_f16_e32 vcc, v15, v15
	v_max_f32_e32 v3, v7, v3
	v_cndmask_b32_e32 v6, v6, v2, vcc
	v_cndmask_b32_e32 v3, v3, v2, vcc
	v_cndmask_b32_e64 v6, v6, v17, s[28:29]
	v_cndmask_b32_e64 v3, v3, v17, s[28:29]
	v_cmp_neq_f32_e32 vcc, v6, v3
	v_cmp_class_f32_e64 s[6:7], v6, s8
	s_or_b64 s[8:9], vcc, s[6:7]
	v_mov_b32_e32 v68, v53
	s_and_saveexec_b64 s[6:7], s[8:9]
	s_cbranch_execz .LBB381_360
; %bb.359:
	v_sub_f32_e32 v2, v6, v3
	s_mov_b32 s8, 0x3fb8aa3b
	v_mul_f32_e32 v6, 0x3fb8aa3b, v2
	v_fma_f32 v7, v2, s8, -v6
	v_rndne_f32_e32 v15, v6
	v_fmac_f32_e32 v7, 0x32a5705f, v2
	v_sub_f32_e32 v6, v6, v15
	v_add_f32_e32 v6, v6, v7
	v_exp_f32_e32 v6, v6
	v_cvt_i32_f32_e32 v7, v15
	s_mov_b32 s8, 0xc2ce8ed0
	v_cmp_ngt_f32_e32 vcc, s8, v2
	s_mov_b32 s8, 0x42b17218
	v_ldexp_f32 v6, v6, v7
	v_cndmask_b32_e32 v6, 0, v6, vcc
	v_mov_b32_e32 v7, 0x7f800000
	v_cmp_nlt_f32_e32 vcc, s8, v2
	v_cndmask_b32_e32 v50, v7, v6, vcc
	v_add_f32_e32 v2, 1.0, v50
	v_add_f32_e32 v6, -1.0, v2
	v_sub_f32_e32 v7, v6, v2
	v_add_f32_e32 v7, 1.0, v7
	v_sub_f32_e32 v6, v50, v6
	v_add_f32_e32 v15, v6, v7
	v_frexp_mant_f32_e32 v16, v2
	s_mov_b32 s8, 0x3f2aaaab
	v_cvt_f64_f32_e32 v[6:7], v2
	v_frexp_exp_i32_f64_e32 v6, v[6:7]
	v_cmp_gt_f32_e32 vcc, s8, v16
	v_subbrev_co_u32_e32 v68, vcc, 0, v6, vcc
	v_sub_u32_e32 v6, 0, v68
	v_ldexp_f32 v2, v2, v6
	v_ldexp_f32 v6, v15, v6
	v_add_f32_e32 v15, -1.0, v2
	v_add_f32_e32 v7, 1.0, v15
	v_sub_f32_e32 v7, v2, v7
	v_add_f32_e32 v16, v6, v7
	v_add_f32_e32 v7, 1.0, v2
	v_add_f32_e32 v17, -1.0, v7
	v_sub_f32_e32 v2, v2, v17
	v_add_f32_e32 v2, v6, v2
	v_add_f32_e32 v69, v7, v2
	v_rcp_f32_e32 v70, v69
	v_sub_f32_e32 v6, v7, v69
	v_add_f32_e32 v7, v15, v16
	v_add_f32_e32 v2, v2, v6
	v_sub_f32_e32 v6, v15, v7
	v_mul_f32_e32 v71, v7, v70
	v_add_f32_e32 v15, v16, v6
	v_mul_f32_e32 v16, v69, v71
	v_fma_f32 v20, v71, v69, -v16
	v_fmac_f32_e32 v20, v71, v2
	v_add_f32_e32 v6, v16, v20
	v_sub_f32_e32 v17, v7, v6
	v_pk_add_f32 v[22:23], v[6:7], v[16:17] neg_lo:[0,1] neg_hi:[0,1]
	v_mov_b32_e32 v21, v6
	v_pk_add_f32 v[6:7], v[22:23], v[20:21] neg_lo:[0,1] neg_hi:[0,1]
	v_add_f32_e32 v7, v15, v7
	v_add_f32_e32 v6, v6, v7
	;; [unrolled: 1-line block ×3, first 2 shown]
	v_mul_f32_e32 v15, v70, v7
	v_mul_f32_e32 v16, v69, v15
	v_fma_f32 v20, v15, v69, -v16
	v_fmac_f32_e32 v20, v15, v2
	v_sub_f32_e32 v2, v17, v7
	v_add_f32_e32 v2, v6, v2
	v_add_f32_e32 v6, v16, v20
	v_sub_f32_e32 v17, v7, v6
	v_pk_add_f32 v[22:23], v[6:7], v[16:17] neg_lo:[0,1] neg_hi:[0,1]
	v_mov_b32_e32 v21, v6
	v_pk_add_f32 v[6:7], v[22:23], v[20:21] neg_lo:[0,1] neg_hi:[0,1]
	v_add_f32_e32 v2, v2, v7
	v_add_f32_e32 v2, v6, v2
	;; [unrolled: 1-line block ×4, first 2 shown]
	v_sub_f32_e32 v7, v6, v71
	v_mul_f32_e32 v2, v70, v2
	v_sub_f32_e32 v7, v15, v7
	v_add_f32_e32 v2, v7, v2
	v_add_f32_e32 v15, v6, v2
	v_mul_f32_e32 v17, v15, v15
	v_mov_b32_e32 v16, 0x3ecc95a3
	v_fmac_f32_e32 v16, 0x3e9b6dac, v17
	v_mov_b32_e32 v7, 0x3f2aaada
	v_fmac_f32_e32 v7, v17, v16
	v_cvt_f32_i32_e32 v16, v68
	v_sub_f32_e32 v6, v15, v6
	v_sub_f32_e32 v2, v2, v6
	v_mul_f32_e32 v17, v15, v17
	v_mov_b32_e32 v6, 0x3f317218
	s_mov_b32 s8, 0x3f317218
	v_pk_mul_f32 v[6:7], v[16:17], v[6:7]
	v_fma_f32 v20, v16, s8, -v6
	v_ldexp_f32 v21, v15, 1
	v_fmac_f32_e32 v20, 0xb102e308, v16
	v_pk_add_f32 v[16:17], v[6:7], v[20:21]
	v_sub_f32_e32 v15, v17, v21
	v_ldexp_f32 v2, v2, 1
	v_sub_f32_e32 v15, v7, v15
	v_add_f32_e32 v23, v2, v15
	v_mov_b32_e32 v22, v6
	v_pk_add_f32 v[6:7], v[16:17], v[6:7] neg_lo:[0,1] neg_hi:[0,1]
	v_pk_add_f32 v[68:69], v[16:17], v[22:23]
	v_mov_b32_e32 v7, v69
	v_mov_b32_e32 v21, v16
	v_pk_add_f32 v[70:71], v[20:21], v[6:7] neg_lo:[0,1] neg_hi:[0,1]
	v_pk_add_f32 v[6:7], v[20:21], v[6:7]
	v_mov_b32_e32 v2, v7
	v_pk_add_f32 v[20:21], v[2:3], v[16:17] neg_lo:[0,1] neg_hi:[0,1]
	v_mov_b32_e32 v15, v20
	v_pk_add_f32 v[80:81], v[68:69], v[14:15] neg_lo:[0,1] neg_hi:[0,1]
	v_mov_b32_e32 v6, v69
	v_mov_b32_e32 v68, v17
	;; [unrolled: 1-line block ×4, first 2 shown]
	v_pk_add_f32 v[6:7], v[6:7], v[68:69] neg_lo:[0,1] neg_hi:[0,1]
	v_mov_b32_e32 v20, v23
	v_mov_b32_e32 v21, v16
	v_pk_add_f32 v[6:7], v[20:21], v[6:7] neg_lo:[0,1] neg_hi:[0,1]
	v_mov_b32_e32 v80, v70
	v_pk_add_f32 v[16:17], v[80:81], v[6:7]
	v_mov_b32_e32 v20, v17
	v_pk_add_f32 v[20:21], v[16:17], v[20:21]
	v_pk_add_f32 v[22:23], v[2:3], v[20:21]
	v_mov_b32_e32 v17, v22
	v_pk_add_f32 v[68:69], v[16:17], v[70:71] neg_lo:[0,1] neg_hi:[0,1]
	v_mov_b32_e32 v7, v20
	v_sub_f32_e32 v2, v16, v68
	v_pk_add_f32 v[6:7], v[6:7], v[68:69] neg_lo:[0,1] neg_hi:[0,1]
	v_sub_f32_e32 v2, v70, v2
	s_mov_b32 s9, 0x7f800000
	v_add_f32_e32 v2, v6, v2
	s_mov_b32 s8, 0x33800000
	v_add_f32_e32 v2, v2, v7
	v_cmp_eq_f32_e32 vcc, s9, v50
	v_cmp_lt_f32_e64 s[8:9], |v50|, s8
	v_add_f32_e32 v2, v22, v2
	s_or_b64 vcc, vcc, s[8:9]
	v_cndmask_b32_e32 v2, v2, v50, vcc
	v_add_f32_e32 v2, v3, v2
	v_cvt_f16_f32_e32 v15, v2
	v_cvt_f32_f16_e32 v2, v15
	v_mov_b32_e32 v68, v15
.LBB381_360:
	s_or_b64 exec, exec, s[6:7]
	v_max_f32_e32 v3, v54, v54
	v_max_f32_e32 v7, v2, v2
	v_min_f32_e32 v6, v7, v3
	v_cmp_u_f16_e32 vcc, v15, v15
	v_max_f32_e32 v3, v7, v3
	v_cndmask_b32_e32 v6, v6, v2, vcc
	v_cndmask_b32_e32 v3, v3, v2, vcc
	v_cndmask_b32_e64 v6, v6, v54, s[30:31]
	v_cndmask_b32_e64 v3, v3, v54, s[30:31]
	s_movk_i32 s8, 0x1f8
	v_cmp_neq_f32_e32 vcc, v6, v3
	v_cmp_class_f32_e64 s[6:7], v6, s8
	s_or_b64 s[10:11], vcc, s[6:7]
	v_mov_b32_e32 v54, v68
	s_and_saveexec_b64 s[6:7], s[10:11]
	s_cbranch_execz .LBB381_362
; %bb.361:
	v_sub_f32_e32 v2, v6, v3
	s_mov_b32 s9, 0x3fb8aa3b
	v_mul_f32_e32 v6, 0x3fb8aa3b, v2
	v_fma_f32 v7, v2, s9, -v6
	v_rndne_f32_e32 v15, v6
	v_fmac_f32_e32 v7, 0x32a5705f, v2
	v_sub_f32_e32 v6, v6, v15
	v_add_f32_e32 v6, v6, v7
	v_exp_f32_e32 v6, v6
	v_cvt_i32_f32_e32 v7, v15
	s_mov_b32 s9, 0xc2ce8ed0
	v_cmp_ngt_f32_e32 vcc, s9, v2
	s_mov_b32 s9, 0x42b17218
	v_ldexp_f32 v6, v6, v7
	v_cndmask_b32_e32 v6, 0, v6, vcc
	v_mov_b32_e32 v7, 0x7f800000
	v_cmp_nlt_f32_e32 vcc, s9, v2
	v_cndmask_b32_e32 v50, v7, v6, vcc
	v_add_f32_e32 v2, 1.0, v50
	v_add_f32_e32 v6, -1.0, v2
	v_sub_f32_e32 v7, v6, v2
	v_add_f32_e32 v7, 1.0, v7
	v_sub_f32_e32 v6, v50, v6
	v_add_f32_e32 v15, v6, v7
	v_frexp_mant_f32_e32 v16, v2
	s_mov_b32 s9, 0x3f2aaaab
	v_cvt_f64_f32_e32 v[6:7], v2
	v_frexp_exp_i32_f64_e32 v6, v[6:7]
	v_cmp_gt_f32_e32 vcc, s9, v16
	v_subbrev_co_u32_e32 v54, vcc, 0, v6, vcc
	v_sub_u32_e32 v6, 0, v54
	v_ldexp_f32 v2, v2, v6
	v_ldexp_f32 v6, v15, v6
	v_add_f32_e32 v15, -1.0, v2
	v_add_f32_e32 v7, 1.0, v15
	v_sub_f32_e32 v7, v2, v7
	v_add_f32_e32 v16, v6, v7
	v_add_f32_e32 v7, 1.0, v2
	v_add_f32_e32 v17, -1.0, v7
	v_sub_f32_e32 v2, v2, v17
	v_add_f32_e32 v2, v6, v2
	v_add_f32_e32 v69, v7, v2
	v_rcp_f32_e32 v70, v69
	v_sub_f32_e32 v6, v7, v69
	v_add_f32_e32 v7, v15, v16
	v_add_f32_e32 v2, v2, v6
	v_sub_f32_e32 v6, v15, v7
	v_mul_f32_e32 v71, v7, v70
	v_add_f32_e32 v15, v16, v6
	v_mul_f32_e32 v16, v69, v71
	v_fma_f32 v20, v71, v69, -v16
	v_fmac_f32_e32 v20, v71, v2
	v_add_f32_e32 v6, v16, v20
	v_sub_f32_e32 v17, v7, v6
	v_pk_add_f32 v[22:23], v[6:7], v[16:17] neg_lo:[0,1] neg_hi:[0,1]
	v_mov_b32_e32 v21, v6
	v_pk_add_f32 v[6:7], v[22:23], v[20:21] neg_lo:[0,1] neg_hi:[0,1]
	v_add_f32_e32 v7, v15, v7
	v_add_f32_e32 v6, v6, v7
	;; [unrolled: 1-line block ×3, first 2 shown]
	v_mul_f32_e32 v15, v70, v7
	v_mul_f32_e32 v16, v69, v15
	v_fma_f32 v20, v15, v69, -v16
	v_fmac_f32_e32 v20, v15, v2
	v_sub_f32_e32 v2, v17, v7
	v_add_f32_e32 v2, v6, v2
	v_add_f32_e32 v6, v16, v20
	v_sub_f32_e32 v17, v7, v6
	v_pk_add_f32 v[22:23], v[6:7], v[16:17] neg_lo:[0,1] neg_hi:[0,1]
	v_mov_b32_e32 v21, v6
	v_pk_add_f32 v[6:7], v[22:23], v[20:21] neg_lo:[0,1] neg_hi:[0,1]
	v_add_f32_e32 v2, v2, v7
	v_add_f32_e32 v2, v6, v2
	v_add_f32_e32 v6, v71, v15
	v_add_f32_e32 v2, v17, v2
	v_sub_f32_e32 v7, v6, v71
	v_mul_f32_e32 v2, v70, v2
	v_sub_f32_e32 v7, v15, v7
	v_add_f32_e32 v2, v7, v2
	v_add_f32_e32 v15, v6, v2
	v_mul_f32_e32 v17, v15, v15
	v_mov_b32_e32 v16, 0x3ecc95a3
	v_fmac_f32_e32 v16, 0x3e9b6dac, v17
	v_mov_b32_e32 v7, 0x3f2aaada
	v_fmac_f32_e32 v7, v17, v16
	v_cvt_f32_i32_e32 v16, v54
	v_sub_f32_e32 v6, v15, v6
	v_sub_f32_e32 v2, v2, v6
	v_mul_f32_e32 v17, v15, v17
	v_mov_b32_e32 v6, 0x3f317218
	s_mov_b32 s9, 0x3f317218
	v_pk_mul_f32 v[6:7], v[16:17], v[6:7]
	v_fma_f32 v20, v16, s9, -v6
	v_ldexp_f32 v21, v15, 1
	v_fmac_f32_e32 v20, 0xb102e308, v16
	v_pk_add_f32 v[16:17], v[6:7], v[20:21]
	v_sub_f32_e32 v15, v17, v21
	v_ldexp_f32 v2, v2, 1
	v_sub_f32_e32 v15, v7, v15
	v_add_f32_e32 v23, v2, v15
	v_mov_b32_e32 v22, v6
	v_pk_add_f32 v[6:7], v[16:17], v[6:7] neg_lo:[0,1] neg_hi:[0,1]
	v_pk_add_f32 v[70:71], v[16:17], v[22:23]
	v_mov_b32_e32 v7, v71
	v_mov_b32_e32 v21, v16
	v_pk_add_f32 v[80:81], v[20:21], v[6:7] neg_lo:[0,1] neg_hi:[0,1]
	v_pk_add_f32 v[6:7], v[20:21], v[6:7]
	v_mov_b32_e32 v2, v7
	v_pk_add_f32 v[20:21], v[2:3], v[16:17] neg_lo:[0,1] neg_hi:[0,1]
	v_mov_b32_e32 v15, v20
	v_pk_add_f32 v[82:83], v[70:71], v[14:15] neg_lo:[0,1] neg_hi:[0,1]
	v_mov_b32_e32 v6, v71
	v_mov_b32_e32 v70, v17
	;; [unrolled: 1-line block ×4, first 2 shown]
	v_pk_add_f32 v[6:7], v[6:7], v[70:71] neg_lo:[0,1] neg_hi:[0,1]
	v_mov_b32_e32 v20, v23
	v_mov_b32_e32 v21, v16
	v_pk_add_f32 v[6:7], v[20:21], v[6:7] neg_lo:[0,1] neg_hi:[0,1]
	v_mov_b32_e32 v82, v80
	v_pk_add_f32 v[16:17], v[82:83], v[6:7]
	v_mov_b32_e32 v20, v17
	v_pk_add_f32 v[20:21], v[16:17], v[20:21]
	v_pk_add_f32 v[22:23], v[2:3], v[20:21]
	v_mov_b32_e32 v17, v22
	v_pk_add_f32 v[70:71], v[16:17], v[80:81] neg_lo:[0,1] neg_hi:[0,1]
	v_mov_b32_e32 v7, v20
	v_sub_f32_e32 v2, v16, v70
	v_pk_add_f32 v[6:7], v[6:7], v[70:71] neg_lo:[0,1] neg_hi:[0,1]
	v_sub_f32_e32 v2, v80, v2
	s_mov_b32 s10, 0x7f800000
	v_add_f32_e32 v2, v6, v2
	s_mov_b32 s9, 0x33800000
	v_add_f32_e32 v2, v2, v7
	v_cmp_eq_f32_e32 vcc, s10, v50
	v_cmp_lt_f32_e64 s[10:11], |v50|, s9
	v_add_f32_e32 v2, v22, v2
	s_or_b64 vcc, vcc, s[10:11]
	v_cndmask_b32_e32 v2, v2, v50, vcc
	v_add_f32_e32 v2, v3, v2
	v_cvt_f16_f32_e32 v15, v2
	v_cvt_f32_f16_e32 v2, v15
	v_mov_b32_e32 v54, v15
.LBB381_362:
	s_or_b64 exec, exec, s[6:7]
	v_max_f32_e32 v3, v18, v18
	v_max_f32_e32 v7, v2, v2
	v_min_f32_e32 v6, v7, v3
	v_cmp_u_f16_e32 vcc, v15, v15
	v_max_f32_e32 v3, v7, v3
	v_cndmask_b32_e32 v6, v6, v2, vcc
	v_cndmask_b32_e32 v3, v3, v2, vcc
	v_cndmask_b32_e64 v6, v6, v18, s[34:35]
	v_cndmask_b32_e64 v3, v3, v18, s[34:35]
	v_cmp_neq_f32_e32 vcc, v6, v3
	v_cmp_class_f32_e64 s[6:7], v6, s8
	s_or_b64 s[8:9], vcc, s[6:7]
	v_mov_b32_e32 v69, v54
	s_and_saveexec_b64 s[6:7], s[8:9]
	s_cbranch_execz .LBB381_364
; %bb.363:
	v_sub_f32_e32 v2, v6, v3
	s_mov_b32 s8, 0x3fb8aa3b
	v_mul_f32_e32 v6, 0x3fb8aa3b, v2
	v_fma_f32 v7, v2, s8, -v6
	v_rndne_f32_e32 v15, v6
	v_fmac_f32_e32 v7, 0x32a5705f, v2
	v_sub_f32_e32 v6, v6, v15
	v_add_f32_e32 v6, v6, v7
	v_exp_f32_e32 v6, v6
	v_cvt_i32_f32_e32 v7, v15
	s_mov_b32 s8, 0xc2ce8ed0
	v_cmp_ngt_f32_e32 vcc, s8, v2
	s_mov_b32 s8, 0x42b17218
	v_ldexp_f32 v6, v6, v7
	v_cndmask_b32_e32 v6, 0, v6, vcc
	v_mov_b32_e32 v7, 0x7f800000
	v_cmp_nlt_f32_e32 vcc, s8, v2
	v_cndmask_b32_e32 v50, v7, v6, vcc
	v_add_f32_e32 v2, 1.0, v50
	v_add_f32_e32 v6, -1.0, v2
	v_sub_f32_e32 v7, v6, v2
	v_add_f32_e32 v7, 1.0, v7
	v_sub_f32_e32 v6, v50, v6
	v_add_f32_e32 v15, v6, v7
	v_frexp_mant_f32_e32 v16, v2
	s_mov_b32 s8, 0x3f2aaaab
	v_cvt_f64_f32_e32 v[6:7], v2
	v_frexp_exp_i32_f64_e32 v6, v[6:7]
	v_cmp_gt_f32_e32 vcc, s8, v16
	v_subbrev_co_u32_e32 v18, vcc, 0, v6, vcc
	v_sub_u32_e32 v6, 0, v18
	v_ldexp_f32 v2, v2, v6
	v_ldexp_f32 v6, v15, v6
	v_add_f32_e32 v15, -1.0, v2
	v_add_f32_e32 v7, 1.0, v15
	v_sub_f32_e32 v7, v2, v7
	v_add_f32_e32 v16, v6, v7
	v_add_f32_e32 v7, 1.0, v2
	v_add_f32_e32 v17, -1.0, v7
	v_sub_f32_e32 v2, v2, v17
	v_add_f32_e32 v2, v6, v2
	v_add_f32_e32 v69, v7, v2
	v_rcp_f32_e32 v70, v69
	v_sub_f32_e32 v6, v7, v69
	v_add_f32_e32 v7, v15, v16
	v_add_f32_e32 v2, v2, v6
	v_sub_f32_e32 v6, v15, v7
	v_mul_f32_e32 v71, v7, v70
	v_add_f32_e32 v15, v16, v6
	v_mul_f32_e32 v16, v69, v71
	v_fma_f32 v20, v71, v69, -v16
	v_fmac_f32_e32 v20, v71, v2
	v_add_f32_e32 v6, v16, v20
	v_sub_f32_e32 v17, v7, v6
	v_pk_add_f32 v[22:23], v[6:7], v[16:17] neg_lo:[0,1] neg_hi:[0,1]
	v_mov_b32_e32 v21, v6
	v_pk_add_f32 v[6:7], v[22:23], v[20:21] neg_lo:[0,1] neg_hi:[0,1]
	v_add_f32_e32 v7, v15, v7
	v_add_f32_e32 v6, v6, v7
	;; [unrolled: 1-line block ×3, first 2 shown]
	v_mul_f32_e32 v15, v70, v7
	v_mul_f32_e32 v16, v69, v15
	v_fma_f32 v20, v15, v69, -v16
	v_fmac_f32_e32 v20, v15, v2
	v_sub_f32_e32 v2, v17, v7
	v_add_f32_e32 v2, v6, v2
	v_add_f32_e32 v6, v16, v20
	v_sub_f32_e32 v17, v7, v6
	v_pk_add_f32 v[22:23], v[6:7], v[16:17] neg_lo:[0,1] neg_hi:[0,1]
	v_mov_b32_e32 v21, v6
	v_pk_add_f32 v[6:7], v[22:23], v[20:21] neg_lo:[0,1] neg_hi:[0,1]
	v_add_f32_e32 v2, v2, v7
	v_add_f32_e32 v2, v6, v2
	;; [unrolled: 1-line block ×4, first 2 shown]
	v_sub_f32_e32 v7, v6, v71
	v_mul_f32_e32 v2, v70, v2
	v_sub_f32_e32 v7, v15, v7
	v_add_f32_e32 v2, v7, v2
	v_add_f32_e32 v15, v6, v2
	v_mul_f32_e32 v17, v15, v15
	v_mov_b32_e32 v16, 0x3ecc95a3
	v_fmac_f32_e32 v16, 0x3e9b6dac, v17
	v_mov_b32_e32 v7, 0x3f2aaada
	v_fmac_f32_e32 v7, v17, v16
	v_cvt_f32_i32_e32 v16, v18
	v_sub_f32_e32 v6, v15, v6
	v_sub_f32_e32 v2, v2, v6
	v_mul_f32_e32 v17, v15, v17
	v_mov_b32_e32 v6, 0x3f317218
	s_mov_b32 s8, 0x3f317218
	v_pk_mul_f32 v[6:7], v[16:17], v[6:7]
	v_fma_f32 v20, v16, s8, -v6
	v_ldexp_f32 v21, v15, 1
	v_fmac_f32_e32 v20, 0xb102e308, v16
	v_pk_add_f32 v[16:17], v[6:7], v[20:21]
	v_sub_f32_e32 v15, v17, v21
	v_ldexp_f32 v2, v2, 1
	v_sub_f32_e32 v15, v7, v15
	v_add_f32_e32 v23, v2, v15
	v_mov_b32_e32 v22, v6
	v_pk_add_f32 v[6:7], v[16:17], v[6:7] neg_lo:[0,1] neg_hi:[0,1]
	v_pk_add_f32 v[70:71], v[16:17], v[22:23]
	v_mov_b32_e32 v7, v71
	v_mov_b32_e32 v21, v16
	v_pk_add_f32 v[80:81], v[20:21], v[6:7] neg_lo:[0,1] neg_hi:[0,1]
	v_pk_add_f32 v[6:7], v[20:21], v[6:7]
	v_mov_b32_e32 v2, v7
	v_pk_add_f32 v[20:21], v[2:3], v[16:17] neg_lo:[0,1] neg_hi:[0,1]
	v_mov_b32_e32 v15, v20
	v_pk_add_f32 v[82:83], v[70:71], v[14:15] neg_lo:[0,1] neg_hi:[0,1]
	v_mov_b32_e32 v6, v71
	v_mov_b32_e32 v70, v17
	;; [unrolled: 1-line block ×4, first 2 shown]
	v_pk_add_f32 v[6:7], v[6:7], v[70:71] neg_lo:[0,1] neg_hi:[0,1]
	v_mov_b32_e32 v20, v23
	v_mov_b32_e32 v21, v16
	v_pk_add_f32 v[6:7], v[20:21], v[6:7] neg_lo:[0,1] neg_hi:[0,1]
	v_mov_b32_e32 v82, v80
	v_pk_add_f32 v[16:17], v[82:83], v[6:7]
	v_mov_b32_e32 v18, v17
	v_pk_add_f32 v[20:21], v[16:17], v[18:19]
	v_pk_add_f32 v[22:23], v[2:3], v[20:21]
	v_mov_b32_e32 v17, v22
	v_pk_add_f32 v[70:71], v[16:17], v[80:81] neg_lo:[0,1] neg_hi:[0,1]
	v_mov_b32_e32 v7, v20
	v_sub_f32_e32 v2, v16, v70
	v_pk_add_f32 v[6:7], v[6:7], v[70:71] neg_lo:[0,1] neg_hi:[0,1]
	v_sub_f32_e32 v2, v80, v2
	s_mov_b32 s9, 0x7f800000
	v_add_f32_e32 v2, v6, v2
	s_mov_b32 s8, 0x33800000
	v_add_f32_e32 v2, v2, v7
	v_cmp_eq_f32_e32 vcc, s9, v50
	v_cmp_lt_f32_e64 s[8:9], |v50|, s8
	v_add_f32_e32 v2, v22, v2
	s_or_b64 vcc, vcc, s[8:9]
	v_cndmask_b32_e32 v2, v2, v50, vcc
	v_add_f32_e32 v2, v3, v2
	v_cvt_f16_f32_e32 v15, v2
	v_cvt_f32_f16_e32 v2, v15
	v_mov_b32_e32 v69, v15
.LBB381_364:
	s_or_b64 exec, exec, s[6:7]
	v_max_f32_e32 v3, v55, v55
	v_max_f32_e32 v7, v2, v2
	v_min_f32_e32 v6, v7, v3
	v_cmp_u_f16_e32 vcc, v15, v15
	v_max_f32_e32 v3, v7, v3
	v_cndmask_b32_e32 v6, v6, v2, vcc
	v_cndmask_b32_e32 v3, v3, v2, vcc
	v_cndmask_b32_e64 v6, v6, v55, s[36:37]
	v_cndmask_b32_e64 v3, v3, v55, s[36:37]
	s_movk_i32 s8, 0x1f8
	v_cmp_neq_f32_e32 vcc, v6, v3
	v_cmp_class_f32_e64 s[6:7], v6, s8
	s_or_b64 s[10:11], vcc, s[6:7]
	v_mov_b32_e32 v55, v69
	s_and_saveexec_b64 s[6:7], s[10:11]
	s_cbranch_execz .LBB381_366
; %bb.365:
	v_sub_f32_e32 v2, v6, v3
	s_mov_b32 s9, 0x3fb8aa3b
	v_mul_f32_e32 v6, 0x3fb8aa3b, v2
	v_fma_f32 v7, v2, s9, -v6
	v_rndne_f32_e32 v15, v6
	v_fmac_f32_e32 v7, 0x32a5705f, v2
	v_sub_f32_e32 v6, v6, v15
	v_add_f32_e32 v6, v6, v7
	v_exp_f32_e32 v6, v6
	v_cvt_i32_f32_e32 v7, v15
	s_mov_b32 s9, 0xc2ce8ed0
	v_cmp_ngt_f32_e32 vcc, s9, v2
	s_mov_b32 s9, 0x42b17218
	v_ldexp_f32 v6, v6, v7
	v_cndmask_b32_e32 v6, 0, v6, vcc
	v_mov_b32_e32 v7, 0x7f800000
	v_cmp_nlt_f32_e32 vcc, s9, v2
	v_cndmask_b32_e32 v50, v7, v6, vcc
	v_add_f32_e32 v2, 1.0, v50
	v_add_f32_e32 v6, -1.0, v2
	v_sub_f32_e32 v7, v6, v2
	v_add_f32_e32 v7, 1.0, v7
	v_sub_f32_e32 v6, v50, v6
	v_add_f32_e32 v15, v6, v7
	v_frexp_mant_f32_e32 v16, v2
	s_mov_b32 s9, 0x3f2aaaab
	v_cvt_f64_f32_e32 v[6:7], v2
	v_frexp_exp_i32_f64_e32 v6, v[6:7]
	v_cmp_gt_f32_e32 vcc, s9, v16
	v_subbrev_co_u32_e32 v18, vcc, 0, v6, vcc
	v_sub_u32_e32 v6, 0, v18
	v_ldexp_f32 v2, v2, v6
	v_ldexp_f32 v6, v15, v6
	v_add_f32_e32 v15, -1.0, v2
	v_add_f32_e32 v7, 1.0, v15
	v_sub_f32_e32 v7, v2, v7
	v_add_f32_e32 v16, v6, v7
	v_add_f32_e32 v7, 1.0, v2
	v_add_f32_e32 v17, -1.0, v7
	v_sub_f32_e32 v2, v2, v17
	v_add_f32_e32 v2, v6, v2
	v_add_f32_e32 v55, v7, v2
	v_rcp_f32_e32 v70, v55
	v_sub_f32_e32 v6, v7, v55
	v_add_f32_e32 v7, v15, v16
	v_add_f32_e32 v2, v2, v6
	v_sub_f32_e32 v6, v15, v7
	v_mul_f32_e32 v71, v7, v70
	v_add_f32_e32 v15, v16, v6
	v_mul_f32_e32 v16, v55, v71
	v_fma_f32 v20, v71, v55, -v16
	v_fmac_f32_e32 v20, v71, v2
	v_add_f32_e32 v6, v16, v20
	v_sub_f32_e32 v17, v7, v6
	v_pk_add_f32 v[22:23], v[6:7], v[16:17] neg_lo:[0,1] neg_hi:[0,1]
	v_mov_b32_e32 v21, v6
	v_pk_add_f32 v[6:7], v[22:23], v[20:21] neg_lo:[0,1] neg_hi:[0,1]
	v_add_f32_e32 v7, v15, v7
	v_add_f32_e32 v6, v6, v7
	;; [unrolled: 1-line block ×3, first 2 shown]
	v_mul_f32_e32 v15, v70, v7
	v_mul_f32_e32 v16, v55, v15
	v_fma_f32 v20, v15, v55, -v16
	v_fmac_f32_e32 v20, v15, v2
	v_sub_f32_e32 v2, v17, v7
	v_add_f32_e32 v2, v6, v2
	v_add_f32_e32 v6, v16, v20
	v_sub_f32_e32 v17, v7, v6
	v_pk_add_f32 v[22:23], v[6:7], v[16:17] neg_lo:[0,1] neg_hi:[0,1]
	v_mov_b32_e32 v21, v6
	v_pk_add_f32 v[6:7], v[22:23], v[20:21] neg_lo:[0,1] neg_hi:[0,1]
	v_add_f32_e32 v2, v2, v7
	v_add_f32_e32 v2, v6, v2
	;; [unrolled: 1-line block ×4, first 2 shown]
	v_sub_f32_e32 v7, v6, v71
	v_mul_f32_e32 v2, v70, v2
	v_sub_f32_e32 v7, v15, v7
	v_add_f32_e32 v2, v7, v2
	v_add_f32_e32 v15, v6, v2
	v_mul_f32_e32 v17, v15, v15
	v_mov_b32_e32 v16, 0x3ecc95a3
	v_fmac_f32_e32 v16, 0x3e9b6dac, v17
	v_mov_b32_e32 v7, 0x3f2aaada
	v_fmac_f32_e32 v7, v17, v16
	v_cvt_f32_i32_e32 v16, v18
	v_sub_f32_e32 v6, v15, v6
	v_sub_f32_e32 v2, v2, v6
	v_mul_f32_e32 v17, v15, v17
	v_mov_b32_e32 v6, 0x3f317218
	s_mov_b32 s9, 0x3f317218
	v_pk_mul_f32 v[6:7], v[16:17], v[6:7]
	v_fma_f32 v20, v16, s9, -v6
	v_ldexp_f32 v21, v15, 1
	v_fmac_f32_e32 v20, 0xb102e308, v16
	v_pk_add_f32 v[16:17], v[6:7], v[20:21]
	v_sub_f32_e32 v15, v17, v21
	v_ldexp_f32 v2, v2, 1
	v_sub_f32_e32 v15, v7, v15
	v_add_f32_e32 v23, v2, v15
	v_mov_b32_e32 v22, v6
	v_pk_add_f32 v[6:7], v[16:17], v[6:7] neg_lo:[0,1] neg_hi:[0,1]
	v_pk_add_f32 v[70:71], v[16:17], v[22:23]
	v_mov_b32_e32 v7, v71
	v_mov_b32_e32 v21, v16
	v_pk_add_f32 v[80:81], v[20:21], v[6:7] neg_lo:[0,1] neg_hi:[0,1]
	v_pk_add_f32 v[6:7], v[20:21], v[6:7]
	v_mov_b32_e32 v2, v7
	v_pk_add_f32 v[20:21], v[2:3], v[16:17] neg_lo:[0,1] neg_hi:[0,1]
	v_mov_b32_e32 v15, v20
	v_pk_add_f32 v[82:83], v[70:71], v[14:15] neg_lo:[0,1] neg_hi:[0,1]
	v_mov_b32_e32 v6, v71
	v_mov_b32_e32 v70, v17
	;; [unrolled: 1-line block ×4, first 2 shown]
	v_pk_add_f32 v[6:7], v[6:7], v[70:71] neg_lo:[0,1] neg_hi:[0,1]
	v_mov_b32_e32 v20, v23
	v_mov_b32_e32 v21, v16
	v_pk_add_f32 v[6:7], v[20:21], v[6:7] neg_lo:[0,1] neg_hi:[0,1]
	v_mov_b32_e32 v82, v80
	v_pk_add_f32 v[16:17], v[82:83], v[6:7]
	v_mov_b32_e32 v18, v17
	v_pk_add_f32 v[20:21], v[16:17], v[18:19]
	v_pk_add_f32 v[22:23], v[2:3], v[20:21]
	v_mov_b32_e32 v17, v22
	v_pk_add_f32 v[70:71], v[16:17], v[80:81] neg_lo:[0,1] neg_hi:[0,1]
	v_mov_b32_e32 v7, v20
	v_sub_f32_e32 v2, v16, v70
	v_pk_add_f32 v[6:7], v[6:7], v[70:71] neg_lo:[0,1] neg_hi:[0,1]
	v_sub_f32_e32 v2, v80, v2
	s_mov_b32 s10, 0x7f800000
	v_add_f32_e32 v2, v6, v2
	s_mov_b32 s9, 0x33800000
	v_add_f32_e32 v2, v2, v7
	v_cmp_eq_f32_e32 vcc, s10, v50
	v_cmp_lt_f32_e64 s[10:11], |v50|, s9
	v_add_f32_e32 v2, v22, v2
	s_or_b64 vcc, vcc, s[10:11]
	v_cndmask_b32_e32 v2, v2, v50, vcc
	v_add_f32_e32 v2, v3, v2
	v_cvt_f16_f32_e32 v15, v2
	v_cvt_f32_f16_e32 v2, v15
	v_mov_b32_e32 v55, v15
.LBB381_366:
	s_or_b64 exec, exec, s[6:7]
	v_max_f32_e32 v3, v19, v19
	v_max_f32_e32 v7, v2, v2
	v_min_f32_e32 v6, v7, v3
	v_cmp_u_f16_e32 vcc, v15, v15
	v_max_f32_e32 v3, v7, v3
	v_cndmask_b32_e32 v6, v6, v2, vcc
	v_cndmask_b32_e32 v3, v3, v2, vcc
	v_cndmask_b32_e64 v6, v6, v19, s[38:39]
	v_cndmask_b32_e64 v3, v3, v19, s[38:39]
	v_cmp_neq_f32_e32 vcc, v6, v3
	v_cmp_class_f32_e64 s[6:7], v6, s8
	s_or_b64 s[8:9], vcc, s[6:7]
	v_mov_b32_e32 v70, v55
	s_and_saveexec_b64 s[6:7], s[8:9]
	s_cbranch_execz .LBB381_368
; %bb.367:
	v_sub_f32_e32 v2, v6, v3
	s_mov_b32 s8, 0x3fb8aa3b
	v_mul_f32_e32 v6, 0x3fb8aa3b, v2
	v_fma_f32 v7, v2, s8, -v6
	v_rndne_f32_e32 v15, v6
	v_fmac_f32_e32 v7, 0x32a5705f, v2
	v_sub_f32_e32 v6, v6, v15
	v_add_f32_e32 v6, v6, v7
	v_exp_f32_e32 v6, v6
	v_cvt_i32_f32_e32 v7, v15
	s_mov_b32 s8, 0xc2ce8ed0
	v_cmp_ngt_f32_e32 vcc, s8, v2
	s_mov_b32 s8, 0x42b17218
	v_ldexp_f32 v6, v6, v7
	v_cndmask_b32_e32 v6, 0, v6, vcc
	v_mov_b32_e32 v7, 0x7f800000
	v_cmp_nlt_f32_e32 vcc, s8, v2
	v_cndmask_b32_e32 v50, v7, v6, vcc
	v_add_f32_e32 v2, 1.0, v50
	v_add_f32_e32 v6, -1.0, v2
	v_sub_f32_e32 v7, v6, v2
	v_add_f32_e32 v7, 1.0, v7
	v_sub_f32_e32 v6, v50, v6
	v_add_f32_e32 v15, v6, v7
	v_frexp_mant_f32_e32 v16, v2
	s_mov_b32 s8, 0x3f2aaaab
	v_cvt_f64_f32_e32 v[6:7], v2
	v_frexp_exp_i32_f64_e32 v6, v[6:7]
	v_cmp_gt_f32_e32 vcc, s8, v16
	v_subbrev_co_u32_e32 v22, vcc, 0, v6, vcc
	v_sub_u32_e32 v6, 0, v22
	v_ldexp_f32 v2, v2, v6
	v_ldexp_f32 v6, v15, v6
	v_add_f32_e32 v15, -1.0, v2
	v_add_f32_e32 v7, 1.0, v15
	v_sub_f32_e32 v7, v2, v7
	v_add_f32_e32 v16, v6, v7
	v_add_f32_e32 v7, 1.0, v2
	v_add_f32_e32 v17, -1.0, v7
	v_sub_f32_e32 v2, v2, v17
	v_add_f32_e32 v2, v6, v2
	v_add_f32_e32 v23, v7, v2
	v_rcp_f32_e32 v70, v23
	v_sub_f32_e32 v6, v7, v23
	v_add_f32_e32 v7, v15, v16
	v_add_f32_e32 v2, v2, v6
	v_sub_f32_e32 v6, v15, v7
	v_mul_f32_e32 v71, v7, v70
	v_add_f32_e32 v15, v16, v6
	v_mul_f32_e32 v16, v23, v71
	v_fma_f32 v18, v71, v23, -v16
	v_fmac_f32_e32 v18, v71, v2
	v_add_f32_e32 v6, v16, v18
	v_sub_f32_e32 v17, v7, v6
	v_pk_add_f32 v[20:21], v[6:7], v[16:17] neg_lo:[0,1] neg_hi:[0,1]
	v_mov_b32_e32 v19, v6
	v_pk_add_f32 v[6:7], v[20:21], v[18:19] neg_lo:[0,1] neg_hi:[0,1]
	v_add_f32_e32 v7, v15, v7
	v_add_f32_e32 v6, v6, v7
	;; [unrolled: 1-line block ×3, first 2 shown]
	v_mul_f32_e32 v15, v70, v7
	v_mul_f32_e32 v16, v23, v15
	v_fma_f32 v18, v15, v23, -v16
	v_fmac_f32_e32 v18, v15, v2
	v_sub_f32_e32 v2, v17, v7
	v_add_f32_e32 v2, v6, v2
	v_add_f32_e32 v6, v16, v18
	v_sub_f32_e32 v17, v7, v6
	v_pk_add_f32 v[20:21], v[6:7], v[16:17] neg_lo:[0,1] neg_hi:[0,1]
	v_mov_b32_e32 v19, v6
	v_pk_add_f32 v[6:7], v[20:21], v[18:19] neg_lo:[0,1] neg_hi:[0,1]
	v_add_f32_e32 v2, v2, v7
	v_add_f32_e32 v2, v6, v2
	;; [unrolled: 1-line block ×4, first 2 shown]
	v_sub_f32_e32 v7, v6, v71
	v_mul_f32_e32 v2, v70, v2
	v_sub_f32_e32 v7, v15, v7
	v_add_f32_e32 v2, v7, v2
	v_add_f32_e32 v15, v6, v2
	v_mul_f32_e32 v17, v15, v15
	v_mov_b32_e32 v16, 0x3ecc95a3
	v_fmac_f32_e32 v16, 0x3e9b6dac, v17
	v_mov_b32_e32 v7, 0x3f2aaada
	v_fmac_f32_e32 v7, v17, v16
	v_cvt_f32_i32_e32 v16, v22
	v_sub_f32_e32 v6, v15, v6
	v_sub_f32_e32 v2, v2, v6
	v_mul_f32_e32 v17, v15, v17
	v_mov_b32_e32 v6, 0x3f317218
	s_mov_b32 s8, 0x3f317218
	v_pk_mul_f32 v[6:7], v[16:17], v[6:7]
	v_fma_f32 v18, v16, s8, -v6
	v_ldexp_f32 v19, v15, 1
	v_fmac_f32_e32 v18, 0xb102e308, v16
	v_pk_add_f32 v[16:17], v[6:7], v[18:19]
	v_sub_f32_e32 v15, v17, v19
	v_ldexp_f32 v2, v2, 1
	v_sub_f32_e32 v15, v7, v15
	v_add_f32_e32 v21, v2, v15
	v_mov_b32_e32 v20, v6
	v_pk_add_f32 v[6:7], v[16:17], v[6:7] neg_lo:[0,1] neg_hi:[0,1]
	v_pk_add_f32 v[22:23], v[16:17], v[20:21]
	v_mov_b32_e32 v7, v23
	v_mov_b32_e32 v19, v16
	v_pk_add_f32 v[70:71], v[18:19], v[6:7] neg_lo:[0,1] neg_hi:[0,1]
	v_pk_add_f32 v[6:7], v[18:19], v[6:7]
	v_mov_b32_e32 v2, v7
	v_pk_add_f32 v[18:19], v[2:3], v[16:17] neg_lo:[0,1] neg_hi:[0,1]
	v_mov_b32_e32 v15, v18
	v_pk_add_f32 v[80:81], v[22:23], v[14:15] neg_lo:[0,1] neg_hi:[0,1]
	v_mov_b32_e32 v6, v23
	v_mov_b32_e32 v22, v17
	v_mov_b32_e32 v23, v18
	v_mov_b32_e32 v71, v7
	v_pk_add_f32 v[6:7], v[6:7], v[22:23] neg_lo:[0,1] neg_hi:[0,1]
	v_mov_b32_e32 v18, v21
	v_mov_b32_e32 v19, v16
	v_pk_add_f32 v[6:7], v[18:19], v[6:7] neg_lo:[0,1] neg_hi:[0,1]
	v_mov_b32_e32 v80, v70
	v_pk_add_f32 v[16:17], v[80:81], v[6:7]
	v_mov_b32_e32 v18, v17
	v_pk_add_f32 v[18:19], v[16:17], v[18:19]
	v_pk_add_f32 v[20:21], v[2:3], v[18:19]
	v_mov_b32_e32 v17, v20
	v_pk_add_f32 v[22:23], v[16:17], v[70:71] neg_lo:[0,1] neg_hi:[0,1]
	v_mov_b32_e32 v7, v18
	v_sub_f32_e32 v2, v16, v22
	v_pk_add_f32 v[6:7], v[6:7], v[22:23] neg_lo:[0,1] neg_hi:[0,1]
	v_sub_f32_e32 v2, v70, v2
	s_mov_b32 s9, 0x7f800000
	v_add_f32_e32 v2, v6, v2
	s_mov_b32 s8, 0x33800000
	v_add_f32_e32 v2, v2, v7
	v_cmp_eq_f32_e32 vcc, s9, v50
	v_cmp_lt_f32_e64 s[8:9], |v50|, s8
	v_add_f32_e32 v2, v20, v2
	s_or_b64 vcc, vcc, s[8:9]
	v_cndmask_b32_e32 v2, v2, v50, vcc
	v_add_f32_e32 v2, v3, v2
	v_cvt_f16_f32_e32 v15, v2
	v_cvt_f32_f16_e32 v2, v15
	v_mov_b32_e32 v70, v15
.LBB381_368:
	s_or_b64 exec, exec, s[6:7]
	v_max_f32_e32 v3, v64, v64
	v_max_f32_e32 v7, v2, v2
	v_min_f32_e32 v6, v7, v3
	v_cmp_u_f16_e32 vcc, v15, v15
	v_max_f32_e32 v3, v7, v3
	v_cndmask_b32_e32 v6, v6, v2, vcc
	v_cndmask_b32_e32 v3, v3, v2, vcc
	v_cndmask_b32_e64 v6, v6, v64, s[40:41]
	v_cndmask_b32_e64 v3, v3, v64, s[40:41]
	s_movk_i32 s8, 0x1f8
	v_cmp_neq_f32_e32 vcc, v6, v3
	v_cmp_class_f32_e64 s[6:7], v6, s8
	s_or_b64 s[10:11], vcc, s[6:7]
	v_mov_b32_e32 v64, v70
	s_and_saveexec_b64 s[6:7], s[10:11]
	s_cbranch_execz .LBB381_370
; %bb.369:
	v_sub_f32_e32 v2, v6, v3
	s_mov_b32 s9, 0x3fb8aa3b
	v_mul_f32_e32 v6, 0x3fb8aa3b, v2
	v_fma_f32 v7, v2, s9, -v6
	v_rndne_f32_e32 v15, v6
	v_fmac_f32_e32 v7, 0x32a5705f, v2
	v_sub_f32_e32 v6, v6, v15
	v_add_f32_e32 v6, v6, v7
	v_exp_f32_e32 v6, v6
	v_cvt_i32_f32_e32 v7, v15
	s_mov_b32 s9, 0xc2ce8ed0
	v_cmp_ngt_f32_e32 vcc, s9, v2
	s_mov_b32 s9, 0x42b17218
	v_ldexp_f32 v6, v6, v7
	v_cndmask_b32_e32 v6, 0, v6, vcc
	v_mov_b32_e32 v7, 0x7f800000
	v_cmp_nlt_f32_e32 vcc, s9, v2
	v_cndmask_b32_e32 v50, v7, v6, vcc
	v_add_f32_e32 v2, 1.0, v50
	v_add_f32_e32 v6, -1.0, v2
	v_sub_f32_e32 v7, v6, v2
	v_add_f32_e32 v7, 1.0, v7
	v_sub_f32_e32 v6, v50, v6
	v_add_f32_e32 v15, v6, v7
	v_frexp_mant_f32_e32 v16, v2
	s_mov_b32 s9, 0x3f2aaaab
	v_cvt_f64_f32_e32 v[6:7], v2
	v_frexp_exp_i32_f64_e32 v6, v[6:7]
	v_cmp_gt_f32_e32 vcc, s9, v16
	v_subbrev_co_u32_e32 v22, vcc, 0, v6, vcc
	v_sub_u32_e32 v6, 0, v22
	v_ldexp_f32 v2, v2, v6
	v_ldexp_f32 v6, v15, v6
	v_add_f32_e32 v15, -1.0, v2
	v_add_f32_e32 v7, 1.0, v15
	v_sub_f32_e32 v7, v2, v7
	v_add_f32_e32 v16, v6, v7
	v_add_f32_e32 v7, 1.0, v2
	v_add_f32_e32 v17, -1.0, v7
	v_sub_f32_e32 v2, v2, v17
	v_add_f32_e32 v2, v6, v2
	v_add_f32_e32 v23, v7, v2
	v_rcp_f32_e32 v64, v23
	v_sub_f32_e32 v6, v7, v23
	v_add_f32_e32 v7, v15, v16
	v_add_f32_e32 v2, v2, v6
	v_sub_f32_e32 v6, v15, v7
	v_mul_f32_e32 v71, v7, v64
	v_add_f32_e32 v15, v16, v6
	v_mul_f32_e32 v16, v23, v71
	v_fma_f32 v18, v71, v23, -v16
	v_fmac_f32_e32 v18, v71, v2
	v_add_f32_e32 v6, v16, v18
	v_sub_f32_e32 v17, v7, v6
	v_pk_add_f32 v[20:21], v[6:7], v[16:17] neg_lo:[0,1] neg_hi:[0,1]
	v_mov_b32_e32 v19, v6
	v_pk_add_f32 v[6:7], v[20:21], v[18:19] neg_lo:[0,1] neg_hi:[0,1]
	v_add_f32_e32 v7, v15, v7
	v_add_f32_e32 v6, v6, v7
	;; [unrolled: 1-line block ×3, first 2 shown]
	v_mul_f32_e32 v15, v64, v7
	v_mul_f32_e32 v16, v23, v15
	v_fma_f32 v18, v15, v23, -v16
	v_fmac_f32_e32 v18, v15, v2
	v_sub_f32_e32 v2, v17, v7
	v_add_f32_e32 v2, v6, v2
	v_add_f32_e32 v6, v16, v18
	v_sub_f32_e32 v17, v7, v6
	v_pk_add_f32 v[20:21], v[6:7], v[16:17] neg_lo:[0,1] neg_hi:[0,1]
	v_mov_b32_e32 v19, v6
	v_pk_add_f32 v[6:7], v[20:21], v[18:19] neg_lo:[0,1] neg_hi:[0,1]
	v_add_f32_e32 v2, v2, v7
	v_add_f32_e32 v2, v6, v2
	;; [unrolled: 1-line block ×4, first 2 shown]
	v_sub_f32_e32 v7, v6, v71
	v_mul_f32_e32 v2, v64, v2
	v_sub_f32_e32 v7, v15, v7
	v_add_f32_e32 v2, v7, v2
	v_add_f32_e32 v15, v6, v2
	v_mul_f32_e32 v17, v15, v15
	v_mov_b32_e32 v16, 0x3ecc95a3
	v_fmac_f32_e32 v16, 0x3e9b6dac, v17
	v_mov_b32_e32 v7, 0x3f2aaada
	v_fmac_f32_e32 v7, v17, v16
	v_cvt_f32_i32_e32 v16, v22
	v_sub_f32_e32 v6, v15, v6
	v_sub_f32_e32 v2, v2, v6
	v_mul_f32_e32 v17, v15, v17
	v_mov_b32_e32 v6, 0x3f317218
	s_mov_b32 s9, 0x3f317218
	v_pk_mul_f32 v[6:7], v[16:17], v[6:7]
	v_fma_f32 v18, v16, s9, -v6
	v_ldexp_f32 v19, v15, 1
	v_fmac_f32_e32 v18, 0xb102e308, v16
	v_pk_add_f32 v[16:17], v[6:7], v[18:19]
	v_sub_f32_e32 v15, v17, v19
	v_ldexp_f32 v2, v2, 1
	v_sub_f32_e32 v15, v7, v15
	v_add_f32_e32 v21, v2, v15
	v_mov_b32_e32 v20, v6
	v_pk_add_f32 v[6:7], v[16:17], v[6:7] neg_lo:[0,1] neg_hi:[0,1]
	v_pk_add_f32 v[22:23], v[16:17], v[20:21]
	v_mov_b32_e32 v7, v23
	v_mov_b32_e32 v19, v16
	v_pk_add_f32 v[80:81], v[18:19], v[6:7] neg_lo:[0,1] neg_hi:[0,1]
	v_pk_add_f32 v[6:7], v[18:19], v[6:7]
	v_mov_b32_e32 v2, v7
	v_pk_add_f32 v[18:19], v[2:3], v[16:17] neg_lo:[0,1] neg_hi:[0,1]
	v_mov_b32_e32 v15, v18
	v_pk_add_f32 v[82:83], v[22:23], v[14:15] neg_lo:[0,1] neg_hi:[0,1]
	v_mov_b32_e32 v6, v23
	v_mov_b32_e32 v22, v17
	;; [unrolled: 1-line block ×4, first 2 shown]
	v_pk_add_f32 v[6:7], v[6:7], v[22:23] neg_lo:[0,1] neg_hi:[0,1]
	v_mov_b32_e32 v18, v21
	v_mov_b32_e32 v19, v16
	v_pk_add_f32 v[6:7], v[18:19], v[6:7] neg_lo:[0,1] neg_hi:[0,1]
	v_mov_b32_e32 v82, v80
	v_pk_add_f32 v[16:17], v[82:83], v[6:7]
	v_mov_b32_e32 v18, v17
	v_pk_add_f32 v[18:19], v[16:17], v[18:19]
	v_pk_add_f32 v[20:21], v[2:3], v[18:19]
	v_mov_b32_e32 v17, v20
	v_pk_add_f32 v[22:23], v[16:17], v[80:81] neg_lo:[0,1] neg_hi:[0,1]
	v_mov_b32_e32 v7, v18
	v_sub_f32_e32 v2, v16, v22
	v_pk_add_f32 v[6:7], v[6:7], v[22:23] neg_lo:[0,1] neg_hi:[0,1]
	v_sub_f32_e32 v2, v80, v2
	s_mov_b32 s10, 0x7f800000
	v_add_f32_e32 v2, v6, v2
	s_mov_b32 s9, 0x33800000
	v_add_f32_e32 v2, v2, v7
	v_cmp_eq_f32_e32 vcc, s10, v50
	v_cmp_lt_f32_e64 s[10:11], |v50|, s9
	v_add_f32_e32 v2, v20, v2
	s_or_b64 vcc, vcc, s[10:11]
	v_cndmask_b32_e32 v2, v2, v50, vcc
	v_add_f32_e32 v2, v3, v2
	v_cvt_f16_f32_e32 v15, v2
	v_cvt_f32_f16_e32 v2, v15
	v_mov_b32_e32 v64, v15
.LBB381_370:
	s_or_b64 exec, exec, s[6:7]
	v_max_f32_e32 v3, v12, v12
	v_max_f32_e32 v7, v2, v2
	v_min_f32_e32 v6, v7, v3
	v_cmp_u_f16_e32 vcc, v15, v15
	v_max_f32_e32 v3, v7, v3
	v_cndmask_b32_e32 v6, v6, v2, vcc
	v_cndmask_b32_e32 v3, v3, v2, vcc
	v_cndmask_b32_e64 v6, v6, v12, s[42:43]
	v_cndmask_b32_e64 v3, v3, v12, s[42:43]
	v_cmp_neq_f32_e32 vcc, v6, v3
	v_cmp_class_f32_e64 s[6:7], v6, s8
	s_or_b64 s[8:9], vcc, s[6:7]
	v_mov_b32_e32 v71, v64
	s_and_saveexec_b64 s[6:7], s[8:9]
	s_cbranch_execz .LBB381_372
; %bb.371:
	v_sub_f32_e32 v2, v6, v3
	s_mov_b32 s8, 0x3fb8aa3b
	v_mul_f32_e32 v6, 0x3fb8aa3b, v2
	v_fma_f32 v7, v2, s8, -v6
	v_rndne_f32_e32 v12, v6
	v_fmac_f32_e32 v7, 0x32a5705f, v2
	v_sub_f32_e32 v6, v6, v12
	v_add_f32_e32 v6, v6, v7
	v_exp_f32_e32 v6, v6
	v_cvt_i32_f32_e32 v7, v12
	s_mov_b32 s8, 0xc2ce8ed0
	v_cmp_ngt_f32_e32 vcc, s8, v2
	s_mov_b32 s8, 0x42b17218
	v_ldexp_f32 v6, v6, v7
	v_cndmask_b32_e32 v6, 0, v6, vcc
	v_mov_b32_e32 v7, 0x7f800000
	v_cmp_nlt_f32_e32 vcc, s8, v2
	v_cndmask_b32_e32 v50, v7, v6, vcc
	v_add_f32_e32 v2, 1.0, v50
	v_add_f32_e32 v6, -1.0, v2
	v_sub_f32_e32 v7, v6, v2
	v_add_f32_e32 v7, 1.0, v7
	v_sub_f32_e32 v6, v50, v6
	v_add_f32_e32 v12, v6, v7
	v_frexp_mant_f32_e32 v15, v2
	s_mov_b32 s8, 0x3f2aaaab
	v_cvt_f64_f32_e32 v[6:7], v2
	v_frexp_exp_i32_f64_e32 v6, v[6:7]
	v_cmp_gt_f32_e32 vcc, s8, v15
	v_subbrev_co_u32_e32 v15, vcc, 0, v6, vcc
	v_sub_u32_e32 v6, 0, v15
	v_ldexp_f32 v2, v2, v6
	v_ldexp_f32 v6, v12, v6
	v_add_f32_e32 v12, -1.0, v2
	v_add_f32_e32 v7, 1.0, v12
	v_sub_f32_e32 v7, v2, v7
	v_add_f32_e32 v16, v6, v7
	v_add_f32_e32 v7, 1.0, v2
	v_add_f32_e32 v17, -1.0, v7
	v_sub_f32_e32 v2, v2, v17
	v_add_f32_e32 v2, v6, v2
	v_add_f32_e32 v22, v7, v2
	v_rcp_f32_e32 v23, v22
	v_sub_f32_e32 v6, v7, v22
	v_add_f32_e32 v7, v12, v16
	v_add_f32_e32 v2, v2, v6
	v_sub_f32_e32 v6, v12, v7
	v_mul_f32_e32 v71, v7, v23
	v_add_f32_e32 v12, v16, v6
	v_mul_f32_e32 v16, v22, v71
	v_fma_f32 v18, v71, v22, -v16
	v_fmac_f32_e32 v18, v71, v2
	v_add_f32_e32 v6, v16, v18
	v_sub_f32_e32 v17, v7, v6
	v_pk_add_f32 v[20:21], v[6:7], v[16:17] neg_lo:[0,1] neg_hi:[0,1]
	v_mov_b32_e32 v19, v6
	v_pk_add_f32 v[6:7], v[20:21], v[18:19] neg_lo:[0,1] neg_hi:[0,1]
	v_add_f32_e32 v7, v12, v7
	v_add_f32_e32 v6, v6, v7
	;; [unrolled: 1-line block ×3, first 2 shown]
	v_mul_f32_e32 v12, v23, v7
	v_mul_f32_e32 v16, v22, v12
	v_fma_f32 v18, v12, v22, -v16
	v_fmac_f32_e32 v18, v12, v2
	v_sub_f32_e32 v2, v17, v7
	v_add_f32_e32 v2, v6, v2
	v_add_f32_e32 v6, v16, v18
	v_sub_f32_e32 v17, v7, v6
	v_pk_add_f32 v[20:21], v[6:7], v[16:17] neg_lo:[0,1] neg_hi:[0,1]
	v_mov_b32_e32 v19, v6
	v_pk_add_f32 v[6:7], v[20:21], v[18:19] neg_lo:[0,1] neg_hi:[0,1]
	v_add_f32_e32 v2, v2, v7
	v_add_f32_e32 v2, v6, v2
	;; [unrolled: 1-line block ×4, first 2 shown]
	v_sub_f32_e32 v7, v6, v71
	v_mul_f32_e32 v2, v23, v2
	v_sub_f32_e32 v7, v12, v7
	v_add_f32_e32 v2, v7, v2
	v_add_f32_e32 v12, v6, v2
	v_mul_f32_e32 v17, v12, v12
	v_mov_b32_e32 v16, 0x3ecc95a3
	v_fmac_f32_e32 v16, 0x3e9b6dac, v17
	v_mov_b32_e32 v7, 0x3f2aaada
	v_fmac_f32_e32 v7, v17, v16
	v_cvt_f32_i32_e32 v16, v15
	v_sub_f32_e32 v6, v12, v6
	v_sub_f32_e32 v2, v2, v6
	v_mul_f32_e32 v17, v12, v17
	v_mov_b32_e32 v6, 0x3f317218
	s_mov_b32 s8, 0x3f317218
	v_pk_mul_f32 v[6:7], v[16:17], v[6:7]
	v_fma_f32 v18, v16, s8, -v6
	v_ldexp_f32 v19, v12, 1
	v_fmac_f32_e32 v18, 0xb102e308, v16
	v_pk_add_f32 v[16:17], v[6:7], v[18:19]
	v_sub_f32_e32 v12, v17, v19
	v_ldexp_f32 v2, v2, 1
	v_sub_f32_e32 v12, v7, v12
	v_add_f32_e32 v21, v2, v12
	v_mov_b32_e32 v20, v6
	v_pk_add_f32 v[6:7], v[16:17], v[6:7] neg_lo:[0,1] neg_hi:[0,1]
	v_pk_add_f32 v[22:23], v[16:17], v[20:21]
	v_mov_b32_e32 v7, v23
	v_mov_b32_e32 v19, v16
	v_pk_add_f32 v[80:81], v[18:19], v[6:7] neg_lo:[0,1] neg_hi:[0,1]
	v_pk_add_f32 v[6:7], v[18:19], v[6:7]
	v_mov_b32_e32 v2, v7
	v_pk_add_f32 v[18:19], v[2:3], v[16:17] neg_lo:[0,1] neg_hi:[0,1]
	v_mov_b32_e32 v15, v18
	v_pk_add_f32 v[82:83], v[22:23], v[14:15] neg_lo:[0,1] neg_hi:[0,1]
	v_mov_b32_e32 v6, v23
	v_mov_b32_e32 v22, v17
	;; [unrolled: 1-line block ×4, first 2 shown]
	v_pk_add_f32 v[6:7], v[6:7], v[22:23] neg_lo:[0,1] neg_hi:[0,1]
	v_mov_b32_e32 v18, v21
	v_mov_b32_e32 v19, v16
	v_pk_add_f32 v[6:7], v[18:19], v[6:7] neg_lo:[0,1] neg_hi:[0,1]
	v_mov_b32_e32 v82, v80
	v_pk_add_f32 v[16:17], v[82:83], v[6:7]
	v_mov_b32_e32 v12, v17
	v_pk_add_f32 v[18:19], v[16:17], v[12:13]
	v_pk_add_f32 v[20:21], v[2:3], v[18:19]
	v_mov_b32_e32 v17, v20
	v_pk_add_f32 v[22:23], v[16:17], v[80:81] neg_lo:[0,1] neg_hi:[0,1]
	v_mov_b32_e32 v7, v18
	v_sub_f32_e32 v2, v16, v22
	v_pk_add_f32 v[6:7], v[6:7], v[22:23] neg_lo:[0,1] neg_hi:[0,1]
	v_sub_f32_e32 v2, v80, v2
	s_mov_b32 s9, 0x7f800000
	v_add_f32_e32 v2, v6, v2
	s_mov_b32 s8, 0x33800000
	v_add_f32_e32 v2, v2, v7
	v_cmp_eq_f32_e32 vcc, s9, v50
	v_cmp_lt_f32_e64 s[8:9], |v50|, s8
	v_add_f32_e32 v2, v20, v2
	s_or_b64 vcc, vcc, s[8:9]
	v_cndmask_b32_e32 v2, v2, v50, vcc
	v_add_f32_e32 v2, v3, v2
	v_cvt_f16_f32_e32 v15, v2
	v_cvt_f32_f16_e32 v2, v15
	v_mov_b32_e32 v71, v15
.LBB381_372:
	s_or_b64 exec, exec, s[6:7]
	v_max_f32_e32 v3, v65, v65
	v_max_f32_e32 v7, v2, v2
	v_min_f32_e32 v6, v7, v3
	v_cmp_u_f16_e32 vcc, v15, v15
	v_max_f32_e32 v3, v7, v3
	v_cndmask_b32_e32 v6, v6, v2, vcc
	v_cndmask_b32_e32 v3, v3, v2, vcc
	v_cndmask_b32_e64 v6, v6, v65, s[44:45]
	v_cndmask_b32_e64 v3, v3, v65, s[44:45]
	s_movk_i32 s8, 0x1f8
	v_cmp_neq_f32_e32 vcc, v6, v3
	v_cmp_class_f32_e64 s[6:7], v6, s8
	s_or_b64 s[10:11], vcc, s[6:7]
	v_mov_b32_e32 v65, v71
	s_and_saveexec_b64 s[6:7], s[10:11]
	s_cbranch_execz .LBB381_374
; %bb.373:
	v_sub_f32_e32 v2, v6, v3
	s_mov_b32 s9, 0x3fb8aa3b
	v_mul_f32_e32 v6, 0x3fb8aa3b, v2
	v_fma_f32 v7, v2, s9, -v6
	v_rndne_f32_e32 v12, v6
	v_fmac_f32_e32 v7, 0x32a5705f, v2
	v_sub_f32_e32 v6, v6, v12
	v_add_f32_e32 v6, v6, v7
	v_exp_f32_e32 v6, v6
	v_cvt_i32_f32_e32 v7, v12
	s_mov_b32 s9, 0xc2ce8ed0
	v_cmp_ngt_f32_e32 vcc, s9, v2
	s_mov_b32 s9, 0x42b17218
	v_ldexp_f32 v6, v6, v7
	v_cndmask_b32_e32 v6, 0, v6, vcc
	v_mov_b32_e32 v7, 0x7f800000
	v_cmp_nlt_f32_e32 vcc, s9, v2
	v_cndmask_b32_e32 v50, v7, v6, vcc
	v_add_f32_e32 v2, 1.0, v50
	v_add_f32_e32 v6, -1.0, v2
	v_sub_f32_e32 v7, v6, v2
	v_add_f32_e32 v7, 1.0, v7
	v_sub_f32_e32 v6, v50, v6
	v_add_f32_e32 v12, v6, v7
	v_frexp_mant_f32_e32 v15, v2
	s_mov_b32 s9, 0x3f2aaaab
	v_cvt_f64_f32_e32 v[6:7], v2
	v_frexp_exp_i32_f64_e32 v6, v[6:7]
	v_cmp_gt_f32_e32 vcc, s9, v15
	v_subbrev_co_u32_e32 v15, vcc, 0, v6, vcc
	v_sub_u32_e32 v6, 0, v15
	v_ldexp_f32 v2, v2, v6
	v_ldexp_f32 v6, v12, v6
	v_add_f32_e32 v12, -1.0, v2
	v_add_f32_e32 v7, 1.0, v12
	v_sub_f32_e32 v7, v2, v7
	v_add_f32_e32 v16, v6, v7
	v_add_f32_e32 v7, 1.0, v2
	v_add_f32_e32 v17, -1.0, v7
	v_sub_f32_e32 v2, v2, v17
	v_add_f32_e32 v2, v6, v2
	v_add_f32_e32 v22, v7, v2
	v_rcp_f32_e32 v23, v22
	v_sub_f32_e32 v6, v7, v22
	v_add_f32_e32 v7, v12, v16
	v_add_f32_e32 v2, v2, v6
	v_sub_f32_e32 v6, v12, v7
	v_mul_f32_e32 v65, v7, v23
	v_add_f32_e32 v12, v16, v6
	v_mul_f32_e32 v16, v22, v65
	v_fma_f32 v18, v65, v22, -v16
	v_fmac_f32_e32 v18, v65, v2
	v_add_f32_e32 v6, v16, v18
	v_sub_f32_e32 v17, v7, v6
	v_pk_add_f32 v[20:21], v[6:7], v[16:17] neg_lo:[0,1] neg_hi:[0,1]
	v_mov_b32_e32 v19, v6
	v_pk_add_f32 v[6:7], v[20:21], v[18:19] neg_lo:[0,1] neg_hi:[0,1]
	v_add_f32_e32 v7, v12, v7
	v_add_f32_e32 v6, v6, v7
	;; [unrolled: 1-line block ×3, first 2 shown]
	v_mul_f32_e32 v12, v23, v7
	v_mul_f32_e32 v16, v22, v12
	v_fma_f32 v18, v12, v22, -v16
	v_fmac_f32_e32 v18, v12, v2
	v_sub_f32_e32 v2, v17, v7
	v_add_f32_e32 v2, v6, v2
	v_add_f32_e32 v6, v16, v18
	v_sub_f32_e32 v17, v7, v6
	v_pk_add_f32 v[20:21], v[6:7], v[16:17] neg_lo:[0,1] neg_hi:[0,1]
	v_mov_b32_e32 v19, v6
	v_pk_add_f32 v[6:7], v[20:21], v[18:19] neg_lo:[0,1] neg_hi:[0,1]
	v_add_f32_e32 v2, v2, v7
	v_add_f32_e32 v2, v6, v2
	;; [unrolled: 1-line block ×4, first 2 shown]
	v_sub_f32_e32 v7, v6, v65
	v_mul_f32_e32 v2, v23, v2
	v_sub_f32_e32 v7, v12, v7
	v_add_f32_e32 v2, v7, v2
	v_add_f32_e32 v12, v6, v2
	v_mul_f32_e32 v17, v12, v12
	v_mov_b32_e32 v16, 0x3ecc95a3
	v_fmac_f32_e32 v16, 0x3e9b6dac, v17
	v_mov_b32_e32 v7, 0x3f2aaada
	v_fmac_f32_e32 v7, v17, v16
	v_cvt_f32_i32_e32 v16, v15
	v_sub_f32_e32 v6, v12, v6
	v_sub_f32_e32 v2, v2, v6
	v_mul_f32_e32 v17, v12, v17
	v_mov_b32_e32 v6, 0x3f317218
	s_mov_b32 s9, 0x3f317218
	v_pk_mul_f32 v[6:7], v[16:17], v[6:7]
	v_fma_f32 v18, v16, s9, -v6
	v_ldexp_f32 v19, v12, 1
	v_fmac_f32_e32 v18, 0xb102e308, v16
	v_pk_add_f32 v[16:17], v[6:7], v[18:19]
	v_sub_f32_e32 v12, v17, v19
	v_ldexp_f32 v2, v2, 1
	v_sub_f32_e32 v12, v7, v12
	v_add_f32_e32 v21, v2, v12
	v_mov_b32_e32 v20, v6
	v_pk_add_f32 v[6:7], v[16:17], v[6:7] neg_lo:[0,1] neg_hi:[0,1]
	v_pk_add_f32 v[22:23], v[16:17], v[20:21]
	v_mov_b32_e32 v7, v23
	v_mov_b32_e32 v19, v16
	v_pk_add_f32 v[80:81], v[18:19], v[6:7] neg_lo:[0,1] neg_hi:[0,1]
	v_pk_add_f32 v[6:7], v[18:19], v[6:7]
	v_mov_b32_e32 v2, v7
	v_pk_add_f32 v[18:19], v[2:3], v[16:17] neg_lo:[0,1] neg_hi:[0,1]
	v_mov_b32_e32 v15, v18
	v_pk_add_f32 v[82:83], v[22:23], v[14:15] neg_lo:[0,1] neg_hi:[0,1]
	v_mov_b32_e32 v6, v23
	v_mov_b32_e32 v22, v17
	;; [unrolled: 1-line block ×4, first 2 shown]
	v_pk_add_f32 v[6:7], v[6:7], v[22:23] neg_lo:[0,1] neg_hi:[0,1]
	v_mov_b32_e32 v18, v21
	v_mov_b32_e32 v19, v16
	v_pk_add_f32 v[6:7], v[18:19], v[6:7] neg_lo:[0,1] neg_hi:[0,1]
	v_mov_b32_e32 v82, v80
	v_pk_add_f32 v[16:17], v[82:83], v[6:7]
	v_mov_b32_e32 v12, v17
	v_pk_add_f32 v[18:19], v[16:17], v[12:13]
	v_pk_add_f32 v[20:21], v[2:3], v[18:19]
	v_mov_b32_e32 v17, v20
	v_pk_add_f32 v[22:23], v[16:17], v[80:81] neg_lo:[0,1] neg_hi:[0,1]
	v_mov_b32_e32 v7, v18
	v_sub_f32_e32 v2, v16, v22
	v_pk_add_f32 v[6:7], v[6:7], v[22:23] neg_lo:[0,1] neg_hi:[0,1]
	v_sub_f32_e32 v2, v80, v2
	s_mov_b32 s10, 0x7f800000
	v_add_f32_e32 v2, v6, v2
	s_mov_b32 s9, 0x33800000
	v_add_f32_e32 v2, v2, v7
	v_cmp_eq_f32_e32 vcc, s10, v50
	v_cmp_lt_f32_e64 s[10:11], |v50|, s9
	v_add_f32_e32 v2, v20, v2
	s_or_b64 vcc, vcc, s[10:11]
	v_cndmask_b32_e32 v2, v2, v50, vcc
	v_add_f32_e32 v2, v3, v2
	v_cvt_f16_f32_e32 v15, v2
	v_cvt_f32_f16_e32 v2, v15
	v_mov_b32_e32 v65, v15
.LBB381_374:
	s_or_b64 exec, exec, s[6:7]
	v_max_f32_e32 v3, v13, v13
	v_max_f32_e32 v7, v2, v2
	v_min_f32_e32 v6, v7, v3
	v_cmp_u_f16_e32 vcc, v15, v15
	v_max_f32_e32 v3, v7, v3
	v_cndmask_b32_e32 v6, v6, v2, vcc
	v_cndmask_b32_e32 v3, v3, v2, vcc
	v_cndmask_b32_e64 v6, v6, v13, s[46:47]
	v_cndmask_b32_e64 v3, v3, v13, s[46:47]
	v_cmp_neq_f32_e32 vcc, v6, v3
	v_cmp_class_f32_e64 s[6:7], v6, s8
	s_or_b64 s[8:9], vcc, s[6:7]
	v_mov_b32_e32 v80, v65
	s_and_saveexec_b64 s[6:7], s[8:9]
	s_cbranch_execz .LBB381_376
; %bb.375:
	v_sub_f32_e32 v2, v6, v3
	s_mov_b32 s8, 0x3fb8aa3b
	v_mul_f32_e32 v6, 0x3fb8aa3b, v2
	v_fma_f32 v7, v2, s8, -v6
	v_rndne_f32_e32 v12, v6
	v_fmac_f32_e32 v7, 0x32a5705f, v2
	v_sub_f32_e32 v6, v6, v12
	v_add_f32_e32 v6, v6, v7
	v_exp_f32_e32 v6, v6
	v_cvt_i32_f32_e32 v7, v12
	s_mov_b32 s8, 0xc2ce8ed0
	v_cmp_ngt_f32_e32 vcc, s8, v2
	s_mov_b32 s8, 0x42b17218
	v_ldexp_f32 v6, v6, v7
	v_cndmask_b32_e32 v6, 0, v6, vcc
	v_mov_b32_e32 v7, 0x7f800000
	v_cmp_nlt_f32_e32 vcc, s8, v2
	v_cndmask_b32_e32 v50, v7, v6, vcc
	v_add_f32_e32 v2, 1.0, v50
	v_add_f32_e32 v6, -1.0, v2
	v_sub_f32_e32 v7, v6, v2
	v_add_f32_e32 v7, 1.0, v7
	v_sub_f32_e32 v6, v50, v6
	v_add_f32_e32 v12, v6, v7
	v_frexp_mant_f32_e32 v13, v2
	s_mov_b32 s8, 0x3f2aaaab
	v_cvt_f64_f32_e32 v[6:7], v2
	v_frexp_exp_i32_f64_e32 v6, v[6:7]
	v_cmp_gt_f32_e32 vcc, s8, v13
	v_subbrev_co_u32_e32 v15, vcc, 0, v6, vcc
	v_sub_u32_e32 v6, 0, v15
	v_ldexp_f32 v2, v2, v6
	v_ldexp_f32 v6, v12, v6
	v_add_f32_e32 v12, -1.0, v2
	v_add_f32_e32 v7, 1.0, v12
	v_sub_f32_e32 v7, v2, v7
	v_add_f32_e32 v13, v6, v7
	v_add_f32_e32 v7, 1.0, v2
	v_add_f32_e32 v16, -1.0, v7
	v_sub_f32_e32 v2, v2, v16
	v_add_f32_e32 v2, v6, v2
	v_add_f32_e32 v20, v7, v2
	v_rcp_f32_e32 v21, v20
	v_sub_f32_e32 v6, v7, v20
	v_add_f32_e32 v7, v12, v13
	v_add_f32_e32 v2, v2, v6
	v_mul_f32_e32 v23, v7, v21
	v_sub_f32_e32 v6, v12, v7
	v_mul_f32_e32 v12, v20, v23
	v_fma_f32 v16, v23, v20, -v12
	v_fmac_f32_e32 v16, v23, v2
	v_add_f32_e32 v22, v13, v6
	v_add_f32_e32 v6, v12, v16
	v_sub_f32_e32 v13, v7, v6
	v_pk_add_f32 v[18:19], v[6:7], v[12:13] neg_lo:[0,1] neg_hi:[0,1]
	v_mov_b32_e32 v17, v6
	v_pk_add_f32 v[6:7], v[18:19], v[16:17] neg_lo:[0,1] neg_hi:[0,1]
	v_add_f32_e32 v7, v22, v7
	v_add_f32_e32 v6, v6, v7
	;; [unrolled: 1-line block ×3, first 2 shown]
	v_mul_f32_e32 v22, v21, v7
	v_mul_f32_e32 v12, v20, v22
	v_fma_f32 v16, v22, v20, -v12
	v_fmac_f32_e32 v16, v22, v2
	v_sub_f32_e32 v2, v13, v7
	v_add_f32_e32 v2, v6, v2
	v_add_f32_e32 v6, v12, v16
	v_sub_f32_e32 v13, v7, v6
	v_pk_add_f32 v[18:19], v[6:7], v[12:13] neg_lo:[0,1] neg_hi:[0,1]
	v_mov_b32_e32 v17, v6
	v_pk_add_f32 v[6:7], v[18:19], v[16:17] neg_lo:[0,1] neg_hi:[0,1]
	v_add_f32_e32 v2, v2, v7
	v_add_f32_e32 v2, v6, v2
	;; [unrolled: 1-line block ×4, first 2 shown]
	v_sub_f32_e32 v7, v6, v23
	v_mul_f32_e32 v2, v21, v2
	v_sub_f32_e32 v7, v22, v7
	v_add_f32_e32 v2, v7, v2
	v_add_f32_e32 v13, v6, v2
	v_mul_f32_e32 v16, v13, v13
	v_mov_b32_e32 v12, 0x3ecc95a3
	v_fmac_f32_e32 v12, 0x3e9b6dac, v16
	v_mov_b32_e32 v7, 0x3f2aaada
	v_fmac_f32_e32 v7, v16, v12
	v_cvt_f32_i32_e32 v12, v15
	v_sub_f32_e32 v6, v13, v6
	v_sub_f32_e32 v2, v2, v6
	v_ldexp_f32 v17, v13, 1
	v_mul_f32_e32 v13, v13, v16
	v_mov_b32_e32 v6, 0x3f317218
	s_mov_b32 s8, 0x3f317218
	v_pk_mul_f32 v[6:7], v[12:13], v[6:7]
	v_fma_f32 v16, v12, s8, -v6
	v_fmac_f32_e32 v16, 0xb102e308, v12
	v_pk_add_f32 v[12:13], v[6:7], v[16:17]
	v_sub_f32_e32 v15, v13, v17
	v_ldexp_f32 v2, v2, 1
	v_sub_f32_e32 v15, v7, v15
	v_add_f32_e32 v19, v2, v15
	v_mov_b32_e32 v18, v6
	v_pk_add_f32 v[6:7], v[12:13], v[6:7] neg_lo:[0,1] neg_hi:[0,1]
	v_pk_add_f32 v[20:21], v[12:13], v[18:19]
	v_mov_b32_e32 v7, v21
	v_mov_b32_e32 v17, v12
	v_pk_add_f32 v[22:23], v[16:17], v[6:7] neg_lo:[0,1] neg_hi:[0,1]
	v_pk_add_f32 v[6:7], v[16:17], v[6:7]
	v_mov_b32_e32 v2, v7
	v_pk_add_f32 v[16:17], v[2:3], v[12:13] neg_lo:[0,1] neg_hi:[0,1]
	v_mov_b32_e32 v15, v16
	v_pk_add_f32 v[80:81], v[20:21], v[14:15] neg_lo:[0,1] neg_hi:[0,1]
	v_mov_b32_e32 v6, v21
	v_mov_b32_e32 v20, v13
	;; [unrolled: 1-line block ×4, first 2 shown]
	v_pk_add_f32 v[6:7], v[6:7], v[20:21] neg_lo:[0,1] neg_hi:[0,1]
	v_mov_b32_e32 v16, v19
	v_mov_b32_e32 v17, v12
	v_pk_add_f32 v[6:7], v[16:17], v[6:7] neg_lo:[0,1] neg_hi:[0,1]
	v_mov_b32_e32 v80, v22
	v_pk_add_f32 v[12:13], v[80:81], v[6:7]
	v_mov_b32_e32 v16, v13
	v_pk_add_f32 v[16:17], v[12:13], v[16:17]
	v_pk_add_f32 v[18:19], v[2:3], v[16:17]
	v_mov_b32_e32 v13, v18
	v_pk_add_f32 v[20:21], v[12:13], v[22:23] neg_lo:[0,1] neg_hi:[0,1]
	v_mov_b32_e32 v7, v16
	v_sub_f32_e32 v2, v12, v20
	v_pk_add_f32 v[6:7], v[6:7], v[20:21] neg_lo:[0,1] neg_hi:[0,1]
	v_sub_f32_e32 v2, v22, v2
	s_mov_b32 s9, 0x7f800000
	v_add_f32_e32 v2, v6, v2
	s_mov_b32 s8, 0x33800000
	v_add_f32_e32 v2, v2, v7
	v_cmp_eq_f32_e32 vcc, s9, v50
	v_cmp_lt_f32_e64 s[8:9], |v50|, s8
	v_add_f32_e32 v2, v18, v2
	s_or_b64 vcc, vcc, s[8:9]
	v_cndmask_b32_e32 v2, v2, v50, vcc
	v_add_f32_e32 v2, v3, v2
	v_cvt_f16_f32_e32 v15, v2
	v_cvt_f32_f16_e32 v2, v15
	v_mov_b32_e32 v80, v15
.LBB381_376:
	s_or_b64 exec, exec, s[6:7]
	v_max_f32_e32 v3, v66, v66
	v_max_f32_e32 v7, v2, v2
	v_min_f32_e32 v6, v7, v3
	v_cmp_u_f16_e32 vcc, v15, v15
	v_max_f32_e32 v3, v7, v3
	v_cndmask_b32_e32 v6, v6, v2, vcc
	v_cndmask_b32_e32 v3, v3, v2, vcc
	v_cndmask_b32_e64 v6, v6, v66, s[48:49]
	v_cndmask_b32_e64 v3, v3, v66, s[48:49]
	s_movk_i32 s8, 0x1f8
	v_cmp_neq_f32_e32 vcc, v6, v3
	v_cmp_class_f32_e64 s[6:7], v6, s8
	s_or_b64 s[10:11], vcc, s[6:7]
	v_mov_b32_e32 v66, v80
	s_and_saveexec_b64 s[6:7], s[10:11]
	s_cbranch_execz .LBB381_378
; %bb.377:
	v_sub_f32_e32 v2, v6, v3
	s_mov_b32 s9, 0x3fb8aa3b
	v_mul_f32_e32 v6, 0x3fb8aa3b, v2
	v_fma_f32 v7, v2, s9, -v6
	v_rndne_f32_e32 v12, v6
	v_fmac_f32_e32 v7, 0x32a5705f, v2
	v_sub_f32_e32 v6, v6, v12
	v_add_f32_e32 v6, v6, v7
	v_exp_f32_e32 v6, v6
	v_cvt_i32_f32_e32 v7, v12
	s_mov_b32 s9, 0xc2ce8ed0
	v_cmp_ngt_f32_e32 vcc, s9, v2
	s_mov_b32 s9, 0x42b17218
	v_ldexp_f32 v6, v6, v7
	v_cndmask_b32_e32 v6, 0, v6, vcc
	v_mov_b32_e32 v7, 0x7f800000
	v_cmp_nlt_f32_e32 vcc, s9, v2
	v_cndmask_b32_e32 v50, v7, v6, vcc
	v_add_f32_e32 v2, 1.0, v50
	v_add_f32_e32 v6, -1.0, v2
	v_sub_f32_e32 v7, v6, v2
	v_add_f32_e32 v7, 1.0, v7
	v_sub_f32_e32 v6, v50, v6
	v_add_f32_e32 v12, v6, v7
	v_frexp_mant_f32_e32 v13, v2
	s_mov_b32 s9, 0x3f2aaaab
	v_cvt_f64_f32_e32 v[6:7], v2
	v_frexp_exp_i32_f64_e32 v6, v[6:7]
	v_cmp_gt_f32_e32 vcc, s9, v13
	v_subbrev_co_u32_e32 v15, vcc, 0, v6, vcc
	v_sub_u32_e32 v6, 0, v15
	v_ldexp_f32 v2, v2, v6
	v_ldexp_f32 v6, v12, v6
	v_add_f32_e32 v12, -1.0, v2
	v_add_f32_e32 v7, 1.0, v12
	v_sub_f32_e32 v7, v2, v7
	v_add_f32_e32 v13, v6, v7
	v_add_f32_e32 v7, 1.0, v2
	v_add_f32_e32 v16, -1.0, v7
	v_sub_f32_e32 v2, v2, v16
	v_add_f32_e32 v2, v6, v2
	v_add_f32_e32 v20, v7, v2
	v_rcp_f32_e32 v21, v20
	v_sub_f32_e32 v6, v7, v20
	v_add_f32_e32 v7, v12, v13
	v_add_f32_e32 v2, v2, v6
	v_mul_f32_e32 v23, v7, v21
	v_sub_f32_e32 v6, v12, v7
	v_mul_f32_e32 v12, v20, v23
	v_fma_f32 v16, v23, v20, -v12
	v_fmac_f32_e32 v16, v23, v2
	v_add_f32_e32 v22, v13, v6
	v_add_f32_e32 v6, v12, v16
	v_sub_f32_e32 v13, v7, v6
	v_pk_add_f32 v[18:19], v[6:7], v[12:13] neg_lo:[0,1] neg_hi:[0,1]
	v_mov_b32_e32 v17, v6
	v_pk_add_f32 v[6:7], v[18:19], v[16:17] neg_lo:[0,1] neg_hi:[0,1]
	v_add_f32_e32 v7, v22, v7
	v_add_f32_e32 v6, v6, v7
	;; [unrolled: 1-line block ×3, first 2 shown]
	v_mul_f32_e32 v22, v21, v7
	v_mul_f32_e32 v12, v20, v22
	v_fma_f32 v16, v22, v20, -v12
	v_fmac_f32_e32 v16, v22, v2
	v_sub_f32_e32 v2, v13, v7
	v_add_f32_e32 v2, v6, v2
	v_add_f32_e32 v6, v12, v16
	v_sub_f32_e32 v13, v7, v6
	v_pk_add_f32 v[18:19], v[6:7], v[12:13] neg_lo:[0,1] neg_hi:[0,1]
	v_mov_b32_e32 v17, v6
	v_pk_add_f32 v[6:7], v[18:19], v[16:17] neg_lo:[0,1] neg_hi:[0,1]
	v_add_f32_e32 v2, v2, v7
	v_add_f32_e32 v2, v6, v2
	v_add_f32_e32 v6, v23, v22
	v_add_f32_e32 v2, v13, v2
	v_sub_f32_e32 v7, v6, v23
	v_mul_f32_e32 v2, v21, v2
	v_sub_f32_e32 v7, v22, v7
	v_add_f32_e32 v2, v7, v2
	v_add_f32_e32 v13, v6, v2
	v_mul_f32_e32 v16, v13, v13
	v_mov_b32_e32 v12, 0x3ecc95a3
	v_fmac_f32_e32 v12, 0x3e9b6dac, v16
	v_mov_b32_e32 v7, 0x3f2aaada
	v_fmac_f32_e32 v7, v16, v12
	v_cvt_f32_i32_e32 v12, v15
	v_sub_f32_e32 v6, v13, v6
	v_sub_f32_e32 v2, v2, v6
	v_ldexp_f32 v17, v13, 1
	v_mul_f32_e32 v13, v13, v16
	v_mov_b32_e32 v6, 0x3f317218
	s_mov_b32 s9, 0x3f317218
	v_pk_mul_f32 v[6:7], v[12:13], v[6:7]
	v_fma_f32 v16, v12, s9, -v6
	v_fmac_f32_e32 v16, 0xb102e308, v12
	v_pk_add_f32 v[12:13], v[6:7], v[16:17]
	v_sub_f32_e32 v15, v13, v17
	v_ldexp_f32 v2, v2, 1
	v_sub_f32_e32 v15, v7, v15
	v_add_f32_e32 v19, v2, v15
	v_mov_b32_e32 v18, v6
	v_pk_add_f32 v[6:7], v[12:13], v[6:7] neg_lo:[0,1] neg_hi:[0,1]
	v_pk_add_f32 v[20:21], v[12:13], v[18:19]
	v_mov_b32_e32 v7, v21
	v_mov_b32_e32 v17, v12
	v_pk_add_f32 v[22:23], v[16:17], v[6:7] neg_lo:[0,1] neg_hi:[0,1]
	v_pk_add_f32 v[6:7], v[16:17], v[6:7]
	v_mov_b32_e32 v2, v7
	v_pk_add_f32 v[16:17], v[2:3], v[12:13] neg_lo:[0,1] neg_hi:[0,1]
	v_mov_b32_e32 v15, v16
	v_pk_add_f32 v[82:83], v[20:21], v[14:15] neg_lo:[0,1] neg_hi:[0,1]
	v_mov_b32_e32 v6, v21
	v_mov_b32_e32 v20, v13
	;; [unrolled: 1-line block ×4, first 2 shown]
	v_pk_add_f32 v[6:7], v[6:7], v[20:21] neg_lo:[0,1] neg_hi:[0,1]
	v_mov_b32_e32 v16, v19
	v_mov_b32_e32 v17, v12
	v_pk_add_f32 v[6:7], v[16:17], v[6:7] neg_lo:[0,1] neg_hi:[0,1]
	v_mov_b32_e32 v82, v22
	v_pk_add_f32 v[12:13], v[82:83], v[6:7]
	v_mov_b32_e32 v16, v13
	v_pk_add_f32 v[16:17], v[12:13], v[16:17]
	v_pk_add_f32 v[18:19], v[2:3], v[16:17]
	v_mov_b32_e32 v13, v18
	v_pk_add_f32 v[20:21], v[12:13], v[22:23] neg_lo:[0,1] neg_hi:[0,1]
	v_mov_b32_e32 v7, v16
	v_sub_f32_e32 v2, v12, v20
	v_pk_add_f32 v[6:7], v[6:7], v[20:21] neg_lo:[0,1] neg_hi:[0,1]
	v_sub_f32_e32 v2, v22, v2
	s_mov_b32 s10, 0x7f800000
	v_add_f32_e32 v2, v6, v2
	s_mov_b32 s9, 0x33800000
	v_add_f32_e32 v2, v2, v7
	v_cmp_eq_f32_e32 vcc, s10, v50
	v_cmp_lt_f32_e64 s[10:11], |v50|, s9
	v_add_f32_e32 v2, v18, v2
	s_or_b64 vcc, vcc, s[10:11]
	v_cndmask_b32_e32 v2, v2, v50, vcc
	v_add_f32_e32 v2, v3, v2
	v_cvt_f16_f32_e32 v15, v2
	v_cvt_f32_f16_e32 v2, v15
	v_mov_b32_e32 v66, v15
.LBB381_378:
	s_or_b64 exec, exec, s[6:7]
	v_max_f32_e32 v3, v14, v14
	v_max_f32_e32 v7, v2, v2
	v_min_f32_e32 v6, v7, v3
	v_cmp_u_f16_e32 vcc, v15, v15
	v_max_f32_e32 v3, v7, v3
	v_cndmask_b32_e32 v6, v6, v2, vcc
	v_cndmask_b32_e32 v3, v3, v2, vcc
	v_cndmask_b32_e64 v6, v6, v14, s[50:51]
	v_cndmask_b32_e64 v3, v3, v14, s[50:51]
	v_cmp_neq_f32_e32 vcc, v6, v3
	v_cmp_class_f32_e64 s[6:7], v6, s8
	s_or_b64 s[8:9], vcc, s[6:7]
	v_mov_b32_e32 v81, v66
	s_and_saveexec_b64 s[6:7], s[8:9]
	s_cbranch_execz .LBB381_380
; %bb.379:
	v_sub_f32_e32 v2, v6, v3
	s_mov_b32 s8, 0x3fb8aa3b
	v_mul_f32_e32 v6, 0x3fb8aa3b, v2
	v_fma_f32 v7, v2, s8, -v6
	v_rndne_f32_e32 v12, v6
	v_fmac_f32_e32 v7, 0x32a5705f, v2
	v_sub_f32_e32 v6, v6, v12
	v_add_f32_e32 v6, v6, v7
	v_exp_f32_e32 v6, v6
	v_cvt_i32_f32_e32 v7, v12
	s_mov_b32 s8, 0xc2ce8ed0
	v_cmp_ngt_f32_e32 vcc, s8, v2
	s_mov_b32 s8, 0x42b17218
	v_ldexp_f32 v6, v6, v7
	v_cndmask_b32_e32 v6, 0, v6, vcc
	v_mov_b32_e32 v7, 0x7f800000
	v_cmp_nlt_f32_e32 vcc, s8, v2
	v_cndmask_b32_e32 v50, v7, v6, vcc
	v_add_f32_e32 v2, 1.0, v50
	v_add_f32_e32 v6, -1.0, v2
	v_sub_f32_e32 v7, v6, v2
	v_add_f32_e32 v7, 1.0, v7
	v_sub_f32_e32 v6, v50, v6
	v_add_f32_e32 v12, v6, v7
	v_frexp_mant_f32_e32 v13, v2
	s_mov_b32 s8, 0x3f2aaaab
	v_cvt_f64_f32_e32 v[6:7], v2
	v_frexp_exp_i32_f64_e32 v6, v[6:7]
	v_cmp_gt_f32_e32 vcc, s8, v13
	v_subbrev_co_u32_e32 v18, vcc, 0, v6, vcc
	v_sub_u32_e32 v6, 0, v18
	v_ldexp_f32 v2, v2, v6
	v_ldexp_f32 v6, v12, v6
	v_add_f32_e32 v12, -1.0, v2
	v_add_f32_e32 v7, 1.0, v12
	v_sub_f32_e32 v7, v2, v7
	v_add_f32_e32 v13, v6, v7
	v_add_f32_e32 v7, 1.0, v2
	v_add_f32_e32 v14, -1.0, v7
	v_sub_f32_e32 v2, v2, v14
	v_add_f32_e32 v2, v6, v2
	v_add_f32_e32 v19, v7, v2
	v_rcp_f32_e32 v20, v19
	v_sub_f32_e32 v6, v7, v19
	v_add_f32_e32 v7, v12, v13
	v_add_f32_e32 v2, v2, v6
	v_mul_f32_e32 v22, v7, v20
	v_sub_f32_e32 v6, v12, v7
	v_mul_f32_e32 v12, v19, v22
	v_fma_f32 v14, v22, v19, -v12
	v_fmac_f32_e32 v14, v22, v2
	v_add_f32_e32 v21, v13, v6
	v_add_f32_e32 v6, v12, v14
	v_sub_f32_e32 v13, v7, v6
	v_pk_add_f32 v[16:17], v[6:7], v[12:13] neg_lo:[0,1] neg_hi:[0,1]
	v_mov_b32_e32 v15, v6
	v_pk_add_f32 v[6:7], v[16:17], v[14:15] neg_lo:[0,1] neg_hi:[0,1]
	v_add_f32_e32 v7, v21, v7
	v_add_f32_e32 v6, v6, v7
	;; [unrolled: 1-line block ×3, first 2 shown]
	v_mul_f32_e32 v21, v20, v7
	v_mul_f32_e32 v12, v19, v21
	v_fma_f32 v14, v21, v19, -v12
	v_fmac_f32_e32 v14, v21, v2
	v_sub_f32_e32 v2, v13, v7
	v_add_f32_e32 v2, v6, v2
	v_add_f32_e32 v6, v12, v14
	v_sub_f32_e32 v13, v7, v6
	v_pk_add_f32 v[16:17], v[6:7], v[12:13] neg_lo:[0,1] neg_hi:[0,1]
	v_mov_b32_e32 v15, v6
	v_pk_add_f32 v[6:7], v[16:17], v[14:15] neg_lo:[0,1] neg_hi:[0,1]
	v_add_f32_e32 v2, v2, v7
	v_add_f32_e32 v2, v6, v2
	;; [unrolled: 1-line block ×4, first 2 shown]
	v_sub_f32_e32 v7, v6, v22
	v_mul_f32_e32 v2, v20, v2
	v_sub_f32_e32 v7, v21, v7
	v_add_f32_e32 v2, v7, v2
	v_add_f32_e32 v13, v6, v2
	v_mul_f32_e32 v14, v13, v13
	v_mov_b32_e32 v12, 0x3ecc95a3
	v_fmac_f32_e32 v12, 0x3e9b6dac, v14
	v_mov_b32_e32 v7, 0x3f2aaada
	v_fmac_f32_e32 v7, v14, v12
	v_cvt_f32_i32_e32 v12, v18
	v_sub_f32_e32 v6, v13, v6
	v_sub_f32_e32 v2, v2, v6
	v_ldexp_f32 v15, v13, 1
	v_mul_f32_e32 v13, v13, v14
	v_mov_b32_e32 v6, 0x3f317218
	s_mov_b32 s8, 0x3f317218
	v_pk_mul_f32 v[6:7], v[12:13], v[6:7]
	v_fma_f32 v14, v12, s8, -v6
	v_fmac_f32_e32 v14, 0xb102e308, v12
	v_pk_add_f32 v[12:13], v[6:7], v[14:15]
	v_sub_f32_e32 v15, v13, v15
	v_ldexp_f32 v2, v2, 1
	v_sub_f32_e32 v15, v7, v15
	v_add_f32_e32 v17, v2, v15
	v_mov_b32_e32 v16, v6
	v_pk_add_f32 v[6:7], v[12:13], v[6:7] neg_lo:[0,1] neg_hi:[0,1]
	v_pk_add_f32 v[18:19], v[12:13], v[16:17]
	v_mov_b32_e32 v7, v19
	v_mov_b32_e32 v15, v12
	v_pk_add_f32 v[20:21], v[14:15], v[6:7] neg_lo:[0,1] neg_hi:[0,1]
	v_pk_add_f32 v[6:7], v[14:15], v[6:7]
	v_mov_b32_e32 v2, v7
	v_pk_add_f32 v[14:15], v[2:3], v[12:13] neg_lo:[0,1] neg_hi:[0,1]
	v_mov_b32_e32 v15, v14
	v_pk_add_f32 v[22:23], v[18:19], v[14:15] neg_lo:[0,1] neg_hi:[0,1]
	v_mov_b32_e32 v6, v19
	v_mov_b32_e32 v18, v13
	;; [unrolled: 1-line block ×4, first 2 shown]
	v_pk_add_f32 v[6:7], v[6:7], v[18:19] neg_lo:[0,1] neg_hi:[0,1]
	v_mov_b32_e32 v14, v17
	v_mov_b32_e32 v15, v12
	v_pk_add_f32 v[6:7], v[14:15], v[6:7] neg_lo:[0,1] neg_hi:[0,1]
	v_mov_b32_e32 v22, v20
	v_pk_add_f32 v[12:13], v[22:23], v[6:7]
	v_mov_b32_e32 v14, v13
	v_pk_add_f32 v[14:15], v[12:13], v[14:15]
	v_pk_add_f32 v[16:17], v[2:3], v[14:15]
	v_mov_b32_e32 v13, v16
	v_pk_add_f32 v[18:19], v[12:13], v[20:21] neg_lo:[0,1] neg_hi:[0,1]
	v_mov_b32_e32 v7, v14
	v_sub_f32_e32 v2, v12, v18
	v_pk_add_f32 v[6:7], v[6:7], v[18:19] neg_lo:[0,1] neg_hi:[0,1]
	v_sub_f32_e32 v2, v20, v2
	s_mov_b32 s9, 0x7f800000
	v_add_f32_e32 v2, v6, v2
	s_mov_b32 s8, 0x33800000
	v_add_f32_e32 v2, v2, v7
	v_cmp_eq_f32_e32 vcc, s9, v50
	v_cmp_lt_f32_e64 s[8:9], |v50|, s8
	v_add_f32_e32 v2, v16, v2
	s_or_b64 vcc, vcc, s[8:9]
	v_cndmask_b32_e32 v2, v2, v50, vcc
	v_add_f32_e32 v2, v3, v2
	v_cvt_f16_f32_e32 v15, v2
	v_cvt_f32_f16_e32 v2, v15
	v_mov_b32_e32 v81, v15
.LBB381_380:
	s_or_b64 exec, exec, s[6:7]
	v_max_f32_e32 v6, v67, v67
	v_max_f32_e32 v7, v2, v2
	v_min_f32_e32 v3, v7, v6
	v_cmp_u_f16_e32 vcc, v15, v15
	v_max_f32_e32 v6, v7, v6
	v_cndmask_b32_e32 v3, v3, v2, vcc
	v_cndmask_b32_e32 v2, v6, v2, vcc
	v_cndmask_b32_e64 v3, v3, v67, s[52:53]
	v_cndmask_b32_e64 v2, v2, v67, s[52:53]
	s_movk_i32 s6, 0x1f8
	v_cmp_neq_f32_e32 vcc, v3, v2
	v_cmp_class_f32_e64 s[6:7], v3, s6
	s_or_b64 s[8:9], vcc, s[6:7]
	v_mov_b32_e32 v67, v81
	s_and_saveexec_b64 s[6:7], s[8:9]
	s_cbranch_execz .LBB381_382
; %bb.381:
	v_sub_f32_e32 v3, v3, v2
	s_mov_b32 s8, 0x3fb8aa3b
	v_mul_f32_e32 v6, 0x3fb8aa3b, v3
	v_fma_f32 v7, v3, s8, -v6
	v_rndne_f32_e32 v12, v6
	v_fmac_f32_e32 v7, 0x32a5705f, v3
	v_sub_f32_e32 v6, v6, v12
	v_add_f32_e32 v6, v6, v7
	v_exp_f32_e32 v6, v6
	v_cvt_i32_f32_e32 v7, v12
	s_mov_b32 s8, 0xc2ce8ed0
	v_cmp_ngt_f32_e32 vcc, s8, v3
	s_mov_b32 s8, 0x42b17218
	v_ldexp_f32 v6, v6, v7
	v_cndmask_b32_e32 v6, 0, v6, vcc
	v_mov_b32_e32 v7, 0x7f800000
	v_cmp_nlt_f32_e32 vcc, s8, v3
	v_cndmask_b32_e32 v50, v7, v6, vcc
	v_add_f32_e32 v3, 1.0, v50
	v_add_f32_e32 v6, -1.0, v3
	v_sub_f32_e32 v7, v6, v3
	v_add_f32_e32 v7, 1.0, v7
	v_sub_f32_e32 v6, v50, v6
	v_add_f32_e32 v12, v6, v7
	v_frexp_mant_f32_e32 v13, v3
	s_mov_b32 s8, 0x3f2aaaab
	v_cvt_f64_f32_e32 v[6:7], v3
	v_frexp_exp_i32_f64_e32 v6, v[6:7]
	v_cmp_gt_f32_e32 vcc, s8, v13
	v_subbrev_co_u32_e32 v18, vcc, 0, v6, vcc
	v_sub_u32_e32 v6, 0, v18
	v_ldexp_f32 v3, v3, v6
	v_ldexp_f32 v6, v12, v6
	v_add_f32_e32 v12, -1.0, v3
	v_add_f32_e32 v7, 1.0, v12
	v_sub_f32_e32 v7, v3, v7
	v_add_f32_e32 v13, v6, v7
	v_add_f32_e32 v7, 1.0, v3
	v_add_f32_e32 v14, -1.0, v7
	v_sub_f32_e32 v3, v3, v14
	v_add_f32_e32 v3, v6, v3
	v_add_f32_e32 v19, v7, v3
	v_rcp_f32_e32 v20, v19
	v_sub_f32_e32 v6, v7, v19
	v_add_f32_e32 v7, v12, v13
	v_add_f32_e32 v3, v3, v6
	v_mul_f32_e32 v22, v7, v20
	v_sub_f32_e32 v6, v12, v7
	v_mul_f32_e32 v12, v19, v22
	v_fma_f32 v14, v22, v19, -v12
	v_fmac_f32_e32 v14, v22, v3
	v_add_f32_e32 v21, v13, v6
	v_add_f32_e32 v6, v12, v14
	v_sub_f32_e32 v13, v7, v6
	v_pk_add_f32 v[16:17], v[6:7], v[12:13] neg_lo:[0,1] neg_hi:[0,1]
	v_mov_b32_e32 v15, v6
	v_pk_add_f32 v[6:7], v[16:17], v[14:15] neg_lo:[0,1] neg_hi:[0,1]
	v_add_f32_e32 v7, v21, v7
	v_add_f32_e32 v6, v6, v7
	;; [unrolled: 1-line block ×3, first 2 shown]
	v_mul_f32_e32 v21, v20, v7
	v_mul_f32_e32 v12, v19, v21
	v_fma_f32 v14, v21, v19, -v12
	v_fmac_f32_e32 v14, v21, v3
	v_sub_f32_e32 v3, v13, v7
	v_add_f32_e32 v3, v6, v3
	v_add_f32_e32 v6, v12, v14
	v_sub_f32_e32 v13, v7, v6
	v_pk_add_f32 v[16:17], v[6:7], v[12:13] neg_lo:[0,1] neg_hi:[0,1]
	v_mov_b32_e32 v15, v6
	v_pk_add_f32 v[6:7], v[16:17], v[14:15] neg_lo:[0,1] neg_hi:[0,1]
	v_add_f32_e32 v3, v3, v7
	v_add_f32_e32 v3, v6, v3
	;; [unrolled: 1-line block ×4, first 2 shown]
	v_sub_f32_e32 v7, v6, v22
	v_mul_f32_e32 v3, v20, v3
	v_sub_f32_e32 v7, v21, v7
	v_add_f32_e32 v3, v7, v3
	v_add_f32_e32 v13, v6, v3
	v_mul_f32_e32 v14, v13, v13
	v_mov_b32_e32 v12, 0x3ecc95a3
	v_fmac_f32_e32 v12, 0x3e9b6dac, v14
	v_mov_b32_e32 v7, 0x3f2aaada
	v_fmac_f32_e32 v7, v14, v12
	v_cvt_f32_i32_e32 v12, v18
	v_sub_f32_e32 v6, v13, v6
	v_sub_f32_e32 v3, v3, v6
	v_ldexp_f32 v15, v13, 1
	v_mul_f32_e32 v13, v13, v14
	v_mov_b32_e32 v6, 0x3f317218
	s_mov_b32 s8, 0x3f317218
	v_pk_mul_f32 v[6:7], v[12:13], v[6:7]
	v_fma_f32 v14, v12, s8, -v6
	v_fmac_f32_e32 v14, 0xb102e308, v12
	v_pk_add_f32 v[12:13], v[6:7], v[14:15]
	v_sub_f32_e32 v15, v13, v15
	v_ldexp_f32 v3, v3, 1
	v_sub_f32_e32 v15, v7, v15
	v_add_f32_e32 v17, v3, v15
	v_mov_b32_e32 v16, v6
	v_pk_add_f32 v[6:7], v[12:13], v[6:7] neg_lo:[0,1] neg_hi:[0,1]
	v_pk_add_f32 v[18:19], v[12:13], v[16:17]
	v_mov_b32_e32 v7, v19
	v_mov_b32_e32 v15, v12
	v_pk_add_f32 v[20:21], v[14:15], v[6:7] neg_lo:[0,1] neg_hi:[0,1]
	v_pk_add_f32 v[6:7], v[14:15], v[6:7]
	v_mov_b32_e32 v14, v7
	v_pk_add_f32 v[22:23], v[14:15], v[12:13] neg_lo:[0,1] neg_hi:[0,1]
	v_mov_b32_e32 v3, v22
	v_pk_add_f32 v[82:83], v[18:19], v[2:3] neg_lo:[0,1] neg_hi:[0,1]
	v_mov_b32_e32 v6, v19
	v_mov_b32_e32 v18, v13
	;; [unrolled: 1-line block ×4, first 2 shown]
	v_pk_add_f32 v[6:7], v[6:7], v[18:19] neg_lo:[0,1] neg_hi:[0,1]
	v_mov_b32_e32 v16, v17
	v_mov_b32_e32 v17, v12
	v_pk_add_f32 v[6:7], v[16:17], v[6:7] neg_lo:[0,1] neg_hi:[0,1]
	v_mov_b32_e32 v82, v20
	v_pk_add_f32 v[12:13], v[82:83], v[6:7]
	v_mov_b32_e32 v16, v13
	v_pk_add_f32 v[16:17], v[12:13], v[16:17]
	v_pk_add_f32 v[14:15], v[14:15], v[16:17]
	v_mov_b32_e32 v13, v14
	v_pk_add_f32 v[18:19], v[12:13], v[20:21] neg_lo:[0,1] neg_hi:[0,1]
	v_mov_b32_e32 v7, v16
	v_sub_f32_e32 v3, v12, v18
	v_pk_add_f32 v[6:7], v[6:7], v[18:19] neg_lo:[0,1] neg_hi:[0,1]
	v_sub_f32_e32 v3, v20, v3
	s_mov_b32 s9, 0x7f800000
	v_add_f32_e32 v3, v6, v3
	s_mov_b32 s8, 0x33800000
	v_add_f32_e32 v3, v3, v7
	v_cmp_eq_f32_e32 vcc, s9, v50
	v_cmp_lt_f32_e64 s[8:9], |v50|, s8
	v_add_f32_e32 v3, v14, v3
	s_or_b64 vcc, vcc, s[8:9]
	v_cndmask_b32_e32 v3, v3, v50, vcc
	v_add_f32_e32 v2, v2, v3
	v_cvt_f16_f32_e32 v67, v2
.LBB381_382:
	s_or_b64 exec, exec, s[6:7]
	s_and_saveexec_b64 s[6:7], s[56:57]
	s_cbranch_execz .LBB381_384
; %bb.383:
	s_mov_b32 s8, 0x20000
	v_or_b32_sdwa v2, v67, s8 dst_sel:DWORD dst_unused:UNUSED_PAD src0_sel:WORD_0 src1_sel:DWORD
	flat_store_dword v[24:25], v2 offset:256
.LBB381_384:
	s_or_b64 exec, exec, s[6:7]
.LBB381_385:
	v_add_co_u32_e32 v0, vcc, v10, v0
	v_addc_co_u32_e32 v1, vcc, v11, v1, vcc
	v_add_co_u32_e32 v0, vcc, v0, v26
	v_addc_co_u32_e32 v1, vcc, v1, v27, vcc
	s_waitcnt lgkmcnt(0)
	; wave barrier
	s_waitcnt lgkmcnt(0)
	s_and_saveexec_b64 s[6:7], s[4:5]
	s_xor_b64 s[4:5], exec, s[6:7]
	s_cbranch_execz .LBB381_387
; %bb.386:
	s_mov_b32 s6, 0x5040100
	v_perm_b32 v5, v37, v36, s6
	v_perm_b32 v4, v35, v34, s6
	;; [unrolled: 1-line block ×4, first 2 shown]
	ds_write_b128 v29, v[2:5]
	v_perm_b32 v5, v55, v69, s6
	v_perm_b32 v4, v54, v68, s6
	;; [unrolled: 1-line block ×4, first 2 shown]
	ds_write_b128 v29, v[2:5] offset:16
	v_perm_b32 v5, v67, v81, s6
	v_perm_b32 v4, v66, v80, s6
	;; [unrolled: 1-line block ×4, first 2 shown]
	ds_write_b128 v29, v[2:5] offset:32
	s_waitcnt lgkmcnt(0)
	; wave barrier
	s_waitcnt lgkmcnt(0)
	ds_read_u16 v2, v48
	ds_read_u16 v3, v48 offset:128
	ds_read_u16 v4, v48 offset:256
	;; [unrolled: 1-line block ×23, first 2 shown]
	v_add_co_u32_e32 v0, vcc, v0, v48
	v_addc_co_u32_e32 v1, vcc, 0, v1, vcc
	s_waitcnt lgkmcnt(0)
	flat_store_short v[0:1], v2
	flat_store_short v[0:1], v3 offset:128
	flat_store_short v[0:1], v4 offset:256
	flat_store_short v[0:1], v5 offset:384
	flat_store_short v[0:1], v6 offset:512
	flat_store_short v[0:1], v7 offset:640
	flat_store_short v[0:1], v8 offset:768
	flat_store_short v[0:1], v9 offset:896
	flat_store_short v[0:1], v10 offset:1024
	flat_store_short v[0:1], v11 offset:1152
	flat_store_short v[0:1], v12 offset:1280
	flat_store_short v[0:1], v13 offset:1408
	flat_store_short v[0:1], v14 offset:1536
	flat_store_short v[0:1], v15 offset:1664
	flat_store_short v[0:1], v16 offset:1792
	flat_store_short v[0:1], v17 offset:1920
	flat_store_short v[0:1], v18 offset:2048
	flat_store_short v[0:1], v19 offset:2176
	flat_store_short v[0:1], v20 offset:2304
	flat_store_short v[0:1], v21 offset:2432
	flat_store_short v[0:1], v22 offset:2560
	flat_store_short v[0:1], v23 offset:2688
	flat_store_short v[0:1], v24 offset:2816
	flat_store_short v[0:1], v25 offset:2944
                                        ; implicit-def: $vgpr2_vgpr3_vgpr4_vgpr5
                                        ; implicit-def: $vgpr6_vgpr7_vgpr8_vgpr9
                                        ; implicit-def: $vgpr28
                                        ; implicit-def: $vgpr29
                                        ; implicit-def: $vgpr30
                                        ; implicit-def: $vgpr31
                                        ; implicit-def: $vgpr32
                                        ; implicit-def: $vgpr33
                                        ; implicit-def: $vgpr34
                                        ; implicit-def: $vgpr35
                                        ; implicit-def: $vgpr36
                                        ; implicit-def: $vgpr37
                                        ; implicit-def: $vgpr51
                                        ; implicit-def: $vgpr52
                                        ; implicit-def: $vgpr97
                                        ; implicit-def: $vgpr53
                                        ; implicit-def: $vgpr68
                                        ; implicit-def: $vgpr54
                                        ; implicit-def: $vgpr69
                                        ; implicit-def: $vgpr55
                                        ; implicit-def: $vgpr70
                                        ; implicit-def: $vgpr64
                                        ; implicit-def: $vgpr71
                                        ; implicit-def: $vgpr65
                                        ; implicit-def: $vgpr80
                                        ; implicit-def: $vgpr66
                                        ; implicit-def: $vgpr81
                                        ; implicit-def: $vgpr67
                                        ; implicit-def: $vgpr49
                                        ; implicit-def: $vgpr38
                                        ; implicit-def: $vgpr39
                                        ; implicit-def: $vgpr0
                                        ; implicit-def: $vgpr1
                                        ; implicit-def: $vgpr48
.LBB381_387:
	s_andn2_saveexec_b64 s[6:7], s[4:5]
	s_cbranch_execz .LBB381_528
; %bb.388:
	s_mov_b32 s4, 0x5040100
	v_perm_b32 v13, v37, v36, s4
	v_perm_b32 v12, v35, v34, s4
	;; [unrolled: 1-line block ×4, first 2 shown]
	ds_write_b128 v29, v[10:13]
	v_perm_b32 v13, v55, v69, s4
	v_perm_b32 v12, v54, v68, s4
	;; [unrolled: 1-line block ×4, first 2 shown]
	ds_write_b128 v29, v[10:13] offset:16
	v_perm_b32 v13, v67, v81, s4
	v_perm_b32 v12, v66, v80, s4
	;; [unrolled: 1-line block ×4, first 2 shown]
	ds_write_b128 v29, v[10:13] offset:32
	s_waitcnt lgkmcnt(0)
	; wave barrier
	s_waitcnt lgkmcnt(0)
	ds_read_u16 v3, v48
	ds_read_u16 v2, v48 offset:128
	ds_read_u16 v7, v48 offset:256
	;; [unrolled: 1-line block ×23, first 2 shown]
	v_add_co_u32_e32 v0, vcc, v0, v48
	v_addc_co_u32_e32 v1, vcc, 0, v1, vcc
	v_mov_b32_e32 v29, 0
	v_cmp_lt_u32_e32 vcc, v28, v38
	s_and_saveexec_b64 s[4:5], vcc
	s_cbranch_execz .LBB381_390
; %bb.389:
	s_waitcnt lgkmcnt(0)
	flat_store_short v[0:1], v3
.LBB381_390:
	s_or_b64 exec, exec, s[4:5]
	v_add_u32_e32 v32, 64, v28
	v_cmp_lt_u32_e32 vcc, v32, v38
	s_and_saveexec_b64 s[4:5], vcc
	s_cbranch_execz .LBB381_392
; %bb.391:
	s_waitcnt lgkmcnt(0)
	flat_store_short v[0:1], v2 offset:128
.LBB381_392:
	s_or_b64 exec, exec, s[4:5]
	v_add_u32_e32 v32, 0x80, v28
	v_cmp_lt_u32_e32 vcc, v32, v38
	s_and_saveexec_b64 s[4:5], vcc
	s_cbranch_execz .LBB381_394
; %bb.393:
	s_waitcnt lgkmcnt(0)
	flat_store_short v[0:1], v7 offset:256
.LBB381_394:
	;; [unrolled: 9-line block ×15, first 2 shown]
	s_or_b64 exec, exec, s[4:5]
	v_or_b32_e32 v32, 0x400, v28
	v_cmp_lt_u32_e32 vcc, v32, v38
	s_and_saveexec_b64 s[4:5], vcc
	s_cbranch_execz .LBB381_422
; %bb.421:
	s_waitcnt lgkmcnt(0)
	flat_store_short v[0:1], v24 offset:2048
.LBB381_422:
	s_or_b64 exec, exec, s[4:5]
	v_add_u32_e32 v32, 0x440, v28
	v_cmp_lt_u32_e32 vcc, v32, v38
	s_and_saveexec_b64 s[4:5], vcc
	s_cbranch_execz .LBB381_424
; %bb.423:
	s_waitcnt lgkmcnt(0)
	flat_store_short v[0:1], v30 offset:2176
.LBB381_424:
	s_or_b64 exec, exec, s[4:5]
	v_add_u32_e32 v32, 0x480, v28
	;; [unrolled: 9-line block ×7, first 2 shown]
	v_cmp_lt_u32_e32 vcc, v32, v38
	s_and_saveexec_b64 s[4:5], vcc
	s_cbranch_execz .LBB381_436
; %bb.435:
	s_waitcnt lgkmcnt(0)
	flat_store_short v[0:1], v31 offset:2944
.LBB381_436:
	s_or_b64 exec, exec, s[4:5]
	v_cmp_lt_u64_e32 vcc, 1, v[8:9]
	s_and_saveexec_b64 s[8:9], vcc
	s_cbranch_execz .LBB381_527
; %bb.437:
	s_add_u32 s4, 0, 0xaaaa0000
	s_addc_u32 s5, 0, 42
	s_add_i32 s5, s5, 0xaaaaa80
	s_mul_hi_u32 s13, s4, 0xffffffe8
	s_sub_i32 s13, s13, s4
	s_mul_i32 s14, s5, 0xffffffe8
	s_mul_i32 s10, s4, 0xffffffe8
	s_add_i32 s13, s13, s14
	s_mul_hi_u32 s11, s5, s10
	s_mul_i32 s12, s5, s10
	s_mul_i32 s15, s4, s13
	s_mul_hi_u32 s10, s4, s10
	s_mul_hi_u32 s14, s4, s13
	s_add_u32 s10, s10, s15
	s_addc_u32 s14, 0, s14
	s_add_u32 s10, s10, s12
	s_mul_hi_u32 s15, s5, s13
	s_addc_u32 s10, s14, s11
	s_addc_u32 s11, s15, 0
	s_mul_i32 s12, s5, s13
	v_add_co_u32_e32 v0, vcc, -1, v38
	s_add_u32 s10, s10, s12
	v_addc_co_u32_e32 v1, vcc, -1, v39, vcc
	v_mov_b32_e32 v8, s10
	s_addc_u32 s11, 0, s11
	v_add_co_u32_e32 v32, vcc, s4, v8
	s_cmp_lg_u64 vcc, 0
	s_addc_u32 s10, s5, s11
	v_mad_u64_u32 v[8:9], s[4:5], v0, s10, 0
	v_mul_hi_u32 v33, v0, v32
	v_add_co_u32_e32 v34, vcc, v33, v8
	v_addc_co_u32_e32 v35, vcc, 0, v9, vcc
	v_mad_u64_u32 v[32:33], s[4:5], v1, v32, 0
	v_add_co_u32_e32 v32, vcc, v34, v32
	v_mad_u64_u32 v[8:9], s[4:5], v1, s10, 0
	v_addc_co_u32_e32 v32, vcc, v35, v33, vcc
	v_addc_co_u32_e32 v9, vcc, 0, v9, vcc
	v_add_co_u32_e32 v34, vcc, v32, v8
	v_addc_co_u32_e32 v35, vcc, 0, v9, vcc
	v_mad_u64_u32 v[8:9], s[4:5], v34, 24, 0
	v_mov_b32_e32 v32, v9
	v_mad_u64_u32 v[32:33], s[4:5], v35, 24, v[32:33]
	v_sub_co_u32_e32 v8, vcc, v0, v8
	v_subb_co_u32_e32 v9, vcc, v1, v32, vcc
	v_subrev_co_u32_e32 v32, vcc, 24, v8
	v_subbrev_co_u32_e32 v33, vcc, 0, v9, vcc
	v_cmp_lt_u32_e32 vcc, 23, v32
	v_cndmask_b32_e64 v32, 0, -1, vcc
	v_cmp_eq_u32_e32 vcc, 0, v33
	v_cndmask_b32_e32 v32, -1, v32, vcc
	v_add_co_u32_e32 v33, vcc, 2, v34
	v_addc_co_u32_e32 v36, vcc, 0, v35, vcc
	v_add_co_u32_e32 v37, vcc, 1, v34
	v_cmp_lt_u32_e64 s[4:5], 23, v8
	v_addc_co_u32_e32 v38, vcc, 0, v35, vcc
	v_cndmask_b32_e64 v8, 0, -1, s[4:5]
	v_cmp_eq_u32_e64 s[4:5], 0, v9
	v_cmp_ne_u32_e32 vcc, 0, v32
	v_cndmask_b32_e64 v8, -1, v8, s[4:5]
	v_cndmask_b32_e32 v32, v38, v36, vcc
	v_cmp_ne_u32_e64 s[4:5], 0, v8
	v_cndmask_b32_e32 v8, v37, v33, vcc
	v_cndmask_b32_e64 v9, v35, v32, s[4:5]
	v_cndmask_b32_e64 v8, v34, v8, s[4:5]
	v_cmp_eq_u64_e32 vcc, v[8:9], v[28:29]
	s_and_b64 exec, exec, vcc
	s_cbranch_execz .LBB381_527
; %bb.438:
	v_mul_hi_u32_u24_e32 v8, 24, v28
	v_sub_co_u32_e32 v0, vcc, v0, v49
	v_subb_co_u32_e32 v1, vcc, v1, v8, vcc
	v_cmp_lt_i64_e32 vcc, 11, v[0:1]
	s_mov_b64 s[4:5], 0
	s_mov_b64 s[16:17], 0
	;; [unrolled: 1-line block ×4, first 2 shown]
	s_and_saveexec_b64 s[10:11], vcc
	s_xor_b64 s[10:11], exec, s[10:11]
	s_cbranch_execnz .LBB381_444
; %bb.439:
	s_andn2_saveexec_b64 s[10:11], s[10:11]
	s_cbranch_execnz .LBB381_489
.LBB381_440:
	s_or_b64 exec, exec, s[10:11]
	s_and_saveexec_b64 s[10:11], s[16:17]
	s_cbranch_execnz .LBB381_506
.LBB381_441:
	s_or_b64 exec, exec, s[10:11]
	s_and_saveexec_b64 s[10:11], s[14:15]
	s_cbranch_execnz .LBB381_507
.LBB381_442:
	s_or_b64 exec, exec, s[10:11]
	s_and_saveexec_b64 s[10:11], s[12:13]
	s_xor_b64 s[10:11], exec, s[10:11]
	s_cbranch_execnz .LBB381_508
.LBB381_443:
	s_or_b64 exec, exec, s[10:11]
	s_and_b64 exec, exec, s[4:5]
	s_cbranch_execnz .LBB381_509
	s_branch .LBB381_527
.LBB381_444:
	v_cmp_lt_i64_e32 vcc, 17, v[0:1]
	s_and_saveexec_b64 s[18:19], vcc
	s_xor_b64 s[18:19], exec, s[18:19]
	s_cbranch_execz .LBB381_466
; %bb.445:
	v_cmp_lt_i64_e32 vcc, 20, v[0:1]
                                        ; implicit-def: $vgpr12
	s_and_saveexec_b64 s[20:21], vcc
	s_xor_b64 s[20:21], exec, s[20:21]
	s_cbranch_execz .LBB381_455
; %bb.446:
	v_cmp_lt_i64_e32 vcc, 21, v[0:1]
	s_mov_b64 s[22:23], 0
                                        ; implicit-def: $vgpr12
	s_and_saveexec_b64 s[12:13], vcc
	s_xor_b64 s[12:13], exec, s[12:13]
	s_cbranch_execz .LBB381_452
; %bb.447:
	v_cmp_lt_i64_e32 vcc, 22, v[0:1]
	s_and_saveexec_b64 s[22:23], vcc
	s_xor_b64 s[22:23], exec, s[22:23]
	s_cbranch_execz .LBB381_449
; %bb.448:
	s_waitcnt lgkmcnt(0)
	flat_store_short v[4:5], v31
                                        ; implicit-def: $vgpr27
.LBB381_449:
	s_or_saveexec_b64 s[22:23], s[22:23]
	s_mov_b64 s[24:25], 0
	s_xor_b64 exec, exec, s[22:23]
; %bb.450:
	s_mov_b64 s[24:25], exec
; %bb.451:
	s_or_b64 exec, exec, s[22:23]
	s_and_b64 s[22:23], s[24:25], exec
	s_waitcnt lgkmcnt(0)
	v_mov_b32_e32 v12, v27
                                        ; implicit-def: $vgpr13
.LBB381_452:
	s_andn2_saveexec_b64 s[12:13], s[12:13]
; %bb.453:
	s_mov_b64 s[14:15], exec
                                        ; implicit-def: $vgpr12
; %bb.454:
	s_or_b64 exec, exec, s[12:13]
	s_and_b64 s[12:13], s[22:23], exec
	s_and_b64 s[14:15], s[14:15], exec
                                        ; implicit-def: $vgpr26
                                        ; implicit-def: $vgpr14
                                        ; implicit-def: $vgpr23
.LBB381_455:
	s_andn2_saveexec_b64 s[20:21], s[20:21]
	s_cbranch_execz .LBB381_465
; %bb.456:
	v_cmp_lt_i64_e32 vcc, 18, v[0:1]
	s_mov_b64 s[22:23], 0
	s_and_saveexec_b64 s[16:17], vcc
	s_xor_b64 s[16:17], exec, s[16:17]
	s_cbranch_execz .LBB381_462
; %bb.457:
	v_cmp_lt_i64_e32 vcc, 19, v[0:1]
	s_and_saveexec_b64 s[24:25], vcc
	s_xor_b64 s[24:25], exec, s[24:25]
; %bb.458:
	s_mov_b64 s[22:23], exec
                                        ; implicit-def: $vgpr23
; %bb.459:
	s_andn2_saveexec_b64 s[24:25], s[24:25]
	s_cbranch_execz .LBB381_461
; %bb.460:
	s_waitcnt lgkmcnt(0)
	flat_store_short v[4:5], v23
                                        ; implicit-def: $vgpr14
.LBB381_461:
	s_or_b64 exec, exec, s[24:25]
	s_and_b64 s[22:23], s[22:23], exec
                                        ; implicit-def: $vgpr26
.LBB381_462:
	s_andn2_saveexec_b64 s[16:17], s[16:17]
	s_cbranch_execz .LBB381_464
; %bb.463:
	s_waitcnt lgkmcnt(0)
	flat_store_short v[4:5], v26
                                        ; implicit-def: $vgpr14
.LBB381_464:
	s_or_b64 exec, exec, s[16:17]
	s_and_b64 s[16:17], s[22:23], exec
                                        ; implicit-def: $vgpr12
                                        ; implicit-def: $vgpr13
.LBB381_465:
	s_or_b64 exec, exec, s[20:21]
	s_and_b64 s[12:13], s[12:13], exec
	s_and_b64 s[14:15], s[14:15], exec
	;; [unrolled: 1-line block ×3, first 2 shown]
                                        ; implicit-def: $vgpr20
                                        ; implicit-def: $vgpr15
                                        ; implicit-def: $vgpr16
                                        ; implicit-def: $vgpr24
                                        ; implicit-def: $vgpr30
.LBB381_466:
	s_andn2_saveexec_b64 s[18:19], s[18:19]
	s_cbranch_execz .LBB381_488
; %bb.467:
	v_cmp_lt_i64_e32 vcc, 14, v[0:1]
	s_mov_b64 s[20:21], s[12:13]
	s_and_saveexec_b64 s[22:23], vcc
	s_xor_b64 s[22:23], exec, s[22:23]
	s_cbranch_execz .LBB381_477
; %bb.468:
	v_cmp_lt_i64_e32 vcc, 15, v[0:1]
	s_and_saveexec_b64 s[20:21], vcc
	s_xor_b64 s[20:21], exec, s[20:21]
	s_cbranch_execz .LBB381_474
; %bb.469:
	v_cmp_lt_i64_e32 vcc, 16, v[0:1]
	s_and_saveexec_b64 s[24:25], vcc
	s_xor_b64 s[24:25], exec, s[24:25]
	s_cbranch_execz .LBB381_471
; %bb.470:
	s_waitcnt lgkmcnt(0)
	flat_store_short v[4:5], v30
                                        ; implicit-def: $vgpr24
.LBB381_471:
	s_andn2_saveexec_b64 s[24:25], s[24:25]
	s_cbranch_execz .LBB381_473
; %bb.472:
	s_waitcnt lgkmcnt(0)
	flat_store_short v[4:5], v24
.LBB381_473:
	s_or_b64 exec, exec, s[24:25]
                                        ; implicit-def: $vgpr12
.LBB381_474:
	s_or_saveexec_b64 s[20:21], s[20:21]
	s_mov_b64 s[24:25], s[12:13]
	s_xor_b64 exec, exec, s[20:21]
; %bb.475:
	s_or_b64 s[24:25], s[12:13], exec
; %bb.476:
	s_or_b64 exec, exec, s[20:21]
	s_andn2_b64 s[20:21], s[12:13], exec
	s_and_b64 s[24:25], s[24:25], exec
	s_or_b64 s[20:21], s[20:21], s[24:25]
                                        ; implicit-def: $vgpr20
                                        ; implicit-def: $vgpr15
                                        ; implicit-def: $vgpr16
.LBB381_477:
	s_or_saveexec_b64 s[22:23], s[22:23]
	s_mov_b64 s[24:25], s[14:15]
                                        ; implicit-def: $vgpr13
	s_xor_b64 exec, exec, s[22:23]
	s_cbranch_execz .LBB381_487
; %bb.478:
	v_cmp_lt_i64_e32 vcc, 12, v[0:1]
	s_mov_b64 s[26:27], s[14:15]
	s_mov_b64 s[28:29], s[20:21]
                                        ; implicit-def: $vgpr12
                                        ; implicit-def: $vgpr13
	s_and_saveexec_b64 s[24:25], vcc
	s_xor_b64 s[24:25], exec, s[24:25]
	s_cbranch_execz .LBB381_484
; %bb.479:
	v_cmp_lt_i64_e32 vcc, 13, v[0:1]
	s_mov_b64 s[26:27], s[20:21]
	s_and_saveexec_b64 s[28:29], vcc
	s_xor_b64 s[28:29], exec, s[28:29]
; %bb.480:
	s_or_b64 s[26:27], s[20:21], exec
                                        ; implicit-def: $vgpr15
; %bb.481:
	s_or_saveexec_b64 s[28:29], s[28:29]
	s_mov_b64 vcc, s[14:15]
	s_xor_b64 exec, exec, s[28:29]
; %bb.482:
	s_or_b64 vcc, s[14:15], exec
                                        ; implicit-def: $vgpr16
; %bb.483:
	s_or_b64 exec, exec, s[28:29]
	s_andn2_b64 s[28:29], s[20:21], exec
	s_and_b64 s[26:27], s[26:27], exec
	s_or_b64 s[28:29], s[28:29], s[26:27]
	s_andn2_b64 s[26:27], s[14:15], exec
	s_and_b64 vcc, vcc, exec
	s_or_b64 s[26:27], s[26:27], vcc
	s_waitcnt lgkmcnt(0)
	v_mov_b32_e32 v12, v16
	v_mov_b32_e32 v13, v15
                                        ; implicit-def: $vgpr20
.LBB381_484:
	s_andn2_saveexec_b64 s[24:25], s[24:25]
	s_cbranch_execz .LBB381_486
; %bb.485:
	s_or_b64 s[26:27], s[26:27], exec
                                        ; implicit-def: $vgpr12
	s_waitcnt lgkmcnt(0)
	v_mov_b32_e32 v13, v20
.LBB381_486:
	s_or_b64 exec, exec, s[24:25]
	s_andn2_b64 s[20:21], s[20:21], exec
	s_and_b64 s[24:25], s[28:29], exec
	s_or_b64 s[20:21], s[20:21], s[24:25]
	s_andn2_b64 s[24:25], s[14:15], exec
	s_and_b64 s[26:27], s[26:27], exec
	s_or_b64 s[24:25], s[24:25], s[26:27]
.LBB381_487:
	s_or_b64 exec, exec, s[22:23]
	s_andn2_b64 s[12:13], s[12:13], exec
	s_and_b64 s[20:21], s[20:21], exec
	s_or_b64 s[12:13], s[12:13], s[20:21]
	s_andn2_b64 s[14:15], s[14:15], exec
	s_and_b64 s[20:21], s[24:25], exec
	s_or_b64 s[14:15], s[14:15], s[20:21]
                                        ; implicit-def: $vgpr14
.LBB381_488:
	s_or_b64 exec, exec, s[18:19]
	s_and_b64 s[12:13], s[12:13], exec
	s_and_b64 s[14:15], s[14:15], exec
	;; [unrolled: 1-line block ×3, first 2 shown]
                                        ; implicit-def: $vgpr19
                                        ; implicit-def: $vgpr17
                                        ; implicit-def: $vgpr18
                                        ; implicit-def: $vgpr25
                                        ; implicit-def: $vgpr22
                                        ; implicit-def: $vgpr21
	s_andn2_saveexec_b64 s[10:11], s[10:11]
	s_cbranch_execz .LBB381_440
.LBB381_489:
	v_cmp_lt_i64_e32 vcc, 5, v[0:1]
	s_mov_b64 s[20:21], -1
	s_mov_b64 s[18:19], s[16:17]
	s_mov_b64 s[22:23], s[14:15]
	;; [unrolled: 1-line block ×3, first 2 shown]
                                        ; implicit-def: $vgpr12
                                        ; implicit-def: $vgpr13
                                        ; implicit-def: $vgpr14
	s_and_saveexec_b64 s[4:5], vcc
	s_cbranch_execz .LBB381_505
; %bb.490:
	v_cmp_lt_i64_e32 vcc, 8, v[0:1]
	s_mov_b64 s[18:19], s[16:17]
                                        ; implicit-def: $vgpr14
	s_and_saveexec_b64 s[20:21], vcc
	s_xor_b64 s[20:21], exec, s[20:21]
	s_cbranch_execz .LBB381_500
; %bb.491:
	v_cmp_lt_i64_e32 vcc, 9, v[0:1]
	s_and_saveexec_b64 s[18:19], vcc
	s_xor_b64 s[18:19], exec, s[18:19]
	s_cbranch_execz .LBB381_497
; %bb.492:
	v_cmp_lt_i64_e32 vcc, 10, v[0:1]
	s_and_saveexec_b64 s[22:23], vcc
	s_xor_b64 s[22:23], exec, s[22:23]
; %bb.493:
                                        ; implicit-def: $vgpr22
; %bb.494:
	s_andn2_saveexec_b64 s[22:23], s[22:23]
	s_cbranch_execz .LBB381_496
; %bb.495:
	s_waitcnt lgkmcnt(0)
	v_mov_b32_e32 v21, v22
.LBB381_496:
	s_or_b64 exec, exec, s[22:23]
                                        ; implicit-def: $vgpr25
.LBB381_497:
	s_andn2_saveexec_b64 s[18:19], s[18:19]
	s_cbranch_execz .LBB381_499
; %bb.498:
	s_waitcnt lgkmcnt(0)
	v_mov_b32_e32 v21, v25
.LBB381_499:
	s_or_b64 exec, exec, s[18:19]
	s_or_b64 s[18:19], s[16:17], exec
	s_waitcnt lgkmcnt(0)
	v_mov_b32_e32 v14, v21
                                        ; implicit-def: $vgpr19
                                        ; implicit-def: $vgpr17
                                        ; implicit-def: $vgpr18
.LBB381_500:
	s_or_saveexec_b64 s[20:21], s[20:21]
	s_mov_b64 s[22:23], s[14:15]
	s_mov_b64 s[26:27], s[12:13]
                                        ; implicit-def: $vgpr12
                                        ; implicit-def: $vgpr13
	s_xor_b64 exec, exec, s[20:21]
	s_cbranch_execz .LBB381_504
; %bb.501:
	v_cmp_lt_i64_e32 vcc, 6, v[0:1]
	s_mov_b64 s[26:27], -1
	s_mov_b64 s[24:25], s[18:19]
	s_mov_b64 s[22:23], s[14:15]
	s_and_saveexec_b64 s[28:29], vcc
; %bb.502:
	v_cmp_lt_i64_e32 vcc, 7, v[0:1]
	s_andn2_b64 s[24:25], s[18:19], exec
	s_and_b64 vcc, vcc, exec
	s_xor_b64 s[26:27], exec, -1
	s_or_b64 s[22:23], s[14:15], exec
	s_or_b64 s[24:25], s[24:25], vcc
                                        ; implicit-def: $vgpr19
; %bb.503:
	s_or_b64 exec, exec, s[28:29]
	s_andn2_b64 s[28:29], s[12:13], exec
	s_and_b64 s[26:27], s[26:27], exec
	s_or_b64 s[26:27], s[28:29], s[26:27]
	s_andn2_b64 s[28:29], s[14:15], exec
	s_and_b64 s[22:23], s[22:23], exec
	s_andn2_b64 s[18:19], s[18:19], exec
	s_and_b64 s[24:25], s[24:25], exec
	s_or_b64 s[22:23], s[28:29], s[22:23]
	s_or_b64 s[18:19], s[18:19], s[24:25]
	s_waitcnt lgkmcnt(0)
	v_mov_b32_e32 v12, v19
	v_mov_b32_e32 v13, v17
	;; [unrolled: 1-line block ×3, first 2 shown]
.LBB381_504:
	s_or_b64 exec, exec, s[20:21]
	s_andn2_b64 s[24:25], s[12:13], exec
	s_and_b64 s[26:27], s[26:27], exec
	s_or_b64 s[24:25], s[24:25], s[26:27]
	s_andn2_b64 s[26:27], s[14:15], exec
	s_and_b64 s[22:23], s[22:23], exec
	s_or_b64 s[22:23], s[26:27], s[22:23]
	s_andn2_b64 s[26:27], s[16:17], exec
	s_and_b64 s[18:19], s[18:19], exec
	s_xor_b64 s[20:21], exec, -1
	s_or_b64 s[18:19], s[26:27], s[18:19]
.LBB381_505:
	s_or_b64 exec, exec, s[4:5]
	s_and_b64 s[4:5], s[20:21], exec
	s_andn2_b64 s[12:13], s[12:13], exec
	s_and_b64 s[20:21], s[24:25], exec
	s_or_b64 s[12:13], s[12:13], s[20:21]
	s_andn2_b64 s[14:15], s[14:15], exec
	s_and_b64 s[20:21], s[22:23], exec
	s_andn2_b64 s[16:17], s[16:17], exec
	s_and_b64 s[18:19], s[18:19], exec
	s_or_b64 s[14:15], s[14:15], s[20:21]
	s_or_b64 s[16:17], s[16:17], s[18:19]
	s_or_b64 exec, exec, s[10:11]
	s_and_saveexec_b64 s[10:11], s[16:17]
	s_cbranch_execz .LBB381_441
.LBB381_506:
	s_andn2_b64 s[14:15], s[14:15], exec
	s_waitcnt lgkmcnt(0)
	flat_store_short v[4:5], v14
                                        ; implicit-def: $vgpr12
                                        ; implicit-def: $vgpr13
	s_or_b64 exec, exec, s[10:11]
	s_and_saveexec_b64 s[10:11], s[14:15]
	s_cbranch_execz .LBB381_442
.LBB381_507:
	s_waitcnt lgkmcnt(0)
	flat_store_short v[4:5], v13
                                        ; implicit-def: $vgpr12
	s_or_b64 exec, exec, s[10:11]
	s_and_saveexec_b64 s[10:11], s[12:13]
	s_xor_b64 s[10:11], exec, s[10:11]
	s_cbranch_execz .LBB381_443
.LBB381_508:
	s_waitcnt lgkmcnt(0)
	flat_store_short v[4:5], v12
	s_or_b64 exec, exec, s[10:11]
	s_and_b64 exec, exec, s[4:5]
	s_cbranch_execz .LBB381_527
.LBB381_509:
	v_cmp_lt_i64_e32 vcc, 2, v[0:1]
	s_and_saveexec_b64 s[4:5], vcc
	s_xor_b64 s[4:5], exec, s[4:5]
	s_cbranch_execz .LBB381_519
; %bb.510:
	v_cmp_lt_i64_e32 vcc, 3, v[0:1]
	s_and_saveexec_b64 s[10:11], vcc
	s_xor_b64 s[10:11], exec, s[10:11]
	s_cbranch_execz .LBB381_516
; %bb.511:
	;; [unrolled: 5-line block ×3, first 2 shown]
	s_waitcnt lgkmcnt(0)
	flat_store_short v[4:5], v11
                                        ; implicit-def: $vgpr4_vgpr5
                                        ; implicit-def: $vgpr6
.LBB381_513:
	s_andn2_saveexec_b64 s[12:13], s[12:13]
	s_cbranch_execz .LBB381_515
; %bb.514:
	s_waitcnt lgkmcnt(0)
	flat_store_short v[4:5], v6
.LBB381_515:
	s_or_b64 exec, exec, s[12:13]
                                        ; implicit-def: $vgpr4_vgpr5
                                        ; implicit-def: $vgpr10
.LBB381_516:
	s_andn2_saveexec_b64 s[10:11], s[10:11]
	s_cbranch_execz .LBB381_518
; %bb.517:
	s_waitcnt lgkmcnt(0)
	flat_store_short v[4:5], v10
.LBB381_518:
	s_or_b64 exec, exec, s[10:11]
                                        ; implicit-def: $vgpr0_vgpr1
                                        ; implicit-def: $vgpr4_vgpr5
                                        ; implicit-def: $vgpr7
                                        ; implicit-def: $vgpr2
                                        ; implicit-def: $vgpr3
.LBB381_519:
	s_andn2_saveexec_b64 s[4:5], s[4:5]
	s_cbranch_execz .LBB381_527
; %bb.520:
	v_cmp_lt_i64_e32 vcc, 1, v[0:1]
	s_and_saveexec_b64 s[4:5], vcc
	s_xor_b64 s[4:5], exec, s[4:5]
	s_cbranch_execz .LBB381_522
; %bb.521:
	s_waitcnt lgkmcnt(0)
	flat_store_short v[4:5], v7
                                        ; implicit-def: $vgpr4_vgpr5
                                        ; implicit-def: $vgpr2
                                        ; implicit-def: $vgpr0_vgpr1
                                        ; implicit-def: $vgpr3
.LBB381_522:
	s_andn2_saveexec_b64 s[4:5], s[4:5]
	s_cbranch_execz .LBB381_527
; %bb.523:
	v_cmp_ne_u64_e32 vcc, 1, v[0:1]
	s_and_saveexec_b64 s[4:5], vcc
	s_xor_b64 s[4:5], exec, s[4:5]
	s_cbranch_execz .LBB381_525
; %bb.524:
	s_waitcnt lgkmcnt(0)
	flat_store_short v[4:5], v3
                                        ; implicit-def: $vgpr4_vgpr5
                                        ; implicit-def: $vgpr2
.LBB381_525:
	s_andn2_saveexec_b64 s[4:5], s[4:5]
	s_cbranch_execz .LBB381_527
; %bb.526:
	s_waitcnt lgkmcnt(0)
	flat_store_short v[4:5], v2
.LBB381_527:
	s_or_b64 exec, exec, s[8:9]
.LBB381_528:
	s_or_b64 exec, exec, s[6:7]
	v_readlane_b32 s30, v40, 0
	v_readlane_b32 s31, v40, 1
	s_or_saveexec_b64 s[4:5], -1
	buffer_load_dword v40, off, s[0:3], s32 ; 4-byte Folded Reload
	s_mov_b64 exec, s[4:5]
	s_waitcnt vmcnt(0) lgkmcnt(0)
	s_setpc_b64 s[30:31]
.Lfunc_end381:
	.size	_ZZZN7rocprim17ROCPRIM_400000_NS6detail9scan_implILNS1_25lookback_scan_determinismE0ELb0ELb0ENS0_14default_configEPKN3c104HalfEPS6_S6_ZZZN2at6native31launch_logcumsumexp_cuda_kernelERKNSA_10TensorBaseESE_lENKUlvE_clEvENKUlvE3_clEvEUlS6_S6_E_S6_EEDaPvRmT3_T4_T5_mT6_P12ihipStream_tbENKUlT_T0_E_clISt17integral_constantIbLb1EESV_EEDaSQ_SR_ENKUlSQ_E_clINS1_13target_configIS4_NS1_20scan_config_selectorIS6_EENS1_11comp_targetILNS1_3genE4ELNS1_11target_archE910ELNS1_3gpuE8ELNS1_3repE0EEELNS0_4arch9wavefront6targetE1EEEEEDaSQ_, .Lfunc_end381-_ZZZN7rocprim17ROCPRIM_400000_NS6detail9scan_implILNS1_25lookback_scan_determinismE0ELb0ELb0ENS0_14default_configEPKN3c104HalfEPS6_S6_ZZZN2at6native31launch_logcumsumexp_cuda_kernelERKNSA_10TensorBaseESE_lENKUlvE_clEvENKUlvE3_clEvEUlS6_S6_E_S6_EEDaPvRmT3_T4_T5_mT6_P12ihipStream_tbENKUlT_T0_E_clISt17integral_constantIbLb1EESV_EEDaSQ_SR_ENKUlSQ_E_clINS1_13target_configIS4_NS1_20scan_config_selectorIS6_EENS1_11comp_targetILNS1_3genE4ELNS1_11target_archE910ELNS1_3gpuE8ELNS1_3repE0EEELNS0_4arch9wavefront6targetE1EEEEEDaSQ_
                                        ; -- End function
	.section	.AMDGPU.csdata,"",@progbits
; Function info:
; codeLenInByte = 109444
; NumSgprs: 84
; NumVgprs: 166
; NumAgprs: 0
; TotalNumVgprs: 166
; ScratchSize: 8
; MemoryBound: 0
	.section	.text._ZN7rocprim17ROCPRIM_400000_NS6detail17trampoline_kernelINS0_14default_configENS1_20scan_config_selectorIN3c104HalfEEEZZNS1_9scan_implILNS1_25lookback_scan_determinismE0ELb0ELb0ES3_PKS6_PS6_S6_ZZZN2at6native31launch_logcumsumexp_cuda_kernelERKNSD_10TensorBaseESH_lENKUlvE_clEvENKUlvE3_clEvEUlS6_S6_E_S6_EEDaPvRmT3_T4_T5_mT6_P12ihipStream_tbENKUlT_T0_E_clISt17integral_constantIbLb1EESY_EEDaST_SU_EUlST_E_NS1_11comp_targetILNS1_3genE4ELNS1_11target_archE910ELNS1_3gpuE8ELNS1_3repE0EEENS1_30default_config_static_selectorELNS0_4arch9wavefront6targetE1EEEvT1_,"axG",@progbits,_ZN7rocprim17ROCPRIM_400000_NS6detail17trampoline_kernelINS0_14default_configENS1_20scan_config_selectorIN3c104HalfEEEZZNS1_9scan_implILNS1_25lookback_scan_determinismE0ELb0ELb0ES3_PKS6_PS6_S6_ZZZN2at6native31launch_logcumsumexp_cuda_kernelERKNSD_10TensorBaseESH_lENKUlvE_clEvENKUlvE3_clEvEUlS6_S6_E_S6_EEDaPvRmT3_T4_T5_mT6_P12ihipStream_tbENKUlT_T0_E_clISt17integral_constantIbLb1EESY_EEDaST_SU_EUlST_E_NS1_11comp_targetILNS1_3genE4ELNS1_11target_archE910ELNS1_3gpuE8ELNS1_3repE0EEENS1_30default_config_static_selectorELNS0_4arch9wavefront6targetE1EEEvT1_,comdat
	.globl	_ZN7rocprim17ROCPRIM_400000_NS6detail17trampoline_kernelINS0_14default_configENS1_20scan_config_selectorIN3c104HalfEEEZZNS1_9scan_implILNS1_25lookback_scan_determinismE0ELb0ELb0ES3_PKS6_PS6_S6_ZZZN2at6native31launch_logcumsumexp_cuda_kernelERKNSD_10TensorBaseESH_lENKUlvE_clEvENKUlvE3_clEvEUlS6_S6_E_S6_EEDaPvRmT3_T4_T5_mT6_P12ihipStream_tbENKUlT_T0_E_clISt17integral_constantIbLb1EESY_EEDaST_SU_EUlST_E_NS1_11comp_targetILNS1_3genE4ELNS1_11target_archE910ELNS1_3gpuE8ELNS1_3repE0EEENS1_30default_config_static_selectorELNS0_4arch9wavefront6targetE1EEEvT1_ ; -- Begin function _ZN7rocprim17ROCPRIM_400000_NS6detail17trampoline_kernelINS0_14default_configENS1_20scan_config_selectorIN3c104HalfEEEZZNS1_9scan_implILNS1_25lookback_scan_determinismE0ELb0ELb0ES3_PKS6_PS6_S6_ZZZN2at6native31launch_logcumsumexp_cuda_kernelERKNSD_10TensorBaseESH_lENKUlvE_clEvENKUlvE3_clEvEUlS6_S6_E_S6_EEDaPvRmT3_T4_T5_mT6_P12ihipStream_tbENKUlT_T0_E_clISt17integral_constantIbLb1EESY_EEDaST_SU_EUlST_E_NS1_11comp_targetILNS1_3genE4ELNS1_11target_archE910ELNS1_3gpuE8ELNS1_3repE0EEENS1_30default_config_static_selectorELNS0_4arch9wavefront6targetE1EEEvT1_
	.p2align	8
	.type	_ZN7rocprim17ROCPRIM_400000_NS6detail17trampoline_kernelINS0_14default_configENS1_20scan_config_selectorIN3c104HalfEEEZZNS1_9scan_implILNS1_25lookback_scan_determinismE0ELb0ELb0ES3_PKS6_PS6_S6_ZZZN2at6native31launch_logcumsumexp_cuda_kernelERKNSD_10TensorBaseESH_lENKUlvE_clEvENKUlvE3_clEvEUlS6_S6_E_S6_EEDaPvRmT3_T4_T5_mT6_P12ihipStream_tbENKUlT_T0_E_clISt17integral_constantIbLb1EESY_EEDaST_SU_EUlST_E_NS1_11comp_targetILNS1_3genE4ELNS1_11target_archE910ELNS1_3gpuE8ELNS1_3repE0EEENS1_30default_config_static_selectorELNS0_4arch9wavefront6targetE1EEEvT1_,@function
_ZN7rocprim17ROCPRIM_400000_NS6detail17trampoline_kernelINS0_14default_configENS1_20scan_config_selectorIN3c104HalfEEEZZNS1_9scan_implILNS1_25lookback_scan_determinismE0ELb0ELb0ES3_PKS6_PS6_S6_ZZZN2at6native31launch_logcumsumexp_cuda_kernelERKNSD_10TensorBaseESH_lENKUlvE_clEvENKUlvE3_clEvEUlS6_S6_E_S6_EEDaPvRmT3_T4_T5_mT6_P12ihipStream_tbENKUlT_T0_E_clISt17integral_constantIbLb1EESY_EEDaST_SU_EUlST_E_NS1_11comp_targetILNS1_3genE4ELNS1_11target_archE910ELNS1_3gpuE8ELNS1_3repE0EEENS1_30default_config_static_selectorELNS0_4arch9wavefront6targetE1EEEvT1_: ; @_ZN7rocprim17ROCPRIM_400000_NS6detail17trampoline_kernelINS0_14default_configENS1_20scan_config_selectorIN3c104HalfEEEZZNS1_9scan_implILNS1_25lookback_scan_determinismE0ELb0ELb0ES3_PKS6_PS6_S6_ZZZN2at6native31launch_logcumsumexp_cuda_kernelERKNSD_10TensorBaseESH_lENKUlvE_clEvENKUlvE3_clEvEUlS6_S6_E_S6_EEDaPvRmT3_T4_T5_mT6_P12ihipStream_tbENKUlT_T0_E_clISt17integral_constantIbLb1EESY_EEDaST_SU_EUlST_E_NS1_11comp_targetILNS1_3genE4ELNS1_11target_archE910ELNS1_3gpuE8ELNS1_3repE0EEENS1_30default_config_static_selectorELNS0_4arch9wavefront6targetE1EEEvT1_
; %bb.0:
	s_add_u32 flat_scratch_lo, s6, s9
	s_addc_u32 flat_scratch_hi, s7, 0
	s_add_u32 s0, s0, s9
	s_load_dwordx8 s[8:15], s[4:5], 0x0
	s_addc_u32 s1, s1, 0
	s_load_dwordx8 s[16:23], s[4:5], 0x20
	s_mov_b64 s[6:7], src_private_base
	v_mov_b32_e32 v31, v0
	s_waitcnt lgkmcnt(0)
	v_mov_b32_e32 v1, s11
	v_mov_b32_e32 v2, s10
	buffer_store_dword v1, off, s[0:3], 0 offset:12
	buffer_store_dword v2, off, s[0:3], 0 offset:8
	v_mov_b32_e32 v1, s9
	buffer_store_dword v1, off, s[0:3], 0 offset:4
	v_mov_b32_e32 v1, s8
	buffer_store_dword v1, off, s[0:3], 0
	v_mov_b32_e32 v1, s15
	buffer_store_dword v1, off, s[0:3], 0 offset:28
	v_mov_b32_e32 v1, s14
	buffer_store_dword v1, off, s[0:3], 0 offset:24
	;; [unrolled: 2-line block ×7, first 2 shown]
	v_mov_b32_e32 v1, s16
	s_load_dwordx8 s[8:15], s[4:5], 0x40
	buffer_store_dword v1, off, s[0:3], 0 offset:32
	v_mov_b32_e32 v1, s23
	buffer_store_dword v1, off, s[0:3], 0 offset:60
	v_mov_b32_e32 v1, s22
	;; [unrolled: 2-line block ×4, first 2 shown]
	buffer_store_dword v1, off, s[0:3], 0 offset:48
	s_waitcnt lgkmcnt(0)
	v_mov_b32_e32 v1, s11
	buffer_store_dword v1, off, s[0:3], 0 offset:76
	v_mov_b32_e32 v1, s10
	buffer_store_dword v1, off, s[0:3], 0 offset:72
	;; [unrolled: 2-line block ×7, first 2 shown]
	v_mov_b32_e32 v1, s12
	s_add_u32 s8, s4, 0x60
	buffer_store_dword v1, off, s[0:3], 0 offset:80
	s_addc_u32 s9, s5, 0
	v_mov_b32_e32 v0, 0
	v_mov_b32_e32 v1, s7
	s_movk_i32 s32, 0x1c00
	s_getpc_b64 s[4:5]
	s_add_u32 s4, s4, _ZZZN7rocprim17ROCPRIM_400000_NS6detail9scan_implILNS1_25lookback_scan_determinismE0ELb0ELb0ENS0_14default_configEPKN3c104HalfEPS6_S6_ZZZN2at6native31launch_logcumsumexp_cuda_kernelERKNSA_10TensorBaseESE_lENKUlvE_clEvENKUlvE3_clEvEUlS6_S6_E_S6_EEDaPvRmT3_T4_T5_mT6_P12ihipStream_tbENKUlT_T0_E_clISt17integral_constantIbLb1EESV_EEDaSQ_SR_ENKUlSQ_E_clINS1_13target_configIS4_NS1_20scan_config_selectorIS6_EENS1_11comp_targetILNS1_3genE4ELNS1_11target_archE910ELNS1_3gpuE8ELNS1_3repE0EEELNS0_4arch9wavefront6targetE1EEEEEDaSQ_@rel32@lo+4
	s_addc_u32 s5, s5, _ZZZN7rocprim17ROCPRIM_400000_NS6detail9scan_implILNS1_25lookback_scan_determinismE0ELb0ELb0ENS0_14default_configEPKN3c104HalfEPS6_S6_ZZZN2at6native31launch_logcumsumexp_cuda_kernelERKNSA_10TensorBaseESE_lENKUlvE_clEvENKUlvE3_clEvEUlS6_S6_E_S6_EEDaPvRmT3_T4_T5_mT6_P12ihipStream_tbENKUlT_T0_E_clISt17integral_constantIbLb1EESV_EEDaSQ_SR_ENKUlSQ_E_clINS1_13target_configIS4_NS1_20scan_config_selectorIS6_EENS1_11comp_targetILNS1_3genE4ELNS1_11target_archE910ELNS1_3gpuE8ELNS1_3repE0EEELNS0_4arch9wavefront6targetE1EEEEEDaSQ_@rel32@hi+12
	s_swappc_b64 s[30:31], s[4:5]
	s_endpgm
	.section	.rodata,"a",@progbits
	.p2align	6, 0x0
	.amdhsa_kernel _ZN7rocprim17ROCPRIM_400000_NS6detail17trampoline_kernelINS0_14default_configENS1_20scan_config_selectorIN3c104HalfEEEZZNS1_9scan_implILNS1_25lookback_scan_determinismE0ELb0ELb0ES3_PKS6_PS6_S6_ZZZN2at6native31launch_logcumsumexp_cuda_kernelERKNSD_10TensorBaseESH_lENKUlvE_clEvENKUlvE3_clEvEUlS6_S6_E_S6_EEDaPvRmT3_T4_T5_mT6_P12ihipStream_tbENKUlT_T0_E_clISt17integral_constantIbLb1EESY_EEDaST_SU_EUlST_E_NS1_11comp_targetILNS1_3genE4ELNS1_11target_archE910ELNS1_3gpuE8ELNS1_3repE0EEENS1_30default_config_static_selectorELNS0_4arch9wavefront6targetE1EEEvT1_
		.amdhsa_group_segment_fixed_size 3072
		.amdhsa_private_segment_fixed_size 120
		.amdhsa_kernarg_size 352
		.amdhsa_user_sgpr_count 8
		.amdhsa_user_sgpr_private_segment_buffer 1
		.amdhsa_user_sgpr_dispatch_ptr 0
		.amdhsa_user_sgpr_queue_ptr 0
		.amdhsa_user_sgpr_kernarg_segment_ptr 1
		.amdhsa_user_sgpr_dispatch_id 0
		.amdhsa_user_sgpr_flat_scratch_init 1
		.amdhsa_user_sgpr_kernarg_preload_length 0
		.amdhsa_user_sgpr_kernarg_preload_offset 0
		.amdhsa_user_sgpr_private_segment_size 0
		.amdhsa_uses_dynamic_stack 0
		.amdhsa_system_sgpr_private_segment_wavefront_offset 1
		.amdhsa_system_sgpr_workgroup_id_x 1
		.amdhsa_system_sgpr_workgroup_id_y 0
		.amdhsa_system_sgpr_workgroup_id_z 0
		.amdhsa_system_sgpr_workgroup_info 0
		.amdhsa_system_vgpr_workitem_id 0
		.amdhsa_next_free_vgpr 166
		.amdhsa_next_free_sgpr 80
		.amdhsa_accum_offset 168
		.amdhsa_reserve_vcc 1
		.amdhsa_reserve_flat_scratch 1
		.amdhsa_float_round_mode_32 0
		.amdhsa_float_round_mode_16_64 0
		.amdhsa_float_denorm_mode_32 3
		.amdhsa_float_denorm_mode_16_64 3
		.amdhsa_dx10_clamp 1
		.amdhsa_ieee_mode 1
		.amdhsa_fp16_overflow 0
		.amdhsa_tg_split 0
		.amdhsa_exception_fp_ieee_invalid_op 0
		.amdhsa_exception_fp_denorm_src 0
		.amdhsa_exception_fp_ieee_div_zero 0
		.amdhsa_exception_fp_ieee_overflow 0
		.amdhsa_exception_fp_ieee_underflow 0
		.amdhsa_exception_fp_ieee_inexact 0
		.amdhsa_exception_int_div_zero 0
	.end_amdhsa_kernel
	.section	.text._ZN7rocprim17ROCPRIM_400000_NS6detail17trampoline_kernelINS0_14default_configENS1_20scan_config_selectorIN3c104HalfEEEZZNS1_9scan_implILNS1_25lookback_scan_determinismE0ELb0ELb0ES3_PKS6_PS6_S6_ZZZN2at6native31launch_logcumsumexp_cuda_kernelERKNSD_10TensorBaseESH_lENKUlvE_clEvENKUlvE3_clEvEUlS6_S6_E_S6_EEDaPvRmT3_T4_T5_mT6_P12ihipStream_tbENKUlT_T0_E_clISt17integral_constantIbLb1EESY_EEDaST_SU_EUlST_E_NS1_11comp_targetILNS1_3genE4ELNS1_11target_archE910ELNS1_3gpuE8ELNS1_3repE0EEENS1_30default_config_static_selectorELNS0_4arch9wavefront6targetE1EEEvT1_,"axG",@progbits,_ZN7rocprim17ROCPRIM_400000_NS6detail17trampoline_kernelINS0_14default_configENS1_20scan_config_selectorIN3c104HalfEEEZZNS1_9scan_implILNS1_25lookback_scan_determinismE0ELb0ELb0ES3_PKS6_PS6_S6_ZZZN2at6native31launch_logcumsumexp_cuda_kernelERKNSD_10TensorBaseESH_lENKUlvE_clEvENKUlvE3_clEvEUlS6_S6_E_S6_EEDaPvRmT3_T4_T5_mT6_P12ihipStream_tbENKUlT_T0_E_clISt17integral_constantIbLb1EESY_EEDaST_SU_EUlST_E_NS1_11comp_targetILNS1_3genE4ELNS1_11target_archE910ELNS1_3gpuE8ELNS1_3repE0EEENS1_30default_config_static_selectorELNS0_4arch9wavefront6targetE1EEEvT1_,comdat
.Lfunc_end382:
	.size	_ZN7rocprim17ROCPRIM_400000_NS6detail17trampoline_kernelINS0_14default_configENS1_20scan_config_selectorIN3c104HalfEEEZZNS1_9scan_implILNS1_25lookback_scan_determinismE0ELb0ELb0ES3_PKS6_PS6_S6_ZZZN2at6native31launch_logcumsumexp_cuda_kernelERKNSD_10TensorBaseESH_lENKUlvE_clEvENKUlvE3_clEvEUlS6_S6_E_S6_EEDaPvRmT3_T4_T5_mT6_P12ihipStream_tbENKUlT_T0_E_clISt17integral_constantIbLb1EESY_EEDaST_SU_EUlST_E_NS1_11comp_targetILNS1_3genE4ELNS1_11target_archE910ELNS1_3gpuE8ELNS1_3repE0EEENS1_30default_config_static_selectorELNS0_4arch9wavefront6targetE1EEEvT1_, .Lfunc_end382-_ZN7rocprim17ROCPRIM_400000_NS6detail17trampoline_kernelINS0_14default_configENS1_20scan_config_selectorIN3c104HalfEEEZZNS1_9scan_implILNS1_25lookback_scan_determinismE0ELb0ELb0ES3_PKS6_PS6_S6_ZZZN2at6native31launch_logcumsumexp_cuda_kernelERKNSD_10TensorBaseESH_lENKUlvE_clEvENKUlvE3_clEvEUlS6_S6_E_S6_EEDaPvRmT3_T4_T5_mT6_P12ihipStream_tbENKUlT_T0_E_clISt17integral_constantIbLb1EESY_EEDaST_SU_EUlST_E_NS1_11comp_targetILNS1_3genE4ELNS1_11target_archE910ELNS1_3gpuE8ELNS1_3repE0EEENS1_30default_config_static_selectorELNS0_4arch9wavefront6targetE1EEEvT1_
                                        ; -- End function
	.section	.AMDGPU.csdata,"",@progbits
; Kernel info:
; codeLenInByte = 396
; NumSgprs: 86
; NumVgprs: 166
; NumAgprs: 0
; TotalNumVgprs: 166
; ScratchSize: 120
; MemoryBound: 0
; FloatMode: 240
; IeeeMode: 1
; LDSByteSize: 3072 bytes/workgroup (compile time only)
; SGPRBlocks: 10
; VGPRBlocks: 20
; NumSGPRsForWavesPerEU: 86
; NumVGPRsForWavesPerEU: 166
; AccumOffset: 168
; Occupancy: 3
; WaveLimiterHint : 1
; COMPUTE_PGM_RSRC2:SCRATCH_EN: 1
; COMPUTE_PGM_RSRC2:USER_SGPR: 8
; COMPUTE_PGM_RSRC2:TRAP_HANDLER: 0
; COMPUTE_PGM_RSRC2:TGID_X_EN: 1
; COMPUTE_PGM_RSRC2:TGID_Y_EN: 0
; COMPUTE_PGM_RSRC2:TGID_Z_EN: 0
; COMPUTE_PGM_RSRC2:TIDIG_COMP_CNT: 0
; COMPUTE_PGM_RSRC3_GFX90A:ACCUM_OFFSET: 41
; COMPUTE_PGM_RSRC3_GFX90A:TG_SPLIT: 0
	.section	.text._ZN7rocprim17ROCPRIM_400000_NS6detail17trampoline_kernelINS0_14default_configENS1_20scan_config_selectorIN3c104HalfEEEZZNS1_9scan_implILNS1_25lookback_scan_determinismE0ELb0ELb0ES3_PKS6_PS6_S6_ZZZN2at6native31launch_logcumsumexp_cuda_kernelERKNSD_10TensorBaseESH_lENKUlvE_clEvENKUlvE3_clEvEUlS6_S6_E_S6_EEDaPvRmT3_T4_T5_mT6_P12ihipStream_tbENKUlT_T0_E_clISt17integral_constantIbLb1EESY_EEDaST_SU_EUlST_E_NS1_11comp_targetILNS1_3genE3ELNS1_11target_archE908ELNS1_3gpuE7ELNS1_3repE0EEENS1_30default_config_static_selectorELNS0_4arch9wavefront6targetE1EEEvT1_,"axG",@progbits,_ZN7rocprim17ROCPRIM_400000_NS6detail17trampoline_kernelINS0_14default_configENS1_20scan_config_selectorIN3c104HalfEEEZZNS1_9scan_implILNS1_25lookback_scan_determinismE0ELb0ELb0ES3_PKS6_PS6_S6_ZZZN2at6native31launch_logcumsumexp_cuda_kernelERKNSD_10TensorBaseESH_lENKUlvE_clEvENKUlvE3_clEvEUlS6_S6_E_S6_EEDaPvRmT3_T4_T5_mT6_P12ihipStream_tbENKUlT_T0_E_clISt17integral_constantIbLb1EESY_EEDaST_SU_EUlST_E_NS1_11comp_targetILNS1_3genE3ELNS1_11target_archE908ELNS1_3gpuE7ELNS1_3repE0EEENS1_30default_config_static_selectorELNS0_4arch9wavefront6targetE1EEEvT1_,comdat
	.globl	_ZN7rocprim17ROCPRIM_400000_NS6detail17trampoline_kernelINS0_14default_configENS1_20scan_config_selectorIN3c104HalfEEEZZNS1_9scan_implILNS1_25lookback_scan_determinismE0ELb0ELb0ES3_PKS6_PS6_S6_ZZZN2at6native31launch_logcumsumexp_cuda_kernelERKNSD_10TensorBaseESH_lENKUlvE_clEvENKUlvE3_clEvEUlS6_S6_E_S6_EEDaPvRmT3_T4_T5_mT6_P12ihipStream_tbENKUlT_T0_E_clISt17integral_constantIbLb1EESY_EEDaST_SU_EUlST_E_NS1_11comp_targetILNS1_3genE3ELNS1_11target_archE908ELNS1_3gpuE7ELNS1_3repE0EEENS1_30default_config_static_selectorELNS0_4arch9wavefront6targetE1EEEvT1_ ; -- Begin function _ZN7rocprim17ROCPRIM_400000_NS6detail17trampoline_kernelINS0_14default_configENS1_20scan_config_selectorIN3c104HalfEEEZZNS1_9scan_implILNS1_25lookback_scan_determinismE0ELb0ELb0ES3_PKS6_PS6_S6_ZZZN2at6native31launch_logcumsumexp_cuda_kernelERKNSD_10TensorBaseESH_lENKUlvE_clEvENKUlvE3_clEvEUlS6_S6_E_S6_EEDaPvRmT3_T4_T5_mT6_P12ihipStream_tbENKUlT_T0_E_clISt17integral_constantIbLb1EESY_EEDaST_SU_EUlST_E_NS1_11comp_targetILNS1_3genE3ELNS1_11target_archE908ELNS1_3gpuE7ELNS1_3repE0EEENS1_30default_config_static_selectorELNS0_4arch9wavefront6targetE1EEEvT1_
	.p2align	8
	.type	_ZN7rocprim17ROCPRIM_400000_NS6detail17trampoline_kernelINS0_14default_configENS1_20scan_config_selectorIN3c104HalfEEEZZNS1_9scan_implILNS1_25lookback_scan_determinismE0ELb0ELb0ES3_PKS6_PS6_S6_ZZZN2at6native31launch_logcumsumexp_cuda_kernelERKNSD_10TensorBaseESH_lENKUlvE_clEvENKUlvE3_clEvEUlS6_S6_E_S6_EEDaPvRmT3_T4_T5_mT6_P12ihipStream_tbENKUlT_T0_E_clISt17integral_constantIbLb1EESY_EEDaST_SU_EUlST_E_NS1_11comp_targetILNS1_3genE3ELNS1_11target_archE908ELNS1_3gpuE7ELNS1_3repE0EEENS1_30default_config_static_selectorELNS0_4arch9wavefront6targetE1EEEvT1_,@function
_ZN7rocprim17ROCPRIM_400000_NS6detail17trampoline_kernelINS0_14default_configENS1_20scan_config_selectorIN3c104HalfEEEZZNS1_9scan_implILNS1_25lookback_scan_determinismE0ELb0ELb0ES3_PKS6_PS6_S6_ZZZN2at6native31launch_logcumsumexp_cuda_kernelERKNSD_10TensorBaseESH_lENKUlvE_clEvENKUlvE3_clEvEUlS6_S6_E_S6_EEDaPvRmT3_T4_T5_mT6_P12ihipStream_tbENKUlT_T0_E_clISt17integral_constantIbLb1EESY_EEDaST_SU_EUlST_E_NS1_11comp_targetILNS1_3genE3ELNS1_11target_archE908ELNS1_3gpuE7ELNS1_3repE0EEENS1_30default_config_static_selectorELNS0_4arch9wavefront6targetE1EEEvT1_: ; @_ZN7rocprim17ROCPRIM_400000_NS6detail17trampoline_kernelINS0_14default_configENS1_20scan_config_selectorIN3c104HalfEEEZZNS1_9scan_implILNS1_25lookback_scan_determinismE0ELb0ELb0ES3_PKS6_PS6_S6_ZZZN2at6native31launch_logcumsumexp_cuda_kernelERKNSD_10TensorBaseESH_lENKUlvE_clEvENKUlvE3_clEvEUlS6_S6_E_S6_EEDaPvRmT3_T4_T5_mT6_P12ihipStream_tbENKUlT_T0_E_clISt17integral_constantIbLb1EESY_EEDaST_SU_EUlST_E_NS1_11comp_targetILNS1_3genE3ELNS1_11target_archE908ELNS1_3gpuE7ELNS1_3repE0EEENS1_30default_config_static_selectorELNS0_4arch9wavefront6targetE1EEEvT1_
; %bb.0:
	.section	.rodata,"a",@progbits
	.p2align	6, 0x0
	.amdhsa_kernel _ZN7rocprim17ROCPRIM_400000_NS6detail17trampoline_kernelINS0_14default_configENS1_20scan_config_selectorIN3c104HalfEEEZZNS1_9scan_implILNS1_25lookback_scan_determinismE0ELb0ELb0ES3_PKS6_PS6_S6_ZZZN2at6native31launch_logcumsumexp_cuda_kernelERKNSD_10TensorBaseESH_lENKUlvE_clEvENKUlvE3_clEvEUlS6_S6_E_S6_EEDaPvRmT3_T4_T5_mT6_P12ihipStream_tbENKUlT_T0_E_clISt17integral_constantIbLb1EESY_EEDaST_SU_EUlST_E_NS1_11comp_targetILNS1_3genE3ELNS1_11target_archE908ELNS1_3gpuE7ELNS1_3repE0EEENS1_30default_config_static_selectorELNS0_4arch9wavefront6targetE1EEEvT1_
		.amdhsa_group_segment_fixed_size 0
		.amdhsa_private_segment_fixed_size 0
		.amdhsa_kernarg_size 96
		.amdhsa_user_sgpr_count 6
		.amdhsa_user_sgpr_private_segment_buffer 1
		.amdhsa_user_sgpr_dispatch_ptr 0
		.amdhsa_user_sgpr_queue_ptr 0
		.amdhsa_user_sgpr_kernarg_segment_ptr 1
		.amdhsa_user_sgpr_dispatch_id 0
		.amdhsa_user_sgpr_flat_scratch_init 0
		.amdhsa_user_sgpr_kernarg_preload_length 0
		.amdhsa_user_sgpr_kernarg_preload_offset 0
		.amdhsa_user_sgpr_private_segment_size 0
		.amdhsa_uses_dynamic_stack 0
		.amdhsa_system_sgpr_private_segment_wavefront_offset 0
		.amdhsa_system_sgpr_workgroup_id_x 1
		.amdhsa_system_sgpr_workgroup_id_y 0
		.amdhsa_system_sgpr_workgroup_id_z 0
		.amdhsa_system_sgpr_workgroup_info 0
		.amdhsa_system_vgpr_workitem_id 0
		.amdhsa_next_free_vgpr 1
		.amdhsa_next_free_sgpr 0
		.amdhsa_accum_offset 4
		.amdhsa_reserve_vcc 0
		.amdhsa_reserve_flat_scratch 0
		.amdhsa_float_round_mode_32 0
		.amdhsa_float_round_mode_16_64 0
		.amdhsa_float_denorm_mode_32 3
		.amdhsa_float_denorm_mode_16_64 3
		.amdhsa_dx10_clamp 1
		.amdhsa_ieee_mode 1
		.amdhsa_fp16_overflow 0
		.amdhsa_tg_split 0
		.amdhsa_exception_fp_ieee_invalid_op 0
		.amdhsa_exception_fp_denorm_src 0
		.amdhsa_exception_fp_ieee_div_zero 0
		.amdhsa_exception_fp_ieee_overflow 0
		.amdhsa_exception_fp_ieee_underflow 0
		.amdhsa_exception_fp_ieee_inexact 0
		.amdhsa_exception_int_div_zero 0
	.end_amdhsa_kernel
	.section	.text._ZN7rocprim17ROCPRIM_400000_NS6detail17trampoline_kernelINS0_14default_configENS1_20scan_config_selectorIN3c104HalfEEEZZNS1_9scan_implILNS1_25lookback_scan_determinismE0ELb0ELb0ES3_PKS6_PS6_S6_ZZZN2at6native31launch_logcumsumexp_cuda_kernelERKNSD_10TensorBaseESH_lENKUlvE_clEvENKUlvE3_clEvEUlS6_S6_E_S6_EEDaPvRmT3_T4_T5_mT6_P12ihipStream_tbENKUlT_T0_E_clISt17integral_constantIbLb1EESY_EEDaST_SU_EUlST_E_NS1_11comp_targetILNS1_3genE3ELNS1_11target_archE908ELNS1_3gpuE7ELNS1_3repE0EEENS1_30default_config_static_selectorELNS0_4arch9wavefront6targetE1EEEvT1_,"axG",@progbits,_ZN7rocprim17ROCPRIM_400000_NS6detail17trampoline_kernelINS0_14default_configENS1_20scan_config_selectorIN3c104HalfEEEZZNS1_9scan_implILNS1_25lookback_scan_determinismE0ELb0ELb0ES3_PKS6_PS6_S6_ZZZN2at6native31launch_logcumsumexp_cuda_kernelERKNSD_10TensorBaseESH_lENKUlvE_clEvENKUlvE3_clEvEUlS6_S6_E_S6_EEDaPvRmT3_T4_T5_mT6_P12ihipStream_tbENKUlT_T0_E_clISt17integral_constantIbLb1EESY_EEDaST_SU_EUlST_E_NS1_11comp_targetILNS1_3genE3ELNS1_11target_archE908ELNS1_3gpuE7ELNS1_3repE0EEENS1_30default_config_static_selectorELNS0_4arch9wavefront6targetE1EEEvT1_,comdat
.Lfunc_end383:
	.size	_ZN7rocprim17ROCPRIM_400000_NS6detail17trampoline_kernelINS0_14default_configENS1_20scan_config_selectorIN3c104HalfEEEZZNS1_9scan_implILNS1_25lookback_scan_determinismE0ELb0ELb0ES3_PKS6_PS6_S6_ZZZN2at6native31launch_logcumsumexp_cuda_kernelERKNSD_10TensorBaseESH_lENKUlvE_clEvENKUlvE3_clEvEUlS6_S6_E_S6_EEDaPvRmT3_T4_T5_mT6_P12ihipStream_tbENKUlT_T0_E_clISt17integral_constantIbLb1EESY_EEDaST_SU_EUlST_E_NS1_11comp_targetILNS1_3genE3ELNS1_11target_archE908ELNS1_3gpuE7ELNS1_3repE0EEENS1_30default_config_static_selectorELNS0_4arch9wavefront6targetE1EEEvT1_, .Lfunc_end383-_ZN7rocprim17ROCPRIM_400000_NS6detail17trampoline_kernelINS0_14default_configENS1_20scan_config_selectorIN3c104HalfEEEZZNS1_9scan_implILNS1_25lookback_scan_determinismE0ELb0ELb0ES3_PKS6_PS6_S6_ZZZN2at6native31launch_logcumsumexp_cuda_kernelERKNSD_10TensorBaseESH_lENKUlvE_clEvENKUlvE3_clEvEUlS6_S6_E_S6_EEDaPvRmT3_T4_T5_mT6_P12ihipStream_tbENKUlT_T0_E_clISt17integral_constantIbLb1EESY_EEDaST_SU_EUlST_E_NS1_11comp_targetILNS1_3genE3ELNS1_11target_archE908ELNS1_3gpuE7ELNS1_3repE0EEENS1_30default_config_static_selectorELNS0_4arch9wavefront6targetE1EEEvT1_
                                        ; -- End function
	.section	.AMDGPU.csdata,"",@progbits
; Kernel info:
; codeLenInByte = 0
; NumSgprs: 4
; NumVgprs: 0
; NumAgprs: 0
; TotalNumVgprs: 0
; ScratchSize: 0
; MemoryBound: 0
; FloatMode: 240
; IeeeMode: 1
; LDSByteSize: 0 bytes/workgroup (compile time only)
; SGPRBlocks: 0
; VGPRBlocks: 0
; NumSGPRsForWavesPerEU: 4
; NumVGPRsForWavesPerEU: 1
; AccumOffset: 4
; Occupancy: 8
; WaveLimiterHint : 0
; COMPUTE_PGM_RSRC2:SCRATCH_EN: 0
; COMPUTE_PGM_RSRC2:USER_SGPR: 6
; COMPUTE_PGM_RSRC2:TRAP_HANDLER: 0
; COMPUTE_PGM_RSRC2:TGID_X_EN: 1
; COMPUTE_PGM_RSRC2:TGID_Y_EN: 0
; COMPUTE_PGM_RSRC2:TGID_Z_EN: 0
; COMPUTE_PGM_RSRC2:TIDIG_COMP_CNT: 0
; COMPUTE_PGM_RSRC3_GFX90A:ACCUM_OFFSET: 0
; COMPUTE_PGM_RSRC3_GFX90A:TG_SPLIT: 0
	.section	.text._ZN7rocprim17ROCPRIM_400000_NS6detail17trampoline_kernelINS0_14default_configENS1_20scan_config_selectorIN3c104HalfEEEZZNS1_9scan_implILNS1_25lookback_scan_determinismE0ELb0ELb0ES3_PKS6_PS6_S6_ZZZN2at6native31launch_logcumsumexp_cuda_kernelERKNSD_10TensorBaseESH_lENKUlvE_clEvENKUlvE3_clEvEUlS6_S6_E_S6_EEDaPvRmT3_T4_T5_mT6_P12ihipStream_tbENKUlT_T0_E_clISt17integral_constantIbLb1EESY_EEDaST_SU_EUlST_E_NS1_11comp_targetILNS1_3genE2ELNS1_11target_archE906ELNS1_3gpuE6ELNS1_3repE0EEENS1_30default_config_static_selectorELNS0_4arch9wavefront6targetE1EEEvT1_,"axG",@progbits,_ZN7rocprim17ROCPRIM_400000_NS6detail17trampoline_kernelINS0_14default_configENS1_20scan_config_selectorIN3c104HalfEEEZZNS1_9scan_implILNS1_25lookback_scan_determinismE0ELb0ELb0ES3_PKS6_PS6_S6_ZZZN2at6native31launch_logcumsumexp_cuda_kernelERKNSD_10TensorBaseESH_lENKUlvE_clEvENKUlvE3_clEvEUlS6_S6_E_S6_EEDaPvRmT3_T4_T5_mT6_P12ihipStream_tbENKUlT_T0_E_clISt17integral_constantIbLb1EESY_EEDaST_SU_EUlST_E_NS1_11comp_targetILNS1_3genE2ELNS1_11target_archE906ELNS1_3gpuE6ELNS1_3repE0EEENS1_30default_config_static_selectorELNS0_4arch9wavefront6targetE1EEEvT1_,comdat
	.globl	_ZN7rocprim17ROCPRIM_400000_NS6detail17trampoline_kernelINS0_14default_configENS1_20scan_config_selectorIN3c104HalfEEEZZNS1_9scan_implILNS1_25lookback_scan_determinismE0ELb0ELb0ES3_PKS6_PS6_S6_ZZZN2at6native31launch_logcumsumexp_cuda_kernelERKNSD_10TensorBaseESH_lENKUlvE_clEvENKUlvE3_clEvEUlS6_S6_E_S6_EEDaPvRmT3_T4_T5_mT6_P12ihipStream_tbENKUlT_T0_E_clISt17integral_constantIbLb1EESY_EEDaST_SU_EUlST_E_NS1_11comp_targetILNS1_3genE2ELNS1_11target_archE906ELNS1_3gpuE6ELNS1_3repE0EEENS1_30default_config_static_selectorELNS0_4arch9wavefront6targetE1EEEvT1_ ; -- Begin function _ZN7rocprim17ROCPRIM_400000_NS6detail17trampoline_kernelINS0_14default_configENS1_20scan_config_selectorIN3c104HalfEEEZZNS1_9scan_implILNS1_25lookback_scan_determinismE0ELb0ELb0ES3_PKS6_PS6_S6_ZZZN2at6native31launch_logcumsumexp_cuda_kernelERKNSD_10TensorBaseESH_lENKUlvE_clEvENKUlvE3_clEvEUlS6_S6_E_S6_EEDaPvRmT3_T4_T5_mT6_P12ihipStream_tbENKUlT_T0_E_clISt17integral_constantIbLb1EESY_EEDaST_SU_EUlST_E_NS1_11comp_targetILNS1_3genE2ELNS1_11target_archE906ELNS1_3gpuE6ELNS1_3repE0EEENS1_30default_config_static_selectorELNS0_4arch9wavefront6targetE1EEEvT1_
	.p2align	8
	.type	_ZN7rocprim17ROCPRIM_400000_NS6detail17trampoline_kernelINS0_14default_configENS1_20scan_config_selectorIN3c104HalfEEEZZNS1_9scan_implILNS1_25lookback_scan_determinismE0ELb0ELb0ES3_PKS6_PS6_S6_ZZZN2at6native31launch_logcumsumexp_cuda_kernelERKNSD_10TensorBaseESH_lENKUlvE_clEvENKUlvE3_clEvEUlS6_S6_E_S6_EEDaPvRmT3_T4_T5_mT6_P12ihipStream_tbENKUlT_T0_E_clISt17integral_constantIbLb1EESY_EEDaST_SU_EUlST_E_NS1_11comp_targetILNS1_3genE2ELNS1_11target_archE906ELNS1_3gpuE6ELNS1_3repE0EEENS1_30default_config_static_selectorELNS0_4arch9wavefront6targetE1EEEvT1_,@function
_ZN7rocprim17ROCPRIM_400000_NS6detail17trampoline_kernelINS0_14default_configENS1_20scan_config_selectorIN3c104HalfEEEZZNS1_9scan_implILNS1_25lookback_scan_determinismE0ELb0ELb0ES3_PKS6_PS6_S6_ZZZN2at6native31launch_logcumsumexp_cuda_kernelERKNSD_10TensorBaseESH_lENKUlvE_clEvENKUlvE3_clEvEUlS6_S6_E_S6_EEDaPvRmT3_T4_T5_mT6_P12ihipStream_tbENKUlT_T0_E_clISt17integral_constantIbLb1EESY_EEDaST_SU_EUlST_E_NS1_11comp_targetILNS1_3genE2ELNS1_11target_archE906ELNS1_3gpuE6ELNS1_3repE0EEENS1_30default_config_static_selectorELNS0_4arch9wavefront6targetE1EEEvT1_: ; @_ZN7rocprim17ROCPRIM_400000_NS6detail17trampoline_kernelINS0_14default_configENS1_20scan_config_selectorIN3c104HalfEEEZZNS1_9scan_implILNS1_25lookback_scan_determinismE0ELb0ELb0ES3_PKS6_PS6_S6_ZZZN2at6native31launch_logcumsumexp_cuda_kernelERKNSD_10TensorBaseESH_lENKUlvE_clEvENKUlvE3_clEvEUlS6_S6_E_S6_EEDaPvRmT3_T4_T5_mT6_P12ihipStream_tbENKUlT_T0_E_clISt17integral_constantIbLb1EESY_EEDaST_SU_EUlST_E_NS1_11comp_targetILNS1_3genE2ELNS1_11target_archE906ELNS1_3gpuE6ELNS1_3repE0EEENS1_30default_config_static_selectorELNS0_4arch9wavefront6targetE1EEEvT1_
; %bb.0:
	.section	.rodata,"a",@progbits
	.p2align	6, 0x0
	.amdhsa_kernel _ZN7rocprim17ROCPRIM_400000_NS6detail17trampoline_kernelINS0_14default_configENS1_20scan_config_selectorIN3c104HalfEEEZZNS1_9scan_implILNS1_25lookback_scan_determinismE0ELb0ELb0ES3_PKS6_PS6_S6_ZZZN2at6native31launch_logcumsumexp_cuda_kernelERKNSD_10TensorBaseESH_lENKUlvE_clEvENKUlvE3_clEvEUlS6_S6_E_S6_EEDaPvRmT3_T4_T5_mT6_P12ihipStream_tbENKUlT_T0_E_clISt17integral_constantIbLb1EESY_EEDaST_SU_EUlST_E_NS1_11comp_targetILNS1_3genE2ELNS1_11target_archE906ELNS1_3gpuE6ELNS1_3repE0EEENS1_30default_config_static_selectorELNS0_4arch9wavefront6targetE1EEEvT1_
		.amdhsa_group_segment_fixed_size 0
		.amdhsa_private_segment_fixed_size 0
		.amdhsa_kernarg_size 96
		.amdhsa_user_sgpr_count 6
		.amdhsa_user_sgpr_private_segment_buffer 1
		.amdhsa_user_sgpr_dispatch_ptr 0
		.amdhsa_user_sgpr_queue_ptr 0
		.amdhsa_user_sgpr_kernarg_segment_ptr 1
		.amdhsa_user_sgpr_dispatch_id 0
		.amdhsa_user_sgpr_flat_scratch_init 0
		.amdhsa_user_sgpr_kernarg_preload_length 0
		.amdhsa_user_sgpr_kernarg_preload_offset 0
		.amdhsa_user_sgpr_private_segment_size 0
		.amdhsa_uses_dynamic_stack 0
		.amdhsa_system_sgpr_private_segment_wavefront_offset 0
		.amdhsa_system_sgpr_workgroup_id_x 1
		.amdhsa_system_sgpr_workgroup_id_y 0
		.amdhsa_system_sgpr_workgroup_id_z 0
		.amdhsa_system_sgpr_workgroup_info 0
		.amdhsa_system_vgpr_workitem_id 0
		.amdhsa_next_free_vgpr 1
		.amdhsa_next_free_sgpr 0
		.amdhsa_accum_offset 4
		.amdhsa_reserve_vcc 0
		.amdhsa_reserve_flat_scratch 0
		.amdhsa_float_round_mode_32 0
		.amdhsa_float_round_mode_16_64 0
		.amdhsa_float_denorm_mode_32 3
		.amdhsa_float_denorm_mode_16_64 3
		.amdhsa_dx10_clamp 1
		.amdhsa_ieee_mode 1
		.amdhsa_fp16_overflow 0
		.amdhsa_tg_split 0
		.amdhsa_exception_fp_ieee_invalid_op 0
		.amdhsa_exception_fp_denorm_src 0
		.amdhsa_exception_fp_ieee_div_zero 0
		.amdhsa_exception_fp_ieee_overflow 0
		.amdhsa_exception_fp_ieee_underflow 0
		.amdhsa_exception_fp_ieee_inexact 0
		.amdhsa_exception_int_div_zero 0
	.end_amdhsa_kernel
	.section	.text._ZN7rocprim17ROCPRIM_400000_NS6detail17trampoline_kernelINS0_14default_configENS1_20scan_config_selectorIN3c104HalfEEEZZNS1_9scan_implILNS1_25lookback_scan_determinismE0ELb0ELb0ES3_PKS6_PS6_S6_ZZZN2at6native31launch_logcumsumexp_cuda_kernelERKNSD_10TensorBaseESH_lENKUlvE_clEvENKUlvE3_clEvEUlS6_S6_E_S6_EEDaPvRmT3_T4_T5_mT6_P12ihipStream_tbENKUlT_T0_E_clISt17integral_constantIbLb1EESY_EEDaST_SU_EUlST_E_NS1_11comp_targetILNS1_3genE2ELNS1_11target_archE906ELNS1_3gpuE6ELNS1_3repE0EEENS1_30default_config_static_selectorELNS0_4arch9wavefront6targetE1EEEvT1_,"axG",@progbits,_ZN7rocprim17ROCPRIM_400000_NS6detail17trampoline_kernelINS0_14default_configENS1_20scan_config_selectorIN3c104HalfEEEZZNS1_9scan_implILNS1_25lookback_scan_determinismE0ELb0ELb0ES3_PKS6_PS6_S6_ZZZN2at6native31launch_logcumsumexp_cuda_kernelERKNSD_10TensorBaseESH_lENKUlvE_clEvENKUlvE3_clEvEUlS6_S6_E_S6_EEDaPvRmT3_T4_T5_mT6_P12ihipStream_tbENKUlT_T0_E_clISt17integral_constantIbLb1EESY_EEDaST_SU_EUlST_E_NS1_11comp_targetILNS1_3genE2ELNS1_11target_archE906ELNS1_3gpuE6ELNS1_3repE0EEENS1_30default_config_static_selectorELNS0_4arch9wavefront6targetE1EEEvT1_,comdat
.Lfunc_end384:
	.size	_ZN7rocprim17ROCPRIM_400000_NS6detail17trampoline_kernelINS0_14default_configENS1_20scan_config_selectorIN3c104HalfEEEZZNS1_9scan_implILNS1_25lookback_scan_determinismE0ELb0ELb0ES3_PKS6_PS6_S6_ZZZN2at6native31launch_logcumsumexp_cuda_kernelERKNSD_10TensorBaseESH_lENKUlvE_clEvENKUlvE3_clEvEUlS6_S6_E_S6_EEDaPvRmT3_T4_T5_mT6_P12ihipStream_tbENKUlT_T0_E_clISt17integral_constantIbLb1EESY_EEDaST_SU_EUlST_E_NS1_11comp_targetILNS1_3genE2ELNS1_11target_archE906ELNS1_3gpuE6ELNS1_3repE0EEENS1_30default_config_static_selectorELNS0_4arch9wavefront6targetE1EEEvT1_, .Lfunc_end384-_ZN7rocprim17ROCPRIM_400000_NS6detail17trampoline_kernelINS0_14default_configENS1_20scan_config_selectorIN3c104HalfEEEZZNS1_9scan_implILNS1_25lookback_scan_determinismE0ELb0ELb0ES3_PKS6_PS6_S6_ZZZN2at6native31launch_logcumsumexp_cuda_kernelERKNSD_10TensorBaseESH_lENKUlvE_clEvENKUlvE3_clEvEUlS6_S6_E_S6_EEDaPvRmT3_T4_T5_mT6_P12ihipStream_tbENKUlT_T0_E_clISt17integral_constantIbLb1EESY_EEDaST_SU_EUlST_E_NS1_11comp_targetILNS1_3genE2ELNS1_11target_archE906ELNS1_3gpuE6ELNS1_3repE0EEENS1_30default_config_static_selectorELNS0_4arch9wavefront6targetE1EEEvT1_
                                        ; -- End function
	.section	.AMDGPU.csdata,"",@progbits
; Kernel info:
; codeLenInByte = 0
; NumSgprs: 4
; NumVgprs: 0
; NumAgprs: 0
; TotalNumVgprs: 0
; ScratchSize: 0
; MemoryBound: 0
; FloatMode: 240
; IeeeMode: 1
; LDSByteSize: 0 bytes/workgroup (compile time only)
; SGPRBlocks: 0
; VGPRBlocks: 0
; NumSGPRsForWavesPerEU: 4
; NumVGPRsForWavesPerEU: 1
; AccumOffset: 4
; Occupancy: 8
; WaveLimiterHint : 0
; COMPUTE_PGM_RSRC2:SCRATCH_EN: 0
; COMPUTE_PGM_RSRC2:USER_SGPR: 6
; COMPUTE_PGM_RSRC2:TRAP_HANDLER: 0
; COMPUTE_PGM_RSRC2:TGID_X_EN: 1
; COMPUTE_PGM_RSRC2:TGID_Y_EN: 0
; COMPUTE_PGM_RSRC2:TGID_Z_EN: 0
; COMPUTE_PGM_RSRC2:TIDIG_COMP_CNT: 0
; COMPUTE_PGM_RSRC3_GFX90A:ACCUM_OFFSET: 0
; COMPUTE_PGM_RSRC3_GFX90A:TG_SPLIT: 0
	.section	.text._ZN7rocprim17ROCPRIM_400000_NS6detail17trampoline_kernelINS0_14default_configENS1_20scan_config_selectorIN3c104HalfEEEZZNS1_9scan_implILNS1_25lookback_scan_determinismE0ELb0ELb0ES3_PKS6_PS6_S6_ZZZN2at6native31launch_logcumsumexp_cuda_kernelERKNSD_10TensorBaseESH_lENKUlvE_clEvENKUlvE3_clEvEUlS6_S6_E_S6_EEDaPvRmT3_T4_T5_mT6_P12ihipStream_tbENKUlT_T0_E_clISt17integral_constantIbLb1EESY_EEDaST_SU_EUlST_E_NS1_11comp_targetILNS1_3genE10ELNS1_11target_archE1201ELNS1_3gpuE5ELNS1_3repE0EEENS1_30default_config_static_selectorELNS0_4arch9wavefront6targetE1EEEvT1_,"axG",@progbits,_ZN7rocprim17ROCPRIM_400000_NS6detail17trampoline_kernelINS0_14default_configENS1_20scan_config_selectorIN3c104HalfEEEZZNS1_9scan_implILNS1_25lookback_scan_determinismE0ELb0ELb0ES3_PKS6_PS6_S6_ZZZN2at6native31launch_logcumsumexp_cuda_kernelERKNSD_10TensorBaseESH_lENKUlvE_clEvENKUlvE3_clEvEUlS6_S6_E_S6_EEDaPvRmT3_T4_T5_mT6_P12ihipStream_tbENKUlT_T0_E_clISt17integral_constantIbLb1EESY_EEDaST_SU_EUlST_E_NS1_11comp_targetILNS1_3genE10ELNS1_11target_archE1201ELNS1_3gpuE5ELNS1_3repE0EEENS1_30default_config_static_selectorELNS0_4arch9wavefront6targetE1EEEvT1_,comdat
	.globl	_ZN7rocprim17ROCPRIM_400000_NS6detail17trampoline_kernelINS0_14default_configENS1_20scan_config_selectorIN3c104HalfEEEZZNS1_9scan_implILNS1_25lookback_scan_determinismE0ELb0ELb0ES3_PKS6_PS6_S6_ZZZN2at6native31launch_logcumsumexp_cuda_kernelERKNSD_10TensorBaseESH_lENKUlvE_clEvENKUlvE3_clEvEUlS6_S6_E_S6_EEDaPvRmT3_T4_T5_mT6_P12ihipStream_tbENKUlT_T0_E_clISt17integral_constantIbLb1EESY_EEDaST_SU_EUlST_E_NS1_11comp_targetILNS1_3genE10ELNS1_11target_archE1201ELNS1_3gpuE5ELNS1_3repE0EEENS1_30default_config_static_selectorELNS0_4arch9wavefront6targetE1EEEvT1_ ; -- Begin function _ZN7rocprim17ROCPRIM_400000_NS6detail17trampoline_kernelINS0_14default_configENS1_20scan_config_selectorIN3c104HalfEEEZZNS1_9scan_implILNS1_25lookback_scan_determinismE0ELb0ELb0ES3_PKS6_PS6_S6_ZZZN2at6native31launch_logcumsumexp_cuda_kernelERKNSD_10TensorBaseESH_lENKUlvE_clEvENKUlvE3_clEvEUlS6_S6_E_S6_EEDaPvRmT3_T4_T5_mT6_P12ihipStream_tbENKUlT_T0_E_clISt17integral_constantIbLb1EESY_EEDaST_SU_EUlST_E_NS1_11comp_targetILNS1_3genE10ELNS1_11target_archE1201ELNS1_3gpuE5ELNS1_3repE0EEENS1_30default_config_static_selectorELNS0_4arch9wavefront6targetE1EEEvT1_
	.p2align	8
	.type	_ZN7rocprim17ROCPRIM_400000_NS6detail17trampoline_kernelINS0_14default_configENS1_20scan_config_selectorIN3c104HalfEEEZZNS1_9scan_implILNS1_25lookback_scan_determinismE0ELb0ELb0ES3_PKS6_PS6_S6_ZZZN2at6native31launch_logcumsumexp_cuda_kernelERKNSD_10TensorBaseESH_lENKUlvE_clEvENKUlvE3_clEvEUlS6_S6_E_S6_EEDaPvRmT3_T4_T5_mT6_P12ihipStream_tbENKUlT_T0_E_clISt17integral_constantIbLb1EESY_EEDaST_SU_EUlST_E_NS1_11comp_targetILNS1_3genE10ELNS1_11target_archE1201ELNS1_3gpuE5ELNS1_3repE0EEENS1_30default_config_static_selectorELNS0_4arch9wavefront6targetE1EEEvT1_,@function
_ZN7rocprim17ROCPRIM_400000_NS6detail17trampoline_kernelINS0_14default_configENS1_20scan_config_selectorIN3c104HalfEEEZZNS1_9scan_implILNS1_25lookback_scan_determinismE0ELb0ELb0ES3_PKS6_PS6_S6_ZZZN2at6native31launch_logcumsumexp_cuda_kernelERKNSD_10TensorBaseESH_lENKUlvE_clEvENKUlvE3_clEvEUlS6_S6_E_S6_EEDaPvRmT3_T4_T5_mT6_P12ihipStream_tbENKUlT_T0_E_clISt17integral_constantIbLb1EESY_EEDaST_SU_EUlST_E_NS1_11comp_targetILNS1_3genE10ELNS1_11target_archE1201ELNS1_3gpuE5ELNS1_3repE0EEENS1_30default_config_static_selectorELNS0_4arch9wavefront6targetE1EEEvT1_: ; @_ZN7rocprim17ROCPRIM_400000_NS6detail17trampoline_kernelINS0_14default_configENS1_20scan_config_selectorIN3c104HalfEEEZZNS1_9scan_implILNS1_25lookback_scan_determinismE0ELb0ELb0ES3_PKS6_PS6_S6_ZZZN2at6native31launch_logcumsumexp_cuda_kernelERKNSD_10TensorBaseESH_lENKUlvE_clEvENKUlvE3_clEvEUlS6_S6_E_S6_EEDaPvRmT3_T4_T5_mT6_P12ihipStream_tbENKUlT_T0_E_clISt17integral_constantIbLb1EESY_EEDaST_SU_EUlST_E_NS1_11comp_targetILNS1_3genE10ELNS1_11target_archE1201ELNS1_3gpuE5ELNS1_3repE0EEENS1_30default_config_static_selectorELNS0_4arch9wavefront6targetE1EEEvT1_
; %bb.0:
	.section	.rodata,"a",@progbits
	.p2align	6, 0x0
	.amdhsa_kernel _ZN7rocprim17ROCPRIM_400000_NS6detail17trampoline_kernelINS0_14default_configENS1_20scan_config_selectorIN3c104HalfEEEZZNS1_9scan_implILNS1_25lookback_scan_determinismE0ELb0ELb0ES3_PKS6_PS6_S6_ZZZN2at6native31launch_logcumsumexp_cuda_kernelERKNSD_10TensorBaseESH_lENKUlvE_clEvENKUlvE3_clEvEUlS6_S6_E_S6_EEDaPvRmT3_T4_T5_mT6_P12ihipStream_tbENKUlT_T0_E_clISt17integral_constantIbLb1EESY_EEDaST_SU_EUlST_E_NS1_11comp_targetILNS1_3genE10ELNS1_11target_archE1201ELNS1_3gpuE5ELNS1_3repE0EEENS1_30default_config_static_selectorELNS0_4arch9wavefront6targetE1EEEvT1_
		.amdhsa_group_segment_fixed_size 0
		.amdhsa_private_segment_fixed_size 0
		.amdhsa_kernarg_size 96
		.amdhsa_user_sgpr_count 6
		.amdhsa_user_sgpr_private_segment_buffer 1
		.amdhsa_user_sgpr_dispatch_ptr 0
		.amdhsa_user_sgpr_queue_ptr 0
		.amdhsa_user_sgpr_kernarg_segment_ptr 1
		.amdhsa_user_sgpr_dispatch_id 0
		.amdhsa_user_sgpr_flat_scratch_init 0
		.amdhsa_user_sgpr_kernarg_preload_length 0
		.amdhsa_user_sgpr_kernarg_preload_offset 0
		.amdhsa_user_sgpr_private_segment_size 0
		.amdhsa_uses_dynamic_stack 0
		.amdhsa_system_sgpr_private_segment_wavefront_offset 0
		.amdhsa_system_sgpr_workgroup_id_x 1
		.amdhsa_system_sgpr_workgroup_id_y 0
		.amdhsa_system_sgpr_workgroup_id_z 0
		.amdhsa_system_sgpr_workgroup_info 0
		.amdhsa_system_vgpr_workitem_id 0
		.amdhsa_next_free_vgpr 1
		.amdhsa_next_free_sgpr 0
		.amdhsa_accum_offset 4
		.amdhsa_reserve_vcc 0
		.amdhsa_reserve_flat_scratch 0
		.amdhsa_float_round_mode_32 0
		.amdhsa_float_round_mode_16_64 0
		.amdhsa_float_denorm_mode_32 3
		.amdhsa_float_denorm_mode_16_64 3
		.amdhsa_dx10_clamp 1
		.amdhsa_ieee_mode 1
		.amdhsa_fp16_overflow 0
		.amdhsa_tg_split 0
		.amdhsa_exception_fp_ieee_invalid_op 0
		.amdhsa_exception_fp_denorm_src 0
		.amdhsa_exception_fp_ieee_div_zero 0
		.amdhsa_exception_fp_ieee_overflow 0
		.amdhsa_exception_fp_ieee_underflow 0
		.amdhsa_exception_fp_ieee_inexact 0
		.amdhsa_exception_int_div_zero 0
	.end_amdhsa_kernel
	.section	.text._ZN7rocprim17ROCPRIM_400000_NS6detail17trampoline_kernelINS0_14default_configENS1_20scan_config_selectorIN3c104HalfEEEZZNS1_9scan_implILNS1_25lookback_scan_determinismE0ELb0ELb0ES3_PKS6_PS6_S6_ZZZN2at6native31launch_logcumsumexp_cuda_kernelERKNSD_10TensorBaseESH_lENKUlvE_clEvENKUlvE3_clEvEUlS6_S6_E_S6_EEDaPvRmT3_T4_T5_mT6_P12ihipStream_tbENKUlT_T0_E_clISt17integral_constantIbLb1EESY_EEDaST_SU_EUlST_E_NS1_11comp_targetILNS1_3genE10ELNS1_11target_archE1201ELNS1_3gpuE5ELNS1_3repE0EEENS1_30default_config_static_selectorELNS0_4arch9wavefront6targetE1EEEvT1_,"axG",@progbits,_ZN7rocprim17ROCPRIM_400000_NS6detail17trampoline_kernelINS0_14default_configENS1_20scan_config_selectorIN3c104HalfEEEZZNS1_9scan_implILNS1_25lookback_scan_determinismE0ELb0ELb0ES3_PKS6_PS6_S6_ZZZN2at6native31launch_logcumsumexp_cuda_kernelERKNSD_10TensorBaseESH_lENKUlvE_clEvENKUlvE3_clEvEUlS6_S6_E_S6_EEDaPvRmT3_T4_T5_mT6_P12ihipStream_tbENKUlT_T0_E_clISt17integral_constantIbLb1EESY_EEDaST_SU_EUlST_E_NS1_11comp_targetILNS1_3genE10ELNS1_11target_archE1201ELNS1_3gpuE5ELNS1_3repE0EEENS1_30default_config_static_selectorELNS0_4arch9wavefront6targetE1EEEvT1_,comdat
.Lfunc_end385:
	.size	_ZN7rocprim17ROCPRIM_400000_NS6detail17trampoline_kernelINS0_14default_configENS1_20scan_config_selectorIN3c104HalfEEEZZNS1_9scan_implILNS1_25lookback_scan_determinismE0ELb0ELb0ES3_PKS6_PS6_S6_ZZZN2at6native31launch_logcumsumexp_cuda_kernelERKNSD_10TensorBaseESH_lENKUlvE_clEvENKUlvE3_clEvEUlS6_S6_E_S6_EEDaPvRmT3_T4_T5_mT6_P12ihipStream_tbENKUlT_T0_E_clISt17integral_constantIbLb1EESY_EEDaST_SU_EUlST_E_NS1_11comp_targetILNS1_3genE10ELNS1_11target_archE1201ELNS1_3gpuE5ELNS1_3repE0EEENS1_30default_config_static_selectorELNS0_4arch9wavefront6targetE1EEEvT1_, .Lfunc_end385-_ZN7rocprim17ROCPRIM_400000_NS6detail17trampoline_kernelINS0_14default_configENS1_20scan_config_selectorIN3c104HalfEEEZZNS1_9scan_implILNS1_25lookback_scan_determinismE0ELb0ELb0ES3_PKS6_PS6_S6_ZZZN2at6native31launch_logcumsumexp_cuda_kernelERKNSD_10TensorBaseESH_lENKUlvE_clEvENKUlvE3_clEvEUlS6_S6_E_S6_EEDaPvRmT3_T4_T5_mT6_P12ihipStream_tbENKUlT_T0_E_clISt17integral_constantIbLb1EESY_EEDaST_SU_EUlST_E_NS1_11comp_targetILNS1_3genE10ELNS1_11target_archE1201ELNS1_3gpuE5ELNS1_3repE0EEENS1_30default_config_static_selectorELNS0_4arch9wavefront6targetE1EEEvT1_
                                        ; -- End function
	.section	.AMDGPU.csdata,"",@progbits
; Kernel info:
; codeLenInByte = 0
; NumSgprs: 4
; NumVgprs: 0
; NumAgprs: 0
; TotalNumVgprs: 0
; ScratchSize: 0
; MemoryBound: 0
; FloatMode: 240
; IeeeMode: 1
; LDSByteSize: 0 bytes/workgroup (compile time only)
; SGPRBlocks: 0
; VGPRBlocks: 0
; NumSGPRsForWavesPerEU: 4
; NumVGPRsForWavesPerEU: 1
; AccumOffset: 4
; Occupancy: 8
; WaveLimiterHint : 0
; COMPUTE_PGM_RSRC2:SCRATCH_EN: 0
; COMPUTE_PGM_RSRC2:USER_SGPR: 6
; COMPUTE_PGM_RSRC2:TRAP_HANDLER: 0
; COMPUTE_PGM_RSRC2:TGID_X_EN: 1
; COMPUTE_PGM_RSRC2:TGID_Y_EN: 0
; COMPUTE_PGM_RSRC2:TGID_Z_EN: 0
; COMPUTE_PGM_RSRC2:TIDIG_COMP_CNT: 0
; COMPUTE_PGM_RSRC3_GFX90A:ACCUM_OFFSET: 0
; COMPUTE_PGM_RSRC3_GFX90A:TG_SPLIT: 0
	.section	.text._ZN7rocprim17ROCPRIM_400000_NS6detail17trampoline_kernelINS0_14default_configENS1_20scan_config_selectorIN3c104HalfEEEZZNS1_9scan_implILNS1_25lookback_scan_determinismE0ELb0ELb0ES3_PKS6_PS6_S6_ZZZN2at6native31launch_logcumsumexp_cuda_kernelERKNSD_10TensorBaseESH_lENKUlvE_clEvENKUlvE3_clEvEUlS6_S6_E_S6_EEDaPvRmT3_T4_T5_mT6_P12ihipStream_tbENKUlT_T0_E_clISt17integral_constantIbLb1EESY_EEDaST_SU_EUlST_E_NS1_11comp_targetILNS1_3genE10ELNS1_11target_archE1200ELNS1_3gpuE4ELNS1_3repE0EEENS1_30default_config_static_selectorELNS0_4arch9wavefront6targetE1EEEvT1_,"axG",@progbits,_ZN7rocprim17ROCPRIM_400000_NS6detail17trampoline_kernelINS0_14default_configENS1_20scan_config_selectorIN3c104HalfEEEZZNS1_9scan_implILNS1_25lookback_scan_determinismE0ELb0ELb0ES3_PKS6_PS6_S6_ZZZN2at6native31launch_logcumsumexp_cuda_kernelERKNSD_10TensorBaseESH_lENKUlvE_clEvENKUlvE3_clEvEUlS6_S6_E_S6_EEDaPvRmT3_T4_T5_mT6_P12ihipStream_tbENKUlT_T0_E_clISt17integral_constantIbLb1EESY_EEDaST_SU_EUlST_E_NS1_11comp_targetILNS1_3genE10ELNS1_11target_archE1200ELNS1_3gpuE4ELNS1_3repE0EEENS1_30default_config_static_selectorELNS0_4arch9wavefront6targetE1EEEvT1_,comdat
	.globl	_ZN7rocprim17ROCPRIM_400000_NS6detail17trampoline_kernelINS0_14default_configENS1_20scan_config_selectorIN3c104HalfEEEZZNS1_9scan_implILNS1_25lookback_scan_determinismE0ELb0ELb0ES3_PKS6_PS6_S6_ZZZN2at6native31launch_logcumsumexp_cuda_kernelERKNSD_10TensorBaseESH_lENKUlvE_clEvENKUlvE3_clEvEUlS6_S6_E_S6_EEDaPvRmT3_T4_T5_mT6_P12ihipStream_tbENKUlT_T0_E_clISt17integral_constantIbLb1EESY_EEDaST_SU_EUlST_E_NS1_11comp_targetILNS1_3genE10ELNS1_11target_archE1200ELNS1_3gpuE4ELNS1_3repE0EEENS1_30default_config_static_selectorELNS0_4arch9wavefront6targetE1EEEvT1_ ; -- Begin function _ZN7rocprim17ROCPRIM_400000_NS6detail17trampoline_kernelINS0_14default_configENS1_20scan_config_selectorIN3c104HalfEEEZZNS1_9scan_implILNS1_25lookback_scan_determinismE0ELb0ELb0ES3_PKS6_PS6_S6_ZZZN2at6native31launch_logcumsumexp_cuda_kernelERKNSD_10TensorBaseESH_lENKUlvE_clEvENKUlvE3_clEvEUlS6_S6_E_S6_EEDaPvRmT3_T4_T5_mT6_P12ihipStream_tbENKUlT_T0_E_clISt17integral_constantIbLb1EESY_EEDaST_SU_EUlST_E_NS1_11comp_targetILNS1_3genE10ELNS1_11target_archE1200ELNS1_3gpuE4ELNS1_3repE0EEENS1_30default_config_static_selectorELNS0_4arch9wavefront6targetE1EEEvT1_
	.p2align	8
	.type	_ZN7rocprim17ROCPRIM_400000_NS6detail17trampoline_kernelINS0_14default_configENS1_20scan_config_selectorIN3c104HalfEEEZZNS1_9scan_implILNS1_25lookback_scan_determinismE0ELb0ELb0ES3_PKS6_PS6_S6_ZZZN2at6native31launch_logcumsumexp_cuda_kernelERKNSD_10TensorBaseESH_lENKUlvE_clEvENKUlvE3_clEvEUlS6_S6_E_S6_EEDaPvRmT3_T4_T5_mT6_P12ihipStream_tbENKUlT_T0_E_clISt17integral_constantIbLb1EESY_EEDaST_SU_EUlST_E_NS1_11comp_targetILNS1_3genE10ELNS1_11target_archE1200ELNS1_3gpuE4ELNS1_3repE0EEENS1_30default_config_static_selectorELNS0_4arch9wavefront6targetE1EEEvT1_,@function
_ZN7rocprim17ROCPRIM_400000_NS6detail17trampoline_kernelINS0_14default_configENS1_20scan_config_selectorIN3c104HalfEEEZZNS1_9scan_implILNS1_25lookback_scan_determinismE0ELb0ELb0ES3_PKS6_PS6_S6_ZZZN2at6native31launch_logcumsumexp_cuda_kernelERKNSD_10TensorBaseESH_lENKUlvE_clEvENKUlvE3_clEvEUlS6_S6_E_S6_EEDaPvRmT3_T4_T5_mT6_P12ihipStream_tbENKUlT_T0_E_clISt17integral_constantIbLb1EESY_EEDaST_SU_EUlST_E_NS1_11comp_targetILNS1_3genE10ELNS1_11target_archE1200ELNS1_3gpuE4ELNS1_3repE0EEENS1_30default_config_static_selectorELNS0_4arch9wavefront6targetE1EEEvT1_: ; @_ZN7rocprim17ROCPRIM_400000_NS6detail17trampoline_kernelINS0_14default_configENS1_20scan_config_selectorIN3c104HalfEEEZZNS1_9scan_implILNS1_25lookback_scan_determinismE0ELb0ELb0ES3_PKS6_PS6_S6_ZZZN2at6native31launch_logcumsumexp_cuda_kernelERKNSD_10TensorBaseESH_lENKUlvE_clEvENKUlvE3_clEvEUlS6_S6_E_S6_EEDaPvRmT3_T4_T5_mT6_P12ihipStream_tbENKUlT_T0_E_clISt17integral_constantIbLb1EESY_EEDaST_SU_EUlST_E_NS1_11comp_targetILNS1_3genE10ELNS1_11target_archE1200ELNS1_3gpuE4ELNS1_3repE0EEENS1_30default_config_static_selectorELNS0_4arch9wavefront6targetE1EEEvT1_
; %bb.0:
	.section	.rodata,"a",@progbits
	.p2align	6, 0x0
	.amdhsa_kernel _ZN7rocprim17ROCPRIM_400000_NS6detail17trampoline_kernelINS0_14default_configENS1_20scan_config_selectorIN3c104HalfEEEZZNS1_9scan_implILNS1_25lookback_scan_determinismE0ELb0ELb0ES3_PKS6_PS6_S6_ZZZN2at6native31launch_logcumsumexp_cuda_kernelERKNSD_10TensorBaseESH_lENKUlvE_clEvENKUlvE3_clEvEUlS6_S6_E_S6_EEDaPvRmT3_T4_T5_mT6_P12ihipStream_tbENKUlT_T0_E_clISt17integral_constantIbLb1EESY_EEDaST_SU_EUlST_E_NS1_11comp_targetILNS1_3genE10ELNS1_11target_archE1200ELNS1_3gpuE4ELNS1_3repE0EEENS1_30default_config_static_selectorELNS0_4arch9wavefront6targetE1EEEvT1_
		.amdhsa_group_segment_fixed_size 0
		.amdhsa_private_segment_fixed_size 0
		.amdhsa_kernarg_size 96
		.amdhsa_user_sgpr_count 6
		.amdhsa_user_sgpr_private_segment_buffer 1
		.amdhsa_user_sgpr_dispatch_ptr 0
		.amdhsa_user_sgpr_queue_ptr 0
		.amdhsa_user_sgpr_kernarg_segment_ptr 1
		.amdhsa_user_sgpr_dispatch_id 0
		.amdhsa_user_sgpr_flat_scratch_init 0
		.amdhsa_user_sgpr_kernarg_preload_length 0
		.amdhsa_user_sgpr_kernarg_preload_offset 0
		.amdhsa_user_sgpr_private_segment_size 0
		.amdhsa_uses_dynamic_stack 0
		.amdhsa_system_sgpr_private_segment_wavefront_offset 0
		.amdhsa_system_sgpr_workgroup_id_x 1
		.amdhsa_system_sgpr_workgroup_id_y 0
		.amdhsa_system_sgpr_workgroup_id_z 0
		.amdhsa_system_sgpr_workgroup_info 0
		.amdhsa_system_vgpr_workitem_id 0
		.amdhsa_next_free_vgpr 1
		.amdhsa_next_free_sgpr 0
		.amdhsa_accum_offset 4
		.amdhsa_reserve_vcc 0
		.amdhsa_reserve_flat_scratch 0
		.amdhsa_float_round_mode_32 0
		.amdhsa_float_round_mode_16_64 0
		.amdhsa_float_denorm_mode_32 3
		.amdhsa_float_denorm_mode_16_64 3
		.amdhsa_dx10_clamp 1
		.amdhsa_ieee_mode 1
		.amdhsa_fp16_overflow 0
		.amdhsa_tg_split 0
		.amdhsa_exception_fp_ieee_invalid_op 0
		.amdhsa_exception_fp_denorm_src 0
		.amdhsa_exception_fp_ieee_div_zero 0
		.amdhsa_exception_fp_ieee_overflow 0
		.amdhsa_exception_fp_ieee_underflow 0
		.amdhsa_exception_fp_ieee_inexact 0
		.amdhsa_exception_int_div_zero 0
	.end_amdhsa_kernel
	.section	.text._ZN7rocprim17ROCPRIM_400000_NS6detail17trampoline_kernelINS0_14default_configENS1_20scan_config_selectorIN3c104HalfEEEZZNS1_9scan_implILNS1_25lookback_scan_determinismE0ELb0ELb0ES3_PKS6_PS6_S6_ZZZN2at6native31launch_logcumsumexp_cuda_kernelERKNSD_10TensorBaseESH_lENKUlvE_clEvENKUlvE3_clEvEUlS6_S6_E_S6_EEDaPvRmT3_T4_T5_mT6_P12ihipStream_tbENKUlT_T0_E_clISt17integral_constantIbLb1EESY_EEDaST_SU_EUlST_E_NS1_11comp_targetILNS1_3genE10ELNS1_11target_archE1200ELNS1_3gpuE4ELNS1_3repE0EEENS1_30default_config_static_selectorELNS0_4arch9wavefront6targetE1EEEvT1_,"axG",@progbits,_ZN7rocprim17ROCPRIM_400000_NS6detail17trampoline_kernelINS0_14default_configENS1_20scan_config_selectorIN3c104HalfEEEZZNS1_9scan_implILNS1_25lookback_scan_determinismE0ELb0ELb0ES3_PKS6_PS6_S6_ZZZN2at6native31launch_logcumsumexp_cuda_kernelERKNSD_10TensorBaseESH_lENKUlvE_clEvENKUlvE3_clEvEUlS6_S6_E_S6_EEDaPvRmT3_T4_T5_mT6_P12ihipStream_tbENKUlT_T0_E_clISt17integral_constantIbLb1EESY_EEDaST_SU_EUlST_E_NS1_11comp_targetILNS1_3genE10ELNS1_11target_archE1200ELNS1_3gpuE4ELNS1_3repE0EEENS1_30default_config_static_selectorELNS0_4arch9wavefront6targetE1EEEvT1_,comdat
.Lfunc_end386:
	.size	_ZN7rocprim17ROCPRIM_400000_NS6detail17trampoline_kernelINS0_14default_configENS1_20scan_config_selectorIN3c104HalfEEEZZNS1_9scan_implILNS1_25lookback_scan_determinismE0ELb0ELb0ES3_PKS6_PS6_S6_ZZZN2at6native31launch_logcumsumexp_cuda_kernelERKNSD_10TensorBaseESH_lENKUlvE_clEvENKUlvE3_clEvEUlS6_S6_E_S6_EEDaPvRmT3_T4_T5_mT6_P12ihipStream_tbENKUlT_T0_E_clISt17integral_constantIbLb1EESY_EEDaST_SU_EUlST_E_NS1_11comp_targetILNS1_3genE10ELNS1_11target_archE1200ELNS1_3gpuE4ELNS1_3repE0EEENS1_30default_config_static_selectorELNS0_4arch9wavefront6targetE1EEEvT1_, .Lfunc_end386-_ZN7rocprim17ROCPRIM_400000_NS6detail17trampoline_kernelINS0_14default_configENS1_20scan_config_selectorIN3c104HalfEEEZZNS1_9scan_implILNS1_25lookback_scan_determinismE0ELb0ELb0ES3_PKS6_PS6_S6_ZZZN2at6native31launch_logcumsumexp_cuda_kernelERKNSD_10TensorBaseESH_lENKUlvE_clEvENKUlvE3_clEvEUlS6_S6_E_S6_EEDaPvRmT3_T4_T5_mT6_P12ihipStream_tbENKUlT_T0_E_clISt17integral_constantIbLb1EESY_EEDaST_SU_EUlST_E_NS1_11comp_targetILNS1_3genE10ELNS1_11target_archE1200ELNS1_3gpuE4ELNS1_3repE0EEENS1_30default_config_static_selectorELNS0_4arch9wavefront6targetE1EEEvT1_
                                        ; -- End function
	.section	.AMDGPU.csdata,"",@progbits
; Kernel info:
; codeLenInByte = 0
; NumSgprs: 4
; NumVgprs: 0
; NumAgprs: 0
; TotalNumVgprs: 0
; ScratchSize: 0
; MemoryBound: 0
; FloatMode: 240
; IeeeMode: 1
; LDSByteSize: 0 bytes/workgroup (compile time only)
; SGPRBlocks: 0
; VGPRBlocks: 0
; NumSGPRsForWavesPerEU: 4
; NumVGPRsForWavesPerEU: 1
; AccumOffset: 4
; Occupancy: 8
; WaveLimiterHint : 0
; COMPUTE_PGM_RSRC2:SCRATCH_EN: 0
; COMPUTE_PGM_RSRC2:USER_SGPR: 6
; COMPUTE_PGM_RSRC2:TRAP_HANDLER: 0
; COMPUTE_PGM_RSRC2:TGID_X_EN: 1
; COMPUTE_PGM_RSRC2:TGID_Y_EN: 0
; COMPUTE_PGM_RSRC2:TGID_Z_EN: 0
; COMPUTE_PGM_RSRC2:TIDIG_COMP_CNT: 0
; COMPUTE_PGM_RSRC3_GFX90A:ACCUM_OFFSET: 0
; COMPUTE_PGM_RSRC3_GFX90A:TG_SPLIT: 0
	.section	.text._ZN7rocprim17ROCPRIM_400000_NS6detail17trampoline_kernelINS0_14default_configENS1_20scan_config_selectorIN3c104HalfEEEZZNS1_9scan_implILNS1_25lookback_scan_determinismE0ELb0ELb0ES3_PKS6_PS6_S6_ZZZN2at6native31launch_logcumsumexp_cuda_kernelERKNSD_10TensorBaseESH_lENKUlvE_clEvENKUlvE3_clEvEUlS6_S6_E_S6_EEDaPvRmT3_T4_T5_mT6_P12ihipStream_tbENKUlT_T0_E_clISt17integral_constantIbLb1EESY_EEDaST_SU_EUlST_E_NS1_11comp_targetILNS1_3genE9ELNS1_11target_archE1100ELNS1_3gpuE3ELNS1_3repE0EEENS1_30default_config_static_selectorELNS0_4arch9wavefront6targetE1EEEvT1_,"axG",@progbits,_ZN7rocprim17ROCPRIM_400000_NS6detail17trampoline_kernelINS0_14default_configENS1_20scan_config_selectorIN3c104HalfEEEZZNS1_9scan_implILNS1_25lookback_scan_determinismE0ELb0ELb0ES3_PKS6_PS6_S6_ZZZN2at6native31launch_logcumsumexp_cuda_kernelERKNSD_10TensorBaseESH_lENKUlvE_clEvENKUlvE3_clEvEUlS6_S6_E_S6_EEDaPvRmT3_T4_T5_mT6_P12ihipStream_tbENKUlT_T0_E_clISt17integral_constantIbLb1EESY_EEDaST_SU_EUlST_E_NS1_11comp_targetILNS1_3genE9ELNS1_11target_archE1100ELNS1_3gpuE3ELNS1_3repE0EEENS1_30default_config_static_selectorELNS0_4arch9wavefront6targetE1EEEvT1_,comdat
	.globl	_ZN7rocprim17ROCPRIM_400000_NS6detail17trampoline_kernelINS0_14default_configENS1_20scan_config_selectorIN3c104HalfEEEZZNS1_9scan_implILNS1_25lookback_scan_determinismE0ELb0ELb0ES3_PKS6_PS6_S6_ZZZN2at6native31launch_logcumsumexp_cuda_kernelERKNSD_10TensorBaseESH_lENKUlvE_clEvENKUlvE3_clEvEUlS6_S6_E_S6_EEDaPvRmT3_T4_T5_mT6_P12ihipStream_tbENKUlT_T0_E_clISt17integral_constantIbLb1EESY_EEDaST_SU_EUlST_E_NS1_11comp_targetILNS1_3genE9ELNS1_11target_archE1100ELNS1_3gpuE3ELNS1_3repE0EEENS1_30default_config_static_selectorELNS0_4arch9wavefront6targetE1EEEvT1_ ; -- Begin function _ZN7rocprim17ROCPRIM_400000_NS6detail17trampoline_kernelINS0_14default_configENS1_20scan_config_selectorIN3c104HalfEEEZZNS1_9scan_implILNS1_25lookback_scan_determinismE0ELb0ELb0ES3_PKS6_PS6_S6_ZZZN2at6native31launch_logcumsumexp_cuda_kernelERKNSD_10TensorBaseESH_lENKUlvE_clEvENKUlvE3_clEvEUlS6_S6_E_S6_EEDaPvRmT3_T4_T5_mT6_P12ihipStream_tbENKUlT_T0_E_clISt17integral_constantIbLb1EESY_EEDaST_SU_EUlST_E_NS1_11comp_targetILNS1_3genE9ELNS1_11target_archE1100ELNS1_3gpuE3ELNS1_3repE0EEENS1_30default_config_static_selectorELNS0_4arch9wavefront6targetE1EEEvT1_
	.p2align	8
	.type	_ZN7rocprim17ROCPRIM_400000_NS6detail17trampoline_kernelINS0_14default_configENS1_20scan_config_selectorIN3c104HalfEEEZZNS1_9scan_implILNS1_25lookback_scan_determinismE0ELb0ELb0ES3_PKS6_PS6_S6_ZZZN2at6native31launch_logcumsumexp_cuda_kernelERKNSD_10TensorBaseESH_lENKUlvE_clEvENKUlvE3_clEvEUlS6_S6_E_S6_EEDaPvRmT3_T4_T5_mT6_P12ihipStream_tbENKUlT_T0_E_clISt17integral_constantIbLb1EESY_EEDaST_SU_EUlST_E_NS1_11comp_targetILNS1_3genE9ELNS1_11target_archE1100ELNS1_3gpuE3ELNS1_3repE0EEENS1_30default_config_static_selectorELNS0_4arch9wavefront6targetE1EEEvT1_,@function
_ZN7rocprim17ROCPRIM_400000_NS6detail17trampoline_kernelINS0_14default_configENS1_20scan_config_selectorIN3c104HalfEEEZZNS1_9scan_implILNS1_25lookback_scan_determinismE0ELb0ELb0ES3_PKS6_PS6_S6_ZZZN2at6native31launch_logcumsumexp_cuda_kernelERKNSD_10TensorBaseESH_lENKUlvE_clEvENKUlvE3_clEvEUlS6_S6_E_S6_EEDaPvRmT3_T4_T5_mT6_P12ihipStream_tbENKUlT_T0_E_clISt17integral_constantIbLb1EESY_EEDaST_SU_EUlST_E_NS1_11comp_targetILNS1_3genE9ELNS1_11target_archE1100ELNS1_3gpuE3ELNS1_3repE0EEENS1_30default_config_static_selectorELNS0_4arch9wavefront6targetE1EEEvT1_: ; @_ZN7rocprim17ROCPRIM_400000_NS6detail17trampoline_kernelINS0_14default_configENS1_20scan_config_selectorIN3c104HalfEEEZZNS1_9scan_implILNS1_25lookback_scan_determinismE0ELb0ELb0ES3_PKS6_PS6_S6_ZZZN2at6native31launch_logcumsumexp_cuda_kernelERKNSD_10TensorBaseESH_lENKUlvE_clEvENKUlvE3_clEvEUlS6_S6_E_S6_EEDaPvRmT3_T4_T5_mT6_P12ihipStream_tbENKUlT_T0_E_clISt17integral_constantIbLb1EESY_EEDaST_SU_EUlST_E_NS1_11comp_targetILNS1_3genE9ELNS1_11target_archE1100ELNS1_3gpuE3ELNS1_3repE0EEENS1_30default_config_static_selectorELNS0_4arch9wavefront6targetE1EEEvT1_
; %bb.0:
	.section	.rodata,"a",@progbits
	.p2align	6, 0x0
	.amdhsa_kernel _ZN7rocprim17ROCPRIM_400000_NS6detail17trampoline_kernelINS0_14default_configENS1_20scan_config_selectorIN3c104HalfEEEZZNS1_9scan_implILNS1_25lookback_scan_determinismE0ELb0ELb0ES3_PKS6_PS6_S6_ZZZN2at6native31launch_logcumsumexp_cuda_kernelERKNSD_10TensorBaseESH_lENKUlvE_clEvENKUlvE3_clEvEUlS6_S6_E_S6_EEDaPvRmT3_T4_T5_mT6_P12ihipStream_tbENKUlT_T0_E_clISt17integral_constantIbLb1EESY_EEDaST_SU_EUlST_E_NS1_11comp_targetILNS1_3genE9ELNS1_11target_archE1100ELNS1_3gpuE3ELNS1_3repE0EEENS1_30default_config_static_selectorELNS0_4arch9wavefront6targetE1EEEvT1_
		.amdhsa_group_segment_fixed_size 0
		.amdhsa_private_segment_fixed_size 0
		.amdhsa_kernarg_size 96
		.amdhsa_user_sgpr_count 6
		.amdhsa_user_sgpr_private_segment_buffer 1
		.amdhsa_user_sgpr_dispatch_ptr 0
		.amdhsa_user_sgpr_queue_ptr 0
		.amdhsa_user_sgpr_kernarg_segment_ptr 1
		.amdhsa_user_sgpr_dispatch_id 0
		.amdhsa_user_sgpr_flat_scratch_init 0
		.amdhsa_user_sgpr_kernarg_preload_length 0
		.amdhsa_user_sgpr_kernarg_preload_offset 0
		.amdhsa_user_sgpr_private_segment_size 0
		.amdhsa_uses_dynamic_stack 0
		.amdhsa_system_sgpr_private_segment_wavefront_offset 0
		.amdhsa_system_sgpr_workgroup_id_x 1
		.amdhsa_system_sgpr_workgroup_id_y 0
		.amdhsa_system_sgpr_workgroup_id_z 0
		.amdhsa_system_sgpr_workgroup_info 0
		.amdhsa_system_vgpr_workitem_id 0
		.amdhsa_next_free_vgpr 1
		.amdhsa_next_free_sgpr 0
		.amdhsa_accum_offset 4
		.amdhsa_reserve_vcc 0
		.amdhsa_reserve_flat_scratch 0
		.amdhsa_float_round_mode_32 0
		.amdhsa_float_round_mode_16_64 0
		.amdhsa_float_denorm_mode_32 3
		.amdhsa_float_denorm_mode_16_64 3
		.amdhsa_dx10_clamp 1
		.amdhsa_ieee_mode 1
		.amdhsa_fp16_overflow 0
		.amdhsa_tg_split 0
		.amdhsa_exception_fp_ieee_invalid_op 0
		.amdhsa_exception_fp_denorm_src 0
		.amdhsa_exception_fp_ieee_div_zero 0
		.amdhsa_exception_fp_ieee_overflow 0
		.amdhsa_exception_fp_ieee_underflow 0
		.amdhsa_exception_fp_ieee_inexact 0
		.amdhsa_exception_int_div_zero 0
	.end_amdhsa_kernel
	.section	.text._ZN7rocprim17ROCPRIM_400000_NS6detail17trampoline_kernelINS0_14default_configENS1_20scan_config_selectorIN3c104HalfEEEZZNS1_9scan_implILNS1_25lookback_scan_determinismE0ELb0ELb0ES3_PKS6_PS6_S6_ZZZN2at6native31launch_logcumsumexp_cuda_kernelERKNSD_10TensorBaseESH_lENKUlvE_clEvENKUlvE3_clEvEUlS6_S6_E_S6_EEDaPvRmT3_T4_T5_mT6_P12ihipStream_tbENKUlT_T0_E_clISt17integral_constantIbLb1EESY_EEDaST_SU_EUlST_E_NS1_11comp_targetILNS1_3genE9ELNS1_11target_archE1100ELNS1_3gpuE3ELNS1_3repE0EEENS1_30default_config_static_selectorELNS0_4arch9wavefront6targetE1EEEvT1_,"axG",@progbits,_ZN7rocprim17ROCPRIM_400000_NS6detail17trampoline_kernelINS0_14default_configENS1_20scan_config_selectorIN3c104HalfEEEZZNS1_9scan_implILNS1_25lookback_scan_determinismE0ELb0ELb0ES3_PKS6_PS6_S6_ZZZN2at6native31launch_logcumsumexp_cuda_kernelERKNSD_10TensorBaseESH_lENKUlvE_clEvENKUlvE3_clEvEUlS6_S6_E_S6_EEDaPvRmT3_T4_T5_mT6_P12ihipStream_tbENKUlT_T0_E_clISt17integral_constantIbLb1EESY_EEDaST_SU_EUlST_E_NS1_11comp_targetILNS1_3genE9ELNS1_11target_archE1100ELNS1_3gpuE3ELNS1_3repE0EEENS1_30default_config_static_selectorELNS0_4arch9wavefront6targetE1EEEvT1_,comdat
.Lfunc_end387:
	.size	_ZN7rocprim17ROCPRIM_400000_NS6detail17trampoline_kernelINS0_14default_configENS1_20scan_config_selectorIN3c104HalfEEEZZNS1_9scan_implILNS1_25lookback_scan_determinismE0ELb0ELb0ES3_PKS6_PS6_S6_ZZZN2at6native31launch_logcumsumexp_cuda_kernelERKNSD_10TensorBaseESH_lENKUlvE_clEvENKUlvE3_clEvEUlS6_S6_E_S6_EEDaPvRmT3_T4_T5_mT6_P12ihipStream_tbENKUlT_T0_E_clISt17integral_constantIbLb1EESY_EEDaST_SU_EUlST_E_NS1_11comp_targetILNS1_3genE9ELNS1_11target_archE1100ELNS1_3gpuE3ELNS1_3repE0EEENS1_30default_config_static_selectorELNS0_4arch9wavefront6targetE1EEEvT1_, .Lfunc_end387-_ZN7rocprim17ROCPRIM_400000_NS6detail17trampoline_kernelINS0_14default_configENS1_20scan_config_selectorIN3c104HalfEEEZZNS1_9scan_implILNS1_25lookback_scan_determinismE0ELb0ELb0ES3_PKS6_PS6_S6_ZZZN2at6native31launch_logcumsumexp_cuda_kernelERKNSD_10TensorBaseESH_lENKUlvE_clEvENKUlvE3_clEvEUlS6_S6_E_S6_EEDaPvRmT3_T4_T5_mT6_P12ihipStream_tbENKUlT_T0_E_clISt17integral_constantIbLb1EESY_EEDaST_SU_EUlST_E_NS1_11comp_targetILNS1_3genE9ELNS1_11target_archE1100ELNS1_3gpuE3ELNS1_3repE0EEENS1_30default_config_static_selectorELNS0_4arch9wavefront6targetE1EEEvT1_
                                        ; -- End function
	.section	.AMDGPU.csdata,"",@progbits
; Kernel info:
; codeLenInByte = 0
; NumSgprs: 4
; NumVgprs: 0
; NumAgprs: 0
; TotalNumVgprs: 0
; ScratchSize: 0
; MemoryBound: 0
; FloatMode: 240
; IeeeMode: 1
; LDSByteSize: 0 bytes/workgroup (compile time only)
; SGPRBlocks: 0
; VGPRBlocks: 0
; NumSGPRsForWavesPerEU: 4
; NumVGPRsForWavesPerEU: 1
; AccumOffset: 4
; Occupancy: 8
; WaveLimiterHint : 0
; COMPUTE_PGM_RSRC2:SCRATCH_EN: 0
; COMPUTE_PGM_RSRC2:USER_SGPR: 6
; COMPUTE_PGM_RSRC2:TRAP_HANDLER: 0
; COMPUTE_PGM_RSRC2:TGID_X_EN: 1
; COMPUTE_PGM_RSRC2:TGID_Y_EN: 0
; COMPUTE_PGM_RSRC2:TGID_Z_EN: 0
; COMPUTE_PGM_RSRC2:TIDIG_COMP_CNT: 0
; COMPUTE_PGM_RSRC3_GFX90A:ACCUM_OFFSET: 0
; COMPUTE_PGM_RSRC3_GFX90A:TG_SPLIT: 0
	.section	.text._ZN7rocprim17ROCPRIM_400000_NS6detail17trampoline_kernelINS0_14default_configENS1_20scan_config_selectorIN3c104HalfEEEZZNS1_9scan_implILNS1_25lookback_scan_determinismE0ELb0ELb0ES3_PKS6_PS6_S6_ZZZN2at6native31launch_logcumsumexp_cuda_kernelERKNSD_10TensorBaseESH_lENKUlvE_clEvENKUlvE3_clEvEUlS6_S6_E_S6_EEDaPvRmT3_T4_T5_mT6_P12ihipStream_tbENKUlT_T0_E_clISt17integral_constantIbLb1EESY_EEDaST_SU_EUlST_E_NS1_11comp_targetILNS1_3genE8ELNS1_11target_archE1030ELNS1_3gpuE2ELNS1_3repE0EEENS1_30default_config_static_selectorELNS0_4arch9wavefront6targetE1EEEvT1_,"axG",@progbits,_ZN7rocprim17ROCPRIM_400000_NS6detail17trampoline_kernelINS0_14default_configENS1_20scan_config_selectorIN3c104HalfEEEZZNS1_9scan_implILNS1_25lookback_scan_determinismE0ELb0ELb0ES3_PKS6_PS6_S6_ZZZN2at6native31launch_logcumsumexp_cuda_kernelERKNSD_10TensorBaseESH_lENKUlvE_clEvENKUlvE3_clEvEUlS6_S6_E_S6_EEDaPvRmT3_T4_T5_mT6_P12ihipStream_tbENKUlT_T0_E_clISt17integral_constantIbLb1EESY_EEDaST_SU_EUlST_E_NS1_11comp_targetILNS1_3genE8ELNS1_11target_archE1030ELNS1_3gpuE2ELNS1_3repE0EEENS1_30default_config_static_selectorELNS0_4arch9wavefront6targetE1EEEvT1_,comdat
	.globl	_ZN7rocprim17ROCPRIM_400000_NS6detail17trampoline_kernelINS0_14default_configENS1_20scan_config_selectorIN3c104HalfEEEZZNS1_9scan_implILNS1_25lookback_scan_determinismE0ELb0ELb0ES3_PKS6_PS6_S6_ZZZN2at6native31launch_logcumsumexp_cuda_kernelERKNSD_10TensorBaseESH_lENKUlvE_clEvENKUlvE3_clEvEUlS6_S6_E_S6_EEDaPvRmT3_T4_T5_mT6_P12ihipStream_tbENKUlT_T0_E_clISt17integral_constantIbLb1EESY_EEDaST_SU_EUlST_E_NS1_11comp_targetILNS1_3genE8ELNS1_11target_archE1030ELNS1_3gpuE2ELNS1_3repE0EEENS1_30default_config_static_selectorELNS0_4arch9wavefront6targetE1EEEvT1_ ; -- Begin function _ZN7rocprim17ROCPRIM_400000_NS6detail17trampoline_kernelINS0_14default_configENS1_20scan_config_selectorIN3c104HalfEEEZZNS1_9scan_implILNS1_25lookback_scan_determinismE0ELb0ELb0ES3_PKS6_PS6_S6_ZZZN2at6native31launch_logcumsumexp_cuda_kernelERKNSD_10TensorBaseESH_lENKUlvE_clEvENKUlvE3_clEvEUlS6_S6_E_S6_EEDaPvRmT3_T4_T5_mT6_P12ihipStream_tbENKUlT_T0_E_clISt17integral_constantIbLb1EESY_EEDaST_SU_EUlST_E_NS1_11comp_targetILNS1_3genE8ELNS1_11target_archE1030ELNS1_3gpuE2ELNS1_3repE0EEENS1_30default_config_static_selectorELNS0_4arch9wavefront6targetE1EEEvT1_
	.p2align	8
	.type	_ZN7rocprim17ROCPRIM_400000_NS6detail17trampoline_kernelINS0_14default_configENS1_20scan_config_selectorIN3c104HalfEEEZZNS1_9scan_implILNS1_25lookback_scan_determinismE0ELb0ELb0ES3_PKS6_PS6_S6_ZZZN2at6native31launch_logcumsumexp_cuda_kernelERKNSD_10TensorBaseESH_lENKUlvE_clEvENKUlvE3_clEvEUlS6_S6_E_S6_EEDaPvRmT3_T4_T5_mT6_P12ihipStream_tbENKUlT_T0_E_clISt17integral_constantIbLb1EESY_EEDaST_SU_EUlST_E_NS1_11comp_targetILNS1_3genE8ELNS1_11target_archE1030ELNS1_3gpuE2ELNS1_3repE0EEENS1_30default_config_static_selectorELNS0_4arch9wavefront6targetE1EEEvT1_,@function
_ZN7rocprim17ROCPRIM_400000_NS6detail17trampoline_kernelINS0_14default_configENS1_20scan_config_selectorIN3c104HalfEEEZZNS1_9scan_implILNS1_25lookback_scan_determinismE0ELb0ELb0ES3_PKS6_PS6_S6_ZZZN2at6native31launch_logcumsumexp_cuda_kernelERKNSD_10TensorBaseESH_lENKUlvE_clEvENKUlvE3_clEvEUlS6_S6_E_S6_EEDaPvRmT3_T4_T5_mT6_P12ihipStream_tbENKUlT_T0_E_clISt17integral_constantIbLb1EESY_EEDaST_SU_EUlST_E_NS1_11comp_targetILNS1_3genE8ELNS1_11target_archE1030ELNS1_3gpuE2ELNS1_3repE0EEENS1_30default_config_static_selectorELNS0_4arch9wavefront6targetE1EEEvT1_: ; @_ZN7rocprim17ROCPRIM_400000_NS6detail17trampoline_kernelINS0_14default_configENS1_20scan_config_selectorIN3c104HalfEEEZZNS1_9scan_implILNS1_25lookback_scan_determinismE0ELb0ELb0ES3_PKS6_PS6_S6_ZZZN2at6native31launch_logcumsumexp_cuda_kernelERKNSD_10TensorBaseESH_lENKUlvE_clEvENKUlvE3_clEvEUlS6_S6_E_S6_EEDaPvRmT3_T4_T5_mT6_P12ihipStream_tbENKUlT_T0_E_clISt17integral_constantIbLb1EESY_EEDaST_SU_EUlST_E_NS1_11comp_targetILNS1_3genE8ELNS1_11target_archE1030ELNS1_3gpuE2ELNS1_3repE0EEENS1_30default_config_static_selectorELNS0_4arch9wavefront6targetE1EEEvT1_
; %bb.0:
	.section	.rodata,"a",@progbits
	.p2align	6, 0x0
	.amdhsa_kernel _ZN7rocprim17ROCPRIM_400000_NS6detail17trampoline_kernelINS0_14default_configENS1_20scan_config_selectorIN3c104HalfEEEZZNS1_9scan_implILNS1_25lookback_scan_determinismE0ELb0ELb0ES3_PKS6_PS6_S6_ZZZN2at6native31launch_logcumsumexp_cuda_kernelERKNSD_10TensorBaseESH_lENKUlvE_clEvENKUlvE3_clEvEUlS6_S6_E_S6_EEDaPvRmT3_T4_T5_mT6_P12ihipStream_tbENKUlT_T0_E_clISt17integral_constantIbLb1EESY_EEDaST_SU_EUlST_E_NS1_11comp_targetILNS1_3genE8ELNS1_11target_archE1030ELNS1_3gpuE2ELNS1_3repE0EEENS1_30default_config_static_selectorELNS0_4arch9wavefront6targetE1EEEvT1_
		.amdhsa_group_segment_fixed_size 0
		.amdhsa_private_segment_fixed_size 0
		.amdhsa_kernarg_size 96
		.amdhsa_user_sgpr_count 6
		.amdhsa_user_sgpr_private_segment_buffer 1
		.amdhsa_user_sgpr_dispatch_ptr 0
		.amdhsa_user_sgpr_queue_ptr 0
		.amdhsa_user_sgpr_kernarg_segment_ptr 1
		.amdhsa_user_sgpr_dispatch_id 0
		.amdhsa_user_sgpr_flat_scratch_init 0
		.amdhsa_user_sgpr_kernarg_preload_length 0
		.amdhsa_user_sgpr_kernarg_preload_offset 0
		.amdhsa_user_sgpr_private_segment_size 0
		.amdhsa_uses_dynamic_stack 0
		.amdhsa_system_sgpr_private_segment_wavefront_offset 0
		.amdhsa_system_sgpr_workgroup_id_x 1
		.amdhsa_system_sgpr_workgroup_id_y 0
		.amdhsa_system_sgpr_workgroup_id_z 0
		.amdhsa_system_sgpr_workgroup_info 0
		.amdhsa_system_vgpr_workitem_id 0
		.amdhsa_next_free_vgpr 1
		.amdhsa_next_free_sgpr 0
		.amdhsa_accum_offset 4
		.amdhsa_reserve_vcc 0
		.amdhsa_reserve_flat_scratch 0
		.amdhsa_float_round_mode_32 0
		.amdhsa_float_round_mode_16_64 0
		.amdhsa_float_denorm_mode_32 3
		.amdhsa_float_denorm_mode_16_64 3
		.amdhsa_dx10_clamp 1
		.amdhsa_ieee_mode 1
		.amdhsa_fp16_overflow 0
		.amdhsa_tg_split 0
		.amdhsa_exception_fp_ieee_invalid_op 0
		.amdhsa_exception_fp_denorm_src 0
		.amdhsa_exception_fp_ieee_div_zero 0
		.amdhsa_exception_fp_ieee_overflow 0
		.amdhsa_exception_fp_ieee_underflow 0
		.amdhsa_exception_fp_ieee_inexact 0
		.amdhsa_exception_int_div_zero 0
	.end_amdhsa_kernel
	.section	.text._ZN7rocprim17ROCPRIM_400000_NS6detail17trampoline_kernelINS0_14default_configENS1_20scan_config_selectorIN3c104HalfEEEZZNS1_9scan_implILNS1_25lookback_scan_determinismE0ELb0ELb0ES3_PKS6_PS6_S6_ZZZN2at6native31launch_logcumsumexp_cuda_kernelERKNSD_10TensorBaseESH_lENKUlvE_clEvENKUlvE3_clEvEUlS6_S6_E_S6_EEDaPvRmT3_T4_T5_mT6_P12ihipStream_tbENKUlT_T0_E_clISt17integral_constantIbLb1EESY_EEDaST_SU_EUlST_E_NS1_11comp_targetILNS1_3genE8ELNS1_11target_archE1030ELNS1_3gpuE2ELNS1_3repE0EEENS1_30default_config_static_selectorELNS0_4arch9wavefront6targetE1EEEvT1_,"axG",@progbits,_ZN7rocprim17ROCPRIM_400000_NS6detail17trampoline_kernelINS0_14default_configENS1_20scan_config_selectorIN3c104HalfEEEZZNS1_9scan_implILNS1_25lookback_scan_determinismE0ELb0ELb0ES3_PKS6_PS6_S6_ZZZN2at6native31launch_logcumsumexp_cuda_kernelERKNSD_10TensorBaseESH_lENKUlvE_clEvENKUlvE3_clEvEUlS6_S6_E_S6_EEDaPvRmT3_T4_T5_mT6_P12ihipStream_tbENKUlT_T0_E_clISt17integral_constantIbLb1EESY_EEDaST_SU_EUlST_E_NS1_11comp_targetILNS1_3genE8ELNS1_11target_archE1030ELNS1_3gpuE2ELNS1_3repE0EEENS1_30default_config_static_selectorELNS0_4arch9wavefront6targetE1EEEvT1_,comdat
.Lfunc_end388:
	.size	_ZN7rocprim17ROCPRIM_400000_NS6detail17trampoline_kernelINS0_14default_configENS1_20scan_config_selectorIN3c104HalfEEEZZNS1_9scan_implILNS1_25lookback_scan_determinismE0ELb0ELb0ES3_PKS6_PS6_S6_ZZZN2at6native31launch_logcumsumexp_cuda_kernelERKNSD_10TensorBaseESH_lENKUlvE_clEvENKUlvE3_clEvEUlS6_S6_E_S6_EEDaPvRmT3_T4_T5_mT6_P12ihipStream_tbENKUlT_T0_E_clISt17integral_constantIbLb1EESY_EEDaST_SU_EUlST_E_NS1_11comp_targetILNS1_3genE8ELNS1_11target_archE1030ELNS1_3gpuE2ELNS1_3repE0EEENS1_30default_config_static_selectorELNS0_4arch9wavefront6targetE1EEEvT1_, .Lfunc_end388-_ZN7rocprim17ROCPRIM_400000_NS6detail17trampoline_kernelINS0_14default_configENS1_20scan_config_selectorIN3c104HalfEEEZZNS1_9scan_implILNS1_25lookback_scan_determinismE0ELb0ELb0ES3_PKS6_PS6_S6_ZZZN2at6native31launch_logcumsumexp_cuda_kernelERKNSD_10TensorBaseESH_lENKUlvE_clEvENKUlvE3_clEvEUlS6_S6_E_S6_EEDaPvRmT3_T4_T5_mT6_P12ihipStream_tbENKUlT_T0_E_clISt17integral_constantIbLb1EESY_EEDaST_SU_EUlST_E_NS1_11comp_targetILNS1_3genE8ELNS1_11target_archE1030ELNS1_3gpuE2ELNS1_3repE0EEENS1_30default_config_static_selectorELNS0_4arch9wavefront6targetE1EEEvT1_
                                        ; -- End function
	.section	.AMDGPU.csdata,"",@progbits
; Kernel info:
; codeLenInByte = 0
; NumSgprs: 4
; NumVgprs: 0
; NumAgprs: 0
; TotalNumVgprs: 0
; ScratchSize: 0
; MemoryBound: 0
; FloatMode: 240
; IeeeMode: 1
; LDSByteSize: 0 bytes/workgroup (compile time only)
; SGPRBlocks: 0
; VGPRBlocks: 0
; NumSGPRsForWavesPerEU: 4
; NumVGPRsForWavesPerEU: 1
; AccumOffset: 4
; Occupancy: 8
; WaveLimiterHint : 0
; COMPUTE_PGM_RSRC2:SCRATCH_EN: 0
; COMPUTE_PGM_RSRC2:USER_SGPR: 6
; COMPUTE_PGM_RSRC2:TRAP_HANDLER: 0
; COMPUTE_PGM_RSRC2:TGID_X_EN: 1
; COMPUTE_PGM_RSRC2:TGID_Y_EN: 0
; COMPUTE_PGM_RSRC2:TGID_Z_EN: 0
; COMPUTE_PGM_RSRC2:TIDIG_COMP_CNT: 0
; COMPUTE_PGM_RSRC3_GFX90A:ACCUM_OFFSET: 0
; COMPUTE_PGM_RSRC3_GFX90A:TG_SPLIT: 0
	.section	.text._ZN7rocprim17ROCPRIM_400000_NS6detail17trampoline_kernelINS0_14default_configENS1_20scan_config_selectorIN3c104HalfEEEZZNS1_9scan_implILNS1_25lookback_scan_determinismE0ELb0ELb0ES3_PKS6_PS6_S6_ZZZN2at6native31launch_logcumsumexp_cuda_kernelERKNSD_10TensorBaseESH_lENKUlvE_clEvENKUlvE3_clEvEUlS6_S6_E_S6_EEDaPvRmT3_T4_T5_mT6_P12ihipStream_tbENKUlT_T0_E_clISt17integral_constantIbLb1EESY_EEDaST_SU_EUlST_E0_NS1_11comp_targetILNS1_3genE0ELNS1_11target_archE4294967295ELNS1_3gpuE0ELNS1_3repE0EEENS1_30default_config_static_selectorELNS0_4arch9wavefront6targetE1EEEvT1_,"axG",@progbits,_ZN7rocprim17ROCPRIM_400000_NS6detail17trampoline_kernelINS0_14default_configENS1_20scan_config_selectorIN3c104HalfEEEZZNS1_9scan_implILNS1_25lookback_scan_determinismE0ELb0ELb0ES3_PKS6_PS6_S6_ZZZN2at6native31launch_logcumsumexp_cuda_kernelERKNSD_10TensorBaseESH_lENKUlvE_clEvENKUlvE3_clEvEUlS6_S6_E_S6_EEDaPvRmT3_T4_T5_mT6_P12ihipStream_tbENKUlT_T0_E_clISt17integral_constantIbLb1EESY_EEDaST_SU_EUlST_E0_NS1_11comp_targetILNS1_3genE0ELNS1_11target_archE4294967295ELNS1_3gpuE0ELNS1_3repE0EEENS1_30default_config_static_selectorELNS0_4arch9wavefront6targetE1EEEvT1_,comdat
	.globl	_ZN7rocprim17ROCPRIM_400000_NS6detail17trampoline_kernelINS0_14default_configENS1_20scan_config_selectorIN3c104HalfEEEZZNS1_9scan_implILNS1_25lookback_scan_determinismE0ELb0ELb0ES3_PKS6_PS6_S6_ZZZN2at6native31launch_logcumsumexp_cuda_kernelERKNSD_10TensorBaseESH_lENKUlvE_clEvENKUlvE3_clEvEUlS6_S6_E_S6_EEDaPvRmT3_T4_T5_mT6_P12ihipStream_tbENKUlT_T0_E_clISt17integral_constantIbLb1EESY_EEDaST_SU_EUlST_E0_NS1_11comp_targetILNS1_3genE0ELNS1_11target_archE4294967295ELNS1_3gpuE0ELNS1_3repE0EEENS1_30default_config_static_selectorELNS0_4arch9wavefront6targetE1EEEvT1_ ; -- Begin function _ZN7rocprim17ROCPRIM_400000_NS6detail17trampoline_kernelINS0_14default_configENS1_20scan_config_selectorIN3c104HalfEEEZZNS1_9scan_implILNS1_25lookback_scan_determinismE0ELb0ELb0ES3_PKS6_PS6_S6_ZZZN2at6native31launch_logcumsumexp_cuda_kernelERKNSD_10TensorBaseESH_lENKUlvE_clEvENKUlvE3_clEvEUlS6_S6_E_S6_EEDaPvRmT3_T4_T5_mT6_P12ihipStream_tbENKUlT_T0_E_clISt17integral_constantIbLb1EESY_EEDaST_SU_EUlST_E0_NS1_11comp_targetILNS1_3genE0ELNS1_11target_archE4294967295ELNS1_3gpuE0ELNS1_3repE0EEENS1_30default_config_static_selectorELNS0_4arch9wavefront6targetE1EEEvT1_
	.p2align	8
	.type	_ZN7rocprim17ROCPRIM_400000_NS6detail17trampoline_kernelINS0_14default_configENS1_20scan_config_selectorIN3c104HalfEEEZZNS1_9scan_implILNS1_25lookback_scan_determinismE0ELb0ELb0ES3_PKS6_PS6_S6_ZZZN2at6native31launch_logcumsumexp_cuda_kernelERKNSD_10TensorBaseESH_lENKUlvE_clEvENKUlvE3_clEvEUlS6_S6_E_S6_EEDaPvRmT3_T4_T5_mT6_P12ihipStream_tbENKUlT_T0_E_clISt17integral_constantIbLb1EESY_EEDaST_SU_EUlST_E0_NS1_11comp_targetILNS1_3genE0ELNS1_11target_archE4294967295ELNS1_3gpuE0ELNS1_3repE0EEENS1_30default_config_static_selectorELNS0_4arch9wavefront6targetE1EEEvT1_,@function
_ZN7rocprim17ROCPRIM_400000_NS6detail17trampoline_kernelINS0_14default_configENS1_20scan_config_selectorIN3c104HalfEEEZZNS1_9scan_implILNS1_25lookback_scan_determinismE0ELb0ELb0ES3_PKS6_PS6_S6_ZZZN2at6native31launch_logcumsumexp_cuda_kernelERKNSD_10TensorBaseESH_lENKUlvE_clEvENKUlvE3_clEvEUlS6_S6_E_S6_EEDaPvRmT3_T4_T5_mT6_P12ihipStream_tbENKUlT_T0_E_clISt17integral_constantIbLb1EESY_EEDaST_SU_EUlST_E0_NS1_11comp_targetILNS1_3genE0ELNS1_11target_archE4294967295ELNS1_3gpuE0ELNS1_3repE0EEENS1_30default_config_static_selectorELNS0_4arch9wavefront6targetE1EEEvT1_: ; @_ZN7rocprim17ROCPRIM_400000_NS6detail17trampoline_kernelINS0_14default_configENS1_20scan_config_selectorIN3c104HalfEEEZZNS1_9scan_implILNS1_25lookback_scan_determinismE0ELb0ELb0ES3_PKS6_PS6_S6_ZZZN2at6native31launch_logcumsumexp_cuda_kernelERKNSD_10TensorBaseESH_lENKUlvE_clEvENKUlvE3_clEvEUlS6_S6_E_S6_EEDaPvRmT3_T4_T5_mT6_P12ihipStream_tbENKUlT_T0_E_clISt17integral_constantIbLb1EESY_EEDaST_SU_EUlST_E0_NS1_11comp_targetILNS1_3genE0ELNS1_11target_archE4294967295ELNS1_3gpuE0ELNS1_3repE0EEENS1_30default_config_static_selectorELNS0_4arch9wavefront6targetE1EEEvT1_
; %bb.0:
	.section	.rodata,"a",@progbits
	.p2align	6, 0x0
	.amdhsa_kernel _ZN7rocprim17ROCPRIM_400000_NS6detail17trampoline_kernelINS0_14default_configENS1_20scan_config_selectorIN3c104HalfEEEZZNS1_9scan_implILNS1_25lookback_scan_determinismE0ELb0ELb0ES3_PKS6_PS6_S6_ZZZN2at6native31launch_logcumsumexp_cuda_kernelERKNSD_10TensorBaseESH_lENKUlvE_clEvENKUlvE3_clEvEUlS6_S6_E_S6_EEDaPvRmT3_T4_T5_mT6_P12ihipStream_tbENKUlT_T0_E_clISt17integral_constantIbLb1EESY_EEDaST_SU_EUlST_E0_NS1_11comp_targetILNS1_3genE0ELNS1_11target_archE4294967295ELNS1_3gpuE0ELNS1_3repE0EEENS1_30default_config_static_selectorELNS0_4arch9wavefront6targetE1EEEvT1_
		.amdhsa_group_segment_fixed_size 0
		.amdhsa_private_segment_fixed_size 0
		.amdhsa_kernarg_size 32
		.amdhsa_user_sgpr_count 6
		.amdhsa_user_sgpr_private_segment_buffer 1
		.amdhsa_user_sgpr_dispatch_ptr 0
		.amdhsa_user_sgpr_queue_ptr 0
		.amdhsa_user_sgpr_kernarg_segment_ptr 1
		.amdhsa_user_sgpr_dispatch_id 0
		.amdhsa_user_sgpr_flat_scratch_init 0
		.amdhsa_user_sgpr_kernarg_preload_length 0
		.amdhsa_user_sgpr_kernarg_preload_offset 0
		.amdhsa_user_sgpr_private_segment_size 0
		.amdhsa_uses_dynamic_stack 0
		.amdhsa_system_sgpr_private_segment_wavefront_offset 0
		.amdhsa_system_sgpr_workgroup_id_x 1
		.amdhsa_system_sgpr_workgroup_id_y 0
		.amdhsa_system_sgpr_workgroup_id_z 0
		.amdhsa_system_sgpr_workgroup_info 0
		.amdhsa_system_vgpr_workitem_id 0
		.amdhsa_next_free_vgpr 1
		.amdhsa_next_free_sgpr 0
		.amdhsa_accum_offset 4
		.amdhsa_reserve_vcc 0
		.amdhsa_reserve_flat_scratch 0
		.amdhsa_float_round_mode_32 0
		.amdhsa_float_round_mode_16_64 0
		.amdhsa_float_denorm_mode_32 3
		.amdhsa_float_denorm_mode_16_64 3
		.amdhsa_dx10_clamp 1
		.amdhsa_ieee_mode 1
		.amdhsa_fp16_overflow 0
		.amdhsa_tg_split 0
		.amdhsa_exception_fp_ieee_invalid_op 0
		.amdhsa_exception_fp_denorm_src 0
		.amdhsa_exception_fp_ieee_div_zero 0
		.amdhsa_exception_fp_ieee_overflow 0
		.amdhsa_exception_fp_ieee_underflow 0
		.amdhsa_exception_fp_ieee_inexact 0
		.amdhsa_exception_int_div_zero 0
	.end_amdhsa_kernel
	.section	.text._ZN7rocprim17ROCPRIM_400000_NS6detail17trampoline_kernelINS0_14default_configENS1_20scan_config_selectorIN3c104HalfEEEZZNS1_9scan_implILNS1_25lookback_scan_determinismE0ELb0ELb0ES3_PKS6_PS6_S6_ZZZN2at6native31launch_logcumsumexp_cuda_kernelERKNSD_10TensorBaseESH_lENKUlvE_clEvENKUlvE3_clEvEUlS6_S6_E_S6_EEDaPvRmT3_T4_T5_mT6_P12ihipStream_tbENKUlT_T0_E_clISt17integral_constantIbLb1EESY_EEDaST_SU_EUlST_E0_NS1_11comp_targetILNS1_3genE0ELNS1_11target_archE4294967295ELNS1_3gpuE0ELNS1_3repE0EEENS1_30default_config_static_selectorELNS0_4arch9wavefront6targetE1EEEvT1_,"axG",@progbits,_ZN7rocprim17ROCPRIM_400000_NS6detail17trampoline_kernelINS0_14default_configENS1_20scan_config_selectorIN3c104HalfEEEZZNS1_9scan_implILNS1_25lookback_scan_determinismE0ELb0ELb0ES3_PKS6_PS6_S6_ZZZN2at6native31launch_logcumsumexp_cuda_kernelERKNSD_10TensorBaseESH_lENKUlvE_clEvENKUlvE3_clEvEUlS6_S6_E_S6_EEDaPvRmT3_T4_T5_mT6_P12ihipStream_tbENKUlT_T0_E_clISt17integral_constantIbLb1EESY_EEDaST_SU_EUlST_E0_NS1_11comp_targetILNS1_3genE0ELNS1_11target_archE4294967295ELNS1_3gpuE0ELNS1_3repE0EEENS1_30default_config_static_selectorELNS0_4arch9wavefront6targetE1EEEvT1_,comdat
.Lfunc_end389:
	.size	_ZN7rocprim17ROCPRIM_400000_NS6detail17trampoline_kernelINS0_14default_configENS1_20scan_config_selectorIN3c104HalfEEEZZNS1_9scan_implILNS1_25lookback_scan_determinismE0ELb0ELb0ES3_PKS6_PS6_S6_ZZZN2at6native31launch_logcumsumexp_cuda_kernelERKNSD_10TensorBaseESH_lENKUlvE_clEvENKUlvE3_clEvEUlS6_S6_E_S6_EEDaPvRmT3_T4_T5_mT6_P12ihipStream_tbENKUlT_T0_E_clISt17integral_constantIbLb1EESY_EEDaST_SU_EUlST_E0_NS1_11comp_targetILNS1_3genE0ELNS1_11target_archE4294967295ELNS1_3gpuE0ELNS1_3repE0EEENS1_30default_config_static_selectorELNS0_4arch9wavefront6targetE1EEEvT1_, .Lfunc_end389-_ZN7rocprim17ROCPRIM_400000_NS6detail17trampoline_kernelINS0_14default_configENS1_20scan_config_selectorIN3c104HalfEEEZZNS1_9scan_implILNS1_25lookback_scan_determinismE0ELb0ELb0ES3_PKS6_PS6_S6_ZZZN2at6native31launch_logcumsumexp_cuda_kernelERKNSD_10TensorBaseESH_lENKUlvE_clEvENKUlvE3_clEvEUlS6_S6_E_S6_EEDaPvRmT3_T4_T5_mT6_P12ihipStream_tbENKUlT_T0_E_clISt17integral_constantIbLb1EESY_EEDaST_SU_EUlST_E0_NS1_11comp_targetILNS1_3genE0ELNS1_11target_archE4294967295ELNS1_3gpuE0ELNS1_3repE0EEENS1_30default_config_static_selectorELNS0_4arch9wavefront6targetE1EEEvT1_
                                        ; -- End function
	.section	.AMDGPU.csdata,"",@progbits
; Kernel info:
; codeLenInByte = 0
; NumSgprs: 4
; NumVgprs: 0
; NumAgprs: 0
; TotalNumVgprs: 0
; ScratchSize: 0
; MemoryBound: 0
; FloatMode: 240
; IeeeMode: 1
; LDSByteSize: 0 bytes/workgroup (compile time only)
; SGPRBlocks: 0
; VGPRBlocks: 0
; NumSGPRsForWavesPerEU: 4
; NumVGPRsForWavesPerEU: 1
; AccumOffset: 4
; Occupancy: 8
; WaveLimiterHint : 0
; COMPUTE_PGM_RSRC2:SCRATCH_EN: 0
; COMPUTE_PGM_RSRC2:USER_SGPR: 6
; COMPUTE_PGM_RSRC2:TRAP_HANDLER: 0
; COMPUTE_PGM_RSRC2:TGID_X_EN: 1
; COMPUTE_PGM_RSRC2:TGID_Y_EN: 0
; COMPUTE_PGM_RSRC2:TGID_Z_EN: 0
; COMPUTE_PGM_RSRC2:TIDIG_COMP_CNT: 0
; COMPUTE_PGM_RSRC3_GFX90A:ACCUM_OFFSET: 0
; COMPUTE_PGM_RSRC3_GFX90A:TG_SPLIT: 0
	.section	.text._ZN7rocprim17ROCPRIM_400000_NS6detail17trampoline_kernelINS0_14default_configENS1_20scan_config_selectorIN3c104HalfEEEZZNS1_9scan_implILNS1_25lookback_scan_determinismE0ELb0ELb0ES3_PKS6_PS6_S6_ZZZN2at6native31launch_logcumsumexp_cuda_kernelERKNSD_10TensorBaseESH_lENKUlvE_clEvENKUlvE3_clEvEUlS6_S6_E_S6_EEDaPvRmT3_T4_T5_mT6_P12ihipStream_tbENKUlT_T0_E_clISt17integral_constantIbLb1EESY_EEDaST_SU_EUlST_E0_NS1_11comp_targetILNS1_3genE5ELNS1_11target_archE942ELNS1_3gpuE9ELNS1_3repE0EEENS1_30default_config_static_selectorELNS0_4arch9wavefront6targetE1EEEvT1_,"axG",@progbits,_ZN7rocprim17ROCPRIM_400000_NS6detail17trampoline_kernelINS0_14default_configENS1_20scan_config_selectorIN3c104HalfEEEZZNS1_9scan_implILNS1_25lookback_scan_determinismE0ELb0ELb0ES3_PKS6_PS6_S6_ZZZN2at6native31launch_logcumsumexp_cuda_kernelERKNSD_10TensorBaseESH_lENKUlvE_clEvENKUlvE3_clEvEUlS6_S6_E_S6_EEDaPvRmT3_T4_T5_mT6_P12ihipStream_tbENKUlT_T0_E_clISt17integral_constantIbLb1EESY_EEDaST_SU_EUlST_E0_NS1_11comp_targetILNS1_3genE5ELNS1_11target_archE942ELNS1_3gpuE9ELNS1_3repE0EEENS1_30default_config_static_selectorELNS0_4arch9wavefront6targetE1EEEvT1_,comdat
	.globl	_ZN7rocprim17ROCPRIM_400000_NS6detail17trampoline_kernelINS0_14default_configENS1_20scan_config_selectorIN3c104HalfEEEZZNS1_9scan_implILNS1_25lookback_scan_determinismE0ELb0ELb0ES3_PKS6_PS6_S6_ZZZN2at6native31launch_logcumsumexp_cuda_kernelERKNSD_10TensorBaseESH_lENKUlvE_clEvENKUlvE3_clEvEUlS6_S6_E_S6_EEDaPvRmT3_T4_T5_mT6_P12ihipStream_tbENKUlT_T0_E_clISt17integral_constantIbLb1EESY_EEDaST_SU_EUlST_E0_NS1_11comp_targetILNS1_3genE5ELNS1_11target_archE942ELNS1_3gpuE9ELNS1_3repE0EEENS1_30default_config_static_selectorELNS0_4arch9wavefront6targetE1EEEvT1_ ; -- Begin function _ZN7rocprim17ROCPRIM_400000_NS6detail17trampoline_kernelINS0_14default_configENS1_20scan_config_selectorIN3c104HalfEEEZZNS1_9scan_implILNS1_25lookback_scan_determinismE0ELb0ELb0ES3_PKS6_PS6_S6_ZZZN2at6native31launch_logcumsumexp_cuda_kernelERKNSD_10TensorBaseESH_lENKUlvE_clEvENKUlvE3_clEvEUlS6_S6_E_S6_EEDaPvRmT3_T4_T5_mT6_P12ihipStream_tbENKUlT_T0_E_clISt17integral_constantIbLb1EESY_EEDaST_SU_EUlST_E0_NS1_11comp_targetILNS1_3genE5ELNS1_11target_archE942ELNS1_3gpuE9ELNS1_3repE0EEENS1_30default_config_static_selectorELNS0_4arch9wavefront6targetE1EEEvT1_
	.p2align	8
	.type	_ZN7rocprim17ROCPRIM_400000_NS6detail17trampoline_kernelINS0_14default_configENS1_20scan_config_selectorIN3c104HalfEEEZZNS1_9scan_implILNS1_25lookback_scan_determinismE0ELb0ELb0ES3_PKS6_PS6_S6_ZZZN2at6native31launch_logcumsumexp_cuda_kernelERKNSD_10TensorBaseESH_lENKUlvE_clEvENKUlvE3_clEvEUlS6_S6_E_S6_EEDaPvRmT3_T4_T5_mT6_P12ihipStream_tbENKUlT_T0_E_clISt17integral_constantIbLb1EESY_EEDaST_SU_EUlST_E0_NS1_11comp_targetILNS1_3genE5ELNS1_11target_archE942ELNS1_3gpuE9ELNS1_3repE0EEENS1_30default_config_static_selectorELNS0_4arch9wavefront6targetE1EEEvT1_,@function
_ZN7rocprim17ROCPRIM_400000_NS6detail17trampoline_kernelINS0_14default_configENS1_20scan_config_selectorIN3c104HalfEEEZZNS1_9scan_implILNS1_25lookback_scan_determinismE0ELb0ELb0ES3_PKS6_PS6_S6_ZZZN2at6native31launch_logcumsumexp_cuda_kernelERKNSD_10TensorBaseESH_lENKUlvE_clEvENKUlvE3_clEvEUlS6_S6_E_S6_EEDaPvRmT3_T4_T5_mT6_P12ihipStream_tbENKUlT_T0_E_clISt17integral_constantIbLb1EESY_EEDaST_SU_EUlST_E0_NS1_11comp_targetILNS1_3genE5ELNS1_11target_archE942ELNS1_3gpuE9ELNS1_3repE0EEENS1_30default_config_static_selectorELNS0_4arch9wavefront6targetE1EEEvT1_: ; @_ZN7rocprim17ROCPRIM_400000_NS6detail17trampoline_kernelINS0_14default_configENS1_20scan_config_selectorIN3c104HalfEEEZZNS1_9scan_implILNS1_25lookback_scan_determinismE0ELb0ELb0ES3_PKS6_PS6_S6_ZZZN2at6native31launch_logcumsumexp_cuda_kernelERKNSD_10TensorBaseESH_lENKUlvE_clEvENKUlvE3_clEvEUlS6_S6_E_S6_EEDaPvRmT3_T4_T5_mT6_P12ihipStream_tbENKUlT_T0_E_clISt17integral_constantIbLb1EESY_EEDaST_SU_EUlST_E0_NS1_11comp_targetILNS1_3genE5ELNS1_11target_archE942ELNS1_3gpuE9ELNS1_3repE0EEENS1_30default_config_static_selectorELNS0_4arch9wavefront6targetE1EEEvT1_
; %bb.0:
	.section	.rodata,"a",@progbits
	.p2align	6, 0x0
	.amdhsa_kernel _ZN7rocprim17ROCPRIM_400000_NS6detail17trampoline_kernelINS0_14default_configENS1_20scan_config_selectorIN3c104HalfEEEZZNS1_9scan_implILNS1_25lookback_scan_determinismE0ELb0ELb0ES3_PKS6_PS6_S6_ZZZN2at6native31launch_logcumsumexp_cuda_kernelERKNSD_10TensorBaseESH_lENKUlvE_clEvENKUlvE3_clEvEUlS6_S6_E_S6_EEDaPvRmT3_T4_T5_mT6_P12ihipStream_tbENKUlT_T0_E_clISt17integral_constantIbLb1EESY_EEDaST_SU_EUlST_E0_NS1_11comp_targetILNS1_3genE5ELNS1_11target_archE942ELNS1_3gpuE9ELNS1_3repE0EEENS1_30default_config_static_selectorELNS0_4arch9wavefront6targetE1EEEvT1_
		.amdhsa_group_segment_fixed_size 0
		.amdhsa_private_segment_fixed_size 0
		.amdhsa_kernarg_size 32
		.amdhsa_user_sgpr_count 6
		.amdhsa_user_sgpr_private_segment_buffer 1
		.amdhsa_user_sgpr_dispatch_ptr 0
		.amdhsa_user_sgpr_queue_ptr 0
		.amdhsa_user_sgpr_kernarg_segment_ptr 1
		.amdhsa_user_sgpr_dispatch_id 0
		.amdhsa_user_sgpr_flat_scratch_init 0
		.amdhsa_user_sgpr_kernarg_preload_length 0
		.amdhsa_user_sgpr_kernarg_preload_offset 0
		.amdhsa_user_sgpr_private_segment_size 0
		.amdhsa_uses_dynamic_stack 0
		.amdhsa_system_sgpr_private_segment_wavefront_offset 0
		.amdhsa_system_sgpr_workgroup_id_x 1
		.amdhsa_system_sgpr_workgroup_id_y 0
		.amdhsa_system_sgpr_workgroup_id_z 0
		.amdhsa_system_sgpr_workgroup_info 0
		.amdhsa_system_vgpr_workitem_id 0
		.amdhsa_next_free_vgpr 1
		.amdhsa_next_free_sgpr 0
		.amdhsa_accum_offset 4
		.amdhsa_reserve_vcc 0
		.amdhsa_reserve_flat_scratch 0
		.amdhsa_float_round_mode_32 0
		.amdhsa_float_round_mode_16_64 0
		.amdhsa_float_denorm_mode_32 3
		.amdhsa_float_denorm_mode_16_64 3
		.amdhsa_dx10_clamp 1
		.amdhsa_ieee_mode 1
		.amdhsa_fp16_overflow 0
		.amdhsa_tg_split 0
		.amdhsa_exception_fp_ieee_invalid_op 0
		.amdhsa_exception_fp_denorm_src 0
		.amdhsa_exception_fp_ieee_div_zero 0
		.amdhsa_exception_fp_ieee_overflow 0
		.amdhsa_exception_fp_ieee_underflow 0
		.amdhsa_exception_fp_ieee_inexact 0
		.amdhsa_exception_int_div_zero 0
	.end_amdhsa_kernel
	.section	.text._ZN7rocprim17ROCPRIM_400000_NS6detail17trampoline_kernelINS0_14default_configENS1_20scan_config_selectorIN3c104HalfEEEZZNS1_9scan_implILNS1_25lookback_scan_determinismE0ELb0ELb0ES3_PKS6_PS6_S6_ZZZN2at6native31launch_logcumsumexp_cuda_kernelERKNSD_10TensorBaseESH_lENKUlvE_clEvENKUlvE3_clEvEUlS6_S6_E_S6_EEDaPvRmT3_T4_T5_mT6_P12ihipStream_tbENKUlT_T0_E_clISt17integral_constantIbLb1EESY_EEDaST_SU_EUlST_E0_NS1_11comp_targetILNS1_3genE5ELNS1_11target_archE942ELNS1_3gpuE9ELNS1_3repE0EEENS1_30default_config_static_selectorELNS0_4arch9wavefront6targetE1EEEvT1_,"axG",@progbits,_ZN7rocprim17ROCPRIM_400000_NS6detail17trampoline_kernelINS0_14default_configENS1_20scan_config_selectorIN3c104HalfEEEZZNS1_9scan_implILNS1_25lookback_scan_determinismE0ELb0ELb0ES3_PKS6_PS6_S6_ZZZN2at6native31launch_logcumsumexp_cuda_kernelERKNSD_10TensorBaseESH_lENKUlvE_clEvENKUlvE3_clEvEUlS6_S6_E_S6_EEDaPvRmT3_T4_T5_mT6_P12ihipStream_tbENKUlT_T0_E_clISt17integral_constantIbLb1EESY_EEDaST_SU_EUlST_E0_NS1_11comp_targetILNS1_3genE5ELNS1_11target_archE942ELNS1_3gpuE9ELNS1_3repE0EEENS1_30default_config_static_selectorELNS0_4arch9wavefront6targetE1EEEvT1_,comdat
.Lfunc_end390:
	.size	_ZN7rocprim17ROCPRIM_400000_NS6detail17trampoline_kernelINS0_14default_configENS1_20scan_config_selectorIN3c104HalfEEEZZNS1_9scan_implILNS1_25lookback_scan_determinismE0ELb0ELb0ES3_PKS6_PS6_S6_ZZZN2at6native31launch_logcumsumexp_cuda_kernelERKNSD_10TensorBaseESH_lENKUlvE_clEvENKUlvE3_clEvEUlS6_S6_E_S6_EEDaPvRmT3_T4_T5_mT6_P12ihipStream_tbENKUlT_T0_E_clISt17integral_constantIbLb1EESY_EEDaST_SU_EUlST_E0_NS1_11comp_targetILNS1_3genE5ELNS1_11target_archE942ELNS1_3gpuE9ELNS1_3repE0EEENS1_30default_config_static_selectorELNS0_4arch9wavefront6targetE1EEEvT1_, .Lfunc_end390-_ZN7rocprim17ROCPRIM_400000_NS6detail17trampoline_kernelINS0_14default_configENS1_20scan_config_selectorIN3c104HalfEEEZZNS1_9scan_implILNS1_25lookback_scan_determinismE0ELb0ELb0ES3_PKS6_PS6_S6_ZZZN2at6native31launch_logcumsumexp_cuda_kernelERKNSD_10TensorBaseESH_lENKUlvE_clEvENKUlvE3_clEvEUlS6_S6_E_S6_EEDaPvRmT3_T4_T5_mT6_P12ihipStream_tbENKUlT_T0_E_clISt17integral_constantIbLb1EESY_EEDaST_SU_EUlST_E0_NS1_11comp_targetILNS1_3genE5ELNS1_11target_archE942ELNS1_3gpuE9ELNS1_3repE0EEENS1_30default_config_static_selectorELNS0_4arch9wavefront6targetE1EEEvT1_
                                        ; -- End function
	.section	.AMDGPU.csdata,"",@progbits
; Kernel info:
; codeLenInByte = 0
; NumSgprs: 4
; NumVgprs: 0
; NumAgprs: 0
; TotalNumVgprs: 0
; ScratchSize: 0
; MemoryBound: 0
; FloatMode: 240
; IeeeMode: 1
; LDSByteSize: 0 bytes/workgroup (compile time only)
; SGPRBlocks: 0
; VGPRBlocks: 0
; NumSGPRsForWavesPerEU: 4
; NumVGPRsForWavesPerEU: 1
; AccumOffset: 4
; Occupancy: 8
; WaveLimiterHint : 0
; COMPUTE_PGM_RSRC2:SCRATCH_EN: 0
; COMPUTE_PGM_RSRC2:USER_SGPR: 6
; COMPUTE_PGM_RSRC2:TRAP_HANDLER: 0
; COMPUTE_PGM_RSRC2:TGID_X_EN: 1
; COMPUTE_PGM_RSRC2:TGID_Y_EN: 0
; COMPUTE_PGM_RSRC2:TGID_Z_EN: 0
; COMPUTE_PGM_RSRC2:TIDIG_COMP_CNT: 0
; COMPUTE_PGM_RSRC3_GFX90A:ACCUM_OFFSET: 0
; COMPUTE_PGM_RSRC3_GFX90A:TG_SPLIT: 0
	.section	.text._ZN7rocprim17ROCPRIM_400000_NS6detail17trampoline_kernelINS0_14default_configENS1_20scan_config_selectorIN3c104HalfEEEZZNS1_9scan_implILNS1_25lookback_scan_determinismE0ELb0ELb0ES3_PKS6_PS6_S6_ZZZN2at6native31launch_logcumsumexp_cuda_kernelERKNSD_10TensorBaseESH_lENKUlvE_clEvENKUlvE3_clEvEUlS6_S6_E_S6_EEDaPvRmT3_T4_T5_mT6_P12ihipStream_tbENKUlT_T0_E_clISt17integral_constantIbLb1EESY_EEDaST_SU_EUlST_E0_NS1_11comp_targetILNS1_3genE4ELNS1_11target_archE910ELNS1_3gpuE8ELNS1_3repE0EEENS1_30default_config_static_selectorELNS0_4arch9wavefront6targetE1EEEvT1_,"axG",@progbits,_ZN7rocprim17ROCPRIM_400000_NS6detail17trampoline_kernelINS0_14default_configENS1_20scan_config_selectorIN3c104HalfEEEZZNS1_9scan_implILNS1_25lookback_scan_determinismE0ELb0ELb0ES3_PKS6_PS6_S6_ZZZN2at6native31launch_logcumsumexp_cuda_kernelERKNSD_10TensorBaseESH_lENKUlvE_clEvENKUlvE3_clEvEUlS6_S6_E_S6_EEDaPvRmT3_T4_T5_mT6_P12ihipStream_tbENKUlT_T0_E_clISt17integral_constantIbLb1EESY_EEDaST_SU_EUlST_E0_NS1_11comp_targetILNS1_3genE4ELNS1_11target_archE910ELNS1_3gpuE8ELNS1_3repE0EEENS1_30default_config_static_selectorELNS0_4arch9wavefront6targetE1EEEvT1_,comdat
	.globl	_ZN7rocprim17ROCPRIM_400000_NS6detail17trampoline_kernelINS0_14default_configENS1_20scan_config_selectorIN3c104HalfEEEZZNS1_9scan_implILNS1_25lookback_scan_determinismE0ELb0ELb0ES3_PKS6_PS6_S6_ZZZN2at6native31launch_logcumsumexp_cuda_kernelERKNSD_10TensorBaseESH_lENKUlvE_clEvENKUlvE3_clEvEUlS6_S6_E_S6_EEDaPvRmT3_T4_T5_mT6_P12ihipStream_tbENKUlT_T0_E_clISt17integral_constantIbLb1EESY_EEDaST_SU_EUlST_E0_NS1_11comp_targetILNS1_3genE4ELNS1_11target_archE910ELNS1_3gpuE8ELNS1_3repE0EEENS1_30default_config_static_selectorELNS0_4arch9wavefront6targetE1EEEvT1_ ; -- Begin function _ZN7rocprim17ROCPRIM_400000_NS6detail17trampoline_kernelINS0_14default_configENS1_20scan_config_selectorIN3c104HalfEEEZZNS1_9scan_implILNS1_25lookback_scan_determinismE0ELb0ELb0ES3_PKS6_PS6_S6_ZZZN2at6native31launch_logcumsumexp_cuda_kernelERKNSD_10TensorBaseESH_lENKUlvE_clEvENKUlvE3_clEvEUlS6_S6_E_S6_EEDaPvRmT3_T4_T5_mT6_P12ihipStream_tbENKUlT_T0_E_clISt17integral_constantIbLb1EESY_EEDaST_SU_EUlST_E0_NS1_11comp_targetILNS1_3genE4ELNS1_11target_archE910ELNS1_3gpuE8ELNS1_3repE0EEENS1_30default_config_static_selectorELNS0_4arch9wavefront6targetE1EEEvT1_
	.p2align	8
	.type	_ZN7rocprim17ROCPRIM_400000_NS6detail17trampoline_kernelINS0_14default_configENS1_20scan_config_selectorIN3c104HalfEEEZZNS1_9scan_implILNS1_25lookback_scan_determinismE0ELb0ELb0ES3_PKS6_PS6_S6_ZZZN2at6native31launch_logcumsumexp_cuda_kernelERKNSD_10TensorBaseESH_lENKUlvE_clEvENKUlvE3_clEvEUlS6_S6_E_S6_EEDaPvRmT3_T4_T5_mT6_P12ihipStream_tbENKUlT_T0_E_clISt17integral_constantIbLb1EESY_EEDaST_SU_EUlST_E0_NS1_11comp_targetILNS1_3genE4ELNS1_11target_archE910ELNS1_3gpuE8ELNS1_3repE0EEENS1_30default_config_static_selectorELNS0_4arch9wavefront6targetE1EEEvT1_,@function
_ZN7rocprim17ROCPRIM_400000_NS6detail17trampoline_kernelINS0_14default_configENS1_20scan_config_selectorIN3c104HalfEEEZZNS1_9scan_implILNS1_25lookback_scan_determinismE0ELb0ELb0ES3_PKS6_PS6_S6_ZZZN2at6native31launch_logcumsumexp_cuda_kernelERKNSD_10TensorBaseESH_lENKUlvE_clEvENKUlvE3_clEvEUlS6_S6_E_S6_EEDaPvRmT3_T4_T5_mT6_P12ihipStream_tbENKUlT_T0_E_clISt17integral_constantIbLb1EESY_EEDaST_SU_EUlST_E0_NS1_11comp_targetILNS1_3genE4ELNS1_11target_archE910ELNS1_3gpuE8ELNS1_3repE0EEENS1_30default_config_static_selectorELNS0_4arch9wavefront6targetE1EEEvT1_: ; @_ZN7rocprim17ROCPRIM_400000_NS6detail17trampoline_kernelINS0_14default_configENS1_20scan_config_selectorIN3c104HalfEEEZZNS1_9scan_implILNS1_25lookback_scan_determinismE0ELb0ELb0ES3_PKS6_PS6_S6_ZZZN2at6native31launch_logcumsumexp_cuda_kernelERKNSD_10TensorBaseESH_lENKUlvE_clEvENKUlvE3_clEvEUlS6_S6_E_S6_EEDaPvRmT3_T4_T5_mT6_P12ihipStream_tbENKUlT_T0_E_clISt17integral_constantIbLb1EESY_EEDaST_SU_EUlST_E0_NS1_11comp_targetILNS1_3genE4ELNS1_11target_archE910ELNS1_3gpuE8ELNS1_3repE0EEENS1_30default_config_static_selectorELNS0_4arch9wavefront6targetE1EEEvT1_
; %bb.0:
	s_load_dwordx4 s[52:55], s[4:5], 0x0
	v_mov_b32_e32 v1, 0
	v_lshlrev_b32_e32 v14, 1, v0
	s_waitcnt lgkmcnt(0)
	global_load_ushort v2, v1, s[52:53]
	v_cmp_gt_u32_e64 s[2:3], s54, v0
	s_waitcnt vmcnt(0)
	v_mov_b32_e32 v3, v2
	s_mov_b64 s[0:1], exec
                                        ; implicit-def: $vgpr51 : SGPR spill to VGPR lane
	v_writelane_b32 v51, s2, 0
	v_writelane_b32 v51, s3, 1
	s_and_b64 s[2:3], s[0:1], s[2:3]
	s_mov_b64 exec, s[2:3]
	s_cbranch_execz .LBB391_2
; %bb.1:
	global_load_ushort v3, v14, s[52:53]
.LBB391_2:
	s_or_b64 exec, exec, s[0:1]
	v_or_b32_e32 v1, 64, v0
	v_mov_b32_e32 v4, v2
	v_cmp_gt_u32_e64 s[2:3], s54, v1
	s_mov_b64 s[0:1], exec
	v_writelane_b32 v51, s2, 2
	v_writelane_b32 v51, s3, 3
	s_and_b64 s[2:3], s[0:1], s[2:3]
	s_mov_b64 exec, s[2:3]
	s_cbranch_execz .LBB391_4
; %bb.3:
	global_load_ushort v4, v14, s[52:53] offset:128
.LBB391_4:
	s_or_b64 exec, exec, s[0:1]
	v_or_b32_e32 v1, 0x80, v0
	v_cmp_gt_u32_e64 s[2:3], s54, v1
	v_mov_b32_e32 v5, v2
	v_writelane_b32 v51, s2, 4
	v_writelane_b32 v51, s3, 5
	s_and_saveexec_b64 s[0:1], s[2:3]
	s_cbranch_execz .LBB391_6
; %bb.5:
	global_load_ushort v5, v14, s[52:53] offset:256
.LBB391_6:
	s_or_b64 exec, exec, s[0:1]
	v_or_b32_e32 v1, 0xc0, v0
	v_cmp_gt_u32_e64 s[46:47], s54, v1
	v_mov_b32_e32 v6, v2
	s_and_saveexec_b64 s[0:1], s[46:47]
	s_cbranch_execz .LBB391_8
; %bb.7:
	global_load_ushort v6, v14, s[52:53] offset:384
.LBB391_8:
	s_or_b64 exec, exec, s[0:1]
	v_or_b32_e32 v1, 0x100, v0
	v_cmp_gt_u32_e64 s[6:7], s54, v1
	v_mov_b32_e32 v7, v2
	;; [unrolled: 9-line block ×20, first 2 shown]
	s_and_saveexec_b64 s[0:1], s[44:45]
	s_cbranch_execz .LBB391_46
; %bb.45:
	global_load_ushort v26, v14, s[52:53] offset:2816
.LBB391_46:
	s_or_b64 exec, exec, s[0:1]
	v_or_b32_e32 v1, 0x5c0, v0
	v_cmp_gt_u32_e64 s[0:1], s54, v1
	v_writelane_b32 v51, s0, 6
	v_cmp_le_u32_e64 s[48:49], s54, v1
	v_writelane_b32 v51, s1, 7
	s_and_saveexec_b64 s[0:1], s[48:49]
	s_xor_b64 s[0:1], exec, s[0:1]
; %bb.47:
	v_mov_b32_e32 v1, 0
; %bb.48:
	s_andn2_saveexec_b64 s[0:1], s[0:1]
	s_cbranch_execz .LBB391_50
; %bb.49:
	global_load_ushort v2, v14, s[52:53] offset:2944
	v_mov_b32_e32 v1, 0
.LBB391_50:
	s_or_b64 exec, exec, s[0:1]
	s_waitcnt vmcnt(0)
	ds_write_b16 v14, v3
	ds_write_b16 v14, v4 offset:128
	ds_write_b16 v14, v5 offset:256
	;; [unrolled: 1-line block ×23, first 2 shown]
	v_mad_u32_u24 v6, v0, 46, v14
	s_waitcnt lgkmcnt(0)
	; wave barrier
	s_waitcnt lgkmcnt(0)
	ds_read_b128 v[2:5], v6
	ds_read_b128 v[10:13], v6 offset:16
	ds_read_b128 v[6:9], v6 offset:32
	s_movk_i32 s33, 0x1f8
	s_waitcnt lgkmcnt(0)
	v_cvt_f32_f16_e32 v15, v2
	v_cvt_f32_f16_sdwa v16, v2 dst_sel:DWORD dst_unused:UNUSED_PAD src0_sel:WORD_1
	v_cmp_u_f16_e64 s[94:95], v2, v2
	v_cmp_u_f16_sdwa s[48:49], v2, v2 src0_sel:WORD_1 src1_sel:WORD_1
	v_mov_b32_e32 v33, v15
	v_min_f32_e32 v29, v15, v16
	v_cndmask_b32_e64 v17, v29, v15, s[94:95]
	v_max_f32_e32 v30, v15, v16
	v_cndmask_b32_e64 v18, v17, v16, s[48:49]
	v_cndmask_b32_e64 v17, v30, v15, s[94:95]
	;; [unrolled: 1-line block ×3, first 2 shown]
	v_cmp_neq_f32_e64 s[50:51], v18, v17
	v_cmp_class_f32_e64 s[0:1], v18, s33
	s_or_b64 s[50:51], s[50:51], s[0:1]
	v_mov_b32_e32 v31, v2
	v_mov_b32_e32 v32, v2
	; wave barrier
	s_and_saveexec_b64 s[0:1], s[50:51]
	s_cbranch_execz .LBB391_52
; %bb.51:
	v_sub_f32_e32 v18, v18, v17
	s_mov_b32 s2, 0x3fb8aa3b
	v_mul_f32_e32 v19, 0x3fb8aa3b, v18
	v_fma_f32 v20, v18, s2, -v19
	v_rndne_f32_e32 v21, v19
	v_fmac_f32_e32 v20, 0x32a5705f, v18
	v_sub_f32_e32 v19, v19, v21
	v_add_f32_e32 v19, v19, v20
	v_exp_f32_e32 v19, v19
	v_cvt_i32_f32_e32 v20, v21
	s_mov_b32 s2, 0xc2ce8ed0
	v_cmp_ngt_f32_e64 s[50:51], s2, v18
	s_mov_b32 s2, 0x42b17218
	v_ldexp_f32 v19, v19, v20
	v_cndmask_b32_e64 v19, 0, v19, s[50:51]
	v_mov_b32_e32 v20, 0x7f800000
	v_cmp_nlt_f32_e64 s[50:51], s2, v18
	v_cndmask_b32_e64 v28, v20, v19, s[50:51]
	v_add_f32_e32 v20, 1.0, v28
	v_add_f32_e32 v18, -1.0, v20
	v_sub_f32_e32 v19, v18, v20
	v_add_f32_e32 v19, 1.0, v19
	v_sub_f32_e32 v18, v28, v18
	v_add_f32_e32 v21, v18, v19
	v_frexp_mant_f32_e32 v22, v20
	s_mov_b32 s2, 0x3f2aaaab
	v_cvt_f64_f32_e32 v[18:19], v20
	v_frexp_exp_i32_f64_e32 v18, v[18:19]
	v_cmp_gt_f32_e64 s[50:51], s2, v22
	v_subbrev_co_u32_e64 v26, s[50:51], 0, v18, s[50:51]
	v_sub_u32_e32 v18, 0, v26
	v_ldexp_f32 v19, v20, v18
	v_add_f32_e32 v20, -1.0, v19
	v_add_f32_e32 v22, 1.0, v19
	v_ldexp_f32 v18, v21, v18
	v_add_f32_e32 v21, 1.0, v20
	v_add_f32_e32 v23, -1.0, v22
	v_sub_f32_e32 v21, v19, v21
	v_sub_f32_e32 v19, v19, v23
	v_add_f32_e32 v21, v18, v21
	v_add_f32_e32 v18, v18, v19
	;; [unrolled: 1-line block ×3, first 2 shown]
	v_rcp_f32_e32 v32, v27
	v_sub_f32_e32 v19, v22, v27
	v_add_f32_e32 v31, v18, v19
	v_add_f32_e32 v19, v20, v21
	v_mul_f32_e32 v34, v19, v32
	v_sub_f32_e32 v18, v20, v19
	v_mul_f32_e32 v20, v27, v34
	v_fma_f32 v22, v34, v27, -v20
	v_fmac_f32_e32 v22, v34, v31
	v_add_f32_e32 v33, v21, v18
	v_add_f32_e32 v18, v20, v22
	v_sub_f32_e32 v21, v19, v18
	v_pk_add_f32 v[24:25], v[18:19], v[20:21] neg_lo:[0,1] neg_hi:[0,1]
	v_mov_b32_e32 v23, v18
	v_pk_add_f32 v[18:19], v[24:25], v[22:23] neg_lo:[0,1] neg_hi:[0,1]
	v_add_f32_e32 v19, v33, v19
	v_add_f32_e32 v18, v18, v19
	;; [unrolled: 1-line block ×3, first 2 shown]
	v_mul_f32_e32 v33, v32, v19
	v_mul_f32_e32 v20, v27, v33
	v_fma_f32 v22, v33, v27, -v20
	v_fmac_f32_e32 v22, v33, v31
	v_sub_f32_e32 v21, v21, v19
	v_add_f32_e32 v27, v18, v21
	v_add_f32_e32 v18, v20, v22
	v_sub_f32_e32 v21, v19, v18
	v_pk_add_f32 v[24:25], v[18:19], v[20:21] neg_lo:[0,1] neg_hi:[0,1]
	v_mov_b32_e32 v23, v18
	v_pk_add_f32 v[18:19], v[24:25], v[22:23] neg_lo:[0,1] neg_hi:[0,1]
	v_add_f32_e32 v19, v27, v19
	v_add_f32_e32 v18, v18, v19
	;; [unrolled: 1-line block ×4, first 2 shown]
	v_sub_f32_e32 v19, v21, v34
	v_mul_f32_e32 v18, v32, v18
	v_sub_f32_e32 v19, v33, v19
	v_add_f32_e32 v18, v19, v18
	v_add_f32_e32 v22, v21, v18
	v_mul_f32_e32 v24, v22, v22
	v_mov_b32_e32 v20, 0x3ecc95a3
	v_fmac_f32_e32 v20, 0x3e9b6dac, v24
	v_mov_b32_e32 v19, 0x3f2aaada
	v_fmac_f32_e32 v19, v24, v20
	v_cvt_f32_i32_e32 v20, v26
	v_sub_f32_e32 v21, v22, v21
	v_sub_f32_e32 v18, v18, v21
	v_ldexp_f32 v25, v18, 1
	v_mul_f32_e32 v21, v22, v24
	v_mov_b32_e32 v18, 0x3f317218
	s_mov_b32 s2, 0x3f317218
	v_pk_mul_f32 v[18:19], v[20:21], v[18:19]
	v_ldexp_f32 v23, v22, 1
	v_fma_f32 v22, v20, s2, -v18
	v_fmac_f32_e32 v22, 0xb102e308, v20
	v_pk_add_f32 v[20:21], v[18:19], v[22:23]
	v_sub_f32_e32 v23, v21, v23
	v_sub_f32_e32 v23, v19, v23
	v_add_f32_e32 v25, v25, v23
	v_mov_b32_e32 v24, v18
	v_pk_add_f32 v[18:19], v[20:21], v[18:19] neg_lo:[0,1] neg_hi:[0,1]
	v_pk_add_f32 v[26:27], v[20:21], v[24:25]
	v_mov_b32_e32 v19, v27
	v_mov_b32_e32 v23, v20
	v_pk_add_f32 v[32:33], v[22:23], v[18:19] neg_lo:[0,1] neg_hi:[0,1]
	v_pk_add_f32 v[18:19], v[22:23], v[18:19]
	v_mov_b32_e32 v22, v19
	v_pk_add_f32 v[34:35], v[22:23], v[20:21] neg_lo:[0,1] neg_hi:[0,1]
	v_mov_b32_e32 v23, v34
	v_pk_add_f32 v[36:37], v[26:27], v[22:23] neg_lo:[0,1] neg_hi:[0,1]
	v_mov_b32_e32 v18, v27
	v_mov_b32_e32 v26, v21
	;; [unrolled: 1-line block ×4, first 2 shown]
	v_pk_add_f32 v[18:19], v[18:19], v[26:27] neg_lo:[0,1] neg_hi:[0,1]
	v_mov_b32_e32 v24, v25
	v_mov_b32_e32 v25, v20
	v_pk_add_f32 v[18:19], v[24:25], v[18:19] neg_lo:[0,1] neg_hi:[0,1]
	v_mov_b32_e32 v36, v32
	v_pk_add_f32 v[20:21], v[36:37], v[18:19]
	v_mov_b32_e32 v24, v21
	v_pk_add_f32 v[24:25], v[20:21], v[24:25]
	v_pk_add_f32 v[22:23], v[22:23], v[24:25]
	v_mov_b32_e32 v21, v22
	v_pk_add_f32 v[26:27], v[20:21], v[32:33] neg_lo:[0,1] neg_hi:[0,1]
	v_mov_b32_e32 v19, v24
	v_sub_f32_e32 v20, v20, v26
	v_pk_add_f32 v[18:19], v[18:19], v[26:27] neg_lo:[0,1] neg_hi:[0,1]
	v_sub_f32_e32 v20, v32, v20
	s_mov_b32 s3, 0x7f800000
	v_add_f32_e32 v18, v18, v20
	s_mov_b32 s2, 0x33800000
	v_add_f32_e32 v18, v18, v19
	v_cmp_eq_f32_e64 s[50:51], s3, v28
	v_cmp_lt_f32_e64 s[52:53], |v28|, s2
	v_add_f32_e32 v18, v22, v18
	s_or_b64 s[50:51], s[50:51], s[52:53]
	v_cndmask_b32_e64 v18, v18, v28, s[50:51]
	v_add_f32_e32 v17, v17, v18
	v_cvt_f16_f32_e32 v31, v17
	v_cvt_f32_f16_e32 v33, v31
	v_mov_b32_e32 v32, v31
.LBB391_52:
	s_or_b64 exec, exec, s[0:1]
	v_cvt_f32_f16_e32 v17, v3
	v_max_f32_e32 v18, v33, v33
	v_cmp_u_f16_e64 s[52:53], v31, v31
	v_cmp_u_f16_e64 s[50:51], v3, v3
	v_min_f32_e32 v19, v18, v17
	v_max_f32_e32 v18, v18, v17
	v_cndmask_b32_e64 v19, v19, v33, s[52:53]
	v_cndmask_b32_e64 v18, v18, v33, s[52:53]
	;; [unrolled: 1-line block ×4, first 2 shown]
	v_cmp_neq_f32_e64 s[52:53], v19, v18
	v_cmp_class_f32_e64 s[0:1], v19, s33
	s_or_b64 s[52:53], s[52:53], s[0:1]
	s_and_saveexec_b64 s[0:1], s[52:53]
	s_cbranch_execz .LBB391_54
; %bb.53:
	v_sub_f32_e32 v19, v19, v18
	s_mov_b32 s2, 0x3fb8aa3b
	v_mul_f32_e32 v20, 0x3fb8aa3b, v19
	v_fma_f32 v21, v19, s2, -v20
	v_rndne_f32_e32 v22, v20
	v_fmac_f32_e32 v21, 0x32a5705f, v19
	v_sub_f32_e32 v20, v20, v22
	v_add_f32_e32 v20, v20, v21
	v_exp_f32_e32 v20, v20
	v_cvt_i32_f32_e32 v21, v22
	s_mov_b32 s2, 0xc2ce8ed0
	v_cmp_ngt_f32_e64 s[52:53], s2, v19
	s_mov_b32 s2, 0x42b17218
	v_ldexp_f32 v20, v20, v21
	v_cndmask_b32_e64 v20, 0, v20, s[52:53]
	v_mov_b32_e32 v21, 0x7f800000
	v_cmp_nlt_f32_e64 s[52:53], s2, v19
	v_cndmask_b32_e64 v28, v21, v20, s[52:53]
	v_add_f32_e32 v19, 1.0, v28
	v_add_f32_e32 v20, -1.0, v19
	v_sub_f32_e32 v21, v20, v19
	v_add_f32_e32 v21, 1.0, v21
	v_sub_f32_e32 v20, v28, v20
	v_add_f32_e32 v22, v20, v21
	v_frexp_mant_f32_e32 v23, v19
	s_mov_b32 s2, 0x3f2aaaab
	v_cvt_f64_f32_e32 v[20:21], v19
	v_frexp_exp_i32_f64_e32 v20, v[20:21]
	v_cmp_gt_f32_e64 s[52:53], s2, v23
	v_subbrev_co_u32_e64 v31, s[52:53], 0, v20, s[52:53]
	v_sub_u32_e32 v20, 0, v31
	v_ldexp_f32 v19, v19, v20
	v_ldexp_f32 v20, v22, v20
	v_add_f32_e32 v22, -1.0, v19
	v_add_f32_e32 v21, 1.0, v22
	v_sub_f32_e32 v21, v19, v21
	v_add_f32_e32 v23, v20, v21
	v_add_f32_e32 v21, 1.0, v19
	v_add_f32_e32 v24, -1.0, v21
	v_sub_f32_e32 v19, v19, v24
	v_add_f32_e32 v19, v20, v19
	v_add_f32_e32 v32, v21, v19
	v_rcp_f32_e32 v33, v32
	v_sub_f32_e32 v20, v21, v32
	v_add_f32_e32 v21, v22, v23
	v_add_f32_e32 v19, v19, v20
	v_mul_f32_e32 v35, v21, v33
	v_sub_f32_e32 v20, v22, v21
	v_mul_f32_e32 v22, v32, v35
	v_fma_f32 v24, v35, v32, -v22
	v_fmac_f32_e32 v24, v35, v19
	v_add_f32_e32 v34, v23, v20
	v_add_f32_e32 v20, v22, v24
	v_sub_f32_e32 v23, v21, v20
	v_pk_add_f32 v[26:27], v[20:21], v[22:23] neg_lo:[0,1] neg_hi:[0,1]
	v_mov_b32_e32 v25, v20
	v_pk_add_f32 v[20:21], v[26:27], v[24:25] neg_lo:[0,1] neg_hi:[0,1]
	v_add_f32_e32 v21, v34, v21
	v_add_f32_e32 v20, v20, v21
	;; [unrolled: 1-line block ×3, first 2 shown]
	v_mul_f32_e32 v34, v33, v21
	v_mul_f32_e32 v22, v32, v34
	v_fma_f32 v24, v34, v32, -v22
	v_fmac_f32_e32 v24, v34, v19
	v_sub_f32_e32 v19, v23, v21
	v_add_f32_e32 v19, v20, v19
	v_add_f32_e32 v20, v22, v24
	v_sub_f32_e32 v23, v21, v20
	v_pk_add_f32 v[26:27], v[20:21], v[22:23] neg_lo:[0,1] neg_hi:[0,1]
	v_mov_b32_e32 v25, v20
	v_pk_add_f32 v[20:21], v[26:27], v[24:25] neg_lo:[0,1] neg_hi:[0,1]
	v_add_f32_e32 v19, v19, v21
	v_add_f32_e32 v19, v20, v19
	v_add_f32_e32 v20, v35, v34
	v_add_f32_e32 v19, v23, v19
	v_sub_f32_e32 v21, v20, v35
	v_mul_f32_e32 v19, v33, v19
	v_sub_f32_e32 v21, v34, v21
	v_add_f32_e32 v19, v21, v19
	v_add_f32_e32 v23, v20, v19
	v_mul_f32_e32 v24, v23, v23
	v_mov_b32_e32 v22, 0x3ecc95a3
	v_fmac_f32_e32 v22, 0x3e9b6dac, v24
	v_mov_b32_e32 v21, 0x3f2aaada
	v_fmac_f32_e32 v21, v24, v22
	v_cvt_f32_i32_e32 v22, v31
	v_sub_f32_e32 v20, v23, v20
	v_sub_f32_e32 v19, v19, v20
	v_ldexp_f32 v25, v23, 1
	v_mul_f32_e32 v23, v23, v24
	v_mov_b32_e32 v20, 0x3f317218
	s_mov_b32 s2, 0x3f317218
	v_pk_mul_f32 v[20:21], v[22:23], v[20:21]
	v_fma_f32 v24, v22, s2, -v20
	v_fmac_f32_e32 v24, 0xb102e308, v22
	v_pk_add_f32 v[22:23], v[20:21], v[24:25]
	v_sub_f32_e32 v25, v23, v25
	v_ldexp_f32 v19, v19, 1
	v_sub_f32_e32 v25, v21, v25
	v_add_f32_e32 v27, v19, v25
	v_mov_b32_e32 v26, v20
	v_pk_add_f32 v[20:21], v[22:23], v[20:21] neg_lo:[0,1] neg_hi:[0,1]
	v_pk_add_f32 v[32:33], v[22:23], v[26:27]
	v_mov_b32_e32 v21, v33
	v_mov_b32_e32 v25, v22
	v_pk_add_f32 v[34:35], v[24:25], v[20:21] neg_lo:[0,1] neg_hi:[0,1]
	v_pk_add_f32 v[20:21], v[24:25], v[20:21]
	v_mov_b32_e32 v24, v21
	v_pk_add_f32 v[36:37], v[24:25], v[22:23] neg_lo:[0,1] neg_hi:[0,1]
	v_mov_b32_e32 v19, v36
	v_pk_add_f32 v[38:39], v[32:33], v[18:19] neg_lo:[0,1] neg_hi:[0,1]
	v_mov_b32_e32 v20, v33
	v_mov_b32_e32 v32, v23
	;; [unrolled: 1-line block ×4, first 2 shown]
	v_pk_add_f32 v[20:21], v[20:21], v[32:33] neg_lo:[0,1] neg_hi:[0,1]
	v_mov_b32_e32 v26, v27
	v_mov_b32_e32 v27, v22
	v_pk_add_f32 v[20:21], v[26:27], v[20:21] neg_lo:[0,1] neg_hi:[0,1]
	v_mov_b32_e32 v38, v34
	v_pk_add_f32 v[22:23], v[38:39], v[20:21]
	v_mov_b32_e32 v26, v23
	v_pk_add_f32 v[26:27], v[22:23], v[26:27]
	v_pk_add_f32 v[24:25], v[24:25], v[26:27]
	v_mov_b32_e32 v23, v24
	v_pk_add_f32 v[32:33], v[22:23], v[34:35] neg_lo:[0,1] neg_hi:[0,1]
	v_mov_b32_e32 v21, v26
	v_sub_f32_e32 v19, v22, v32
	v_pk_add_f32 v[20:21], v[20:21], v[32:33] neg_lo:[0,1] neg_hi:[0,1]
	v_sub_f32_e32 v19, v34, v19
	s_mov_b32 s3, 0x7f800000
	v_add_f32_e32 v19, v20, v19
	s_mov_b32 s2, 0x33800000
	v_add_f32_e32 v19, v19, v21
	v_cmp_eq_f32_e64 s[52:53], s3, v28
	v_cmp_lt_f32_e64 s[54:55], |v28|, s2
	v_add_f32_e32 v19, v24, v19
	s_or_b64 s[52:53], s[52:53], s[54:55]
	v_cndmask_b32_e64 v19, v19, v28, s[52:53]
	v_add_f32_e32 v18, v18, v19
	v_cvt_f16_f32_e32 v31, v18
	v_cvt_f32_f16_e32 v33, v31
	v_mov_b32_e32 v32, v31
.LBB391_54:
	s_or_b64 exec, exec, s[0:1]
	v_cvt_f32_f16_sdwa v18, v3 dst_sel:DWORD dst_unused:UNUSED_PAD src0_sel:WORD_1
	v_max_f32_e32 v20, v33, v33
	v_cmp_u_f16_e64 s[54:55], v31, v31
	v_cmp_u_f16_sdwa s[52:53], v3, v3 src0_sel:WORD_1 src1_sel:WORD_1
	v_min_f32_e32 v19, v20, v18
	v_max_f32_e32 v3, v20, v18
	v_cndmask_b32_e64 v19, v19, v33, s[54:55]
	v_cndmask_b32_e64 v3, v3, v33, s[54:55]
	;; [unrolled: 1-line block ×4, first 2 shown]
	v_cmp_neq_f32_e64 s[54:55], v19, v3
	v_cmp_class_f32_e64 s[0:1], v19, s33
	s_or_b64 s[54:55], s[54:55], s[0:1]
	s_and_saveexec_b64 s[0:1], s[54:55]
	s_cbranch_execz .LBB391_56
; %bb.55:
	v_sub_f32_e32 v19, v19, v3
	s_mov_b32 s2, 0x3fb8aa3b
	v_mul_f32_e32 v20, 0x3fb8aa3b, v19
	v_fma_f32 v21, v19, s2, -v20
	v_rndne_f32_e32 v22, v20
	v_fmac_f32_e32 v21, 0x32a5705f, v19
	v_sub_f32_e32 v20, v20, v22
	v_add_f32_e32 v20, v20, v21
	v_exp_f32_e32 v20, v20
	v_cvt_i32_f32_e32 v21, v22
	s_mov_b32 s2, 0xc2ce8ed0
	v_cmp_ngt_f32_e64 s[54:55], s2, v19
	s_mov_b32 s2, 0x42b17218
	v_ldexp_f32 v20, v20, v21
	v_cndmask_b32_e64 v20, 0, v20, s[54:55]
	v_mov_b32_e32 v21, 0x7f800000
	v_cmp_nlt_f32_e64 s[54:55], s2, v19
	v_cndmask_b32_e64 v28, v21, v20, s[54:55]
	v_add_f32_e32 v19, 1.0, v28
	v_add_f32_e32 v20, -1.0, v19
	v_sub_f32_e32 v21, v20, v19
	v_add_f32_e32 v21, 1.0, v21
	v_sub_f32_e32 v20, v28, v20
	v_add_f32_e32 v22, v20, v21
	v_frexp_mant_f32_e32 v23, v19
	s_mov_b32 s2, 0x3f2aaaab
	v_cvt_f64_f32_e32 v[20:21], v19
	v_frexp_exp_i32_f64_e32 v20, v[20:21]
	v_cmp_gt_f32_e64 s[54:55], s2, v23
	v_subbrev_co_u32_e64 v31, s[54:55], 0, v20, s[54:55]
	v_sub_u32_e32 v20, 0, v31
	v_ldexp_f32 v19, v19, v20
	v_ldexp_f32 v20, v22, v20
	v_add_f32_e32 v22, -1.0, v19
	v_add_f32_e32 v21, 1.0, v22
	v_sub_f32_e32 v21, v19, v21
	v_add_f32_e32 v23, v20, v21
	v_add_f32_e32 v21, 1.0, v19
	v_add_f32_e32 v24, -1.0, v21
	v_sub_f32_e32 v19, v19, v24
	v_add_f32_e32 v19, v20, v19
	v_add_f32_e32 v32, v21, v19
	v_rcp_f32_e32 v33, v32
	v_sub_f32_e32 v20, v21, v32
	v_add_f32_e32 v21, v22, v23
	v_add_f32_e32 v19, v19, v20
	v_mul_f32_e32 v35, v21, v33
	v_sub_f32_e32 v20, v22, v21
	v_mul_f32_e32 v22, v32, v35
	v_fma_f32 v24, v35, v32, -v22
	v_fmac_f32_e32 v24, v35, v19
	v_add_f32_e32 v34, v23, v20
	v_add_f32_e32 v20, v22, v24
	v_sub_f32_e32 v23, v21, v20
	v_pk_add_f32 v[26:27], v[20:21], v[22:23] neg_lo:[0,1] neg_hi:[0,1]
	v_mov_b32_e32 v25, v20
	v_pk_add_f32 v[20:21], v[26:27], v[24:25] neg_lo:[0,1] neg_hi:[0,1]
	v_add_f32_e32 v21, v34, v21
	v_add_f32_e32 v20, v20, v21
	;; [unrolled: 1-line block ×3, first 2 shown]
	v_mul_f32_e32 v34, v33, v21
	v_mul_f32_e32 v22, v32, v34
	v_fma_f32 v24, v34, v32, -v22
	v_fmac_f32_e32 v24, v34, v19
	v_sub_f32_e32 v19, v23, v21
	v_add_f32_e32 v19, v20, v19
	v_add_f32_e32 v20, v22, v24
	v_sub_f32_e32 v23, v21, v20
	v_pk_add_f32 v[26:27], v[20:21], v[22:23] neg_lo:[0,1] neg_hi:[0,1]
	v_mov_b32_e32 v25, v20
	v_pk_add_f32 v[20:21], v[26:27], v[24:25] neg_lo:[0,1] neg_hi:[0,1]
	v_add_f32_e32 v19, v19, v21
	v_add_f32_e32 v19, v20, v19
	;; [unrolled: 1-line block ×4, first 2 shown]
	v_sub_f32_e32 v21, v20, v35
	v_mul_f32_e32 v19, v33, v19
	v_sub_f32_e32 v21, v34, v21
	v_add_f32_e32 v19, v21, v19
	v_add_f32_e32 v23, v20, v19
	v_mul_f32_e32 v24, v23, v23
	v_mov_b32_e32 v22, 0x3ecc95a3
	v_fmac_f32_e32 v22, 0x3e9b6dac, v24
	v_mov_b32_e32 v21, 0x3f2aaada
	v_fmac_f32_e32 v21, v24, v22
	v_cvt_f32_i32_e32 v22, v31
	v_sub_f32_e32 v20, v23, v20
	v_sub_f32_e32 v19, v19, v20
	v_ldexp_f32 v25, v23, 1
	v_mul_f32_e32 v23, v23, v24
	v_mov_b32_e32 v20, 0x3f317218
	s_mov_b32 s2, 0x3f317218
	v_pk_mul_f32 v[20:21], v[22:23], v[20:21]
	v_fma_f32 v24, v22, s2, -v20
	v_fmac_f32_e32 v24, 0xb102e308, v22
	v_pk_add_f32 v[22:23], v[20:21], v[24:25]
	v_sub_f32_e32 v25, v23, v25
	v_ldexp_f32 v19, v19, 1
	v_sub_f32_e32 v25, v21, v25
	v_add_f32_e32 v27, v19, v25
	v_mov_b32_e32 v26, v20
	v_pk_add_f32 v[20:21], v[22:23], v[20:21] neg_lo:[0,1] neg_hi:[0,1]
	v_pk_add_f32 v[32:33], v[22:23], v[26:27]
	v_mov_b32_e32 v21, v33
	v_mov_b32_e32 v25, v22
	v_pk_add_f32 v[34:35], v[24:25], v[20:21] neg_lo:[0,1] neg_hi:[0,1]
	v_pk_add_f32 v[20:21], v[24:25], v[20:21]
	v_mov_b32_e32 v24, v21
	v_pk_add_f32 v[36:37], v[24:25], v[22:23] neg_lo:[0,1] neg_hi:[0,1]
	v_mov_b32_e32 v19, v36
	v_pk_add_f32 v[38:39], v[32:33], v[18:19] neg_lo:[0,1] neg_hi:[0,1]
	v_mov_b32_e32 v20, v33
	v_mov_b32_e32 v32, v23
	;; [unrolled: 1-line block ×4, first 2 shown]
	v_pk_add_f32 v[20:21], v[20:21], v[32:33] neg_lo:[0,1] neg_hi:[0,1]
	v_mov_b32_e32 v26, v27
	v_mov_b32_e32 v27, v22
	v_pk_add_f32 v[20:21], v[26:27], v[20:21] neg_lo:[0,1] neg_hi:[0,1]
	v_mov_b32_e32 v38, v34
	v_pk_add_f32 v[22:23], v[38:39], v[20:21]
	v_mov_b32_e32 v26, v23
	v_pk_add_f32 v[26:27], v[22:23], v[26:27]
	v_pk_add_f32 v[24:25], v[24:25], v[26:27]
	v_mov_b32_e32 v23, v24
	v_pk_add_f32 v[32:33], v[22:23], v[34:35] neg_lo:[0,1] neg_hi:[0,1]
	v_mov_b32_e32 v21, v26
	v_sub_f32_e32 v19, v22, v32
	v_pk_add_f32 v[20:21], v[20:21], v[32:33] neg_lo:[0,1] neg_hi:[0,1]
	v_sub_f32_e32 v19, v34, v19
	s_mov_b32 s3, 0x7f800000
	v_add_f32_e32 v19, v20, v19
	s_mov_b32 s2, 0x33800000
	v_add_f32_e32 v19, v19, v21
	v_cmp_eq_f32_e64 s[54:55], s3, v28
	v_cmp_lt_f32_e64 s[56:57], |v28|, s2
	v_add_f32_e32 v19, v24, v19
	s_or_b64 s[54:55], s[54:55], s[56:57]
	v_cndmask_b32_e64 v19, v19, v28, s[54:55]
	v_add_f32_e32 v3, v3, v19
	v_cvt_f16_f32_e32 v31, v3
	v_cvt_f32_f16_e32 v33, v31
	v_mov_b32_e32 v32, v31
.LBB391_56:
	s_or_b64 exec, exec, s[0:1]
	v_cvt_f32_f16_e32 v3, v4
	v_max_f32_e32 v19, v33, v33
	v_cmp_u_f16_e64 s[56:57], v31, v31
	v_cmp_u_f16_e64 s[54:55], v4, v4
	v_min_f32_e32 v20, v19, v3
	v_max_f32_e32 v19, v19, v3
	v_cndmask_b32_e64 v20, v20, v33, s[56:57]
	v_cndmask_b32_e64 v19, v19, v33, s[56:57]
	;; [unrolled: 1-line block ×4, first 2 shown]
	v_cmp_neq_f32_e64 s[56:57], v20, v19
	v_cmp_class_f32_e64 s[0:1], v20, s33
	s_or_b64 s[56:57], s[56:57], s[0:1]
	s_and_saveexec_b64 s[0:1], s[56:57]
	s_cbranch_execz .LBB391_58
; %bb.57:
	v_sub_f32_e32 v20, v20, v19
	s_mov_b32 s2, 0x3fb8aa3b
	v_mul_f32_e32 v21, 0x3fb8aa3b, v20
	v_fma_f32 v22, v20, s2, -v21
	v_rndne_f32_e32 v23, v21
	v_fmac_f32_e32 v22, 0x32a5705f, v20
	v_sub_f32_e32 v21, v21, v23
	v_add_f32_e32 v21, v21, v22
	v_exp_f32_e32 v21, v21
	v_cvt_i32_f32_e32 v22, v23
	s_mov_b32 s2, 0xc2ce8ed0
	v_cmp_ngt_f32_e64 s[56:57], s2, v20
	s_mov_b32 s2, 0x42b17218
	v_ldexp_f32 v21, v21, v22
	v_cndmask_b32_e64 v21, 0, v21, s[56:57]
	v_mov_b32_e32 v22, 0x7f800000
	v_cmp_nlt_f32_e64 s[56:57], s2, v20
	v_cndmask_b32_e64 v28, v22, v21, s[56:57]
	v_add_f32_e32 v22, 1.0, v28
	v_add_f32_e32 v20, -1.0, v22
	v_sub_f32_e32 v21, v20, v22
	v_add_f32_e32 v21, 1.0, v21
	v_sub_f32_e32 v20, v28, v20
	v_add_f32_e32 v23, v20, v21
	v_frexp_mant_f32_e32 v24, v22
	s_mov_b32 s2, 0x3f2aaaab
	v_cvt_f64_f32_e32 v[20:21], v22
	v_frexp_exp_i32_f64_e32 v20, v[20:21]
	v_cmp_gt_f32_e64 s[56:57], s2, v24
	v_subbrev_co_u32_e64 v31, s[56:57], 0, v20, s[56:57]
	v_sub_u32_e32 v20, 0, v31
	v_ldexp_f32 v21, v22, v20
	v_add_f32_e32 v22, -1.0, v21
	v_add_f32_e32 v24, 1.0, v21
	v_ldexp_f32 v20, v23, v20
	v_add_f32_e32 v23, 1.0, v22
	v_add_f32_e32 v25, -1.0, v24
	v_sub_f32_e32 v23, v21, v23
	v_sub_f32_e32 v21, v21, v25
	v_add_f32_e32 v23, v20, v23
	v_add_f32_e32 v20, v20, v21
	v_add_f32_e32 v32, v24, v20
	v_rcp_f32_e32 v34, v32
	v_sub_f32_e32 v21, v24, v32
	v_add_f32_e32 v33, v20, v21
	v_add_f32_e32 v21, v22, v23
	v_mul_f32_e32 v36, v21, v34
	v_sub_f32_e32 v20, v22, v21
	v_mul_f32_e32 v22, v32, v36
	v_fma_f32 v24, v36, v32, -v22
	v_fmac_f32_e32 v24, v36, v33
	v_add_f32_e32 v35, v23, v20
	v_add_f32_e32 v20, v22, v24
	v_sub_f32_e32 v23, v21, v20
	v_pk_add_f32 v[26:27], v[20:21], v[22:23] neg_lo:[0,1] neg_hi:[0,1]
	v_mov_b32_e32 v25, v20
	v_pk_add_f32 v[20:21], v[26:27], v[24:25] neg_lo:[0,1] neg_hi:[0,1]
	v_add_f32_e32 v21, v35, v21
	v_add_f32_e32 v20, v20, v21
	;; [unrolled: 1-line block ×3, first 2 shown]
	v_mul_f32_e32 v35, v34, v21
	v_mul_f32_e32 v22, v32, v35
	v_fma_f32 v24, v35, v32, -v22
	v_fmac_f32_e32 v24, v35, v33
	v_sub_f32_e32 v23, v23, v21
	v_add_f32_e32 v32, v20, v23
	v_add_f32_e32 v20, v22, v24
	v_sub_f32_e32 v23, v21, v20
	v_pk_add_f32 v[26:27], v[20:21], v[22:23] neg_lo:[0,1] neg_hi:[0,1]
	v_mov_b32_e32 v25, v20
	v_pk_add_f32 v[20:21], v[26:27], v[24:25] neg_lo:[0,1] neg_hi:[0,1]
	v_add_f32_e32 v21, v32, v21
	v_add_f32_e32 v20, v20, v21
	;; [unrolled: 1-line block ×4, first 2 shown]
	v_sub_f32_e32 v21, v23, v36
	v_mul_f32_e32 v20, v34, v20
	v_sub_f32_e32 v21, v35, v21
	v_add_f32_e32 v20, v21, v20
	v_add_f32_e32 v24, v23, v20
	v_mul_f32_e32 v26, v24, v24
	v_mov_b32_e32 v22, 0x3ecc95a3
	v_fmac_f32_e32 v22, 0x3e9b6dac, v26
	v_mov_b32_e32 v21, 0x3f2aaada
	v_fmac_f32_e32 v21, v26, v22
	v_cvt_f32_i32_e32 v22, v31
	v_sub_f32_e32 v23, v24, v23
	v_sub_f32_e32 v20, v20, v23
	v_ldexp_f32 v27, v20, 1
	v_mul_f32_e32 v23, v24, v26
	v_mov_b32_e32 v20, 0x3f317218
	s_mov_b32 s2, 0x3f317218
	v_pk_mul_f32 v[20:21], v[22:23], v[20:21]
	v_ldexp_f32 v25, v24, 1
	v_fma_f32 v24, v22, s2, -v20
	v_fmac_f32_e32 v24, 0xb102e308, v22
	v_pk_add_f32 v[22:23], v[20:21], v[24:25]
	v_sub_f32_e32 v25, v23, v25
	v_sub_f32_e32 v25, v21, v25
	v_add_f32_e32 v27, v27, v25
	v_mov_b32_e32 v26, v20
	v_pk_add_f32 v[20:21], v[22:23], v[20:21] neg_lo:[0,1] neg_hi:[0,1]
	v_pk_add_f32 v[32:33], v[22:23], v[26:27]
	v_mov_b32_e32 v21, v33
	v_mov_b32_e32 v25, v22
	v_pk_add_f32 v[34:35], v[24:25], v[20:21] neg_lo:[0,1] neg_hi:[0,1]
	v_pk_add_f32 v[20:21], v[24:25], v[20:21]
	v_mov_b32_e32 v24, v21
	v_pk_add_f32 v[36:37], v[24:25], v[22:23] neg_lo:[0,1] neg_hi:[0,1]
	v_mov_b32_e32 v25, v36
	v_pk_add_f32 v[38:39], v[32:33], v[24:25] neg_lo:[0,1] neg_hi:[0,1]
	v_mov_b32_e32 v20, v33
	v_mov_b32_e32 v32, v23
	;; [unrolled: 1-line block ×4, first 2 shown]
	v_pk_add_f32 v[20:21], v[20:21], v[32:33] neg_lo:[0,1] neg_hi:[0,1]
	v_mov_b32_e32 v26, v27
	v_mov_b32_e32 v27, v22
	v_pk_add_f32 v[20:21], v[26:27], v[20:21] neg_lo:[0,1] neg_hi:[0,1]
	v_mov_b32_e32 v38, v34
	v_pk_add_f32 v[22:23], v[38:39], v[20:21]
	v_mov_b32_e32 v26, v23
	v_pk_add_f32 v[26:27], v[22:23], v[26:27]
	v_pk_add_f32 v[24:25], v[24:25], v[26:27]
	v_mov_b32_e32 v23, v24
	v_pk_add_f32 v[32:33], v[22:23], v[34:35] neg_lo:[0,1] neg_hi:[0,1]
	v_mov_b32_e32 v21, v26
	v_sub_f32_e32 v22, v22, v32
	v_pk_add_f32 v[20:21], v[20:21], v[32:33] neg_lo:[0,1] neg_hi:[0,1]
	v_sub_f32_e32 v22, v34, v22
	s_mov_b32 s3, 0x7f800000
	v_add_f32_e32 v20, v20, v22
	s_mov_b32 s2, 0x33800000
	v_add_f32_e32 v20, v20, v21
	v_cmp_eq_f32_e64 s[56:57], s3, v28
	v_cmp_lt_f32_e64 s[58:59], |v28|, s2
	v_add_f32_e32 v20, v24, v20
	s_or_b64 s[56:57], s[56:57], s[58:59]
	v_cndmask_b32_e64 v20, v20, v28, s[56:57]
	v_add_f32_e32 v19, v19, v20
	v_cvt_f16_f32_e32 v31, v19
	v_cvt_f32_f16_e32 v33, v31
	v_mov_b32_e32 v32, v31
.LBB391_58:
	s_or_b64 exec, exec, s[0:1]
	v_cvt_f32_f16_sdwa v19, v4 dst_sel:DWORD dst_unused:UNUSED_PAD src0_sel:WORD_1
	v_max_f32_e32 v21, v33, v33
	v_cmp_u_f16_e64 s[58:59], v31, v31
	v_cmp_u_f16_sdwa s[56:57], v4, v4 src0_sel:WORD_1 src1_sel:WORD_1
	v_min_f32_e32 v20, v21, v19
	v_max_f32_e32 v4, v21, v19
	v_cndmask_b32_e64 v20, v20, v33, s[58:59]
	v_cndmask_b32_e64 v4, v4, v33, s[58:59]
	;; [unrolled: 1-line block ×4, first 2 shown]
	v_cmp_neq_f32_e64 s[58:59], v20, v4
	v_cmp_class_f32_e64 s[0:1], v20, s33
	s_or_b64 s[58:59], s[58:59], s[0:1]
	s_and_saveexec_b64 s[0:1], s[58:59]
	s_cbranch_execz .LBB391_60
; %bb.59:
	v_sub_f32_e32 v20, v20, v4
	s_mov_b32 s2, 0x3fb8aa3b
	v_mul_f32_e32 v21, 0x3fb8aa3b, v20
	v_fma_f32 v22, v20, s2, -v21
	v_rndne_f32_e32 v23, v21
	v_fmac_f32_e32 v22, 0x32a5705f, v20
	v_sub_f32_e32 v21, v21, v23
	v_add_f32_e32 v21, v21, v22
	v_exp_f32_e32 v21, v21
	v_cvt_i32_f32_e32 v22, v23
	s_mov_b32 s2, 0xc2ce8ed0
	v_cmp_ngt_f32_e64 s[58:59], s2, v20
	s_mov_b32 s2, 0x42b17218
	v_ldexp_f32 v21, v21, v22
	v_cndmask_b32_e64 v21, 0, v21, s[58:59]
	v_mov_b32_e32 v22, 0x7f800000
	v_cmp_nlt_f32_e64 s[58:59], s2, v20
	v_cndmask_b32_e64 v28, v22, v21, s[58:59]
	v_add_f32_e32 v22, 1.0, v28
	v_add_f32_e32 v20, -1.0, v22
	v_sub_f32_e32 v21, v20, v22
	v_add_f32_e32 v21, 1.0, v21
	v_sub_f32_e32 v20, v28, v20
	v_add_f32_e32 v23, v20, v21
	v_frexp_mant_f32_e32 v24, v22
	s_mov_b32 s2, 0x3f2aaaab
	v_cvt_f64_f32_e32 v[20:21], v22
	v_frexp_exp_i32_f64_e32 v20, v[20:21]
	v_cmp_gt_f32_e64 s[58:59], s2, v24
	v_subbrev_co_u32_e64 v31, s[58:59], 0, v20, s[58:59]
	v_sub_u32_e32 v20, 0, v31
	v_ldexp_f32 v21, v22, v20
	v_add_f32_e32 v22, -1.0, v21
	v_add_f32_e32 v24, 1.0, v21
	v_ldexp_f32 v20, v23, v20
	v_add_f32_e32 v23, 1.0, v22
	v_add_f32_e32 v25, -1.0, v24
	v_sub_f32_e32 v23, v21, v23
	v_sub_f32_e32 v21, v21, v25
	v_add_f32_e32 v23, v20, v23
	v_add_f32_e32 v20, v20, v21
	;; [unrolled: 1-line block ×3, first 2 shown]
	v_rcp_f32_e32 v34, v32
	v_sub_f32_e32 v21, v24, v32
	v_add_f32_e32 v33, v20, v21
	v_add_f32_e32 v21, v22, v23
	v_mul_f32_e32 v36, v21, v34
	v_sub_f32_e32 v20, v22, v21
	v_mul_f32_e32 v22, v32, v36
	v_fma_f32 v24, v36, v32, -v22
	v_fmac_f32_e32 v24, v36, v33
	v_add_f32_e32 v35, v23, v20
	v_add_f32_e32 v20, v22, v24
	v_sub_f32_e32 v23, v21, v20
	v_pk_add_f32 v[26:27], v[20:21], v[22:23] neg_lo:[0,1] neg_hi:[0,1]
	v_mov_b32_e32 v25, v20
	v_pk_add_f32 v[20:21], v[26:27], v[24:25] neg_lo:[0,1] neg_hi:[0,1]
	v_add_f32_e32 v21, v35, v21
	v_add_f32_e32 v20, v20, v21
	;; [unrolled: 1-line block ×3, first 2 shown]
	v_mul_f32_e32 v35, v34, v21
	v_mul_f32_e32 v22, v32, v35
	v_fma_f32 v24, v35, v32, -v22
	v_fmac_f32_e32 v24, v35, v33
	v_sub_f32_e32 v23, v23, v21
	v_add_f32_e32 v32, v20, v23
	v_add_f32_e32 v20, v22, v24
	v_sub_f32_e32 v23, v21, v20
	v_pk_add_f32 v[26:27], v[20:21], v[22:23] neg_lo:[0,1] neg_hi:[0,1]
	v_mov_b32_e32 v25, v20
	v_pk_add_f32 v[20:21], v[26:27], v[24:25] neg_lo:[0,1] neg_hi:[0,1]
	v_add_f32_e32 v21, v32, v21
	v_add_f32_e32 v20, v20, v21
	;; [unrolled: 1-line block ×4, first 2 shown]
	v_sub_f32_e32 v21, v23, v36
	v_mul_f32_e32 v20, v34, v20
	v_sub_f32_e32 v21, v35, v21
	v_add_f32_e32 v20, v21, v20
	v_add_f32_e32 v24, v23, v20
	v_mul_f32_e32 v26, v24, v24
	v_mov_b32_e32 v22, 0x3ecc95a3
	v_fmac_f32_e32 v22, 0x3e9b6dac, v26
	v_mov_b32_e32 v21, 0x3f2aaada
	v_fmac_f32_e32 v21, v26, v22
	v_cvt_f32_i32_e32 v22, v31
	v_sub_f32_e32 v23, v24, v23
	v_sub_f32_e32 v20, v20, v23
	v_ldexp_f32 v27, v20, 1
	v_mul_f32_e32 v23, v24, v26
	v_mov_b32_e32 v20, 0x3f317218
	s_mov_b32 s2, 0x3f317218
	v_pk_mul_f32 v[20:21], v[22:23], v[20:21]
	v_ldexp_f32 v25, v24, 1
	v_fma_f32 v24, v22, s2, -v20
	v_fmac_f32_e32 v24, 0xb102e308, v22
	v_pk_add_f32 v[22:23], v[20:21], v[24:25]
	v_sub_f32_e32 v25, v23, v25
	v_sub_f32_e32 v25, v21, v25
	v_add_f32_e32 v27, v27, v25
	v_mov_b32_e32 v26, v20
	v_pk_add_f32 v[20:21], v[22:23], v[20:21] neg_lo:[0,1] neg_hi:[0,1]
	v_pk_add_f32 v[32:33], v[22:23], v[26:27]
	v_mov_b32_e32 v21, v33
	v_mov_b32_e32 v25, v22
	v_pk_add_f32 v[34:35], v[24:25], v[20:21] neg_lo:[0,1] neg_hi:[0,1]
	v_pk_add_f32 v[20:21], v[24:25], v[20:21]
	v_mov_b32_e32 v24, v21
	v_pk_add_f32 v[36:37], v[24:25], v[22:23] neg_lo:[0,1] neg_hi:[0,1]
	v_mov_b32_e32 v25, v36
	v_pk_add_f32 v[38:39], v[32:33], v[24:25] neg_lo:[0,1] neg_hi:[0,1]
	v_mov_b32_e32 v20, v33
	v_mov_b32_e32 v32, v23
	;; [unrolled: 1-line block ×4, first 2 shown]
	v_pk_add_f32 v[20:21], v[20:21], v[32:33] neg_lo:[0,1] neg_hi:[0,1]
	v_mov_b32_e32 v26, v27
	v_mov_b32_e32 v27, v22
	v_pk_add_f32 v[20:21], v[26:27], v[20:21] neg_lo:[0,1] neg_hi:[0,1]
	v_mov_b32_e32 v38, v34
	v_pk_add_f32 v[22:23], v[38:39], v[20:21]
	v_mov_b32_e32 v26, v23
	v_pk_add_f32 v[26:27], v[22:23], v[26:27]
	v_pk_add_f32 v[24:25], v[24:25], v[26:27]
	v_mov_b32_e32 v23, v24
	v_pk_add_f32 v[32:33], v[22:23], v[34:35] neg_lo:[0,1] neg_hi:[0,1]
	v_mov_b32_e32 v21, v26
	v_sub_f32_e32 v22, v22, v32
	v_pk_add_f32 v[20:21], v[20:21], v[32:33] neg_lo:[0,1] neg_hi:[0,1]
	v_sub_f32_e32 v22, v34, v22
	s_mov_b32 s3, 0x7f800000
	v_add_f32_e32 v20, v20, v22
	s_mov_b32 s2, 0x33800000
	v_add_f32_e32 v20, v20, v21
	v_cmp_eq_f32_e64 s[58:59], s3, v28
	v_cmp_lt_f32_e64 s[60:61], |v28|, s2
	v_add_f32_e32 v20, v24, v20
	s_or_b64 s[58:59], s[58:59], s[60:61]
	v_cndmask_b32_e64 v20, v20, v28, s[58:59]
	v_add_f32_e32 v4, v4, v20
	v_cvt_f16_f32_e32 v31, v4
	v_cvt_f32_f16_e32 v33, v31
	v_mov_b32_e32 v32, v31
.LBB391_60:
	s_or_b64 exec, exec, s[0:1]
	v_cvt_f32_f16_e32 v4, v5
	v_max_f32_e32 v20, v33, v33
	v_cmp_u_f16_e64 s[60:61], v31, v31
	v_cmp_u_f16_e64 s[58:59], v5, v5
	v_min_f32_e32 v21, v20, v4
	v_max_f32_e32 v20, v20, v4
	v_cndmask_b32_e64 v21, v21, v33, s[60:61]
	v_cndmask_b32_e64 v20, v20, v33, s[60:61]
	;; [unrolled: 1-line block ×4, first 2 shown]
	v_cmp_neq_f32_e64 s[60:61], v21, v20
	v_cmp_class_f32_e64 s[0:1], v21, s33
	s_or_b64 s[60:61], s[60:61], s[0:1]
	s_and_saveexec_b64 s[0:1], s[60:61]
	s_cbranch_execz .LBB391_62
; %bb.61:
	v_sub_f32_e32 v21, v21, v20
	s_mov_b32 s2, 0x3fb8aa3b
	v_mul_f32_e32 v22, 0x3fb8aa3b, v21
	v_fma_f32 v23, v21, s2, -v22
	v_rndne_f32_e32 v24, v22
	v_fmac_f32_e32 v23, 0x32a5705f, v21
	v_sub_f32_e32 v22, v22, v24
	v_add_f32_e32 v22, v22, v23
	v_exp_f32_e32 v22, v22
	v_cvt_i32_f32_e32 v23, v24
	s_mov_b32 s2, 0xc2ce8ed0
	v_cmp_ngt_f32_e64 s[60:61], s2, v21
	s_mov_b32 s2, 0x42b17218
	v_ldexp_f32 v22, v22, v23
	v_cndmask_b32_e64 v22, 0, v22, s[60:61]
	v_mov_b32_e32 v23, 0x7f800000
	v_cmp_nlt_f32_e64 s[60:61], s2, v21
	v_cndmask_b32_e64 v31, v23, v22, s[60:61]
	v_add_f32_e32 v21, 1.0, v31
	v_add_f32_e32 v22, -1.0, v21
	v_sub_f32_e32 v23, v22, v21
	v_add_f32_e32 v23, 1.0, v23
	v_sub_f32_e32 v22, v31, v22
	v_add_f32_e32 v24, v22, v23
	v_frexp_mant_f32_e32 v25, v21
	s_mov_b32 s2, 0x3f2aaaab
	v_cvt_f64_f32_e32 v[22:23], v21
	v_frexp_exp_i32_f64_e32 v22, v[22:23]
	v_cmp_gt_f32_e64 s[60:61], s2, v25
	v_subbrev_co_u32_e64 v28, s[60:61], 0, v22, s[60:61]
	v_sub_u32_e32 v22, 0, v28
	v_ldexp_f32 v21, v21, v22
	v_ldexp_f32 v22, v24, v22
	v_add_f32_e32 v24, -1.0, v21
	v_add_f32_e32 v23, 1.0, v24
	v_sub_f32_e32 v23, v21, v23
	v_add_f32_e32 v25, v22, v23
	v_add_f32_e32 v23, 1.0, v21
	v_add_f32_e32 v26, -1.0, v23
	v_sub_f32_e32 v21, v21, v26
	v_add_f32_e32 v21, v22, v21
	v_add_f32_e32 v34, v23, v21
	v_rcp_f32_e32 v35, v34
	v_sub_f32_e32 v22, v23, v34
	v_add_f32_e32 v23, v24, v25
	v_add_f32_e32 v21, v21, v22
	v_mul_f32_e32 v37, v23, v35
	v_sub_f32_e32 v22, v24, v23
	v_mul_f32_e32 v24, v34, v37
	v_fma_f32 v26, v37, v34, -v24
	v_fmac_f32_e32 v26, v37, v21
	v_add_f32_e32 v36, v25, v22
	v_add_f32_e32 v22, v24, v26
	v_sub_f32_e32 v25, v23, v22
	v_pk_add_f32 v[32:33], v[22:23], v[24:25] neg_lo:[0,1] neg_hi:[0,1]
	v_mov_b32_e32 v27, v22
	v_pk_add_f32 v[22:23], v[32:33], v[26:27] neg_lo:[0,1] neg_hi:[0,1]
	v_add_f32_e32 v23, v36, v23
	v_add_f32_e32 v22, v22, v23
	;; [unrolled: 1-line block ×3, first 2 shown]
	v_mul_f32_e32 v36, v35, v23
	v_mul_f32_e32 v24, v34, v36
	v_fma_f32 v26, v36, v34, -v24
	v_fmac_f32_e32 v26, v36, v21
	v_sub_f32_e32 v21, v25, v23
	v_add_f32_e32 v21, v22, v21
	v_add_f32_e32 v22, v24, v26
	v_sub_f32_e32 v25, v23, v22
	v_pk_add_f32 v[32:33], v[22:23], v[24:25] neg_lo:[0,1] neg_hi:[0,1]
	v_mov_b32_e32 v27, v22
	v_pk_add_f32 v[22:23], v[32:33], v[26:27] neg_lo:[0,1] neg_hi:[0,1]
	v_add_f32_e32 v21, v21, v23
	v_add_f32_e32 v21, v22, v21
	;; [unrolled: 1-line block ×4, first 2 shown]
	v_sub_f32_e32 v23, v22, v37
	v_mul_f32_e32 v21, v35, v21
	v_sub_f32_e32 v23, v36, v23
	v_add_f32_e32 v21, v23, v21
	v_add_f32_e32 v25, v22, v21
	v_mul_f32_e32 v26, v25, v25
	v_mov_b32_e32 v24, 0x3ecc95a3
	v_fmac_f32_e32 v24, 0x3e9b6dac, v26
	v_mov_b32_e32 v23, 0x3f2aaada
	v_fmac_f32_e32 v23, v26, v24
	v_cvt_f32_i32_e32 v24, v28
	v_sub_f32_e32 v22, v25, v22
	v_sub_f32_e32 v21, v21, v22
	v_ldexp_f32 v27, v25, 1
	v_mul_f32_e32 v25, v25, v26
	v_mov_b32_e32 v22, 0x3f317218
	s_mov_b32 s2, 0x3f317218
	v_pk_mul_f32 v[22:23], v[24:25], v[22:23]
	v_fma_f32 v26, v24, s2, -v22
	v_fmac_f32_e32 v26, 0xb102e308, v24
	v_pk_add_f32 v[24:25], v[22:23], v[26:27]
	v_sub_f32_e32 v27, v25, v27
	v_ldexp_f32 v21, v21, 1
	v_sub_f32_e32 v27, v23, v27
	v_add_f32_e32 v33, v21, v27
	v_mov_b32_e32 v32, v22
	v_pk_add_f32 v[22:23], v[24:25], v[22:23] neg_lo:[0,1] neg_hi:[0,1]
	v_pk_add_f32 v[34:35], v[24:25], v[32:33]
	v_mov_b32_e32 v23, v35
	v_mov_b32_e32 v27, v24
	v_pk_add_f32 v[36:37], v[26:27], v[22:23] neg_lo:[0,1] neg_hi:[0,1]
	v_pk_add_f32 v[22:23], v[26:27], v[22:23]
	v_mov_b32_e32 v26, v23
	v_pk_add_f32 v[38:39], v[26:27], v[24:25] neg_lo:[0,1] neg_hi:[0,1]
	v_mov_b32_e32 v21, v38
	v_pk_add_f32 v[40:41], v[34:35], v[20:21] neg_lo:[0,1] neg_hi:[0,1]
	v_mov_b32_e32 v22, v35
	v_mov_b32_e32 v34, v25
	v_mov_b32_e32 v35, v38
	v_mov_b32_e32 v37, v23
	v_pk_add_f32 v[22:23], v[22:23], v[34:35] neg_lo:[0,1] neg_hi:[0,1]
	v_mov_b32_e32 v32, v33
	v_mov_b32_e32 v33, v24
	v_pk_add_f32 v[22:23], v[32:33], v[22:23] neg_lo:[0,1] neg_hi:[0,1]
	v_mov_b32_e32 v40, v36
	v_pk_add_f32 v[24:25], v[40:41], v[22:23]
	v_mov_b32_e32 v28, v25
	v_pk_add_f32 v[32:33], v[24:25], v[28:29]
	v_pk_add_f32 v[26:27], v[26:27], v[32:33]
	v_mov_b32_e32 v25, v26
	v_pk_add_f32 v[34:35], v[24:25], v[36:37] neg_lo:[0,1] neg_hi:[0,1]
	v_mov_b32_e32 v23, v32
	v_sub_f32_e32 v21, v24, v34
	v_pk_add_f32 v[22:23], v[22:23], v[34:35] neg_lo:[0,1] neg_hi:[0,1]
	v_sub_f32_e32 v21, v36, v21
	s_mov_b32 s3, 0x7f800000
	v_add_f32_e32 v21, v22, v21
	s_mov_b32 s2, 0x33800000
	v_add_f32_e32 v21, v21, v23
	v_cmp_eq_f32_e64 s[60:61], s3, v31
	v_cmp_lt_f32_e64 s[62:63], |v31|, s2
	v_add_f32_e32 v21, v26, v21
	s_or_b64 s[60:61], s[60:61], s[62:63]
	v_cndmask_b32_e64 v21, v21, v31, s[60:61]
	v_add_f32_e32 v20, v20, v21
	v_cvt_f16_f32_e32 v31, v20
	v_cvt_f32_f16_e32 v33, v31
	v_mov_b32_e32 v32, v31
.LBB391_62:
	s_or_b64 exec, exec, s[0:1]
	v_cvt_f32_f16_sdwa v20, v5 dst_sel:DWORD dst_unused:UNUSED_PAD src0_sel:WORD_1
	v_max_f32_e32 v22, v33, v33
	v_cmp_u_f16_e64 s[62:63], v31, v31
	v_cmp_u_f16_sdwa s[60:61], v5, v5 src0_sel:WORD_1 src1_sel:WORD_1
	v_min_f32_e32 v21, v22, v20
	v_max_f32_e32 v5, v22, v20
	v_cndmask_b32_e64 v21, v21, v33, s[62:63]
	v_cndmask_b32_e64 v5, v5, v33, s[62:63]
	;; [unrolled: 1-line block ×4, first 2 shown]
	v_cmp_neq_f32_e64 s[62:63], v21, v5
	v_cmp_class_f32_e64 s[0:1], v21, s33
	s_or_b64 s[62:63], s[62:63], s[0:1]
	s_and_saveexec_b64 s[0:1], s[62:63]
	s_cbranch_execz .LBB391_64
; %bb.63:
	v_sub_f32_e32 v21, v21, v5
	s_mov_b32 s2, 0x3fb8aa3b
	v_mul_f32_e32 v22, 0x3fb8aa3b, v21
	v_fma_f32 v23, v21, s2, -v22
	v_rndne_f32_e32 v24, v22
	v_fmac_f32_e32 v23, 0x32a5705f, v21
	v_sub_f32_e32 v22, v22, v24
	v_add_f32_e32 v22, v22, v23
	v_exp_f32_e32 v22, v22
	v_cvt_i32_f32_e32 v23, v24
	s_mov_b32 s2, 0xc2ce8ed0
	v_cmp_ngt_f32_e64 s[62:63], s2, v21
	s_mov_b32 s2, 0x42b17218
	v_ldexp_f32 v22, v22, v23
	v_cndmask_b32_e64 v22, 0, v22, s[62:63]
	v_mov_b32_e32 v23, 0x7f800000
	v_cmp_nlt_f32_e64 s[62:63], s2, v21
	v_cndmask_b32_e64 v31, v23, v22, s[62:63]
	v_add_f32_e32 v21, 1.0, v31
	v_add_f32_e32 v22, -1.0, v21
	v_sub_f32_e32 v23, v22, v21
	v_add_f32_e32 v23, 1.0, v23
	v_sub_f32_e32 v22, v31, v22
	v_add_f32_e32 v24, v22, v23
	v_frexp_mant_f32_e32 v25, v21
	s_mov_b32 s2, 0x3f2aaaab
	v_cvt_f64_f32_e32 v[22:23], v21
	v_frexp_exp_i32_f64_e32 v22, v[22:23]
	v_cmp_gt_f32_e64 s[62:63], s2, v25
	v_subbrev_co_u32_e64 v28, s[62:63], 0, v22, s[62:63]
	v_sub_u32_e32 v22, 0, v28
	v_ldexp_f32 v21, v21, v22
	v_ldexp_f32 v22, v24, v22
	v_add_f32_e32 v24, -1.0, v21
	v_add_f32_e32 v23, 1.0, v24
	v_sub_f32_e32 v23, v21, v23
	v_add_f32_e32 v25, v22, v23
	v_add_f32_e32 v23, 1.0, v21
	v_add_f32_e32 v26, -1.0, v23
	v_sub_f32_e32 v21, v21, v26
	v_add_f32_e32 v21, v22, v21
	v_add_f32_e32 v34, v23, v21
	v_rcp_f32_e32 v35, v34
	v_sub_f32_e32 v22, v23, v34
	v_add_f32_e32 v23, v24, v25
	v_add_f32_e32 v21, v21, v22
	v_mul_f32_e32 v37, v23, v35
	v_sub_f32_e32 v22, v24, v23
	v_mul_f32_e32 v24, v34, v37
	v_fma_f32 v26, v37, v34, -v24
	v_fmac_f32_e32 v26, v37, v21
	v_add_f32_e32 v36, v25, v22
	v_add_f32_e32 v22, v24, v26
	v_sub_f32_e32 v25, v23, v22
	v_pk_add_f32 v[32:33], v[22:23], v[24:25] neg_lo:[0,1] neg_hi:[0,1]
	v_mov_b32_e32 v27, v22
	v_pk_add_f32 v[22:23], v[32:33], v[26:27] neg_lo:[0,1] neg_hi:[0,1]
	v_add_f32_e32 v23, v36, v23
	v_add_f32_e32 v22, v22, v23
	;; [unrolled: 1-line block ×3, first 2 shown]
	v_mul_f32_e32 v36, v35, v23
	v_mul_f32_e32 v24, v34, v36
	v_fma_f32 v26, v36, v34, -v24
	v_fmac_f32_e32 v26, v36, v21
	v_sub_f32_e32 v21, v25, v23
	v_add_f32_e32 v21, v22, v21
	v_add_f32_e32 v22, v24, v26
	v_sub_f32_e32 v25, v23, v22
	v_pk_add_f32 v[32:33], v[22:23], v[24:25] neg_lo:[0,1] neg_hi:[0,1]
	v_mov_b32_e32 v27, v22
	v_pk_add_f32 v[22:23], v[32:33], v[26:27] neg_lo:[0,1] neg_hi:[0,1]
	v_add_f32_e32 v21, v21, v23
	v_add_f32_e32 v21, v22, v21
	;; [unrolled: 1-line block ×4, first 2 shown]
	v_sub_f32_e32 v23, v22, v37
	v_mul_f32_e32 v21, v35, v21
	v_sub_f32_e32 v23, v36, v23
	v_add_f32_e32 v21, v23, v21
	v_add_f32_e32 v25, v22, v21
	v_mul_f32_e32 v26, v25, v25
	v_mov_b32_e32 v24, 0x3ecc95a3
	v_fmac_f32_e32 v24, 0x3e9b6dac, v26
	v_mov_b32_e32 v23, 0x3f2aaada
	v_fmac_f32_e32 v23, v26, v24
	v_cvt_f32_i32_e32 v24, v28
	v_sub_f32_e32 v22, v25, v22
	v_sub_f32_e32 v21, v21, v22
	v_ldexp_f32 v27, v25, 1
	v_mul_f32_e32 v25, v25, v26
	v_mov_b32_e32 v22, 0x3f317218
	s_mov_b32 s2, 0x3f317218
	v_pk_mul_f32 v[22:23], v[24:25], v[22:23]
	v_fma_f32 v26, v24, s2, -v22
	v_fmac_f32_e32 v26, 0xb102e308, v24
	v_pk_add_f32 v[24:25], v[22:23], v[26:27]
	v_sub_f32_e32 v27, v25, v27
	v_ldexp_f32 v21, v21, 1
	v_sub_f32_e32 v27, v23, v27
	v_add_f32_e32 v33, v21, v27
	v_mov_b32_e32 v32, v22
	v_pk_add_f32 v[22:23], v[24:25], v[22:23] neg_lo:[0,1] neg_hi:[0,1]
	v_pk_add_f32 v[34:35], v[24:25], v[32:33]
	v_mov_b32_e32 v23, v35
	v_mov_b32_e32 v27, v24
	v_pk_add_f32 v[36:37], v[26:27], v[22:23] neg_lo:[0,1] neg_hi:[0,1]
	v_pk_add_f32 v[22:23], v[26:27], v[22:23]
	v_mov_b32_e32 v26, v23
	v_pk_add_f32 v[38:39], v[26:27], v[24:25] neg_lo:[0,1] neg_hi:[0,1]
	v_mov_b32_e32 v21, v38
	v_pk_add_f32 v[40:41], v[34:35], v[20:21] neg_lo:[0,1] neg_hi:[0,1]
	v_mov_b32_e32 v22, v35
	v_mov_b32_e32 v34, v25
	;; [unrolled: 1-line block ×4, first 2 shown]
	v_pk_add_f32 v[22:23], v[22:23], v[34:35] neg_lo:[0,1] neg_hi:[0,1]
	v_mov_b32_e32 v32, v33
	v_mov_b32_e32 v33, v24
	v_pk_add_f32 v[22:23], v[32:33], v[22:23] neg_lo:[0,1] neg_hi:[0,1]
	v_mov_b32_e32 v40, v36
	v_pk_add_f32 v[24:25], v[40:41], v[22:23]
	v_mov_b32_e32 v28, v25
	v_pk_add_f32 v[32:33], v[24:25], v[28:29]
	v_pk_add_f32 v[26:27], v[26:27], v[32:33]
	v_mov_b32_e32 v25, v26
	v_pk_add_f32 v[34:35], v[24:25], v[36:37] neg_lo:[0,1] neg_hi:[0,1]
	v_mov_b32_e32 v23, v32
	v_sub_f32_e32 v21, v24, v34
	v_pk_add_f32 v[22:23], v[22:23], v[34:35] neg_lo:[0,1] neg_hi:[0,1]
	v_sub_f32_e32 v21, v36, v21
	s_mov_b32 s3, 0x7f800000
	v_add_f32_e32 v21, v22, v21
	s_mov_b32 s2, 0x33800000
	v_add_f32_e32 v21, v21, v23
	v_cmp_eq_f32_e64 s[62:63], s3, v31
	v_cmp_lt_f32_e64 s[64:65], |v31|, s2
	v_add_f32_e32 v21, v26, v21
	s_or_b64 s[62:63], s[62:63], s[64:65]
	v_cndmask_b32_e64 v21, v21, v31, s[62:63]
	v_add_f32_e32 v5, v5, v21
	v_cvt_f16_f32_e32 v31, v5
	v_cvt_f32_f16_e32 v33, v31
	v_mov_b32_e32 v32, v31
.LBB391_64:
	s_or_b64 exec, exec, s[0:1]
	v_cvt_f32_f16_e32 v5, v10
	v_max_f32_e32 v21, v33, v33
	v_cmp_u_f16_e64 s[64:65], v31, v31
	v_cmp_u_f16_e64 s[62:63], v10, v10
	v_min_f32_e32 v22, v21, v5
	v_max_f32_e32 v21, v21, v5
	v_cndmask_b32_e64 v22, v22, v33, s[64:65]
	v_cndmask_b32_e64 v21, v21, v33, s[64:65]
	;; [unrolled: 1-line block ×4, first 2 shown]
	v_cmp_neq_f32_e64 s[64:65], v22, v21
	v_cmp_class_f32_e64 s[0:1], v22, s33
	s_or_b64 s[64:65], s[64:65], s[0:1]
	s_and_saveexec_b64 s[0:1], s[64:65]
	s_cbranch_execz .LBB391_66
; %bb.65:
	v_sub_f32_e32 v22, v22, v21
	s_mov_b32 s2, 0x3fb8aa3b
	v_mul_f32_e32 v23, 0x3fb8aa3b, v22
	v_fma_f32 v24, v22, s2, -v23
	v_rndne_f32_e32 v25, v23
	v_fmac_f32_e32 v24, 0x32a5705f, v22
	v_sub_f32_e32 v23, v23, v25
	v_add_f32_e32 v23, v23, v24
	v_exp_f32_e32 v23, v23
	v_cvt_i32_f32_e32 v24, v25
	s_mov_b32 s2, 0xc2ce8ed0
	v_cmp_ngt_f32_e64 s[64:65], s2, v22
	s_mov_b32 s2, 0x42b17218
	v_ldexp_f32 v23, v23, v24
	v_cndmask_b32_e64 v23, 0, v23, s[64:65]
	v_mov_b32_e32 v24, 0x7f800000
	v_cmp_nlt_f32_e64 s[64:65], s2, v22
	v_cndmask_b32_e64 v31, v24, v23, s[64:65]
	v_add_f32_e32 v24, 1.0, v31
	v_add_f32_e32 v22, -1.0, v24
	v_sub_f32_e32 v23, v22, v24
	v_add_f32_e32 v23, 1.0, v23
	v_sub_f32_e32 v22, v31, v22
	v_add_f32_e32 v25, v22, v23
	v_frexp_mant_f32_e32 v26, v24
	s_mov_b32 s2, 0x3f2aaaab
	v_cvt_f64_f32_e32 v[22:23], v24
	v_frexp_exp_i32_f64_e32 v22, v[22:23]
	v_cmp_gt_f32_e64 s[64:65], s2, v26
	v_subbrev_co_u32_e64 v28, s[64:65], 0, v22, s[64:65]
	v_sub_u32_e32 v22, 0, v28
	v_ldexp_f32 v23, v24, v22
	v_add_f32_e32 v24, -1.0, v23
	v_add_f32_e32 v26, 1.0, v23
	v_ldexp_f32 v22, v25, v22
	v_add_f32_e32 v25, 1.0, v24
	v_add_f32_e32 v27, -1.0, v26
	v_sub_f32_e32 v25, v23, v25
	v_sub_f32_e32 v23, v23, v27
	v_add_f32_e32 v25, v22, v25
	v_add_f32_e32 v22, v22, v23
	;; [unrolled: 1-line block ×3, first 2 shown]
	v_rcp_f32_e32 v36, v34
	v_sub_f32_e32 v23, v26, v34
	v_add_f32_e32 v35, v22, v23
	v_add_f32_e32 v23, v24, v25
	v_mul_f32_e32 v38, v23, v36
	v_sub_f32_e32 v22, v24, v23
	v_mul_f32_e32 v24, v34, v38
	v_fma_f32 v26, v38, v34, -v24
	v_fmac_f32_e32 v26, v38, v35
	v_add_f32_e32 v37, v25, v22
	v_add_f32_e32 v22, v24, v26
	v_sub_f32_e32 v25, v23, v22
	v_pk_add_f32 v[32:33], v[22:23], v[24:25] neg_lo:[0,1] neg_hi:[0,1]
	v_mov_b32_e32 v27, v22
	v_pk_add_f32 v[22:23], v[32:33], v[26:27] neg_lo:[0,1] neg_hi:[0,1]
	v_add_f32_e32 v23, v37, v23
	v_add_f32_e32 v22, v22, v23
	;; [unrolled: 1-line block ×3, first 2 shown]
	v_mul_f32_e32 v37, v36, v23
	v_mul_f32_e32 v24, v34, v37
	v_fma_f32 v26, v37, v34, -v24
	v_fmac_f32_e32 v26, v37, v35
	v_sub_f32_e32 v25, v25, v23
	v_add_f32_e32 v34, v22, v25
	v_add_f32_e32 v22, v24, v26
	v_sub_f32_e32 v25, v23, v22
	v_pk_add_f32 v[32:33], v[22:23], v[24:25] neg_lo:[0,1] neg_hi:[0,1]
	v_mov_b32_e32 v27, v22
	v_pk_add_f32 v[22:23], v[32:33], v[26:27] neg_lo:[0,1] neg_hi:[0,1]
	v_add_f32_e32 v23, v34, v23
	v_add_f32_e32 v22, v22, v23
	;; [unrolled: 1-line block ×4, first 2 shown]
	v_sub_f32_e32 v23, v25, v38
	v_mul_f32_e32 v22, v36, v22
	v_sub_f32_e32 v23, v37, v23
	v_add_f32_e32 v22, v23, v22
	v_add_f32_e32 v26, v25, v22
	v_mul_f32_e32 v32, v26, v26
	v_mov_b32_e32 v24, 0x3ecc95a3
	v_fmac_f32_e32 v24, 0x3e9b6dac, v32
	v_mov_b32_e32 v23, 0x3f2aaada
	v_fmac_f32_e32 v23, v32, v24
	v_cvt_f32_i32_e32 v24, v28
	v_sub_f32_e32 v25, v26, v25
	v_sub_f32_e32 v22, v22, v25
	v_ldexp_f32 v28, v22, 1
	v_mul_f32_e32 v25, v26, v32
	v_mov_b32_e32 v22, 0x3f317218
	s_mov_b32 s2, 0x3f317218
	v_pk_mul_f32 v[22:23], v[24:25], v[22:23]
	v_ldexp_f32 v27, v26, 1
	v_fma_f32 v26, v24, s2, -v22
	v_fmac_f32_e32 v26, 0xb102e308, v24
	v_pk_add_f32 v[24:25], v[22:23], v[26:27]
	v_sub_f32_e32 v27, v25, v27
	v_sub_f32_e32 v27, v23, v27
	v_add_f32_e32 v33, v28, v27
	v_mov_b32_e32 v32, v22
	v_pk_add_f32 v[22:23], v[24:25], v[22:23] neg_lo:[0,1] neg_hi:[0,1]
	v_pk_add_f32 v[34:35], v[24:25], v[32:33]
	v_mov_b32_e32 v23, v35
	v_mov_b32_e32 v27, v24
	v_pk_add_f32 v[36:37], v[26:27], v[22:23] neg_lo:[0,1] neg_hi:[0,1]
	v_pk_add_f32 v[22:23], v[26:27], v[22:23]
	v_mov_b32_e32 v26, v23
	v_pk_add_f32 v[38:39], v[26:27], v[24:25] neg_lo:[0,1] neg_hi:[0,1]
	v_mov_b32_e32 v27, v38
	v_pk_add_f32 v[40:41], v[34:35], v[26:27] neg_lo:[0,1] neg_hi:[0,1]
	v_mov_b32_e32 v22, v35
	v_mov_b32_e32 v34, v25
	;; [unrolled: 1-line block ×4, first 2 shown]
	v_pk_add_f32 v[22:23], v[22:23], v[34:35] neg_lo:[0,1] neg_hi:[0,1]
	v_mov_b32_e32 v32, v33
	v_mov_b32_e32 v33, v24
	v_pk_add_f32 v[22:23], v[32:33], v[22:23] neg_lo:[0,1] neg_hi:[0,1]
	v_mov_b32_e32 v40, v36
	v_pk_add_f32 v[24:25], v[40:41], v[22:23]
	v_mov_b32_e32 v28, v25
	v_pk_add_f32 v[32:33], v[24:25], v[28:29]
	v_pk_add_f32 v[26:27], v[26:27], v[32:33]
	v_mov_b32_e32 v25, v26
	v_pk_add_f32 v[34:35], v[24:25], v[36:37] neg_lo:[0,1] neg_hi:[0,1]
	v_mov_b32_e32 v23, v32
	v_sub_f32_e32 v24, v24, v34
	v_pk_add_f32 v[22:23], v[22:23], v[34:35] neg_lo:[0,1] neg_hi:[0,1]
	v_sub_f32_e32 v24, v36, v24
	s_mov_b32 s3, 0x7f800000
	v_add_f32_e32 v22, v22, v24
	s_mov_b32 s2, 0x33800000
	v_add_f32_e32 v22, v22, v23
	v_cmp_eq_f32_e64 s[64:65], s3, v31
	v_cmp_lt_f32_e64 s[66:67], |v31|, s2
	v_add_f32_e32 v22, v26, v22
	s_or_b64 s[64:65], s[64:65], s[66:67]
	v_cndmask_b32_e64 v22, v22, v31, s[64:65]
	v_add_f32_e32 v21, v21, v22
	v_cvt_f16_f32_e32 v31, v21
	v_cvt_f32_f16_e32 v33, v31
	v_mov_b32_e32 v32, v31
.LBB391_66:
	s_or_b64 exec, exec, s[0:1]
	v_cvt_f32_f16_sdwa v21, v10 dst_sel:DWORD dst_unused:UNUSED_PAD src0_sel:WORD_1
	v_max_f32_e32 v23, v33, v33
	v_cmp_u_f16_e64 s[66:67], v31, v31
	v_cmp_u_f16_sdwa s[64:65], v10, v10 src0_sel:WORD_1 src1_sel:WORD_1
	v_min_f32_e32 v22, v23, v21
	v_max_f32_e32 v10, v23, v21
	v_cndmask_b32_e64 v22, v22, v33, s[66:67]
	v_cndmask_b32_e64 v10, v10, v33, s[66:67]
	;; [unrolled: 1-line block ×4, first 2 shown]
	v_cmp_neq_f32_e64 s[66:67], v22, v10
	v_cmp_class_f32_e64 s[0:1], v22, s33
	s_or_b64 s[66:67], s[66:67], s[0:1]
	s_and_saveexec_b64 s[0:1], s[66:67]
	s_cbranch_execz .LBB391_68
; %bb.67:
	v_sub_f32_e32 v22, v22, v10
	s_mov_b32 s2, 0x3fb8aa3b
	v_mul_f32_e32 v23, 0x3fb8aa3b, v22
	v_fma_f32 v24, v22, s2, -v23
	v_rndne_f32_e32 v25, v23
	v_fmac_f32_e32 v24, 0x32a5705f, v22
	v_sub_f32_e32 v23, v23, v25
	v_add_f32_e32 v23, v23, v24
	v_exp_f32_e32 v23, v23
	v_cvt_i32_f32_e32 v24, v25
	s_mov_b32 s2, 0xc2ce8ed0
	v_cmp_ngt_f32_e64 s[66:67], s2, v22
	s_mov_b32 s2, 0x42b17218
	v_ldexp_f32 v23, v23, v24
	v_cndmask_b32_e64 v23, 0, v23, s[66:67]
	v_mov_b32_e32 v24, 0x7f800000
	v_cmp_nlt_f32_e64 s[66:67], s2, v22
	v_cndmask_b32_e64 v31, v24, v23, s[66:67]
	v_add_f32_e32 v24, 1.0, v31
	v_add_f32_e32 v22, -1.0, v24
	v_sub_f32_e32 v23, v22, v24
	v_add_f32_e32 v23, 1.0, v23
	v_sub_f32_e32 v22, v31, v22
	v_add_f32_e32 v25, v22, v23
	v_frexp_mant_f32_e32 v26, v24
	s_mov_b32 s2, 0x3f2aaaab
	v_cvt_f64_f32_e32 v[22:23], v24
	v_frexp_exp_i32_f64_e32 v22, v[22:23]
	v_cmp_gt_f32_e64 s[66:67], s2, v26
	v_subbrev_co_u32_e64 v28, s[66:67], 0, v22, s[66:67]
	v_sub_u32_e32 v22, 0, v28
	v_ldexp_f32 v23, v24, v22
	v_add_f32_e32 v24, -1.0, v23
	v_add_f32_e32 v26, 1.0, v23
	v_ldexp_f32 v22, v25, v22
	v_add_f32_e32 v25, 1.0, v24
	v_add_f32_e32 v27, -1.0, v26
	v_sub_f32_e32 v25, v23, v25
	v_sub_f32_e32 v23, v23, v27
	v_add_f32_e32 v25, v22, v25
	v_add_f32_e32 v22, v22, v23
	;; [unrolled: 1-line block ×3, first 2 shown]
	v_rcp_f32_e32 v36, v34
	v_sub_f32_e32 v23, v26, v34
	v_add_f32_e32 v35, v22, v23
	v_add_f32_e32 v23, v24, v25
	v_mul_f32_e32 v38, v23, v36
	v_sub_f32_e32 v22, v24, v23
	v_mul_f32_e32 v24, v34, v38
	v_fma_f32 v26, v38, v34, -v24
	v_fmac_f32_e32 v26, v38, v35
	v_add_f32_e32 v37, v25, v22
	v_add_f32_e32 v22, v24, v26
	v_sub_f32_e32 v25, v23, v22
	v_pk_add_f32 v[32:33], v[22:23], v[24:25] neg_lo:[0,1] neg_hi:[0,1]
	v_mov_b32_e32 v27, v22
	v_pk_add_f32 v[22:23], v[32:33], v[26:27] neg_lo:[0,1] neg_hi:[0,1]
	v_add_f32_e32 v23, v37, v23
	v_add_f32_e32 v22, v22, v23
	;; [unrolled: 1-line block ×3, first 2 shown]
	v_mul_f32_e32 v37, v36, v23
	v_mul_f32_e32 v24, v34, v37
	v_fma_f32 v26, v37, v34, -v24
	v_fmac_f32_e32 v26, v37, v35
	v_sub_f32_e32 v25, v25, v23
	v_add_f32_e32 v34, v22, v25
	v_add_f32_e32 v22, v24, v26
	v_sub_f32_e32 v25, v23, v22
	v_pk_add_f32 v[32:33], v[22:23], v[24:25] neg_lo:[0,1] neg_hi:[0,1]
	v_mov_b32_e32 v27, v22
	v_pk_add_f32 v[22:23], v[32:33], v[26:27] neg_lo:[0,1] neg_hi:[0,1]
	v_add_f32_e32 v23, v34, v23
	v_add_f32_e32 v22, v22, v23
	;; [unrolled: 1-line block ×4, first 2 shown]
	v_sub_f32_e32 v23, v25, v38
	v_mul_f32_e32 v22, v36, v22
	v_sub_f32_e32 v23, v37, v23
	v_add_f32_e32 v22, v23, v22
	v_add_f32_e32 v26, v25, v22
	v_mul_f32_e32 v32, v26, v26
	v_mov_b32_e32 v24, 0x3ecc95a3
	v_fmac_f32_e32 v24, 0x3e9b6dac, v32
	v_mov_b32_e32 v23, 0x3f2aaada
	v_fmac_f32_e32 v23, v32, v24
	v_cvt_f32_i32_e32 v24, v28
	v_sub_f32_e32 v25, v26, v25
	v_sub_f32_e32 v22, v22, v25
	v_ldexp_f32 v28, v22, 1
	v_mul_f32_e32 v25, v26, v32
	v_mov_b32_e32 v22, 0x3f317218
	s_mov_b32 s2, 0x3f317218
	v_pk_mul_f32 v[22:23], v[24:25], v[22:23]
	v_ldexp_f32 v27, v26, 1
	v_fma_f32 v26, v24, s2, -v22
	v_fmac_f32_e32 v26, 0xb102e308, v24
	v_pk_add_f32 v[24:25], v[22:23], v[26:27]
	v_sub_f32_e32 v27, v25, v27
	v_sub_f32_e32 v27, v23, v27
	v_add_f32_e32 v33, v28, v27
	v_mov_b32_e32 v32, v22
	v_pk_add_f32 v[22:23], v[24:25], v[22:23] neg_lo:[0,1] neg_hi:[0,1]
	v_pk_add_f32 v[34:35], v[24:25], v[32:33]
	v_mov_b32_e32 v23, v35
	v_mov_b32_e32 v27, v24
	v_pk_add_f32 v[36:37], v[26:27], v[22:23] neg_lo:[0,1] neg_hi:[0,1]
	v_pk_add_f32 v[22:23], v[26:27], v[22:23]
	v_mov_b32_e32 v26, v23
	v_pk_add_f32 v[38:39], v[26:27], v[24:25] neg_lo:[0,1] neg_hi:[0,1]
	v_mov_b32_e32 v27, v38
	v_pk_add_f32 v[40:41], v[34:35], v[26:27] neg_lo:[0,1] neg_hi:[0,1]
	v_mov_b32_e32 v22, v35
	v_mov_b32_e32 v34, v25
	;; [unrolled: 1-line block ×4, first 2 shown]
	v_pk_add_f32 v[22:23], v[22:23], v[34:35] neg_lo:[0,1] neg_hi:[0,1]
	v_mov_b32_e32 v32, v33
	v_mov_b32_e32 v33, v24
	v_pk_add_f32 v[22:23], v[32:33], v[22:23] neg_lo:[0,1] neg_hi:[0,1]
	v_mov_b32_e32 v40, v36
	v_pk_add_f32 v[24:25], v[40:41], v[22:23]
	v_mov_b32_e32 v28, v25
	v_pk_add_f32 v[32:33], v[24:25], v[28:29]
	v_pk_add_f32 v[26:27], v[26:27], v[32:33]
	v_mov_b32_e32 v25, v26
	v_pk_add_f32 v[34:35], v[24:25], v[36:37] neg_lo:[0,1] neg_hi:[0,1]
	v_mov_b32_e32 v23, v32
	v_sub_f32_e32 v24, v24, v34
	v_pk_add_f32 v[22:23], v[22:23], v[34:35] neg_lo:[0,1] neg_hi:[0,1]
	v_sub_f32_e32 v24, v36, v24
	s_mov_b32 s3, 0x7f800000
	v_add_f32_e32 v22, v22, v24
	s_mov_b32 s2, 0x33800000
	v_add_f32_e32 v22, v22, v23
	v_cmp_eq_f32_e64 s[66:67], s3, v31
	v_cmp_lt_f32_e64 s[68:69], |v31|, s2
	v_add_f32_e32 v22, v26, v22
	s_or_b64 s[66:67], s[66:67], s[68:69]
	v_cndmask_b32_e64 v22, v22, v31, s[66:67]
	v_add_f32_e32 v10, v10, v22
	v_cvt_f16_f32_e32 v31, v10
	v_cvt_f32_f16_e32 v33, v31
	v_mov_b32_e32 v32, v31
.LBB391_68:
	s_or_b64 exec, exec, s[0:1]
	v_cvt_f32_f16_e32 v10, v11
	v_max_f32_e32 v22, v33, v33
	v_cmp_u_f16_e64 s[68:69], v31, v31
	v_cmp_u_f16_e64 s[66:67], v11, v11
	v_min_f32_e32 v23, v22, v10
	v_max_f32_e32 v22, v22, v10
	v_cndmask_b32_e64 v23, v23, v33, s[68:69]
	v_cndmask_b32_e64 v22, v22, v33, s[68:69]
	;; [unrolled: 1-line block ×4, first 2 shown]
	v_cmp_neq_f32_e64 s[68:69], v23, v22
	v_cmp_class_f32_e64 s[0:1], v23, s33
	s_or_b64 s[68:69], s[68:69], s[0:1]
	s_and_saveexec_b64 s[0:1], s[68:69]
	s_cbranch_execz .LBB391_70
; %bb.69:
	v_sub_f32_e32 v23, v23, v22
	s_mov_b32 s2, 0x3fb8aa3b
	v_mul_f32_e32 v24, 0x3fb8aa3b, v23
	v_fma_f32 v25, v23, s2, -v24
	v_rndne_f32_e32 v26, v24
	v_fmac_f32_e32 v25, 0x32a5705f, v23
	v_sub_f32_e32 v24, v24, v26
	v_add_f32_e32 v24, v24, v25
	v_exp_f32_e32 v24, v24
	v_cvt_i32_f32_e32 v25, v26
	s_mov_b32 s2, 0xc2ce8ed0
	v_cmp_ngt_f32_e64 s[68:69], s2, v23
	s_mov_b32 s2, 0x42b17218
	v_ldexp_f32 v24, v24, v25
	v_cndmask_b32_e64 v24, 0, v24, s[68:69]
	v_mov_b32_e32 v25, 0x7f800000
	v_cmp_nlt_f32_e64 s[68:69], s2, v23
	v_cndmask_b32_e64 v31, v25, v24, s[68:69]
	v_add_f32_e32 v23, 1.0, v31
	v_add_f32_e32 v24, -1.0, v23
	v_sub_f32_e32 v25, v24, v23
	v_add_f32_e32 v25, 1.0, v25
	v_sub_f32_e32 v24, v31, v24
	v_add_f32_e32 v26, v24, v25
	v_frexp_mant_f32_e32 v27, v23
	s_mov_b32 s2, 0x3f2aaaab
	v_cvt_f64_f32_e32 v[24:25], v23
	v_frexp_exp_i32_f64_e32 v24, v[24:25]
	v_cmp_gt_f32_e64 s[68:69], s2, v27
	v_subbrev_co_u32_e64 v28, s[68:69], 0, v24, s[68:69]
	v_sub_u32_e32 v24, 0, v28
	v_ldexp_f32 v23, v23, v24
	v_ldexp_f32 v24, v26, v24
	v_add_f32_e32 v26, -1.0, v23
	v_add_f32_e32 v25, 1.0, v26
	v_sub_f32_e32 v25, v23, v25
	v_add_f32_e32 v27, v24, v25
	v_add_f32_e32 v25, 1.0, v23
	v_add_f32_e32 v32, -1.0, v25
	v_sub_f32_e32 v23, v23, v32
	v_add_f32_e32 v23, v24, v23
	v_add_f32_e32 v36, v25, v23
	v_rcp_f32_e32 v37, v36
	v_sub_f32_e32 v24, v25, v36
	v_add_f32_e32 v25, v26, v27
	v_add_f32_e32 v23, v23, v24
	v_mul_f32_e32 v39, v25, v37
	v_sub_f32_e32 v24, v26, v25
	v_mul_f32_e32 v26, v36, v39
	v_fma_f32 v32, v39, v36, -v26
	v_fmac_f32_e32 v32, v39, v23
	v_add_f32_e32 v38, v27, v24
	v_add_f32_e32 v24, v26, v32
	v_sub_f32_e32 v27, v25, v24
	v_pk_add_f32 v[34:35], v[24:25], v[26:27] neg_lo:[0,1] neg_hi:[0,1]
	v_mov_b32_e32 v33, v24
	v_pk_add_f32 v[24:25], v[34:35], v[32:33] neg_lo:[0,1] neg_hi:[0,1]
	v_add_f32_e32 v25, v38, v25
	v_add_f32_e32 v24, v24, v25
	;; [unrolled: 1-line block ×3, first 2 shown]
	v_mul_f32_e32 v38, v37, v25
	v_mul_f32_e32 v26, v36, v38
	v_fma_f32 v32, v38, v36, -v26
	v_fmac_f32_e32 v32, v38, v23
	v_sub_f32_e32 v23, v27, v25
	v_add_f32_e32 v23, v24, v23
	v_add_f32_e32 v24, v26, v32
	v_sub_f32_e32 v27, v25, v24
	v_pk_add_f32 v[34:35], v[24:25], v[26:27] neg_lo:[0,1] neg_hi:[0,1]
	v_mov_b32_e32 v33, v24
	v_pk_add_f32 v[24:25], v[34:35], v[32:33] neg_lo:[0,1] neg_hi:[0,1]
	v_add_f32_e32 v23, v23, v25
	v_add_f32_e32 v23, v24, v23
	;; [unrolled: 1-line block ×4, first 2 shown]
	v_sub_f32_e32 v25, v24, v39
	v_mul_f32_e32 v23, v37, v23
	v_sub_f32_e32 v25, v38, v25
	v_add_f32_e32 v23, v25, v23
	v_add_f32_e32 v27, v24, v23
	v_mul_f32_e32 v32, v27, v27
	v_mov_b32_e32 v26, 0x3ecc95a3
	v_fmac_f32_e32 v26, 0x3e9b6dac, v32
	v_mov_b32_e32 v25, 0x3f2aaada
	v_fmac_f32_e32 v25, v32, v26
	v_cvt_f32_i32_e32 v26, v28
	v_sub_f32_e32 v24, v27, v24
	v_sub_f32_e32 v23, v23, v24
	v_ldexp_f32 v33, v27, 1
	v_mul_f32_e32 v27, v27, v32
	v_mov_b32_e32 v24, 0x3f317218
	s_mov_b32 s2, 0x3f317218
	v_pk_mul_f32 v[24:25], v[26:27], v[24:25]
	v_fma_f32 v32, v26, s2, -v24
	v_fmac_f32_e32 v32, 0xb102e308, v26
	v_pk_add_f32 v[26:27], v[24:25], v[32:33]
	v_sub_f32_e32 v28, v27, v33
	v_ldexp_f32 v23, v23, 1
	v_sub_f32_e32 v28, v25, v28
	v_add_f32_e32 v35, v23, v28
	v_mov_b32_e32 v34, v24
	v_pk_add_f32 v[24:25], v[26:27], v[24:25] neg_lo:[0,1] neg_hi:[0,1]
	v_pk_add_f32 v[36:37], v[26:27], v[34:35]
	v_mov_b32_e32 v25, v37
	v_mov_b32_e32 v33, v26
	v_pk_add_f32 v[38:39], v[32:33], v[24:25] neg_lo:[0,1] neg_hi:[0,1]
	v_pk_add_f32 v[24:25], v[32:33], v[24:25]
	v_mov_b32_e32 v28, v25
	v_pk_add_f32 v[32:33], v[28:29], v[26:27] neg_lo:[0,1] neg_hi:[0,1]
	v_mov_b32_e32 v23, v32
	v_pk_add_f32 v[40:41], v[36:37], v[22:23] neg_lo:[0,1] neg_hi:[0,1]
	v_mov_b32_e32 v24, v37
	v_mov_b32_e32 v36, v27
	;; [unrolled: 1-line block ×4, first 2 shown]
	v_pk_add_f32 v[24:25], v[24:25], v[36:37] neg_lo:[0,1] neg_hi:[0,1]
	v_mov_b32_e32 v32, v35
	v_mov_b32_e32 v33, v26
	v_pk_add_f32 v[24:25], v[32:33], v[24:25] neg_lo:[0,1] neg_hi:[0,1]
	v_mov_b32_e32 v40, v38
	v_pk_add_f32 v[26:27], v[40:41], v[24:25]
	v_mov_b32_e32 v32, v27
	v_pk_add_f32 v[32:33], v[26:27], v[32:33]
	v_pk_add_f32 v[34:35], v[28:29], v[32:33]
	v_mov_b32_e32 v27, v34
	v_pk_add_f32 v[36:37], v[26:27], v[38:39] neg_lo:[0,1] neg_hi:[0,1]
	v_mov_b32_e32 v25, v32
	v_sub_f32_e32 v23, v26, v36
	v_pk_add_f32 v[24:25], v[24:25], v[36:37] neg_lo:[0,1] neg_hi:[0,1]
	v_sub_f32_e32 v23, v38, v23
	s_mov_b32 s3, 0x7f800000
	v_add_f32_e32 v23, v24, v23
	s_mov_b32 s2, 0x33800000
	v_add_f32_e32 v23, v23, v25
	v_cmp_eq_f32_e64 s[68:69], s3, v31
	v_cmp_lt_f32_e64 s[70:71], |v31|, s2
	v_add_f32_e32 v23, v34, v23
	s_or_b64 s[68:69], s[68:69], s[70:71]
	v_cndmask_b32_e64 v23, v23, v31, s[68:69]
	v_add_f32_e32 v22, v22, v23
	v_cvt_f16_f32_e32 v31, v22
	v_cvt_f32_f16_e32 v33, v31
	v_mov_b32_e32 v32, v31
.LBB391_70:
	s_or_b64 exec, exec, s[0:1]
	v_cvt_f32_f16_sdwa v22, v11 dst_sel:DWORD dst_unused:UNUSED_PAD src0_sel:WORD_1
	v_max_f32_e32 v24, v33, v33
	v_cmp_u_f16_e64 s[70:71], v31, v31
	v_cmp_u_f16_sdwa s[68:69], v11, v11 src0_sel:WORD_1 src1_sel:WORD_1
	v_min_f32_e32 v23, v24, v22
	v_max_f32_e32 v11, v24, v22
	v_cndmask_b32_e64 v23, v23, v33, s[70:71]
	v_cndmask_b32_e64 v11, v11, v33, s[70:71]
	;; [unrolled: 1-line block ×4, first 2 shown]
	v_cmp_neq_f32_e64 s[70:71], v23, v11
	v_cmp_class_f32_e64 s[0:1], v23, s33
	s_or_b64 s[70:71], s[70:71], s[0:1]
	s_and_saveexec_b64 s[0:1], s[70:71]
	s_cbranch_execz .LBB391_72
; %bb.71:
	v_sub_f32_e32 v23, v23, v11
	s_mov_b32 s2, 0x3fb8aa3b
	v_mul_f32_e32 v24, 0x3fb8aa3b, v23
	v_fma_f32 v25, v23, s2, -v24
	v_rndne_f32_e32 v26, v24
	v_fmac_f32_e32 v25, 0x32a5705f, v23
	v_sub_f32_e32 v24, v24, v26
	v_add_f32_e32 v24, v24, v25
	v_exp_f32_e32 v24, v24
	v_cvt_i32_f32_e32 v25, v26
	s_mov_b32 s2, 0xc2ce8ed0
	v_cmp_ngt_f32_e64 s[70:71], s2, v23
	s_mov_b32 s2, 0x42b17218
	v_ldexp_f32 v24, v24, v25
	v_cndmask_b32_e64 v24, 0, v24, s[70:71]
	v_mov_b32_e32 v25, 0x7f800000
	v_cmp_nlt_f32_e64 s[70:71], s2, v23
	v_cndmask_b32_e64 v31, v25, v24, s[70:71]
	v_add_f32_e32 v23, 1.0, v31
	v_add_f32_e32 v24, -1.0, v23
	v_sub_f32_e32 v25, v24, v23
	v_add_f32_e32 v25, 1.0, v25
	v_sub_f32_e32 v24, v31, v24
	v_add_f32_e32 v26, v24, v25
	v_frexp_mant_f32_e32 v27, v23
	s_mov_b32 s2, 0x3f2aaaab
	v_cvt_f64_f32_e32 v[24:25], v23
	v_frexp_exp_i32_f64_e32 v24, v[24:25]
	v_cmp_gt_f32_e64 s[70:71], s2, v27
	v_subbrev_co_u32_e64 v28, s[70:71], 0, v24, s[70:71]
	v_sub_u32_e32 v24, 0, v28
	v_ldexp_f32 v23, v23, v24
	v_ldexp_f32 v24, v26, v24
	v_add_f32_e32 v26, -1.0, v23
	v_add_f32_e32 v25, 1.0, v26
	v_sub_f32_e32 v25, v23, v25
	v_add_f32_e32 v27, v24, v25
	v_add_f32_e32 v25, 1.0, v23
	v_add_f32_e32 v32, -1.0, v25
	v_sub_f32_e32 v23, v23, v32
	v_add_f32_e32 v23, v24, v23
	v_add_f32_e32 v36, v25, v23
	v_rcp_f32_e32 v37, v36
	v_sub_f32_e32 v24, v25, v36
	v_add_f32_e32 v25, v26, v27
	v_add_f32_e32 v23, v23, v24
	v_mul_f32_e32 v39, v25, v37
	v_sub_f32_e32 v24, v26, v25
	v_mul_f32_e32 v26, v36, v39
	v_fma_f32 v32, v39, v36, -v26
	v_fmac_f32_e32 v32, v39, v23
	v_add_f32_e32 v38, v27, v24
	v_add_f32_e32 v24, v26, v32
	v_sub_f32_e32 v27, v25, v24
	v_pk_add_f32 v[34:35], v[24:25], v[26:27] neg_lo:[0,1] neg_hi:[0,1]
	v_mov_b32_e32 v33, v24
	v_pk_add_f32 v[24:25], v[34:35], v[32:33] neg_lo:[0,1] neg_hi:[0,1]
	v_add_f32_e32 v25, v38, v25
	v_add_f32_e32 v24, v24, v25
	;; [unrolled: 1-line block ×3, first 2 shown]
	v_mul_f32_e32 v38, v37, v25
	v_mul_f32_e32 v26, v36, v38
	v_fma_f32 v32, v38, v36, -v26
	v_fmac_f32_e32 v32, v38, v23
	v_sub_f32_e32 v23, v27, v25
	v_add_f32_e32 v23, v24, v23
	v_add_f32_e32 v24, v26, v32
	v_sub_f32_e32 v27, v25, v24
	v_pk_add_f32 v[34:35], v[24:25], v[26:27] neg_lo:[0,1] neg_hi:[0,1]
	v_mov_b32_e32 v33, v24
	v_pk_add_f32 v[24:25], v[34:35], v[32:33] neg_lo:[0,1] neg_hi:[0,1]
	v_add_f32_e32 v23, v23, v25
	v_add_f32_e32 v23, v24, v23
	;; [unrolled: 1-line block ×4, first 2 shown]
	v_sub_f32_e32 v25, v24, v39
	v_mul_f32_e32 v23, v37, v23
	v_sub_f32_e32 v25, v38, v25
	v_add_f32_e32 v23, v25, v23
	v_add_f32_e32 v27, v24, v23
	v_mul_f32_e32 v32, v27, v27
	v_mov_b32_e32 v26, 0x3ecc95a3
	v_fmac_f32_e32 v26, 0x3e9b6dac, v32
	v_mov_b32_e32 v25, 0x3f2aaada
	v_fmac_f32_e32 v25, v32, v26
	v_cvt_f32_i32_e32 v26, v28
	v_sub_f32_e32 v24, v27, v24
	v_sub_f32_e32 v23, v23, v24
	v_ldexp_f32 v33, v27, 1
	v_mul_f32_e32 v27, v27, v32
	v_mov_b32_e32 v24, 0x3f317218
	s_mov_b32 s2, 0x3f317218
	v_pk_mul_f32 v[24:25], v[26:27], v[24:25]
	v_fma_f32 v32, v26, s2, -v24
	v_fmac_f32_e32 v32, 0xb102e308, v26
	v_pk_add_f32 v[26:27], v[24:25], v[32:33]
	v_sub_f32_e32 v28, v27, v33
	v_ldexp_f32 v23, v23, 1
	v_sub_f32_e32 v28, v25, v28
	v_add_f32_e32 v35, v23, v28
	v_mov_b32_e32 v34, v24
	v_pk_add_f32 v[24:25], v[26:27], v[24:25] neg_lo:[0,1] neg_hi:[0,1]
	v_pk_add_f32 v[36:37], v[26:27], v[34:35]
	v_mov_b32_e32 v25, v37
	v_mov_b32_e32 v33, v26
	v_pk_add_f32 v[38:39], v[32:33], v[24:25] neg_lo:[0,1] neg_hi:[0,1]
	v_pk_add_f32 v[24:25], v[32:33], v[24:25]
	v_mov_b32_e32 v28, v25
	v_pk_add_f32 v[32:33], v[28:29], v[26:27] neg_lo:[0,1] neg_hi:[0,1]
	v_mov_b32_e32 v23, v32
	v_pk_add_f32 v[40:41], v[36:37], v[22:23] neg_lo:[0,1] neg_hi:[0,1]
	v_mov_b32_e32 v24, v37
	v_mov_b32_e32 v36, v27
	;; [unrolled: 1-line block ×4, first 2 shown]
	v_pk_add_f32 v[24:25], v[24:25], v[36:37] neg_lo:[0,1] neg_hi:[0,1]
	v_mov_b32_e32 v32, v35
	v_mov_b32_e32 v33, v26
	v_pk_add_f32 v[24:25], v[32:33], v[24:25] neg_lo:[0,1] neg_hi:[0,1]
	v_mov_b32_e32 v40, v38
	v_pk_add_f32 v[26:27], v[40:41], v[24:25]
	v_mov_b32_e32 v32, v27
	v_pk_add_f32 v[32:33], v[26:27], v[32:33]
	v_pk_add_f32 v[34:35], v[28:29], v[32:33]
	v_mov_b32_e32 v27, v34
	v_pk_add_f32 v[36:37], v[26:27], v[38:39] neg_lo:[0,1] neg_hi:[0,1]
	v_mov_b32_e32 v25, v32
	v_sub_f32_e32 v23, v26, v36
	v_pk_add_f32 v[24:25], v[24:25], v[36:37] neg_lo:[0,1] neg_hi:[0,1]
	v_sub_f32_e32 v23, v38, v23
	s_mov_b32 s3, 0x7f800000
	v_add_f32_e32 v23, v24, v23
	s_mov_b32 s2, 0x33800000
	v_add_f32_e32 v23, v23, v25
	v_cmp_eq_f32_e64 s[70:71], s3, v31
	v_cmp_lt_f32_e64 s[72:73], |v31|, s2
	v_add_f32_e32 v23, v34, v23
	s_or_b64 s[70:71], s[70:71], s[72:73]
	v_cndmask_b32_e64 v23, v23, v31, s[70:71]
	v_add_f32_e32 v11, v11, v23
	v_cvt_f16_f32_e32 v31, v11
	v_cvt_f32_f16_e32 v33, v31
	v_mov_b32_e32 v32, v31
.LBB391_72:
	s_or_b64 exec, exec, s[0:1]
	v_cvt_f32_f16_e32 v11, v12
	v_max_f32_e32 v23, v33, v33
	v_cmp_u_f16_e64 s[72:73], v31, v31
	v_cmp_u_f16_e64 s[70:71], v12, v12
	v_min_f32_e32 v24, v23, v11
	v_max_f32_e32 v23, v23, v11
	v_cndmask_b32_e64 v24, v24, v33, s[72:73]
	v_cndmask_b32_e64 v23, v23, v33, s[72:73]
	;; [unrolled: 1-line block ×4, first 2 shown]
	v_cmp_neq_f32_e64 s[72:73], v24, v23
	v_cmp_class_f32_e64 s[0:1], v24, s33
	s_or_b64 s[72:73], s[72:73], s[0:1]
	s_and_saveexec_b64 s[0:1], s[72:73]
	s_cbranch_execz .LBB391_74
; %bb.73:
	v_sub_f32_e32 v24, v24, v23
	s_mov_b32 s2, 0x3fb8aa3b
	v_mul_f32_e32 v25, 0x3fb8aa3b, v24
	v_fma_f32 v26, v24, s2, -v25
	v_rndne_f32_e32 v27, v25
	v_fmac_f32_e32 v26, 0x32a5705f, v24
	v_sub_f32_e32 v25, v25, v27
	v_add_f32_e32 v25, v25, v26
	v_exp_f32_e32 v25, v25
	v_cvt_i32_f32_e32 v26, v27
	s_mov_b32 s2, 0xc2ce8ed0
	v_cmp_ngt_f32_e64 s[72:73], s2, v24
	s_mov_b32 s2, 0x42b17218
	v_ldexp_f32 v25, v25, v26
	v_cndmask_b32_e64 v25, 0, v25, s[72:73]
	v_mov_b32_e32 v26, 0x7f800000
	v_cmp_nlt_f32_e64 s[72:73], s2, v24
	v_cndmask_b32_e64 v42, v26, v25, s[72:73]
	v_add_f32_e32 v26, 1.0, v42
	v_add_f32_e32 v24, -1.0, v26
	v_sub_f32_e32 v25, v24, v26
	v_add_f32_e32 v25, 1.0, v25
	v_sub_f32_e32 v24, v42, v24
	v_add_f32_e32 v27, v24, v25
	v_frexp_mant_f32_e32 v28, v26
	s_mov_b32 s2, 0x3f2aaaab
	v_cvt_f64_f32_e32 v[24:25], v26
	v_frexp_exp_i32_f64_e32 v24, v[24:25]
	v_cmp_gt_f32_e64 s[72:73], s2, v28
	v_subbrev_co_u32_e64 v28, s[72:73], 0, v24, s[72:73]
	v_sub_u32_e32 v24, 0, v28
	v_ldexp_f32 v25, v26, v24
	v_add_f32_e32 v26, -1.0, v25
	v_add_f32_e32 v31, 1.0, v25
	v_ldexp_f32 v24, v27, v24
	v_add_f32_e32 v27, 1.0, v26
	v_add_f32_e32 v32, -1.0, v31
	v_sub_f32_e32 v27, v25, v27
	v_sub_f32_e32 v25, v25, v32
	v_add_f32_e32 v27, v24, v27
	v_add_f32_e32 v24, v24, v25
	;; [unrolled: 1-line block ×3, first 2 shown]
	v_rcp_f32_e32 v37, v36
	v_sub_f32_e32 v25, v31, v36
	v_add_f32_e32 v31, v24, v25
	v_add_f32_e32 v25, v26, v27
	v_mul_f32_e32 v39, v25, v37
	v_sub_f32_e32 v24, v26, v25
	v_mul_f32_e32 v26, v36, v39
	v_fma_f32 v32, v39, v36, -v26
	v_fmac_f32_e32 v32, v39, v31
	v_add_f32_e32 v38, v27, v24
	v_add_f32_e32 v24, v26, v32
	v_sub_f32_e32 v27, v25, v24
	v_pk_add_f32 v[34:35], v[24:25], v[26:27] neg_lo:[0,1] neg_hi:[0,1]
	v_mov_b32_e32 v33, v24
	v_pk_add_f32 v[24:25], v[34:35], v[32:33] neg_lo:[0,1] neg_hi:[0,1]
	v_add_f32_e32 v25, v38, v25
	v_add_f32_e32 v24, v24, v25
	;; [unrolled: 1-line block ×3, first 2 shown]
	v_mul_f32_e32 v38, v37, v25
	v_mul_f32_e32 v26, v36, v38
	v_fma_f32 v32, v38, v36, -v26
	v_fmac_f32_e32 v32, v38, v31
	v_sub_f32_e32 v27, v27, v25
	v_add_f32_e32 v31, v24, v27
	v_add_f32_e32 v24, v26, v32
	v_sub_f32_e32 v27, v25, v24
	v_pk_add_f32 v[34:35], v[24:25], v[26:27] neg_lo:[0,1] neg_hi:[0,1]
	v_mov_b32_e32 v33, v24
	v_pk_add_f32 v[24:25], v[34:35], v[32:33] neg_lo:[0,1] neg_hi:[0,1]
	v_add_f32_e32 v25, v31, v25
	v_add_f32_e32 v24, v24, v25
	;; [unrolled: 1-line block ×4, first 2 shown]
	v_sub_f32_e32 v25, v27, v39
	v_mul_f32_e32 v24, v37, v24
	v_sub_f32_e32 v25, v38, v25
	v_add_f32_e32 v24, v25, v24
	v_add_f32_e32 v31, v27, v24
	v_mul_f32_e32 v32, v31, v31
	v_mov_b32_e32 v26, 0x3ecc95a3
	v_fmac_f32_e32 v26, 0x3e9b6dac, v32
	v_mov_b32_e32 v25, 0x3f2aaada
	v_fmac_f32_e32 v25, v32, v26
	v_cvt_f32_i32_e32 v26, v28
	v_sub_f32_e32 v27, v31, v27
	v_sub_f32_e32 v24, v24, v27
	v_ldexp_f32 v28, v24, 1
	v_mul_f32_e32 v27, v31, v32
	v_mov_b32_e32 v24, 0x3f317218
	s_mov_b32 s2, 0x3f317218
	v_pk_mul_f32 v[24:25], v[26:27], v[24:25]
	v_fma_f32 v32, v26, s2, -v24
	v_ldexp_f32 v33, v31, 1
	v_fmac_f32_e32 v32, 0xb102e308, v26
	v_pk_add_f32 v[26:27], v[24:25], v[32:33]
	v_sub_f32_e32 v31, v27, v33
	v_sub_f32_e32 v31, v25, v31
	v_add_f32_e32 v35, v28, v31
	v_mov_b32_e32 v34, v24
	v_pk_add_f32 v[24:25], v[26:27], v[24:25] neg_lo:[0,1] neg_hi:[0,1]
	v_pk_add_f32 v[36:37], v[26:27], v[34:35]
	v_mov_b32_e32 v25, v37
	v_mov_b32_e32 v33, v26
	v_pk_add_f32 v[38:39], v[32:33], v[24:25] neg_lo:[0,1] neg_hi:[0,1]
	v_pk_add_f32 v[24:25], v[32:33], v[24:25]
	v_mov_b32_e32 v28, v25
	v_pk_add_f32 v[32:33], v[28:29], v[26:27] neg_lo:[0,1] neg_hi:[0,1]
	v_mov_b32_e32 v31, v32
	v_pk_add_f32 v[40:41], v[36:37], v[30:31] neg_lo:[0,1] neg_hi:[0,1]
	v_mov_b32_e32 v24, v37
	v_mov_b32_e32 v36, v27
	;; [unrolled: 1-line block ×4, first 2 shown]
	v_pk_add_f32 v[24:25], v[24:25], v[36:37] neg_lo:[0,1] neg_hi:[0,1]
	v_mov_b32_e32 v32, v35
	v_mov_b32_e32 v33, v26
	v_pk_add_f32 v[24:25], v[32:33], v[24:25] neg_lo:[0,1] neg_hi:[0,1]
	v_mov_b32_e32 v40, v38
	v_pk_add_f32 v[26:27], v[40:41], v[24:25]
	v_mov_b32_e32 v32, v27
	v_pk_add_f32 v[32:33], v[26:27], v[32:33]
	v_pk_add_f32 v[34:35], v[28:29], v[32:33]
	v_mov_b32_e32 v27, v34
	v_pk_add_f32 v[36:37], v[26:27], v[38:39] neg_lo:[0,1] neg_hi:[0,1]
	v_mov_b32_e32 v25, v32
	v_sub_f32_e32 v26, v26, v36
	v_pk_add_f32 v[24:25], v[24:25], v[36:37] neg_lo:[0,1] neg_hi:[0,1]
	v_sub_f32_e32 v26, v38, v26
	s_mov_b32 s3, 0x7f800000
	v_add_f32_e32 v24, v24, v26
	s_mov_b32 s2, 0x33800000
	v_add_f32_e32 v24, v24, v25
	v_cmp_eq_f32_e64 s[72:73], s3, v42
	v_cmp_lt_f32_e64 s[74:75], |v42|, s2
	v_add_f32_e32 v24, v34, v24
	s_or_b64 s[72:73], s[72:73], s[74:75]
	v_cndmask_b32_e64 v24, v24, v42, s[72:73]
	v_add_f32_e32 v23, v23, v24
	v_cvt_f16_f32_e32 v31, v23
	v_cvt_f32_f16_e32 v33, v31
	v_mov_b32_e32 v32, v31
.LBB391_74:
	s_or_b64 exec, exec, s[0:1]
	v_cvt_f32_f16_sdwa v23, v12 dst_sel:DWORD dst_unused:UNUSED_PAD src0_sel:WORD_1
	v_max_f32_e32 v25, v33, v33
	v_cmp_u_f16_e64 s[74:75], v31, v31
	v_cmp_u_f16_sdwa s[72:73], v12, v12 src0_sel:WORD_1 src1_sel:WORD_1
	v_min_f32_e32 v24, v25, v23
	v_max_f32_e32 v12, v25, v23
	v_cndmask_b32_e64 v24, v24, v33, s[74:75]
	v_cndmask_b32_e64 v12, v12, v33, s[74:75]
	;; [unrolled: 1-line block ×4, first 2 shown]
	v_cmp_neq_f32_e64 s[74:75], v24, v12
	v_cmp_class_f32_e64 s[0:1], v24, s33
	s_or_b64 s[74:75], s[74:75], s[0:1]
	s_and_saveexec_b64 s[0:1], s[74:75]
	s_cbranch_execz .LBB391_76
; %bb.75:
	v_sub_f32_e32 v24, v24, v12
	s_mov_b32 s2, 0x3fb8aa3b
	v_mul_f32_e32 v25, 0x3fb8aa3b, v24
	v_fma_f32 v26, v24, s2, -v25
	v_rndne_f32_e32 v27, v25
	v_fmac_f32_e32 v26, 0x32a5705f, v24
	v_sub_f32_e32 v25, v25, v27
	v_add_f32_e32 v25, v25, v26
	v_exp_f32_e32 v25, v25
	v_cvt_i32_f32_e32 v26, v27
	s_mov_b32 s2, 0xc2ce8ed0
	v_cmp_ngt_f32_e64 s[74:75], s2, v24
	s_mov_b32 s2, 0x42b17218
	v_ldexp_f32 v25, v25, v26
	v_cndmask_b32_e64 v25, 0, v25, s[74:75]
	v_mov_b32_e32 v26, 0x7f800000
	v_cmp_nlt_f32_e64 s[74:75], s2, v24
	v_cndmask_b32_e64 v42, v26, v25, s[74:75]
	v_add_f32_e32 v26, 1.0, v42
	v_add_f32_e32 v24, -1.0, v26
	v_sub_f32_e32 v25, v24, v26
	v_add_f32_e32 v25, 1.0, v25
	v_sub_f32_e32 v24, v42, v24
	v_add_f32_e32 v27, v24, v25
	v_frexp_mant_f32_e32 v28, v26
	s_mov_b32 s2, 0x3f2aaaab
	v_cvt_f64_f32_e32 v[24:25], v26
	v_frexp_exp_i32_f64_e32 v24, v[24:25]
	v_cmp_gt_f32_e64 s[74:75], s2, v28
	v_subbrev_co_u32_e64 v28, s[74:75], 0, v24, s[74:75]
	v_sub_u32_e32 v24, 0, v28
	v_ldexp_f32 v25, v26, v24
	v_add_f32_e32 v26, -1.0, v25
	v_add_f32_e32 v31, 1.0, v25
	v_ldexp_f32 v24, v27, v24
	v_add_f32_e32 v27, 1.0, v26
	v_add_f32_e32 v32, -1.0, v31
	v_sub_f32_e32 v27, v25, v27
	v_sub_f32_e32 v25, v25, v32
	v_add_f32_e32 v27, v24, v27
	v_add_f32_e32 v24, v24, v25
	;; [unrolled: 1-line block ×3, first 2 shown]
	v_rcp_f32_e32 v37, v36
	v_sub_f32_e32 v25, v31, v36
	v_add_f32_e32 v31, v24, v25
	v_add_f32_e32 v25, v26, v27
	v_mul_f32_e32 v39, v25, v37
	v_sub_f32_e32 v24, v26, v25
	v_mul_f32_e32 v26, v36, v39
	v_fma_f32 v32, v39, v36, -v26
	v_fmac_f32_e32 v32, v39, v31
	v_add_f32_e32 v38, v27, v24
	v_add_f32_e32 v24, v26, v32
	v_sub_f32_e32 v27, v25, v24
	v_pk_add_f32 v[34:35], v[24:25], v[26:27] neg_lo:[0,1] neg_hi:[0,1]
	v_mov_b32_e32 v33, v24
	v_pk_add_f32 v[24:25], v[34:35], v[32:33] neg_lo:[0,1] neg_hi:[0,1]
	v_add_f32_e32 v25, v38, v25
	v_add_f32_e32 v24, v24, v25
	;; [unrolled: 1-line block ×3, first 2 shown]
	v_mul_f32_e32 v38, v37, v25
	v_mul_f32_e32 v26, v36, v38
	v_fma_f32 v32, v38, v36, -v26
	v_fmac_f32_e32 v32, v38, v31
	v_sub_f32_e32 v27, v27, v25
	v_add_f32_e32 v31, v24, v27
	v_add_f32_e32 v24, v26, v32
	v_sub_f32_e32 v27, v25, v24
	v_pk_add_f32 v[34:35], v[24:25], v[26:27] neg_lo:[0,1] neg_hi:[0,1]
	v_mov_b32_e32 v33, v24
	v_pk_add_f32 v[24:25], v[34:35], v[32:33] neg_lo:[0,1] neg_hi:[0,1]
	v_add_f32_e32 v25, v31, v25
	v_add_f32_e32 v24, v24, v25
	v_add_f32_e32 v24, v27, v24
	v_add_f32_e32 v27, v39, v38
	v_sub_f32_e32 v25, v27, v39
	v_mul_f32_e32 v24, v37, v24
	v_sub_f32_e32 v25, v38, v25
	v_add_f32_e32 v24, v25, v24
	v_add_f32_e32 v31, v27, v24
	v_mul_f32_e32 v32, v31, v31
	v_mov_b32_e32 v26, 0x3ecc95a3
	v_fmac_f32_e32 v26, 0x3e9b6dac, v32
	v_mov_b32_e32 v25, 0x3f2aaada
	v_fmac_f32_e32 v25, v32, v26
	v_cvt_f32_i32_e32 v26, v28
	v_sub_f32_e32 v27, v31, v27
	v_sub_f32_e32 v24, v24, v27
	v_ldexp_f32 v28, v24, 1
	v_mul_f32_e32 v27, v31, v32
	v_mov_b32_e32 v24, 0x3f317218
	s_mov_b32 s2, 0x3f317218
	v_pk_mul_f32 v[24:25], v[26:27], v[24:25]
	v_fma_f32 v32, v26, s2, -v24
	v_ldexp_f32 v33, v31, 1
	v_fmac_f32_e32 v32, 0xb102e308, v26
	v_pk_add_f32 v[26:27], v[24:25], v[32:33]
	v_sub_f32_e32 v31, v27, v33
	v_sub_f32_e32 v31, v25, v31
	v_add_f32_e32 v35, v28, v31
	v_mov_b32_e32 v34, v24
	v_pk_add_f32 v[24:25], v[26:27], v[24:25] neg_lo:[0,1] neg_hi:[0,1]
	v_pk_add_f32 v[36:37], v[26:27], v[34:35]
	v_mov_b32_e32 v25, v37
	v_mov_b32_e32 v33, v26
	v_pk_add_f32 v[38:39], v[32:33], v[24:25] neg_lo:[0,1] neg_hi:[0,1]
	v_pk_add_f32 v[24:25], v[32:33], v[24:25]
	v_mov_b32_e32 v28, v25
	v_pk_add_f32 v[32:33], v[28:29], v[26:27] neg_lo:[0,1] neg_hi:[0,1]
	v_mov_b32_e32 v31, v32
	v_pk_add_f32 v[40:41], v[36:37], v[30:31] neg_lo:[0,1] neg_hi:[0,1]
	v_mov_b32_e32 v24, v37
	v_mov_b32_e32 v36, v27
	;; [unrolled: 1-line block ×4, first 2 shown]
	v_pk_add_f32 v[24:25], v[24:25], v[36:37] neg_lo:[0,1] neg_hi:[0,1]
	v_mov_b32_e32 v32, v35
	v_mov_b32_e32 v33, v26
	v_pk_add_f32 v[24:25], v[32:33], v[24:25] neg_lo:[0,1] neg_hi:[0,1]
	v_mov_b32_e32 v40, v38
	v_pk_add_f32 v[26:27], v[40:41], v[24:25]
	v_mov_b32_e32 v32, v27
	v_pk_add_f32 v[32:33], v[26:27], v[32:33]
	v_pk_add_f32 v[34:35], v[28:29], v[32:33]
	v_mov_b32_e32 v27, v34
	v_pk_add_f32 v[36:37], v[26:27], v[38:39] neg_lo:[0,1] neg_hi:[0,1]
	v_mov_b32_e32 v25, v32
	v_sub_f32_e32 v26, v26, v36
	v_pk_add_f32 v[24:25], v[24:25], v[36:37] neg_lo:[0,1] neg_hi:[0,1]
	v_sub_f32_e32 v26, v38, v26
	s_mov_b32 s3, 0x7f800000
	v_add_f32_e32 v24, v24, v26
	s_mov_b32 s2, 0x33800000
	v_add_f32_e32 v24, v24, v25
	v_cmp_eq_f32_e64 s[74:75], s3, v42
	v_cmp_lt_f32_e64 s[76:77], |v42|, s2
	v_add_f32_e32 v24, v34, v24
	s_or_b64 s[74:75], s[74:75], s[76:77]
	v_cndmask_b32_e64 v24, v24, v42, s[74:75]
	v_add_f32_e32 v12, v12, v24
	v_cvt_f16_f32_e32 v31, v12
	v_cvt_f32_f16_e32 v33, v31
	v_mov_b32_e32 v32, v31
.LBB391_76:
	s_or_b64 exec, exec, s[0:1]
	v_cvt_f32_f16_e32 v12, v13
	v_max_f32_e32 v24, v33, v33
	v_cmp_u_f16_e64 s[76:77], v31, v31
	v_cmp_u_f16_e64 s[74:75], v13, v13
	v_min_f32_e32 v25, v24, v12
	v_max_f32_e32 v24, v24, v12
	v_cndmask_b32_e64 v25, v25, v33, s[76:77]
	v_cndmask_b32_e64 v24, v24, v33, s[76:77]
	;; [unrolled: 1-line block ×4, first 2 shown]
	v_cmp_neq_f32_e64 s[76:77], v25, v24
	v_cmp_class_f32_e64 s[0:1], v25, s33
	s_or_b64 s[76:77], s[76:77], s[0:1]
	s_and_saveexec_b64 s[0:1], s[76:77]
	s_cbranch_execz .LBB391_78
; %bb.77:
	v_sub_f32_e32 v25, v25, v24
	s_mov_b32 s2, 0x3fb8aa3b
	v_mul_f32_e32 v26, 0x3fb8aa3b, v25
	v_fma_f32 v27, v25, s2, -v26
	v_rndne_f32_e32 v28, v26
	v_fmac_f32_e32 v27, 0x32a5705f, v25
	v_sub_f32_e32 v26, v26, v28
	v_add_f32_e32 v26, v26, v27
	v_exp_f32_e32 v26, v26
	v_cvt_i32_f32_e32 v27, v28
	s_mov_b32 s2, 0xc2ce8ed0
	v_cmp_ngt_f32_e64 s[76:77], s2, v25
	s_mov_b32 s2, 0x42b17218
	v_ldexp_f32 v26, v26, v27
	v_cndmask_b32_e64 v26, 0, v26, s[76:77]
	v_mov_b32_e32 v27, 0x7f800000
	v_cmp_nlt_f32_e64 s[76:77], s2, v25
	v_cndmask_b32_e64 v31, v27, v26, s[76:77]
	v_add_f32_e32 v25, 1.0, v31
	v_add_f32_e32 v26, -1.0, v25
	v_sub_f32_e32 v27, v26, v25
	v_add_f32_e32 v27, 1.0, v27
	v_sub_f32_e32 v26, v31, v26
	v_add_f32_e32 v28, v26, v27
	v_frexp_mant_f32_e32 v32, v25
	s_mov_b32 s2, 0x3f2aaaab
	v_cvt_f64_f32_e32 v[26:27], v25
	v_frexp_exp_i32_f64_e32 v26, v[26:27]
	v_cmp_gt_f32_e64 s[76:77], s2, v32
	v_subbrev_co_u32_e64 v38, s[76:77], 0, v26, s[76:77]
	v_sub_u32_e32 v26, 0, v38
	v_ldexp_f32 v25, v25, v26
	v_ldexp_f32 v26, v28, v26
	v_add_f32_e32 v28, -1.0, v25
	v_add_f32_e32 v27, 1.0, v28
	v_sub_f32_e32 v27, v25, v27
	v_add_f32_e32 v32, v26, v27
	v_add_f32_e32 v27, 1.0, v25
	v_add_f32_e32 v33, -1.0, v27
	v_sub_f32_e32 v25, v25, v33
	v_add_f32_e32 v25, v26, v25
	v_add_f32_e32 v39, v27, v25
	v_rcp_f32_e32 v40, v39
	v_sub_f32_e32 v26, v27, v39
	v_add_f32_e32 v27, v28, v32
	v_add_f32_e32 v25, v25, v26
	v_sub_f32_e32 v26, v28, v27
	v_mul_f32_e32 v41, v27, v40
	v_add_f32_e32 v28, v32, v26
	v_mul_f32_e32 v32, v39, v41
	v_fma_f32 v34, v41, v39, -v32
	v_fmac_f32_e32 v34, v41, v25
	v_add_f32_e32 v26, v32, v34
	v_sub_f32_e32 v33, v27, v26
	v_pk_add_f32 v[36:37], v[26:27], v[32:33] neg_lo:[0,1] neg_hi:[0,1]
	v_mov_b32_e32 v35, v26
	v_pk_add_f32 v[26:27], v[36:37], v[34:35] neg_lo:[0,1] neg_hi:[0,1]
	v_add_f32_e32 v27, v28, v27
	v_add_f32_e32 v26, v26, v27
	v_add_f32_e32 v27, v33, v26
	v_mul_f32_e32 v28, v40, v27
	v_mul_f32_e32 v32, v39, v28
	v_fma_f32 v34, v28, v39, -v32
	v_fmac_f32_e32 v34, v28, v25
	v_sub_f32_e32 v25, v33, v27
	v_add_f32_e32 v25, v26, v25
	v_add_f32_e32 v26, v32, v34
	v_sub_f32_e32 v33, v27, v26
	v_pk_add_f32 v[36:37], v[26:27], v[32:33] neg_lo:[0,1] neg_hi:[0,1]
	v_mov_b32_e32 v35, v26
	v_pk_add_f32 v[26:27], v[36:37], v[34:35] neg_lo:[0,1] neg_hi:[0,1]
	v_add_f32_e32 v25, v25, v27
	v_add_f32_e32 v25, v26, v25
	;; [unrolled: 1-line block ×4, first 2 shown]
	v_sub_f32_e32 v27, v26, v41
	v_mul_f32_e32 v25, v40, v25
	v_sub_f32_e32 v27, v28, v27
	v_add_f32_e32 v25, v27, v25
	v_add_f32_e32 v28, v26, v25
	v_mul_f32_e32 v33, v28, v28
	v_mov_b32_e32 v32, 0x3ecc95a3
	v_fmac_f32_e32 v32, 0x3e9b6dac, v33
	v_mov_b32_e32 v27, 0x3f2aaada
	v_fmac_f32_e32 v27, v33, v32
	v_cvt_f32_i32_e32 v32, v38
	v_sub_f32_e32 v26, v28, v26
	v_sub_f32_e32 v25, v25, v26
	v_mul_f32_e32 v33, v28, v33
	v_mov_b32_e32 v26, 0x3f317218
	s_mov_b32 s2, 0x3f317218
	v_pk_mul_f32 v[26:27], v[32:33], v[26:27]
	v_fma_f32 v34, v32, s2, -v26
	v_ldexp_f32 v35, v28, 1
	v_fmac_f32_e32 v34, 0xb102e308, v32
	v_pk_add_f32 v[32:33], v[26:27], v[34:35]
	v_sub_f32_e32 v28, v33, v35
	v_ldexp_f32 v25, v25, 1
	v_sub_f32_e32 v28, v27, v28
	v_add_f32_e32 v37, v25, v28
	v_mov_b32_e32 v36, v26
	v_pk_add_f32 v[26:27], v[32:33], v[26:27] neg_lo:[0,1] neg_hi:[0,1]
	v_pk_add_f32 v[38:39], v[32:33], v[36:37]
	v_mov_b32_e32 v27, v39
	v_mov_b32_e32 v35, v32
	v_pk_add_f32 v[40:41], v[34:35], v[26:27] neg_lo:[0,1] neg_hi:[0,1]
	v_pk_add_f32 v[26:27], v[34:35], v[26:27]
	v_mov_b32_e32 v28, v27
	v_pk_add_f32 v[34:35], v[28:29], v[32:33] neg_lo:[0,1] neg_hi:[0,1]
	v_mov_b32_e32 v25, v34
	v_pk_add_f32 v[42:43], v[38:39], v[24:25] neg_lo:[0,1] neg_hi:[0,1]
	v_mov_b32_e32 v26, v39
	v_mov_b32_e32 v38, v33
	;; [unrolled: 1-line block ×4, first 2 shown]
	v_pk_add_f32 v[26:27], v[26:27], v[38:39] neg_lo:[0,1] neg_hi:[0,1]
	v_mov_b32_e32 v34, v37
	v_mov_b32_e32 v35, v32
	v_pk_add_f32 v[26:27], v[34:35], v[26:27] neg_lo:[0,1] neg_hi:[0,1]
	v_mov_b32_e32 v42, v40
	v_pk_add_f32 v[32:33], v[42:43], v[26:27]
	v_mov_b32_e32 v34, v33
	v_pk_add_f32 v[34:35], v[32:33], v[34:35]
	v_pk_add_f32 v[36:37], v[28:29], v[34:35]
	v_mov_b32_e32 v33, v36
	v_pk_add_f32 v[38:39], v[32:33], v[40:41] neg_lo:[0,1] neg_hi:[0,1]
	v_mov_b32_e32 v27, v34
	v_sub_f32_e32 v25, v32, v38
	v_pk_add_f32 v[26:27], v[26:27], v[38:39] neg_lo:[0,1] neg_hi:[0,1]
	v_sub_f32_e32 v25, v40, v25
	s_mov_b32 s3, 0x7f800000
	v_add_f32_e32 v25, v26, v25
	s_mov_b32 s2, 0x33800000
	v_add_f32_e32 v25, v25, v27
	v_cmp_eq_f32_e64 s[76:77], s3, v31
	v_cmp_lt_f32_e64 s[78:79], |v31|, s2
	v_add_f32_e32 v25, v36, v25
	s_or_b64 s[76:77], s[76:77], s[78:79]
	v_cndmask_b32_e64 v25, v25, v31, s[76:77]
	v_add_f32_e32 v24, v24, v25
	v_cvt_f16_f32_e32 v31, v24
	v_cvt_f32_f16_e32 v33, v31
	v_mov_b32_e32 v32, v31
.LBB391_78:
	s_or_b64 exec, exec, s[0:1]
	v_cvt_f32_f16_sdwa v24, v13 dst_sel:DWORD dst_unused:UNUSED_PAD src0_sel:WORD_1
	v_max_f32_e32 v26, v33, v33
	v_cmp_u_f16_e64 s[78:79], v31, v31
	v_cmp_u_f16_sdwa s[76:77], v13, v13 src0_sel:WORD_1 src1_sel:WORD_1
	v_min_f32_e32 v25, v26, v24
	v_max_f32_e32 v13, v26, v24
	v_cndmask_b32_e64 v25, v25, v33, s[78:79]
	v_cndmask_b32_e64 v13, v13, v33, s[78:79]
	;; [unrolled: 1-line block ×4, first 2 shown]
	v_cmp_neq_f32_e64 s[78:79], v25, v13
	v_cmp_class_f32_e64 s[0:1], v25, s33
	s_or_b64 s[78:79], s[78:79], s[0:1]
	s_and_saveexec_b64 s[0:1], s[78:79]
	s_cbranch_execz .LBB391_80
; %bb.79:
	v_sub_f32_e32 v25, v25, v13
	s_mov_b32 s2, 0x3fb8aa3b
	v_mul_f32_e32 v26, 0x3fb8aa3b, v25
	v_fma_f32 v27, v25, s2, -v26
	v_rndne_f32_e32 v28, v26
	v_fmac_f32_e32 v27, 0x32a5705f, v25
	v_sub_f32_e32 v26, v26, v28
	v_add_f32_e32 v26, v26, v27
	v_exp_f32_e32 v26, v26
	v_cvt_i32_f32_e32 v27, v28
	s_mov_b32 s2, 0xc2ce8ed0
	v_cmp_ngt_f32_e64 s[78:79], s2, v25
	s_mov_b32 s2, 0x42b17218
	v_ldexp_f32 v26, v26, v27
	v_cndmask_b32_e64 v26, 0, v26, s[78:79]
	v_mov_b32_e32 v27, 0x7f800000
	v_cmp_nlt_f32_e64 s[78:79], s2, v25
	v_cndmask_b32_e64 v31, v27, v26, s[78:79]
	v_add_f32_e32 v25, 1.0, v31
	v_add_f32_e32 v26, -1.0, v25
	v_sub_f32_e32 v27, v26, v25
	v_add_f32_e32 v27, 1.0, v27
	v_sub_f32_e32 v26, v31, v26
	v_add_f32_e32 v28, v26, v27
	v_frexp_mant_f32_e32 v32, v25
	s_mov_b32 s2, 0x3f2aaaab
	v_cvt_f64_f32_e32 v[26:27], v25
	v_frexp_exp_i32_f64_e32 v26, v[26:27]
	v_cmp_gt_f32_e64 s[78:79], s2, v32
	v_subbrev_co_u32_e64 v38, s[78:79], 0, v26, s[78:79]
	v_sub_u32_e32 v26, 0, v38
	v_ldexp_f32 v25, v25, v26
	v_ldexp_f32 v26, v28, v26
	v_add_f32_e32 v28, -1.0, v25
	v_add_f32_e32 v27, 1.0, v28
	v_sub_f32_e32 v27, v25, v27
	v_add_f32_e32 v32, v26, v27
	v_add_f32_e32 v27, 1.0, v25
	v_add_f32_e32 v33, -1.0, v27
	v_sub_f32_e32 v25, v25, v33
	v_add_f32_e32 v25, v26, v25
	v_add_f32_e32 v39, v27, v25
	v_rcp_f32_e32 v40, v39
	v_sub_f32_e32 v26, v27, v39
	v_add_f32_e32 v27, v28, v32
	v_add_f32_e32 v25, v25, v26
	v_sub_f32_e32 v26, v28, v27
	v_mul_f32_e32 v41, v27, v40
	v_add_f32_e32 v28, v32, v26
	v_mul_f32_e32 v32, v39, v41
	v_fma_f32 v34, v41, v39, -v32
	v_fmac_f32_e32 v34, v41, v25
	v_add_f32_e32 v26, v32, v34
	v_sub_f32_e32 v33, v27, v26
	v_pk_add_f32 v[36:37], v[26:27], v[32:33] neg_lo:[0,1] neg_hi:[0,1]
	v_mov_b32_e32 v35, v26
	v_pk_add_f32 v[26:27], v[36:37], v[34:35] neg_lo:[0,1] neg_hi:[0,1]
	v_add_f32_e32 v27, v28, v27
	v_add_f32_e32 v26, v26, v27
	;; [unrolled: 1-line block ×3, first 2 shown]
	v_mul_f32_e32 v28, v40, v27
	v_mul_f32_e32 v32, v39, v28
	v_fma_f32 v34, v28, v39, -v32
	v_fmac_f32_e32 v34, v28, v25
	v_sub_f32_e32 v25, v33, v27
	v_add_f32_e32 v25, v26, v25
	v_add_f32_e32 v26, v32, v34
	v_sub_f32_e32 v33, v27, v26
	v_pk_add_f32 v[36:37], v[26:27], v[32:33] neg_lo:[0,1] neg_hi:[0,1]
	v_mov_b32_e32 v35, v26
	v_pk_add_f32 v[26:27], v[36:37], v[34:35] neg_lo:[0,1] neg_hi:[0,1]
	v_add_f32_e32 v25, v25, v27
	v_add_f32_e32 v25, v26, v25
	;; [unrolled: 1-line block ×4, first 2 shown]
	v_sub_f32_e32 v27, v26, v41
	v_mul_f32_e32 v25, v40, v25
	v_sub_f32_e32 v27, v28, v27
	v_add_f32_e32 v25, v27, v25
	v_add_f32_e32 v28, v26, v25
	v_mul_f32_e32 v33, v28, v28
	v_mov_b32_e32 v32, 0x3ecc95a3
	v_fmac_f32_e32 v32, 0x3e9b6dac, v33
	v_mov_b32_e32 v27, 0x3f2aaada
	v_fmac_f32_e32 v27, v33, v32
	v_cvt_f32_i32_e32 v32, v38
	v_sub_f32_e32 v26, v28, v26
	v_sub_f32_e32 v25, v25, v26
	v_mul_f32_e32 v33, v28, v33
	v_mov_b32_e32 v26, 0x3f317218
	s_mov_b32 s2, 0x3f317218
	v_pk_mul_f32 v[26:27], v[32:33], v[26:27]
	v_fma_f32 v34, v32, s2, -v26
	v_ldexp_f32 v35, v28, 1
	v_fmac_f32_e32 v34, 0xb102e308, v32
	v_pk_add_f32 v[32:33], v[26:27], v[34:35]
	v_sub_f32_e32 v28, v33, v35
	v_ldexp_f32 v25, v25, 1
	v_sub_f32_e32 v28, v27, v28
	v_add_f32_e32 v37, v25, v28
	v_mov_b32_e32 v36, v26
	v_pk_add_f32 v[26:27], v[32:33], v[26:27] neg_lo:[0,1] neg_hi:[0,1]
	v_pk_add_f32 v[38:39], v[32:33], v[36:37]
	v_mov_b32_e32 v27, v39
	v_mov_b32_e32 v35, v32
	v_pk_add_f32 v[40:41], v[34:35], v[26:27] neg_lo:[0,1] neg_hi:[0,1]
	v_pk_add_f32 v[26:27], v[34:35], v[26:27]
	v_mov_b32_e32 v28, v27
	v_pk_add_f32 v[34:35], v[28:29], v[32:33] neg_lo:[0,1] neg_hi:[0,1]
	v_mov_b32_e32 v25, v34
	v_pk_add_f32 v[42:43], v[38:39], v[24:25] neg_lo:[0,1] neg_hi:[0,1]
	v_mov_b32_e32 v26, v39
	v_mov_b32_e32 v38, v33
	;; [unrolled: 1-line block ×4, first 2 shown]
	v_pk_add_f32 v[26:27], v[26:27], v[38:39] neg_lo:[0,1] neg_hi:[0,1]
	v_mov_b32_e32 v34, v37
	v_mov_b32_e32 v35, v32
	v_pk_add_f32 v[26:27], v[34:35], v[26:27] neg_lo:[0,1] neg_hi:[0,1]
	v_mov_b32_e32 v42, v40
	v_pk_add_f32 v[32:33], v[42:43], v[26:27]
	v_mov_b32_e32 v34, v33
	v_pk_add_f32 v[34:35], v[32:33], v[34:35]
	v_pk_add_f32 v[36:37], v[28:29], v[34:35]
	v_mov_b32_e32 v33, v36
	v_pk_add_f32 v[38:39], v[32:33], v[40:41] neg_lo:[0,1] neg_hi:[0,1]
	v_mov_b32_e32 v27, v34
	v_sub_f32_e32 v25, v32, v38
	v_pk_add_f32 v[26:27], v[26:27], v[38:39] neg_lo:[0,1] neg_hi:[0,1]
	v_sub_f32_e32 v25, v40, v25
	s_mov_b32 s3, 0x7f800000
	v_add_f32_e32 v25, v26, v25
	s_mov_b32 s2, 0x33800000
	v_add_f32_e32 v25, v25, v27
	v_cmp_eq_f32_e64 s[78:79], s3, v31
	v_cmp_lt_f32_e64 s[80:81], |v31|, s2
	v_add_f32_e32 v25, v36, v25
	s_or_b64 s[78:79], s[78:79], s[80:81]
	v_cndmask_b32_e64 v25, v25, v31, s[78:79]
	v_add_f32_e32 v13, v13, v25
	v_cvt_f16_f32_e32 v31, v13
	v_cvt_f32_f16_e32 v33, v31
	v_mov_b32_e32 v32, v31
.LBB391_80:
	s_or_b64 exec, exec, s[0:1]
	v_cvt_f32_f16_e32 v13, v6
	v_max_f32_e32 v25, v33, v33
	v_cmp_u_f16_e64 s[80:81], v31, v31
	v_cmp_u_f16_e64 s[78:79], v6, v6
	v_min_f32_e32 v26, v25, v13
	v_max_f32_e32 v25, v25, v13
	v_cndmask_b32_e64 v26, v26, v33, s[80:81]
	v_cndmask_b32_e64 v25, v25, v33, s[80:81]
	;; [unrolled: 1-line block ×4, first 2 shown]
	v_cmp_neq_f32_e64 s[80:81], v26, v25
	v_cmp_class_f32_e64 s[0:1], v26, s33
	s_or_b64 s[80:81], s[80:81], s[0:1]
	s_and_saveexec_b64 s[0:1], s[80:81]
	s_cbranch_execz .LBB391_82
; %bb.81:
	v_sub_f32_e32 v26, v26, v25
	s_mov_b32 s2, 0x3fb8aa3b
	v_mul_f32_e32 v27, 0x3fb8aa3b, v26
	v_fma_f32 v28, v26, s2, -v27
	v_rndne_f32_e32 v31, v27
	v_fmac_f32_e32 v28, 0x32a5705f, v26
	v_sub_f32_e32 v27, v27, v31
	v_add_f32_e32 v27, v27, v28
	v_exp_f32_e32 v27, v27
	v_cvt_i32_f32_e32 v28, v31
	s_mov_b32 s2, 0xc2ce8ed0
	v_cmp_ngt_f32_e64 s[80:81], s2, v26
	s_mov_b32 s2, 0x42b17218
	v_ldexp_f32 v27, v27, v28
	v_cndmask_b32_e64 v27, 0, v27, s[80:81]
	v_mov_b32_e32 v28, 0x7f800000
	v_cmp_nlt_f32_e64 s[80:81], s2, v26
	v_cndmask_b32_e64 v44, v28, v27, s[80:81]
	v_add_f32_e32 v28, 1.0, v44
	v_add_f32_e32 v26, -1.0, v28
	v_sub_f32_e32 v27, v26, v28
	v_add_f32_e32 v27, 1.0, v27
	v_sub_f32_e32 v26, v44, v26
	v_add_f32_e32 v31, v26, v27
	v_frexp_mant_f32_e32 v32, v28
	s_mov_b32 s2, 0x3f2aaaab
	v_cvt_f64_f32_e32 v[26:27], v28
	v_frexp_exp_i32_f64_e32 v26, v[26:27]
	v_cmp_gt_f32_e64 s[80:81], s2, v32
	v_subbrev_co_u32_e64 v38, s[80:81], 0, v26, s[80:81]
	v_sub_u32_e32 v26, 0, v38
	v_ldexp_f32 v27, v28, v26
	v_add_f32_e32 v28, -1.0, v27
	v_add_f32_e32 v32, 1.0, v27
	v_ldexp_f32 v26, v31, v26
	v_add_f32_e32 v31, 1.0, v28
	v_add_f32_e32 v33, -1.0, v32
	v_sub_f32_e32 v31, v27, v31
	v_sub_f32_e32 v27, v27, v33
	v_add_f32_e32 v31, v26, v31
	v_add_f32_e32 v26, v26, v27
	;; [unrolled: 1-line block ×3, first 2 shown]
	v_rcp_f32_e32 v41, v39
	v_sub_f32_e32 v27, v32, v39
	v_add_f32_e32 v40, v26, v27
	v_add_f32_e32 v27, v28, v31
	v_sub_f32_e32 v26, v28, v27
	v_add_f32_e32 v28, v31, v26
	v_mul_f32_e32 v31, v27, v41
	v_mul_f32_e32 v32, v39, v31
	v_fma_f32 v34, v31, v39, -v32
	v_fmac_f32_e32 v34, v31, v40
	v_add_f32_e32 v26, v32, v34
	v_sub_f32_e32 v33, v27, v26
	v_pk_add_f32 v[36:37], v[26:27], v[32:33] neg_lo:[0,1] neg_hi:[0,1]
	v_mov_b32_e32 v35, v26
	v_pk_add_f32 v[26:27], v[36:37], v[34:35] neg_lo:[0,1] neg_hi:[0,1]
	v_add_f32_e32 v27, v28, v27
	v_add_f32_e32 v26, v26, v27
	;; [unrolled: 1-line block ×3, first 2 shown]
	v_mul_f32_e32 v28, v41, v27
	v_mul_f32_e32 v32, v39, v28
	v_fma_f32 v34, v28, v39, -v32
	v_fmac_f32_e32 v34, v28, v40
	v_sub_f32_e32 v33, v33, v27
	v_add_f32_e32 v39, v26, v33
	v_add_f32_e32 v26, v32, v34
	v_sub_f32_e32 v33, v27, v26
	v_pk_add_f32 v[36:37], v[26:27], v[32:33] neg_lo:[0,1] neg_hi:[0,1]
	v_mov_b32_e32 v35, v26
	v_pk_add_f32 v[26:27], v[36:37], v[34:35] neg_lo:[0,1] neg_hi:[0,1]
	v_add_f32_e32 v27, v39, v27
	v_add_f32_e32 v26, v26, v27
	v_add_f32_e32 v26, v33, v26
	v_add_f32_e32 v33, v31, v28
	v_sub_f32_e32 v27, v33, v31
	v_mul_f32_e32 v26, v41, v26
	v_sub_f32_e32 v27, v28, v27
	v_add_f32_e32 v26, v27, v26
	v_add_f32_e32 v28, v33, v26
	v_mul_f32_e32 v31, v28, v28
	v_mov_b32_e32 v32, 0x3ecc95a3
	v_fmac_f32_e32 v32, 0x3e9b6dac, v31
	v_mov_b32_e32 v27, 0x3f2aaada
	v_fmac_f32_e32 v27, v31, v32
	v_cvt_f32_i32_e32 v32, v38
	v_sub_f32_e32 v33, v28, v33
	v_sub_f32_e32 v26, v26, v33
	v_ldexp_f32 v36, v26, 1
	v_mul_f32_e32 v33, v28, v31
	v_mov_b32_e32 v26, 0x3f317218
	s_mov_b32 s2, 0x3f317218
	v_pk_mul_f32 v[26:27], v[32:33], v[26:27]
	v_fma_f32 v34, v32, s2, -v26
	v_ldexp_f32 v35, v28, 1
	v_fmac_f32_e32 v34, 0xb102e308, v32
	v_pk_add_f32 v[32:33], v[26:27], v[34:35]
	v_sub_f32_e32 v28, v33, v35
	v_sub_f32_e32 v28, v27, v28
	v_add_f32_e32 v37, v36, v28
	v_mov_b32_e32 v36, v26
	v_pk_add_f32 v[26:27], v[32:33], v[26:27] neg_lo:[0,1] neg_hi:[0,1]
	v_pk_add_f32 v[38:39], v[32:33], v[36:37]
	v_mov_b32_e32 v27, v39
	v_mov_b32_e32 v35, v32
	v_pk_add_f32 v[40:41], v[34:35], v[26:27] neg_lo:[0,1] neg_hi:[0,1]
	v_pk_add_f32 v[26:27], v[34:35], v[26:27]
	v_mov_b32_e32 v28, v27
	v_pk_add_f32 v[34:35], v[28:29], v[32:33] neg_lo:[0,1] neg_hi:[0,1]
	v_mov_b32_e32 v31, v34
	v_pk_add_f32 v[42:43], v[38:39], v[30:31] neg_lo:[0,1] neg_hi:[0,1]
	v_mov_b32_e32 v26, v39
	v_mov_b32_e32 v38, v33
	;; [unrolled: 1-line block ×4, first 2 shown]
	v_pk_add_f32 v[26:27], v[26:27], v[38:39] neg_lo:[0,1] neg_hi:[0,1]
	v_mov_b32_e32 v34, v37
	v_mov_b32_e32 v35, v32
	v_pk_add_f32 v[26:27], v[34:35], v[26:27] neg_lo:[0,1] neg_hi:[0,1]
	v_mov_b32_e32 v42, v40
	v_pk_add_f32 v[32:33], v[42:43], v[26:27]
	v_mov_b32_e32 v34, v33
	v_pk_add_f32 v[34:35], v[32:33], v[34:35]
	v_pk_add_f32 v[36:37], v[28:29], v[34:35]
	v_mov_b32_e32 v33, v36
	v_pk_add_f32 v[38:39], v[32:33], v[40:41] neg_lo:[0,1] neg_hi:[0,1]
	v_mov_b32_e32 v27, v34
	v_sub_f32_e32 v28, v32, v38
	v_pk_add_f32 v[26:27], v[26:27], v[38:39] neg_lo:[0,1] neg_hi:[0,1]
	v_sub_f32_e32 v28, v40, v28
	s_mov_b32 s3, 0x7f800000
	v_add_f32_e32 v26, v26, v28
	s_mov_b32 s2, 0x33800000
	v_add_f32_e32 v26, v26, v27
	v_cmp_eq_f32_e64 s[80:81], s3, v44
	v_cmp_lt_f32_e64 s[82:83], |v44|, s2
	v_add_f32_e32 v26, v36, v26
	s_or_b64 s[80:81], s[80:81], s[82:83]
	v_cndmask_b32_e64 v26, v26, v44, s[80:81]
	v_add_f32_e32 v25, v25, v26
	v_cvt_f16_f32_e32 v31, v25
	v_cvt_f32_f16_e32 v33, v31
	v_mov_b32_e32 v32, v31
.LBB391_82:
	s_or_b64 exec, exec, s[0:1]
	v_cvt_f32_f16_sdwa v25, v6 dst_sel:DWORD dst_unused:UNUSED_PAD src0_sel:WORD_1
	v_max_f32_e32 v27, v33, v33
	v_cmp_u_f16_e64 s[82:83], v31, v31
	v_cmp_u_f16_sdwa s[80:81], v6, v6 src0_sel:WORD_1 src1_sel:WORD_1
	v_min_f32_e32 v26, v27, v25
	v_max_f32_e32 v6, v27, v25
	v_cndmask_b32_e64 v26, v26, v33, s[82:83]
	v_cndmask_b32_e64 v6, v6, v33, s[82:83]
	;; [unrolled: 1-line block ×4, first 2 shown]
	v_cmp_neq_f32_e64 s[82:83], v26, v6
	v_cmp_class_f32_e64 s[0:1], v26, s33
	s_or_b64 s[82:83], s[82:83], s[0:1]
	s_and_saveexec_b64 s[0:1], s[82:83]
	s_cbranch_execz .LBB391_84
; %bb.83:
	v_sub_f32_e32 v26, v26, v6
	s_mov_b32 s2, 0x3fb8aa3b
	v_mul_f32_e32 v27, 0x3fb8aa3b, v26
	v_fma_f32 v28, v26, s2, -v27
	v_rndne_f32_e32 v31, v27
	v_fmac_f32_e32 v28, 0x32a5705f, v26
	v_sub_f32_e32 v27, v27, v31
	v_add_f32_e32 v27, v27, v28
	v_exp_f32_e32 v27, v27
	v_cvt_i32_f32_e32 v28, v31
	s_mov_b32 s2, 0xc2ce8ed0
	v_cmp_ngt_f32_e64 s[82:83], s2, v26
	s_mov_b32 s2, 0x42b17218
	v_ldexp_f32 v27, v27, v28
	v_cndmask_b32_e64 v27, 0, v27, s[82:83]
	v_mov_b32_e32 v28, 0x7f800000
	v_cmp_nlt_f32_e64 s[82:83], s2, v26
	v_cndmask_b32_e64 v44, v28, v27, s[82:83]
	v_add_f32_e32 v28, 1.0, v44
	v_add_f32_e32 v26, -1.0, v28
	v_sub_f32_e32 v27, v26, v28
	v_add_f32_e32 v27, 1.0, v27
	v_sub_f32_e32 v26, v44, v26
	v_add_f32_e32 v31, v26, v27
	v_frexp_mant_f32_e32 v32, v28
	s_mov_b32 s2, 0x3f2aaaab
	v_cvt_f64_f32_e32 v[26:27], v28
	v_frexp_exp_i32_f64_e32 v26, v[26:27]
	v_cmp_gt_f32_e64 s[82:83], s2, v32
	v_subbrev_co_u32_e64 v38, s[82:83], 0, v26, s[82:83]
	v_sub_u32_e32 v26, 0, v38
	v_ldexp_f32 v27, v28, v26
	v_add_f32_e32 v28, -1.0, v27
	v_add_f32_e32 v32, 1.0, v27
	v_ldexp_f32 v26, v31, v26
	v_add_f32_e32 v31, 1.0, v28
	v_add_f32_e32 v33, -1.0, v32
	v_sub_f32_e32 v31, v27, v31
	v_sub_f32_e32 v27, v27, v33
	v_add_f32_e32 v31, v26, v31
	v_add_f32_e32 v26, v26, v27
	v_add_f32_e32 v39, v32, v26
	v_rcp_f32_e32 v41, v39
	v_sub_f32_e32 v27, v32, v39
	v_add_f32_e32 v40, v26, v27
	v_add_f32_e32 v27, v28, v31
	v_sub_f32_e32 v26, v28, v27
	v_add_f32_e32 v28, v31, v26
	v_mul_f32_e32 v31, v27, v41
	v_mul_f32_e32 v32, v39, v31
	v_fma_f32 v34, v31, v39, -v32
	v_fmac_f32_e32 v34, v31, v40
	v_add_f32_e32 v26, v32, v34
	v_sub_f32_e32 v33, v27, v26
	v_pk_add_f32 v[36:37], v[26:27], v[32:33] neg_lo:[0,1] neg_hi:[0,1]
	v_mov_b32_e32 v35, v26
	v_pk_add_f32 v[26:27], v[36:37], v[34:35] neg_lo:[0,1] neg_hi:[0,1]
	v_add_f32_e32 v27, v28, v27
	v_add_f32_e32 v26, v26, v27
	;; [unrolled: 1-line block ×3, first 2 shown]
	v_mul_f32_e32 v28, v41, v27
	v_mul_f32_e32 v32, v39, v28
	v_fma_f32 v34, v28, v39, -v32
	v_fmac_f32_e32 v34, v28, v40
	v_sub_f32_e32 v33, v33, v27
	v_add_f32_e32 v39, v26, v33
	v_add_f32_e32 v26, v32, v34
	v_sub_f32_e32 v33, v27, v26
	v_pk_add_f32 v[36:37], v[26:27], v[32:33] neg_lo:[0,1] neg_hi:[0,1]
	v_mov_b32_e32 v35, v26
	v_pk_add_f32 v[26:27], v[36:37], v[34:35] neg_lo:[0,1] neg_hi:[0,1]
	v_add_f32_e32 v27, v39, v27
	v_add_f32_e32 v26, v26, v27
	;; [unrolled: 1-line block ×4, first 2 shown]
	v_sub_f32_e32 v27, v33, v31
	v_mul_f32_e32 v26, v41, v26
	v_sub_f32_e32 v27, v28, v27
	v_add_f32_e32 v26, v27, v26
	v_add_f32_e32 v28, v33, v26
	v_mul_f32_e32 v31, v28, v28
	v_mov_b32_e32 v32, 0x3ecc95a3
	v_fmac_f32_e32 v32, 0x3e9b6dac, v31
	v_mov_b32_e32 v27, 0x3f2aaada
	v_fmac_f32_e32 v27, v31, v32
	v_cvt_f32_i32_e32 v32, v38
	v_sub_f32_e32 v33, v28, v33
	v_sub_f32_e32 v26, v26, v33
	v_ldexp_f32 v36, v26, 1
	v_mul_f32_e32 v33, v28, v31
	v_mov_b32_e32 v26, 0x3f317218
	s_mov_b32 s2, 0x3f317218
	v_pk_mul_f32 v[26:27], v[32:33], v[26:27]
	v_fma_f32 v34, v32, s2, -v26
	v_ldexp_f32 v35, v28, 1
	v_fmac_f32_e32 v34, 0xb102e308, v32
	v_pk_add_f32 v[32:33], v[26:27], v[34:35]
	v_sub_f32_e32 v28, v33, v35
	v_sub_f32_e32 v28, v27, v28
	v_add_f32_e32 v37, v36, v28
	v_mov_b32_e32 v36, v26
	v_pk_add_f32 v[26:27], v[32:33], v[26:27] neg_lo:[0,1] neg_hi:[0,1]
	v_pk_add_f32 v[38:39], v[32:33], v[36:37]
	v_mov_b32_e32 v27, v39
	v_mov_b32_e32 v35, v32
	v_pk_add_f32 v[40:41], v[34:35], v[26:27] neg_lo:[0,1] neg_hi:[0,1]
	v_pk_add_f32 v[26:27], v[34:35], v[26:27]
	v_mov_b32_e32 v28, v27
	v_pk_add_f32 v[34:35], v[28:29], v[32:33] neg_lo:[0,1] neg_hi:[0,1]
	v_mov_b32_e32 v31, v34
	v_pk_add_f32 v[42:43], v[38:39], v[30:31] neg_lo:[0,1] neg_hi:[0,1]
	v_mov_b32_e32 v26, v39
	v_mov_b32_e32 v38, v33
	;; [unrolled: 1-line block ×4, first 2 shown]
	v_pk_add_f32 v[26:27], v[26:27], v[38:39] neg_lo:[0,1] neg_hi:[0,1]
	v_mov_b32_e32 v34, v37
	v_mov_b32_e32 v35, v32
	v_pk_add_f32 v[26:27], v[34:35], v[26:27] neg_lo:[0,1] neg_hi:[0,1]
	v_mov_b32_e32 v42, v40
	v_pk_add_f32 v[32:33], v[42:43], v[26:27]
	v_mov_b32_e32 v34, v33
	v_pk_add_f32 v[34:35], v[32:33], v[34:35]
	v_pk_add_f32 v[36:37], v[28:29], v[34:35]
	v_mov_b32_e32 v33, v36
	v_pk_add_f32 v[38:39], v[32:33], v[40:41] neg_lo:[0,1] neg_hi:[0,1]
	v_mov_b32_e32 v27, v34
	v_sub_f32_e32 v28, v32, v38
	v_pk_add_f32 v[26:27], v[26:27], v[38:39] neg_lo:[0,1] neg_hi:[0,1]
	v_sub_f32_e32 v28, v40, v28
	s_mov_b32 s3, 0x7f800000
	v_add_f32_e32 v26, v26, v28
	s_mov_b32 s2, 0x33800000
	v_add_f32_e32 v26, v26, v27
	v_cmp_eq_f32_e64 s[82:83], s3, v44
	v_cmp_lt_f32_e64 s[84:85], |v44|, s2
	v_add_f32_e32 v26, v36, v26
	s_or_b64 s[82:83], s[82:83], s[84:85]
	v_cndmask_b32_e64 v26, v26, v44, s[82:83]
	v_add_f32_e32 v6, v6, v26
	v_cvt_f16_f32_e32 v31, v6
	v_cvt_f32_f16_e32 v33, v31
	v_mov_b32_e32 v32, v31
.LBB391_84:
	s_or_b64 exec, exec, s[0:1]
	v_cvt_f32_f16_e32 v6, v7
	v_max_f32_e32 v26, v33, v33
	v_cmp_u_f16_e64 s[84:85], v31, v31
	v_cmp_u_f16_e64 s[82:83], v7, v7
	v_min_f32_e32 v27, v26, v6
	v_max_f32_e32 v26, v26, v6
	v_cndmask_b32_e64 v27, v27, v33, s[84:85]
	v_cndmask_b32_e64 v26, v26, v33, s[84:85]
	;; [unrolled: 1-line block ×4, first 2 shown]
	v_cmp_neq_f32_e64 s[84:85], v27, v26
	v_cmp_class_f32_e64 s[0:1], v27, s33
	s_or_b64 s[84:85], s[84:85], s[0:1]
	s_and_saveexec_b64 s[0:1], s[84:85]
	s_cbranch_execz .LBB391_86
; %bb.85:
	v_sub_f32_e32 v27, v27, v26
	s_mov_b32 s2, 0x3fb8aa3b
	v_mul_f32_e32 v28, 0x3fb8aa3b, v27
	v_fma_f32 v31, v27, s2, -v28
	v_rndne_f32_e32 v32, v28
	v_fmac_f32_e32 v31, 0x32a5705f, v27
	v_sub_f32_e32 v28, v28, v32
	v_add_f32_e32 v28, v28, v31
	v_exp_f32_e32 v28, v28
	v_cvt_i32_f32_e32 v31, v32
	s_mov_b32 s2, 0xc2ce8ed0
	v_cmp_ngt_f32_e64 s[84:85], s2, v27
	s_mov_b32 s2, 0x42b17218
	v_ldexp_f32 v28, v28, v31
	v_cndmask_b32_e64 v28, 0, v28, s[84:85]
	v_mov_b32_e32 v31, 0x7f800000
	v_cmp_nlt_f32_e64 s[84:85], s2, v27
	v_cndmask_b32_e64 v31, v31, v28, s[84:85]
	v_add_f32_e32 v27, 1.0, v31
	v_add_f32_e32 v28, -1.0, v27
	v_sub_f32_e32 v32, v28, v27
	v_add_f32_e32 v32, 1.0, v32
	v_sub_f32_e32 v28, v31, v28
	v_add_f32_e32 v28, v28, v32
	v_frexp_mant_f32_e32 v34, v27
	s_mov_b32 s2, 0x3f2aaaab
	v_cvt_f64_f32_e32 v[32:33], v27
	v_frexp_exp_i32_f64_e32 v32, v[32:33]
	v_cmp_gt_f32_e64 s[84:85], s2, v34
	v_subbrev_co_u32_e64 v40, s[84:85], 0, v32, s[84:85]
	v_sub_u32_e32 v32, 0, v40
	v_ldexp_f32 v27, v27, v32
	v_ldexp_f32 v28, v28, v32
	v_add_f32_e32 v32, -1.0, v27
	v_add_f32_e32 v33, 1.0, v32
	v_sub_f32_e32 v33, v27, v33
	v_add_f32_e32 v34, v28, v33
	v_add_f32_e32 v33, 1.0, v27
	v_add_f32_e32 v35, -1.0, v33
	v_sub_f32_e32 v27, v27, v35
	v_add_f32_e32 v27, v28, v27
	v_add_f32_e32 v28, v33, v27
	v_rcp_f32_e32 v41, v28
	v_sub_f32_e32 v33, v33, v28
	v_add_f32_e32 v27, v27, v33
	v_add_f32_e32 v33, v32, v34
	v_sub_f32_e32 v32, v32, v33
	v_mul_f32_e32 v43, v33, v41
	v_add_f32_e32 v42, v34, v32
	v_mul_f32_e32 v34, v28, v43
	v_fma_f32 v36, v43, v28, -v34
	v_fmac_f32_e32 v36, v43, v27
	v_add_f32_e32 v32, v34, v36
	v_sub_f32_e32 v35, v33, v32
	v_pk_add_f32 v[38:39], v[32:33], v[34:35] neg_lo:[0,1] neg_hi:[0,1]
	v_mov_b32_e32 v37, v32
	v_pk_add_f32 v[32:33], v[38:39], v[36:37] neg_lo:[0,1] neg_hi:[0,1]
	v_add_f32_e32 v33, v42, v33
	v_add_f32_e32 v32, v32, v33
	;; [unrolled: 1-line block ×3, first 2 shown]
	v_mul_f32_e32 v42, v41, v33
	v_mul_f32_e32 v34, v28, v42
	v_fma_f32 v36, v42, v28, -v34
	v_fmac_f32_e32 v36, v42, v27
	v_sub_f32_e32 v27, v35, v33
	v_add_f32_e32 v27, v32, v27
	v_add_f32_e32 v32, v34, v36
	v_sub_f32_e32 v35, v33, v32
	v_pk_add_f32 v[38:39], v[32:33], v[34:35] neg_lo:[0,1] neg_hi:[0,1]
	v_mov_b32_e32 v37, v32
	v_pk_add_f32 v[32:33], v[38:39], v[36:37] neg_lo:[0,1] neg_hi:[0,1]
	v_add_f32_e32 v27, v27, v33
	v_add_f32_e32 v27, v32, v27
	;; [unrolled: 1-line block ×4, first 2 shown]
	v_sub_f32_e32 v32, v28, v43
	v_mul_f32_e32 v27, v41, v27
	v_sub_f32_e32 v32, v42, v32
	v_add_f32_e32 v27, v32, v27
	v_add_f32_e32 v32, v28, v27
	v_mul_f32_e32 v35, v32, v32
	v_mov_b32_e32 v34, 0x3ecc95a3
	v_fmac_f32_e32 v34, 0x3e9b6dac, v35
	v_mov_b32_e32 v33, 0x3f2aaada
	v_fmac_f32_e32 v33, v35, v34
	v_cvt_f32_i32_e32 v34, v40
	v_sub_f32_e32 v28, v32, v28
	v_ldexp_f32 v37, v32, 1
	v_mul_f32_e32 v35, v32, v35
	v_mov_b32_e32 v32, 0x3f317218
	s_mov_b32 s2, 0x3f317218
	v_pk_mul_f32 v[32:33], v[34:35], v[32:33]
	v_fma_f32 v36, v34, s2, -v32
	v_fmac_f32_e32 v36, 0xb102e308, v34
	v_pk_add_f32 v[34:35], v[32:33], v[36:37]
	v_sub_f32_e32 v27, v27, v28
	v_sub_f32_e32 v28, v35, v37
	v_ldexp_f32 v27, v27, 1
	v_sub_f32_e32 v28, v33, v28
	v_add_f32_e32 v39, v27, v28
	v_mov_b32_e32 v38, v32
	v_pk_add_f32 v[32:33], v[34:35], v[32:33] neg_lo:[0,1] neg_hi:[0,1]
	v_pk_add_f32 v[40:41], v[34:35], v[38:39]
	v_mov_b32_e32 v33, v41
	v_mov_b32_e32 v37, v34
	v_pk_add_f32 v[42:43], v[36:37], v[32:33] neg_lo:[0,1] neg_hi:[0,1]
	v_pk_add_f32 v[32:33], v[36:37], v[32:33]
	v_mov_b32_e32 v28, v33
	v_pk_add_f32 v[36:37], v[28:29], v[34:35] neg_lo:[0,1] neg_hi:[0,1]
	v_mov_b32_e32 v27, v36
	v_pk_add_f32 v[44:45], v[40:41], v[26:27] neg_lo:[0,1] neg_hi:[0,1]
	v_mov_b32_e32 v32, v41
	v_mov_b32_e32 v40, v35
	;; [unrolled: 1-line block ×4, first 2 shown]
	v_pk_add_f32 v[32:33], v[32:33], v[40:41] neg_lo:[0,1] neg_hi:[0,1]
	v_mov_b32_e32 v36, v39
	v_mov_b32_e32 v37, v34
	v_pk_add_f32 v[32:33], v[36:37], v[32:33] neg_lo:[0,1] neg_hi:[0,1]
	v_mov_b32_e32 v44, v42
	v_pk_add_f32 v[34:35], v[44:45], v[32:33]
	v_mov_b32_e32 v36, v35
	v_pk_add_f32 v[36:37], v[34:35], v[36:37]
	v_pk_add_f32 v[38:39], v[28:29], v[36:37]
	v_mov_b32_e32 v35, v38
	v_pk_add_f32 v[40:41], v[34:35], v[42:43] neg_lo:[0,1] neg_hi:[0,1]
	v_mov_b32_e32 v33, v36
	v_sub_f32_e32 v27, v34, v40
	v_pk_add_f32 v[32:33], v[32:33], v[40:41] neg_lo:[0,1] neg_hi:[0,1]
	v_sub_f32_e32 v27, v42, v27
	s_mov_b32 s3, 0x7f800000
	v_add_f32_e32 v27, v32, v27
	s_mov_b32 s2, 0x33800000
	v_add_f32_e32 v27, v27, v33
	v_cmp_eq_f32_e64 s[84:85], s3, v31
	v_cmp_lt_f32_e64 s[86:87], |v31|, s2
	v_add_f32_e32 v27, v38, v27
	s_or_b64 s[84:85], s[84:85], s[86:87]
	v_cndmask_b32_e64 v27, v27, v31, s[84:85]
	v_add_f32_e32 v26, v26, v27
	v_cvt_f16_f32_e32 v31, v26
	v_cvt_f32_f16_e32 v33, v31
	v_mov_b32_e32 v32, v31
.LBB391_86:
	s_or_b64 exec, exec, s[0:1]
	v_cvt_f32_f16_sdwa v26, v7 dst_sel:DWORD dst_unused:UNUSED_PAD src0_sel:WORD_1
	v_max_f32_e32 v28, v33, v33
	v_cmp_u_f16_e64 s[86:87], v31, v31
	v_cmp_u_f16_sdwa s[84:85], v7, v7 src0_sel:WORD_1 src1_sel:WORD_1
	v_min_f32_e32 v27, v28, v26
	v_max_f32_e32 v7, v28, v26
	v_cndmask_b32_e64 v27, v27, v33, s[86:87]
	v_cndmask_b32_e64 v7, v7, v33, s[86:87]
	;; [unrolled: 1-line block ×4, first 2 shown]
	v_cmp_neq_f32_e64 s[86:87], v27, v7
	v_cmp_class_f32_e64 s[0:1], v27, s33
	s_or_b64 s[86:87], s[86:87], s[0:1]
	s_and_saveexec_b64 s[0:1], s[86:87]
	s_cbranch_execz .LBB391_88
; %bb.87:
	v_sub_f32_e32 v27, v27, v7
	s_mov_b32 s2, 0x3fb8aa3b
	v_mul_f32_e32 v28, 0x3fb8aa3b, v27
	v_fma_f32 v31, v27, s2, -v28
	v_rndne_f32_e32 v32, v28
	v_fmac_f32_e32 v31, 0x32a5705f, v27
	v_sub_f32_e32 v28, v28, v32
	v_add_f32_e32 v28, v28, v31
	v_exp_f32_e32 v28, v28
	v_cvt_i32_f32_e32 v31, v32
	s_mov_b32 s2, 0xc2ce8ed0
	v_cmp_ngt_f32_e64 s[86:87], s2, v27
	s_mov_b32 s2, 0x42b17218
	v_ldexp_f32 v28, v28, v31
	v_cndmask_b32_e64 v28, 0, v28, s[86:87]
	v_mov_b32_e32 v31, 0x7f800000
	v_cmp_nlt_f32_e64 s[86:87], s2, v27
	v_cndmask_b32_e64 v31, v31, v28, s[86:87]
	v_add_f32_e32 v27, 1.0, v31
	v_add_f32_e32 v28, -1.0, v27
	v_sub_f32_e32 v32, v28, v27
	v_add_f32_e32 v32, 1.0, v32
	v_sub_f32_e32 v28, v31, v28
	v_add_f32_e32 v28, v28, v32
	v_frexp_mant_f32_e32 v34, v27
	s_mov_b32 s2, 0x3f2aaaab
	v_cvt_f64_f32_e32 v[32:33], v27
	v_frexp_exp_i32_f64_e32 v32, v[32:33]
	v_cmp_gt_f32_e64 s[86:87], s2, v34
	v_subbrev_co_u32_e64 v40, s[86:87], 0, v32, s[86:87]
	v_sub_u32_e32 v32, 0, v40
	v_ldexp_f32 v27, v27, v32
	v_ldexp_f32 v28, v28, v32
	v_add_f32_e32 v32, -1.0, v27
	v_add_f32_e32 v33, 1.0, v32
	v_sub_f32_e32 v33, v27, v33
	v_add_f32_e32 v34, v28, v33
	v_add_f32_e32 v33, 1.0, v27
	v_add_f32_e32 v35, -1.0, v33
	v_sub_f32_e32 v27, v27, v35
	v_add_f32_e32 v27, v28, v27
	v_add_f32_e32 v28, v33, v27
	v_rcp_f32_e32 v41, v28
	v_sub_f32_e32 v33, v33, v28
	v_add_f32_e32 v27, v27, v33
	v_add_f32_e32 v33, v32, v34
	v_sub_f32_e32 v32, v32, v33
	v_mul_f32_e32 v43, v33, v41
	v_add_f32_e32 v42, v34, v32
	v_mul_f32_e32 v34, v28, v43
	v_fma_f32 v36, v43, v28, -v34
	v_fmac_f32_e32 v36, v43, v27
	v_add_f32_e32 v32, v34, v36
	v_sub_f32_e32 v35, v33, v32
	v_pk_add_f32 v[38:39], v[32:33], v[34:35] neg_lo:[0,1] neg_hi:[0,1]
	v_mov_b32_e32 v37, v32
	v_pk_add_f32 v[32:33], v[38:39], v[36:37] neg_lo:[0,1] neg_hi:[0,1]
	v_add_f32_e32 v33, v42, v33
	v_add_f32_e32 v32, v32, v33
	;; [unrolled: 1-line block ×3, first 2 shown]
	v_mul_f32_e32 v42, v41, v33
	v_mul_f32_e32 v34, v28, v42
	v_fma_f32 v36, v42, v28, -v34
	v_fmac_f32_e32 v36, v42, v27
	v_sub_f32_e32 v27, v35, v33
	v_add_f32_e32 v27, v32, v27
	v_add_f32_e32 v32, v34, v36
	v_sub_f32_e32 v35, v33, v32
	v_pk_add_f32 v[38:39], v[32:33], v[34:35] neg_lo:[0,1] neg_hi:[0,1]
	v_mov_b32_e32 v37, v32
	v_pk_add_f32 v[32:33], v[38:39], v[36:37] neg_lo:[0,1] neg_hi:[0,1]
	v_add_f32_e32 v27, v27, v33
	v_add_f32_e32 v27, v32, v27
	;; [unrolled: 1-line block ×4, first 2 shown]
	v_sub_f32_e32 v32, v28, v43
	v_mul_f32_e32 v27, v41, v27
	v_sub_f32_e32 v32, v42, v32
	v_add_f32_e32 v27, v32, v27
	v_add_f32_e32 v32, v28, v27
	v_mul_f32_e32 v35, v32, v32
	v_mov_b32_e32 v34, 0x3ecc95a3
	v_fmac_f32_e32 v34, 0x3e9b6dac, v35
	v_mov_b32_e32 v33, 0x3f2aaada
	v_fmac_f32_e32 v33, v35, v34
	v_cvt_f32_i32_e32 v34, v40
	v_sub_f32_e32 v28, v32, v28
	v_ldexp_f32 v37, v32, 1
	v_mul_f32_e32 v35, v32, v35
	v_mov_b32_e32 v32, 0x3f317218
	s_mov_b32 s2, 0x3f317218
	v_pk_mul_f32 v[32:33], v[34:35], v[32:33]
	v_fma_f32 v36, v34, s2, -v32
	v_fmac_f32_e32 v36, 0xb102e308, v34
	v_pk_add_f32 v[34:35], v[32:33], v[36:37]
	v_sub_f32_e32 v27, v27, v28
	v_sub_f32_e32 v28, v35, v37
	v_ldexp_f32 v27, v27, 1
	v_sub_f32_e32 v28, v33, v28
	v_add_f32_e32 v39, v27, v28
	v_mov_b32_e32 v38, v32
	v_pk_add_f32 v[32:33], v[34:35], v[32:33] neg_lo:[0,1] neg_hi:[0,1]
	v_pk_add_f32 v[40:41], v[34:35], v[38:39]
	v_mov_b32_e32 v33, v41
	v_mov_b32_e32 v37, v34
	v_pk_add_f32 v[42:43], v[36:37], v[32:33] neg_lo:[0,1] neg_hi:[0,1]
	v_pk_add_f32 v[32:33], v[36:37], v[32:33]
	v_mov_b32_e32 v28, v33
	v_pk_add_f32 v[36:37], v[28:29], v[34:35] neg_lo:[0,1] neg_hi:[0,1]
	v_mov_b32_e32 v27, v36
	v_pk_add_f32 v[44:45], v[40:41], v[26:27] neg_lo:[0,1] neg_hi:[0,1]
	v_mov_b32_e32 v32, v41
	v_mov_b32_e32 v40, v35
	;; [unrolled: 1-line block ×4, first 2 shown]
	v_pk_add_f32 v[32:33], v[32:33], v[40:41] neg_lo:[0,1] neg_hi:[0,1]
	v_mov_b32_e32 v36, v39
	v_mov_b32_e32 v37, v34
	v_pk_add_f32 v[32:33], v[36:37], v[32:33] neg_lo:[0,1] neg_hi:[0,1]
	v_mov_b32_e32 v44, v42
	v_pk_add_f32 v[34:35], v[44:45], v[32:33]
	v_mov_b32_e32 v36, v35
	v_pk_add_f32 v[36:37], v[34:35], v[36:37]
	v_pk_add_f32 v[38:39], v[28:29], v[36:37]
	v_mov_b32_e32 v35, v38
	v_pk_add_f32 v[40:41], v[34:35], v[42:43] neg_lo:[0,1] neg_hi:[0,1]
	v_mov_b32_e32 v33, v36
	v_sub_f32_e32 v27, v34, v40
	v_pk_add_f32 v[32:33], v[32:33], v[40:41] neg_lo:[0,1] neg_hi:[0,1]
	v_sub_f32_e32 v27, v42, v27
	s_mov_b32 s3, 0x7f800000
	v_add_f32_e32 v27, v32, v27
	s_mov_b32 s2, 0x33800000
	v_add_f32_e32 v27, v27, v33
	v_cmp_eq_f32_e64 s[86:87], s3, v31
	v_cmp_lt_f32_e64 s[88:89], |v31|, s2
	v_add_f32_e32 v27, v38, v27
	s_or_b64 s[86:87], s[86:87], s[88:89]
	v_cndmask_b32_e64 v27, v27, v31, s[86:87]
	v_add_f32_e32 v7, v7, v27
	v_cvt_f16_f32_e32 v31, v7
	v_cvt_f32_f16_e32 v33, v31
	v_mov_b32_e32 v32, v31
.LBB391_88:
	s_or_b64 exec, exec, s[0:1]
	v_cvt_f32_f16_e32 v7, v8
	v_max_f32_e32 v27, v33, v33
	v_cmp_u_f16_e64 s[88:89], v31, v31
	v_cmp_u_f16_e64 s[86:87], v8, v8
	v_min_f32_e32 v28, v27, v7
	v_max_f32_e32 v27, v27, v7
	v_cndmask_b32_e64 v28, v28, v33, s[88:89]
	v_cndmask_b32_e64 v27, v27, v33, s[88:89]
	;; [unrolled: 1-line block ×4, first 2 shown]
	v_cmp_neq_f32_e64 s[88:89], v28, v27
	v_cmp_class_f32_e64 s[0:1], v28, s33
	s_or_b64 s[88:89], s[88:89], s[0:1]
	s_and_saveexec_b64 s[0:1], s[88:89]
	s_cbranch_execz .LBB391_90
; %bb.89:
	v_sub_f32_e32 v28, v28, v27
	s_mov_b32 s2, 0x3fb8aa3b
	v_mul_f32_e32 v31, 0x3fb8aa3b, v28
	v_fma_f32 v32, v28, s2, -v31
	v_rndne_f32_e32 v33, v31
	v_fmac_f32_e32 v32, 0x32a5705f, v28
	v_sub_f32_e32 v31, v31, v33
	v_add_f32_e32 v31, v31, v32
	v_exp_f32_e32 v31, v31
	v_cvt_i32_f32_e32 v32, v33
	s_mov_b32 s2, 0xc2ce8ed0
	v_cmp_ngt_f32_e64 s[88:89], s2, v28
	s_mov_b32 s2, 0x42b17218
	v_ldexp_f32 v31, v31, v32
	v_cndmask_b32_e64 v31, 0, v31, s[88:89]
	v_mov_b32_e32 v32, 0x7f800000
	v_cmp_nlt_f32_e64 s[88:89], s2, v28
	v_cndmask_b32_e64 v46, v32, v31, s[88:89]
	v_add_f32_e32 v28, 1.0, v46
	v_add_f32_e32 v31, -1.0, v28
	v_sub_f32_e32 v32, v31, v28
	v_add_f32_e32 v32, 1.0, v32
	v_sub_f32_e32 v31, v46, v31
	v_add_f32_e32 v31, v31, v32
	v_frexp_mant_f32_e32 v34, v28
	s_mov_b32 s2, 0x3f2aaaab
	v_cvt_f64_f32_e32 v[32:33], v28
	v_frexp_exp_i32_f64_e32 v32, v[32:33]
	v_cmp_gt_f32_e64 s[88:89], s2, v34
	v_subbrev_co_u32_e64 v40, s[88:89], 0, v32, s[88:89]
	v_sub_u32_e32 v32, 0, v40
	v_ldexp_f32 v28, v28, v32
	v_ldexp_f32 v31, v31, v32
	v_add_f32_e32 v32, -1.0, v28
	v_add_f32_e32 v33, 1.0, v32
	v_sub_f32_e32 v33, v28, v33
	v_add_f32_e32 v34, v31, v33
	v_add_f32_e32 v33, 1.0, v28
	v_add_f32_e32 v35, -1.0, v33
	v_sub_f32_e32 v28, v28, v35
	v_add_f32_e32 v28, v31, v28
	v_add_f32_e32 v31, v33, v28
	v_rcp_f32_e32 v41, v31
	v_sub_f32_e32 v33, v33, v31
	v_add_f32_e32 v28, v28, v33
	v_add_f32_e32 v33, v32, v34
	v_sub_f32_e32 v32, v32, v33
	v_mul_f32_e32 v43, v33, v41
	v_add_f32_e32 v42, v34, v32
	v_mul_f32_e32 v34, v31, v43
	v_fma_f32 v36, v43, v31, -v34
	v_fmac_f32_e32 v36, v43, v28
	v_add_f32_e32 v32, v34, v36
	v_sub_f32_e32 v35, v33, v32
	v_pk_add_f32 v[38:39], v[32:33], v[34:35] neg_lo:[0,1] neg_hi:[0,1]
	v_mov_b32_e32 v37, v32
	v_pk_add_f32 v[32:33], v[38:39], v[36:37] neg_lo:[0,1] neg_hi:[0,1]
	v_add_f32_e32 v33, v42, v33
	v_add_f32_e32 v32, v32, v33
	;; [unrolled: 1-line block ×3, first 2 shown]
	v_mul_f32_e32 v42, v41, v33
	v_mul_f32_e32 v34, v31, v42
	v_fma_f32 v36, v42, v31, -v34
	v_fmac_f32_e32 v36, v42, v28
	v_sub_f32_e32 v28, v35, v33
	v_add_f32_e32 v28, v32, v28
	v_add_f32_e32 v32, v34, v36
	v_sub_f32_e32 v35, v33, v32
	v_pk_add_f32 v[38:39], v[32:33], v[34:35] neg_lo:[0,1] neg_hi:[0,1]
	v_mov_b32_e32 v37, v32
	v_pk_add_f32 v[32:33], v[38:39], v[36:37] neg_lo:[0,1] neg_hi:[0,1]
	v_add_f32_e32 v28, v28, v33
	v_add_f32_e32 v28, v32, v28
	;; [unrolled: 1-line block ×4, first 2 shown]
	v_sub_f32_e32 v32, v31, v43
	v_mul_f32_e32 v28, v41, v28
	v_sub_f32_e32 v32, v42, v32
	v_add_f32_e32 v28, v32, v28
	v_add_f32_e32 v32, v31, v28
	v_mul_f32_e32 v35, v32, v32
	v_mov_b32_e32 v34, 0x3ecc95a3
	v_fmac_f32_e32 v34, 0x3e9b6dac, v35
	v_mov_b32_e32 v33, 0x3f2aaada
	v_fmac_f32_e32 v33, v35, v34
	v_cvt_f32_i32_e32 v34, v40
	v_sub_f32_e32 v31, v32, v31
	v_ldexp_f32 v37, v32, 1
	v_mul_f32_e32 v35, v32, v35
	v_mov_b32_e32 v32, 0x3f317218
	s_mov_b32 s2, 0x3f317218
	v_pk_mul_f32 v[32:33], v[34:35], v[32:33]
	v_fma_f32 v36, v34, s2, -v32
	v_fmac_f32_e32 v36, 0xb102e308, v34
	v_pk_add_f32 v[34:35], v[32:33], v[36:37]
	v_sub_f32_e32 v28, v28, v31
	v_sub_f32_e32 v31, v35, v37
	v_ldexp_f32 v28, v28, 1
	v_sub_f32_e32 v31, v33, v31
	v_add_f32_e32 v39, v28, v31
	v_mov_b32_e32 v38, v32
	v_pk_add_f32 v[32:33], v[34:35], v[32:33] neg_lo:[0,1] neg_hi:[0,1]
	v_pk_add_f32 v[40:41], v[34:35], v[38:39]
	v_mov_b32_e32 v33, v41
	v_mov_b32_e32 v37, v34
	v_pk_add_f32 v[42:43], v[36:37], v[32:33] neg_lo:[0,1] neg_hi:[0,1]
	v_pk_add_f32 v[32:33], v[36:37], v[32:33]
	v_mov_b32_e32 v28, v33
	v_pk_add_f32 v[36:37], v[28:29], v[34:35] neg_lo:[0,1] neg_hi:[0,1]
	v_mov_b32_e32 v31, v36
	v_pk_add_f32 v[44:45], v[40:41], v[30:31] neg_lo:[0,1] neg_hi:[0,1]
	v_mov_b32_e32 v32, v41
	v_mov_b32_e32 v40, v35
	;; [unrolled: 1-line block ×4, first 2 shown]
	v_pk_add_f32 v[32:33], v[32:33], v[40:41] neg_lo:[0,1] neg_hi:[0,1]
	v_mov_b32_e32 v36, v39
	v_mov_b32_e32 v37, v34
	v_pk_add_f32 v[32:33], v[36:37], v[32:33] neg_lo:[0,1] neg_hi:[0,1]
	v_mov_b32_e32 v44, v42
	v_pk_add_f32 v[34:35], v[44:45], v[32:33]
	v_mov_b32_e32 v36, v35
	v_pk_add_f32 v[36:37], v[34:35], v[36:37]
	v_pk_add_f32 v[38:39], v[28:29], v[36:37]
	v_mov_b32_e32 v35, v38
	v_pk_add_f32 v[40:41], v[34:35], v[42:43] neg_lo:[0,1] neg_hi:[0,1]
	v_mov_b32_e32 v33, v36
	v_sub_f32_e32 v28, v34, v40
	v_pk_add_f32 v[32:33], v[32:33], v[40:41] neg_lo:[0,1] neg_hi:[0,1]
	v_sub_f32_e32 v28, v42, v28
	s_mov_b32 s3, 0x7f800000
	v_add_f32_e32 v28, v32, v28
	s_mov_b32 s2, 0x33800000
	v_add_f32_e32 v28, v28, v33
	v_cmp_eq_f32_e64 s[88:89], s3, v46
	v_cmp_lt_f32_e64 s[90:91], |v46|, s2
	v_add_f32_e32 v28, v38, v28
	s_or_b64 s[88:89], s[88:89], s[90:91]
	v_cndmask_b32_e64 v28, v28, v46, s[88:89]
	v_add_f32_e32 v27, v27, v28
	v_cvt_f16_f32_e32 v31, v27
	v_cvt_f32_f16_e32 v33, v31
	v_mov_b32_e32 v32, v31
.LBB391_90:
	s_or_b64 exec, exec, s[0:1]
	v_cvt_f32_f16_sdwa v27, v8 dst_sel:DWORD dst_unused:UNUSED_PAD src0_sel:WORD_1
	v_max_f32_e32 v34, v33, v33
	v_cmp_u_f16_e64 s[90:91], v31, v31
	v_cmp_u_f16_sdwa s[88:89], v8, v8 src0_sel:WORD_1 src1_sel:WORD_1
	v_min_f32_e32 v28, v34, v27
	v_max_f32_e32 v8, v34, v27
	v_cndmask_b32_e64 v28, v28, v33, s[90:91]
	v_cndmask_b32_e64 v8, v8, v33, s[90:91]
	;; [unrolled: 1-line block ×4, first 2 shown]
	v_cmp_neq_f32_e64 s[90:91], v28, v8
	v_cmp_class_f32_e64 s[0:1], v28, s33
	s_or_b64 s[90:91], s[90:91], s[0:1]
	s_and_saveexec_b64 s[0:1], s[90:91]
	s_cbranch_execz .LBB391_92
; %bb.91:
	v_sub_f32_e32 v28, v28, v8
	s_mov_b32 s2, 0x3fb8aa3b
	v_mul_f32_e32 v31, 0x3fb8aa3b, v28
	v_fma_f32 v32, v28, s2, -v31
	v_rndne_f32_e32 v33, v31
	v_fmac_f32_e32 v32, 0x32a5705f, v28
	v_sub_f32_e32 v31, v31, v33
	v_add_f32_e32 v31, v31, v32
	v_exp_f32_e32 v31, v31
	v_cvt_i32_f32_e32 v32, v33
	s_mov_b32 s2, 0xc2ce8ed0
	v_cmp_ngt_f32_e64 s[90:91], s2, v28
	s_mov_b32 s2, 0x42b17218
	v_ldexp_f32 v31, v31, v32
	v_cndmask_b32_e64 v31, 0, v31, s[90:91]
	v_mov_b32_e32 v32, 0x7f800000
	v_cmp_nlt_f32_e64 s[90:91], s2, v28
	v_cndmask_b32_e64 v46, v32, v31, s[90:91]
	v_add_f32_e32 v28, 1.0, v46
	v_add_f32_e32 v31, -1.0, v28
	v_sub_f32_e32 v32, v31, v28
	v_add_f32_e32 v32, 1.0, v32
	v_sub_f32_e32 v31, v46, v31
	v_add_f32_e32 v31, v31, v32
	v_frexp_mant_f32_e32 v34, v28
	s_mov_b32 s2, 0x3f2aaaab
	v_cvt_f64_f32_e32 v[32:33], v28
	v_frexp_exp_i32_f64_e32 v32, v[32:33]
	v_cmp_gt_f32_e64 s[90:91], s2, v34
	v_subbrev_co_u32_e64 v40, s[90:91], 0, v32, s[90:91]
	v_sub_u32_e32 v32, 0, v40
	v_ldexp_f32 v28, v28, v32
	v_ldexp_f32 v31, v31, v32
	v_add_f32_e32 v32, -1.0, v28
	v_add_f32_e32 v33, 1.0, v32
	v_sub_f32_e32 v33, v28, v33
	v_add_f32_e32 v34, v31, v33
	v_add_f32_e32 v33, 1.0, v28
	v_add_f32_e32 v35, -1.0, v33
	v_sub_f32_e32 v28, v28, v35
	v_add_f32_e32 v28, v31, v28
	v_add_f32_e32 v31, v33, v28
	v_rcp_f32_e32 v41, v31
	v_sub_f32_e32 v33, v33, v31
	v_add_f32_e32 v28, v28, v33
	v_add_f32_e32 v33, v32, v34
	v_sub_f32_e32 v32, v32, v33
	v_mul_f32_e32 v43, v33, v41
	v_add_f32_e32 v42, v34, v32
	v_mul_f32_e32 v34, v31, v43
	v_fma_f32 v36, v43, v31, -v34
	v_fmac_f32_e32 v36, v43, v28
	v_add_f32_e32 v32, v34, v36
	v_sub_f32_e32 v35, v33, v32
	v_pk_add_f32 v[38:39], v[32:33], v[34:35] neg_lo:[0,1] neg_hi:[0,1]
	v_mov_b32_e32 v37, v32
	v_pk_add_f32 v[32:33], v[38:39], v[36:37] neg_lo:[0,1] neg_hi:[0,1]
	v_add_f32_e32 v33, v42, v33
	v_add_f32_e32 v32, v32, v33
	;; [unrolled: 1-line block ×3, first 2 shown]
	v_mul_f32_e32 v42, v41, v33
	v_mul_f32_e32 v34, v31, v42
	v_fma_f32 v36, v42, v31, -v34
	v_fmac_f32_e32 v36, v42, v28
	v_sub_f32_e32 v28, v35, v33
	v_add_f32_e32 v28, v32, v28
	v_add_f32_e32 v32, v34, v36
	v_sub_f32_e32 v35, v33, v32
	v_pk_add_f32 v[38:39], v[32:33], v[34:35] neg_lo:[0,1] neg_hi:[0,1]
	v_mov_b32_e32 v37, v32
	v_pk_add_f32 v[32:33], v[38:39], v[36:37] neg_lo:[0,1] neg_hi:[0,1]
	v_add_f32_e32 v28, v28, v33
	v_add_f32_e32 v28, v32, v28
	v_add_f32_e32 v31, v43, v42
	v_add_f32_e32 v28, v35, v28
	v_sub_f32_e32 v32, v31, v43
	v_mul_f32_e32 v28, v41, v28
	v_sub_f32_e32 v32, v42, v32
	v_add_f32_e32 v28, v32, v28
	v_add_f32_e32 v32, v31, v28
	v_mul_f32_e32 v35, v32, v32
	v_mov_b32_e32 v34, 0x3ecc95a3
	v_fmac_f32_e32 v34, 0x3e9b6dac, v35
	v_mov_b32_e32 v33, 0x3f2aaada
	v_fmac_f32_e32 v33, v35, v34
	v_cvt_f32_i32_e32 v34, v40
	v_sub_f32_e32 v31, v32, v31
	v_ldexp_f32 v37, v32, 1
	v_mul_f32_e32 v35, v32, v35
	v_mov_b32_e32 v32, 0x3f317218
	s_mov_b32 s2, 0x3f317218
	v_pk_mul_f32 v[32:33], v[34:35], v[32:33]
	v_fma_f32 v36, v34, s2, -v32
	v_fmac_f32_e32 v36, 0xb102e308, v34
	v_pk_add_f32 v[34:35], v[32:33], v[36:37]
	v_sub_f32_e32 v28, v28, v31
	v_sub_f32_e32 v31, v35, v37
	v_ldexp_f32 v28, v28, 1
	v_sub_f32_e32 v31, v33, v31
	v_add_f32_e32 v39, v28, v31
	v_mov_b32_e32 v38, v32
	v_pk_add_f32 v[32:33], v[34:35], v[32:33] neg_lo:[0,1] neg_hi:[0,1]
	v_pk_add_f32 v[40:41], v[34:35], v[38:39]
	v_mov_b32_e32 v33, v41
	v_mov_b32_e32 v37, v34
	v_pk_add_f32 v[42:43], v[36:37], v[32:33] neg_lo:[0,1] neg_hi:[0,1]
	v_pk_add_f32 v[32:33], v[36:37], v[32:33]
	v_mov_b32_e32 v28, v33
	v_pk_add_f32 v[36:37], v[28:29], v[34:35] neg_lo:[0,1] neg_hi:[0,1]
	v_mov_b32_e32 v31, v36
	v_pk_add_f32 v[44:45], v[40:41], v[30:31] neg_lo:[0,1] neg_hi:[0,1]
	v_mov_b32_e32 v32, v41
	v_mov_b32_e32 v40, v35
	;; [unrolled: 1-line block ×4, first 2 shown]
	v_pk_add_f32 v[32:33], v[32:33], v[40:41] neg_lo:[0,1] neg_hi:[0,1]
	v_mov_b32_e32 v36, v39
	v_mov_b32_e32 v37, v34
	v_pk_add_f32 v[32:33], v[36:37], v[32:33] neg_lo:[0,1] neg_hi:[0,1]
	v_mov_b32_e32 v44, v42
	v_pk_add_f32 v[34:35], v[44:45], v[32:33]
	v_mov_b32_e32 v36, v35
	v_pk_add_f32 v[36:37], v[34:35], v[36:37]
	v_pk_add_f32 v[38:39], v[28:29], v[36:37]
	v_mov_b32_e32 v35, v38
	v_pk_add_f32 v[40:41], v[34:35], v[42:43] neg_lo:[0,1] neg_hi:[0,1]
	v_mov_b32_e32 v33, v36
	v_sub_f32_e32 v28, v34, v40
	v_pk_add_f32 v[32:33], v[32:33], v[40:41] neg_lo:[0,1] neg_hi:[0,1]
	v_sub_f32_e32 v28, v42, v28
	s_mov_b32 s3, 0x7f800000
	v_add_f32_e32 v28, v32, v28
	s_mov_b32 s2, 0x33800000
	v_add_f32_e32 v28, v28, v33
	v_cmp_eq_f32_e64 s[90:91], s3, v46
	v_cmp_lt_f32_e64 s[92:93], |v46|, s2
	v_add_f32_e32 v28, v38, v28
	s_or_b64 s[90:91], s[90:91], s[92:93]
	v_cndmask_b32_e64 v28, v28, v46, s[90:91]
	v_add_f32_e32 v8, v8, v28
	v_cvt_f16_f32_e32 v31, v8
	v_cvt_f32_f16_e32 v33, v31
	v_mov_b32_e32 v32, v31
.LBB391_92:
	s_or_b64 exec, exec, s[0:1]
	v_cvt_f32_f16_e32 v8, v9
	v_max_f32_e32 v28, v33, v33
	v_cmp_u_f16_e64 s[92:93], v31, v31
	v_cmp_u_f16_e64 s[90:91], v9, v9
	v_min_f32_e32 v34, v28, v8
	v_max_f32_e32 v28, v28, v8
	v_cndmask_b32_e64 v34, v34, v33, s[92:93]
	v_cndmask_b32_e64 v28, v28, v33, s[92:93]
	;; [unrolled: 1-line block ×4, first 2 shown]
	v_cmp_neq_f32_e64 s[92:93], v34, v28
	v_cmp_class_f32_e64 s[0:1], v34, s33
	s_or_b64 s[92:93], s[92:93], s[0:1]
	s_and_saveexec_b64 s[0:1], s[92:93]
	s_cbranch_execz .LBB391_94
; %bb.93:
	v_sub_f32_e32 v31, v34, v28
	s_mov_b32 s2, 0x3fb8aa3b
	v_mul_f32_e32 v32, 0x3fb8aa3b, v31
	v_fma_f32 v33, v31, s2, -v32
	v_rndne_f32_e32 v34, v32
	v_fmac_f32_e32 v33, 0x32a5705f, v31
	v_sub_f32_e32 v32, v32, v34
	v_add_f32_e32 v32, v32, v33
	v_exp_f32_e32 v32, v32
	v_cvt_i32_f32_e32 v33, v34
	s_mov_b32 s2, 0xc2ce8ed0
	v_cmp_ngt_f32_e64 s[92:93], s2, v31
	s_mov_b32 s2, 0x42b17218
	v_ldexp_f32 v32, v32, v33
	v_cndmask_b32_e64 v32, 0, v32, s[92:93]
	v_mov_b32_e32 v33, 0x7f800000
	v_cmp_nlt_f32_e64 s[92:93], s2, v31
	v_cndmask_b32_e64 v48, v33, v32, s[92:93]
	v_add_f32_e32 v31, 1.0, v48
	v_add_f32_e32 v32, -1.0, v31
	v_sub_f32_e32 v33, v32, v31
	v_add_f32_e32 v33, 1.0, v33
	v_sub_f32_e32 v32, v48, v32
	v_add_f32_e32 v34, v32, v33
	v_frexp_mant_f32_e32 v35, v31
	s_mov_b32 s2, 0x3f2aaaab
	v_cvt_f64_f32_e32 v[32:33], v31
	v_frexp_exp_i32_f64_e32 v32, v[32:33]
	v_cmp_gt_f32_e64 s[92:93], s2, v35
	v_subbrev_co_u32_e64 v40, s[92:93], 0, v32, s[92:93]
	v_sub_u32_e32 v32, 0, v40
	v_ldexp_f32 v31, v31, v32
	v_ldexp_f32 v32, v34, v32
	v_add_f32_e32 v34, -1.0, v31
	v_add_f32_e32 v33, 1.0, v34
	v_sub_f32_e32 v33, v31, v33
	v_add_f32_e32 v35, v32, v33
	v_add_f32_e32 v33, 1.0, v31
	v_add_f32_e32 v36, -1.0, v33
	v_sub_f32_e32 v31, v31, v36
	v_add_f32_e32 v31, v32, v31
	v_add_f32_e32 v41, v33, v31
	v_rcp_f32_e32 v42, v41
	v_sub_f32_e32 v32, v33, v41
	v_add_f32_e32 v33, v34, v35
	v_add_f32_e32 v31, v31, v32
	v_mul_f32_e32 v44, v33, v42
	v_sub_f32_e32 v32, v34, v33
	v_mul_f32_e32 v34, v41, v44
	v_fma_f32 v36, v44, v41, -v34
	v_fmac_f32_e32 v36, v44, v31
	v_add_f32_e32 v43, v35, v32
	v_add_f32_e32 v32, v34, v36
	v_sub_f32_e32 v35, v33, v32
	v_pk_add_f32 v[38:39], v[32:33], v[34:35] neg_lo:[0,1] neg_hi:[0,1]
	v_mov_b32_e32 v37, v32
	v_pk_add_f32 v[32:33], v[38:39], v[36:37] neg_lo:[0,1] neg_hi:[0,1]
	v_add_f32_e32 v33, v43, v33
	v_add_f32_e32 v32, v32, v33
	;; [unrolled: 1-line block ×3, first 2 shown]
	v_mul_f32_e32 v43, v42, v33
	v_mul_f32_e32 v34, v41, v43
	v_fma_f32 v36, v43, v41, -v34
	v_fmac_f32_e32 v36, v43, v31
	v_sub_f32_e32 v31, v35, v33
	v_add_f32_e32 v31, v32, v31
	v_add_f32_e32 v32, v34, v36
	v_sub_f32_e32 v35, v33, v32
	v_pk_add_f32 v[38:39], v[32:33], v[34:35] neg_lo:[0,1] neg_hi:[0,1]
	v_mov_b32_e32 v37, v32
	v_pk_add_f32 v[32:33], v[38:39], v[36:37] neg_lo:[0,1] neg_hi:[0,1]
	v_add_f32_e32 v31, v31, v33
	v_add_f32_e32 v31, v32, v31
	v_add_f32_e32 v32, v44, v43
	v_add_f32_e32 v31, v35, v31
	v_sub_f32_e32 v33, v32, v44
	v_mul_f32_e32 v31, v42, v31
	v_sub_f32_e32 v33, v43, v33
	v_add_f32_e32 v31, v33, v31
	v_add_f32_e32 v35, v32, v31
	v_mul_f32_e32 v36, v35, v35
	v_mov_b32_e32 v34, 0x3ecc95a3
	v_fmac_f32_e32 v34, 0x3e9b6dac, v36
	v_mov_b32_e32 v33, 0x3f2aaada
	v_fmac_f32_e32 v33, v36, v34
	v_cvt_f32_i32_e32 v34, v40
	v_sub_f32_e32 v32, v35, v32
	v_sub_f32_e32 v31, v31, v32
	v_ldexp_f32 v37, v35, 1
	v_mul_f32_e32 v35, v35, v36
	v_mov_b32_e32 v32, 0x3f317218
	s_mov_b32 s2, 0x3f317218
	v_pk_mul_f32 v[32:33], v[34:35], v[32:33]
	v_fma_f32 v36, v34, s2, -v32
	v_fmac_f32_e32 v36, 0xb102e308, v34
	v_pk_add_f32 v[34:35], v[32:33], v[36:37]
	v_sub_f32_e32 v37, v35, v37
	v_ldexp_f32 v31, v31, 1
	v_sub_f32_e32 v37, v33, v37
	v_add_f32_e32 v39, v31, v37
	v_mov_b32_e32 v38, v32
	v_pk_add_f32 v[32:33], v[34:35], v[32:33] neg_lo:[0,1] neg_hi:[0,1]
	v_pk_add_f32 v[40:41], v[34:35], v[38:39]
	v_mov_b32_e32 v33, v41
	v_mov_b32_e32 v37, v34
	v_pk_add_f32 v[42:43], v[36:37], v[32:33] neg_lo:[0,1] neg_hi:[0,1]
	v_pk_add_f32 v[32:33], v[36:37], v[32:33]
	v_mov_b32_e32 v36, v33
	v_pk_add_f32 v[44:45], v[36:37], v[34:35] neg_lo:[0,1] neg_hi:[0,1]
	v_mov_b32_e32 v31, v44
	v_pk_add_f32 v[46:47], v[40:41], v[30:31] neg_lo:[0,1] neg_hi:[0,1]
	v_mov_b32_e32 v32, v41
	v_mov_b32_e32 v40, v35
	v_mov_b32_e32 v41, v44
	v_mov_b32_e32 v43, v33
	v_pk_add_f32 v[32:33], v[32:33], v[40:41] neg_lo:[0,1] neg_hi:[0,1]
	v_mov_b32_e32 v38, v39
	v_mov_b32_e32 v39, v34
	v_pk_add_f32 v[32:33], v[38:39], v[32:33] neg_lo:[0,1] neg_hi:[0,1]
	v_mov_b32_e32 v46, v42
	v_pk_add_f32 v[34:35], v[46:47], v[32:33]
	v_mov_b32_e32 v38, v35
	v_pk_add_f32 v[38:39], v[34:35], v[38:39]
	v_pk_add_f32 v[36:37], v[36:37], v[38:39]
	v_mov_b32_e32 v35, v36
	v_pk_add_f32 v[40:41], v[34:35], v[42:43] neg_lo:[0,1] neg_hi:[0,1]
	v_mov_b32_e32 v33, v38
	v_sub_f32_e32 v31, v34, v40
	v_pk_add_f32 v[32:33], v[32:33], v[40:41] neg_lo:[0,1] neg_hi:[0,1]
	v_sub_f32_e32 v31, v42, v31
	s_mov_b32 s3, 0x7f800000
	v_add_f32_e32 v31, v32, v31
	s_mov_b32 s2, 0x33800000
	v_add_f32_e32 v31, v31, v33
	v_cmp_eq_f32_e64 s[92:93], s3, v48
	v_cmp_lt_f32_e64 vcc, |v48|, s2
	v_add_f32_e32 v31, v36, v31
	s_or_b64 s[92:93], s[92:93], vcc
	v_cndmask_b32_e64 v31, v31, v48, s[92:93]
	v_add_f32_e32 v28, v28, v31
	v_cvt_f16_f32_e32 v31, v28
	v_cvt_f32_f16_e32 v33, v31
	v_mov_b32_e32 v32, v31
.LBB391_94:
	s_or_b64 exec, exec, s[0:1]
	v_cvt_f32_f16_sdwa v28, v9 dst_sel:DWORD dst_unused:UNUSED_PAD src0_sel:WORD_1
	v_max_f32_e32 v34, v33, v33
	v_cmp_u_f16_e32 vcc, v31, v31
	v_cmp_u_f16_sdwa s[92:93], v9, v9 src0_sel:WORD_1 src1_sel:WORD_1
	v_min_f32_e32 v9, v34, v28
	v_cndmask_b32_e32 v9, v9, v33, vcc
	v_cndmask_b32_e64 v31, v9, v28, s[92:93]
	v_max_f32_e32 v9, v34, v28
	v_cndmask_b32_e32 v9, v9, v33, vcc
	v_cndmask_b32_e64 v9, v9, v28, s[92:93]
	s_movk_i32 s0, 0x1f8
	v_cmp_neq_f32_e32 vcc, v31, v9
	v_cmp_class_f32_e64 s[0:1], v31, s0
	s_or_b64 vcc, vcc, s[0:1]
	s_and_saveexec_b64 s[0:1], vcc
	s_cbranch_execz .LBB391_96
; %bb.95:
	v_sub_f32_e32 v31, v31, v9
	s_mov_b32 s2, 0x3fb8aa3b
	v_mul_f32_e32 v32, 0x3fb8aa3b, v31
	v_fma_f32 v33, v31, s2, -v32
	v_rndne_f32_e32 v34, v32
	v_fmac_f32_e32 v33, 0x32a5705f, v31
	v_sub_f32_e32 v32, v32, v34
	v_add_f32_e32 v32, v32, v33
	v_exp_f32_e32 v32, v32
	v_cvt_i32_f32_e32 v33, v34
	s_mov_b32 s2, 0xc2ce8ed0
	v_cmp_ngt_f32_e32 vcc, s2, v31
	s_mov_b32 s2, 0x42b17218
	v_ldexp_f32 v32, v32, v33
	v_cndmask_b32_e32 v32, 0, v32, vcc
	v_mov_b32_e32 v33, 0x7f800000
	v_cmp_nlt_f32_e32 vcc, s2, v31
	v_cndmask_b32_e32 v48, v33, v32, vcc
	v_add_f32_e32 v31, 1.0, v48
	v_add_f32_e32 v32, -1.0, v31
	v_sub_f32_e32 v33, v32, v31
	v_add_f32_e32 v33, 1.0, v33
	v_sub_f32_e32 v32, v48, v32
	v_add_f32_e32 v34, v32, v33
	v_frexp_mant_f32_e32 v35, v31
	s_mov_b32 s2, 0x3f2aaaab
	v_cvt_f64_f32_e32 v[32:33], v31
	v_frexp_exp_i32_f64_e32 v32, v[32:33]
	v_cmp_gt_f32_e32 vcc, s2, v35
	v_subbrev_co_u32_e32 v40, vcc, 0, v32, vcc
	v_sub_u32_e32 v32, 0, v40
	v_ldexp_f32 v31, v31, v32
	v_ldexp_f32 v32, v34, v32
	v_add_f32_e32 v34, -1.0, v31
	v_add_f32_e32 v33, 1.0, v34
	v_sub_f32_e32 v33, v31, v33
	v_add_f32_e32 v35, v32, v33
	v_add_f32_e32 v33, 1.0, v31
	v_add_f32_e32 v36, -1.0, v33
	v_sub_f32_e32 v31, v31, v36
	v_add_f32_e32 v31, v32, v31
	v_add_f32_e32 v41, v33, v31
	v_rcp_f32_e32 v42, v41
	v_sub_f32_e32 v32, v33, v41
	v_add_f32_e32 v33, v34, v35
	v_add_f32_e32 v31, v31, v32
	v_mul_f32_e32 v44, v33, v42
	v_sub_f32_e32 v32, v34, v33
	v_mul_f32_e32 v34, v41, v44
	v_fma_f32 v36, v44, v41, -v34
	v_fmac_f32_e32 v36, v44, v31
	v_add_f32_e32 v43, v35, v32
	v_add_f32_e32 v32, v34, v36
	v_sub_f32_e32 v35, v33, v32
	v_pk_add_f32 v[38:39], v[32:33], v[34:35] neg_lo:[0,1] neg_hi:[0,1]
	v_mov_b32_e32 v37, v32
	v_pk_add_f32 v[32:33], v[38:39], v[36:37] neg_lo:[0,1] neg_hi:[0,1]
	v_add_f32_e32 v33, v43, v33
	v_add_f32_e32 v32, v32, v33
	;; [unrolled: 1-line block ×3, first 2 shown]
	v_mul_f32_e32 v43, v42, v33
	v_mul_f32_e32 v34, v41, v43
	v_fma_f32 v36, v43, v41, -v34
	v_fmac_f32_e32 v36, v43, v31
	v_sub_f32_e32 v31, v35, v33
	v_add_f32_e32 v31, v32, v31
	v_add_f32_e32 v32, v34, v36
	v_sub_f32_e32 v35, v33, v32
	v_pk_add_f32 v[38:39], v[32:33], v[34:35] neg_lo:[0,1] neg_hi:[0,1]
	v_mov_b32_e32 v37, v32
	v_pk_add_f32 v[32:33], v[38:39], v[36:37] neg_lo:[0,1] neg_hi:[0,1]
	v_add_f32_e32 v31, v31, v33
	v_add_f32_e32 v31, v32, v31
	v_add_f32_e32 v32, v44, v43
	v_add_f32_e32 v31, v35, v31
	v_sub_f32_e32 v33, v32, v44
	v_mul_f32_e32 v31, v42, v31
	v_sub_f32_e32 v33, v43, v33
	v_add_f32_e32 v31, v33, v31
	v_add_f32_e32 v35, v32, v31
	v_mul_f32_e32 v36, v35, v35
	v_mov_b32_e32 v34, 0x3ecc95a3
	v_fmac_f32_e32 v34, 0x3e9b6dac, v36
	v_mov_b32_e32 v33, 0x3f2aaada
	v_fmac_f32_e32 v33, v36, v34
	v_cvt_f32_i32_e32 v34, v40
	v_sub_f32_e32 v32, v35, v32
	v_sub_f32_e32 v31, v31, v32
	v_ldexp_f32 v37, v35, 1
	v_mul_f32_e32 v35, v35, v36
	v_mov_b32_e32 v32, 0x3f317218
	s_mov_b32 s2, 0x3f317218
	v_pk_mul_f32 v[32:33], v[34:35], v[32:33]
	v_fma_f32 v36, v34, s2, -v32
	v_fmac_f32_e32 v36, 0xb102e308, v34
	v_pk_add_f32 v[34:35], v[32:33], v[36:37]
	v_sub_f32_e32 v37, v35, v37
	v_ldexp_f32 v31, v31, 1
	v_sub_f32_e32 v37, v33, v37
	v_add_f32_e32 v39, v31, v37
	v_mov_b32_e32 v38, v32
	v_pk_add_f32 v[32:33], v[34:35], v[32:33] neg_lo:[0,1] neg_hi:[0,1]
	v_pk_add_f32 v[40:41], v[34:35], v[38:39]
	v_mov_b32_e32 v33, v41
	v_mov_b32_e32 v37, v34
	v_pk_add_f32 v[42:43], v[36:37], v[32:33] neg_lo:[0,1] neg_hi:[0,1]
	v_pk_add_f32 v[32:33], v[36:37], v[32:33]
	v_mov_b32_e32 v36, v33
	v_pk_add_f32 v[44:45], v[36:37], v[34:35] neg_lo:[0,1] neg_hi:[0,1]
	v_mov_b32_e32 v31, v44
	v_pk_add_f32 v[46:47], v[40:41], v[30:31] neg_lo:[0,1] neg_hi:[0,1]
	v_mov_b32_e32 v32, v41
	v_mov_b32_e32 v40, v35
	;; [unrolled: 1-line block ×4, first 2 shown]
	v_pk_add_f32 v[32:33], v[32:33], v[40:41] neg_lo:[0,1] neg_hi:[0,1]
	v_mov_b32_e32 v38, v39
	v_mov_b32_e32 v39, v34
	v_pk_add_f32 v[32:33], v[38:39], v[32:33] neg_lo:[0,1] neg_hi:[0,1]
	v_mov_b32_e32 v46, v42
	v_pk_add_f32 v[34:35], v[46:47], v[32:33]
	v_mov_b32_e32 v38, v35
	v_pk_add_f32 v[38:39], v[34:35], v[38:39]
	v_pk_add_f32 v[36:37], v[36:37], v[38:39]
	v_mov_b32_e32 v35, v36
	v_pk_add_f32 v[40:41], v[34:35], v[42:43] neg_lo:[0,1] neg_hi:[0,1]
	v_mov_b32_e32 v33, v38
	v_sub_f32_e32 v31, v34, v40
	v_pk_add_f32 v[32:33], v[32:33], v[40:41] neg_lo:[0,1] neg_hi:[0,1]
	v_sub_f32_e32 v31, v42, v31
	s_mov_b32 s3, 0x7f800000
	v_add_f32_e32 v31, v32, v31
	s_mov_b32 s2, 0x33800000
	v_add_f32_e32 v31, v31, v33
	v_cmp_eq_f32_e32 vcc, s3, v48
	v_cmp_lt_f32_e64 s[2:3], |v48|, s2
	v_add_f32_e32 v31, v36, v31
	s_or_b64 vcc, vcc, s[2:3]
	v_cndmask_b32_e32 v31, v31, v48, vcc
	v_add_f32_e32 v9, v9, v31
	v_cvt_f16_f32_e32 v32, v9
.LBB391_96:
	s_or_b64 exec, exec, s[0:1]
	s_load_dwordx2 s[0:1], s[4:5], 0x18
	v_mbcnt_lo_u32_b32 v9, -1, 0
	v_mbcnt_hi_u32_b32 v31, -1, v9
	v_and_b32_e32 v33, 15, v31
	v_and_b32_e32 v34, 0xffff, v32
	s_waitcnt lgkmcnt(0)
	v_writelane_b32 v51, s0, 8
	v_cmp_ne_u32_e32 vcc, 0, v33
	v_mov_b32_dpp v35, v34 row_shr:1 row_mask:0xf bank_mask:0xf
	v_writelane_b32 v51, s1, 9
	s_and_saveexec_b64 s[0:1], vcc
	s_cbranch_execz .LBB391_100
; %bb.97:
	v_cvt_f32_f16_e32 v9, v35
	v_cvt_f32_f16_e32 v34, v32
	v_cmp_u_f16_e32 vcc, v35, v35
	v_cmp_u_f16_e64 s[4:5], v32, v32
	s_movk_i32 s2, 0x1f8
	v_min_f32_e32 v32, v9, v34
	v_max_f32_e32 v36, v9, v34
	v_cndmask_b32_e32 v32, v32, v9, vcc
	v_cndmask_b32_e32 v9, v36, v9, vcc
	v_cndmask_b32_e64 v32, v32, v34, s[4:5]
	v_cndmask_b32_e64 v9, v9, v34, s[4:5]
	v_cmp_neq_f32_e32 vcc, v32, v9
	v_cmp_class_f32_e64 s[2:3], v32, s2
	s_or_b64 s[2:3], vcc, s[2:3]
	s_and_saveexec_b64 s[4:5], s[2:3]
	s_cbranch_execz .LBB391_99
; %bb.98:
	v_sub_f32_e32 v32, v32, v9
	s_mov_b32 s2, 0x3fb8aa3b
	v_mul_f32_e32 v34, 0x3fb8aa3b, v32
	v_fma_f32 v35, v32, s2, -v34
	v_rndne_f32_e32 v36, v34
	v_fmac_f32_e32 v35, 0x32a5705f, v32
	v_sub_f32_e32 v34, v34, v36
	v_add_f32_e32 v34, v34, v35
	v_exp_f32_e32 v34, v34
	v_cvt_i32_f32_e32 v35, v36
	s_mov_b32 s2, 0xc2ce8ed0
	v_cmp_ngt_f32_e32 vcc, s2, v32
	s_mov_b32 s2, 0x42b17218
	v_ldexp_f32 v34, v34, v35
	v_cndmask_b32_e32 v34, 0, v34, vcc
	v_mov_b32_e32 v35, 0x7f800000
	v_cmp_nlt_f32_e32 vcc, s2, v32
	v_cndmask_b32_e32 v48, v35, v34, vcc
	v_add_f32_e32 v32, 1.0, v48
	v_add_f32_e32 v34, -1.0, v32
	v_sub_f32_e32 v35, v34, v32
	v_add_f32_e32 v35, 1.0, v35
	v_sub_f32_e32 v34, v48, v34
	v_add_f32_e32 v36, v34, v35
	v_frexp_mant_f32_e32 v37, v32
	s_mov_b32 s2, 0x3f2aaaab
	v_cvt_f64_f32_e32 v[34:35], v32
	v_frexp_exp_i32_f64_e32 v34, v[34:35]
	v_cmp_gt_f32_e32 vcc, s2, v37
	v_subbrev_co_u32_e32 v42, vcc, 0, v34, vcc
	v_sub_u32_e32 v34, 0, v42
	v_ldexp_f32 v32, v32, v34
	v_ldexp_f32 v34, v36, v34
	v_add_f32_e32 v36, -1.0, v32
	v_add_f32_e32 v35, 1.0, v36
	v_sub_f32_e32 v35, v32, v35
	v_add_f32_e32 v37, v34, v35
	v_add_f32_e32 v35, 1.0, v32
	v_add_f32_e32 v38, -1.0, v35
	v_sub_f32_e32 v32, v32, v38
	v_add_f32_e32 v32, v34, v32
	v_add_f32_e32 v43, v35, v32
	v_rcp_f32_e32 v44, v43
	v_sub_f32_e32 v34, v35, v43
	v_add_f32_e32 v35, v36, v37
	v_add_f32_e32 v32, v32, v34
	v_mul_f32_e32 v46, v35, v44
	v_sub_f32_e32 v34, v36, v35
	v_mul_f32_e32 v36, v43, v46
	v_fma_f32 v38, v46, v43, -v36
	v_fmac_f32_e32 v38, v46, v32
	v_add_f32_e32 v45, v37, v34
	v_add_f32_e32 v34, v36, v38
	v_sub_f32_e32 v37, v35, v34
	v_pk_add_f32 v[40:41], v[34:35], v[36:37] neg_lo:[0,1] neg_hi:[0,1]
	v_mov_b32_e32 v39, v34
	v_pk_add_f32 v[34:35], v[40:41], v[38:39] neg_lo:[0,1] neg_hi:[0,1]
	v_add_f32_e32 v35, v45, v35
	v_add_f32_e32 v34, v34, v35
	;; [unrolled: 1-line block ×3, first 2 shown]
	v_mul_f32_e32 v45, v44, v35
	v_mul_f32_e32 v36, v43, v45
	v_fma_f32 v38, v45, v43, -v36
	v_fmac_f32_e32 v38, v45, v32
	v_sub_f32_e32 v32, v37, v35
	v_add_f32_e32 v32, v34, v32
	v_add_f32_e32 v34, v36, v38
	v_sub_f32_e32 v37, v35, v34
	v_pk_add_f32 v[40:41], v[34:35], v[36:37] neg_lo:[0,1] neg_hi:[0,1]
	v_mov_b32_e32 v39, v34
	v_pk_add_f32 v[34:35], v[40:41], v[38:39] neg_lo:[0,1] neg_hi:[0,1]
	v_add_f32_e32 v32, v32, v35
	v_add_f32_e32 v32, v34, v32
	;; [unrolled: 1-line block ×4, first 2 shown]
	v_sub_f32_e32 v35, v34, v46
	v_mul_f32_e32 v32, v44, v32
	v_sub_f32_e32 v35, v45, v35
	v_add_f32_e32 v32, v35, v32
	v_add_f32_e32 v37, v34, v32
	v_mul_f32_e32 v38, v37, v37
	v_mov_b32_e32 v36, 0x3ecc95a3
	v_fmac_f32_e32 v36, 0x3e9b6dac, v38
	v_mov_b32_e32 v35, 0x3f2aaada
	v_fmac_f32_e32 v35, v38, v36
	v_cvt_f32_i32_e32 v36, v42
	v_sub_f32_e32 v34, v37, v34
	v_sub_f32_e32 v32, v32, v34
	v_ldexp_f32 v39, v37, 1
	v_mul_f32_e32 v37, v37, v38
	v_mov_b32_e32 v34, 0x3f317218
	s_mov_b32 s2, 0x3f317218
	v_pk_mul_f32 v[34:35], v[36:37], v[34:35]
	v_fma_f32 v38, v36, s2, -v34
	v_fmac_f32_e32 v38, 0xb102e308, v36
	v_pk_add_f32 v[36:37], v[34:35], v[38:39]
	v_sub_f32_e32 v39, v37, v39
	v_ldexp_f32 v32, v32, 1
	v_sub_f32_e32 v39, v35, v39
	v_add_f32_e32 v41, v32, v39
	v_mov_b32_e32 v40, v34
	v_pk_add_f32 v[34:35], v[36:37], v[34:35] neg_lo:[0,1] neg_hi:[0,1]
	v_pk_add_f32 v[42:43], v[36:37], v[40:41]
	v_mov_b32_e32 v35, v43
	v_mov_b32_e32 v39, v36
	v_pk_add_f32 v[44:45], v[38:39], v[34:35] neg_lo:[0,1] neg_hi:[0,1]
	v_pk_add_f32 v[34:35], v[38:39], v[34:35]
	v_mov_b32_e32 v32, v35
	v_pk_add_f32 v[38:39], v[32:33], v[36:37] neg_lo:[0,1] neg_hi:[0,1]
	v_mov_b32_e32 v39, v38
	v_pk_add_f32 v[46:47], v[42:43], v[38:39] neg_lo:[0,1] neg_hi:[0,1]
	v_mov_b32_e32 v34, v43
	v_mov_b32_e32 v42, v37
	;; [unrolled: 1-line block ×4, first 2 shown]
	v_pk_add_f32 v[34:35], v[34:35], v[42:43] neg_lo:[0,1] neg_hi:[0,1]
	v_mov_b32_e32 v38, v41
	v_mov_b32_e32 v39, v36
	v_pk_add_f32 v[34:35], v[38:39], v[34:35] neg_lo:[0,1] neg_hi:[0,1]
	v_mov_b32_e32 v46, v44
	v_pk_add_f32 v[36:37], v[46:47], v[34:35]
	v_mov_b32_e32 v38, v37
	v_pk_add_f32 v[38:39], v[36:37], v[38:39]
	v_pk_add_f32 v[40:41], v[32:33], v[38:39]
	v_mov_b32_e32 v37, v40
	v_pk_add_f32 v[42:43], v[36:37], v[44:45] neg_lo:[0,1] neg_hi:[0,1]
	v_mov_b32_e32 v35, v38
	v_sub_f32_e32 v32, v36, v42
	v_pk_add_f32 v[34:35], v[34:35], v[42:43] neg_lo:[0,1] neg_hi:[0,1]
	v_sub_f32_e32 v32, v44, v32
	s_mov_b32 s3, 0x7f800000
	v_add_f32_e32 v32, v34, v32
	s_mov_b32 s2, 0x33800000
	v_add_f32_e32 v32, v32, v35
	v_cmp_eq_f32_e32 vcc, s3, v48
	v_cmp_lt_f32_e64 s[2:3], |v48|, s2
	v_add_f32_e32 v32, v40, v32
	s_or_b64 vcc, vcc, s[2:3]
	v_cndmask_b32_e32 v32, v32, v48, vcc
	v_add_f32_e32 v9, v9, v32
	v_cvt_f16_f32_e32 v35, v9
.LBB391_99:
	s_or_b64 exec, exec, s[4:5]
	v_and_b32_e32 v34, 0xffff, v35
	v_mov_b32_e32 v32, v35
.LBB391_100:
	s_or_b64 exec, exec, s[0:1]
	v_mul_u32_u24_e32 v9, 46, v0
	v_mov_b32_dpp v35, v34 row_shr:2 row_mask:0xf bank_mask:0xf
	v_cmp_lt_u32_e32 vcc, 1, v33
	s_and_saveexec_b64 s[0:1], vcc
	s_cbranch_execz .LBB391_104
; %bb.101:
	v_cvt_f32_f16_e32 v36, v35
	v_cvt_f32_f16_e32 v37, v32
	v_cmp_u_f16_e32 vcc, v35, v35
	v_cmp_u_f16_e64 s[4:5], v32, v32
	s_movk_i32 s2, 0x1f8
	v_min_f32_e32 v32, v36, v37
	v_cndmask_b32_e32 v32, v32, v36, vcc
	v_cndmask_b32_e64 v34, v32, v37, s[4:5]
	v_max_f32_e32 v32, v36, v37
	v_cndmask_b32_e32 v32, v32, v36, vcc
	v_cndmask_b32_e64 v32, v32, v37, s[4:5]
	v_cmp_neq_f32_e32 vcc, v34, v32
	v_cmp_class_f32_e64 s[2:3], v34, s2
	s_or_b64 s[2:3], vcc, s[2:3]
	s_and_saveexec_b64 s[4:5], s[2:3]
	s_cbranch_execz .LBB391_103
; %bb.102:
	v_sub_f32_e32 v34, v34, v32
	s_mov_b32 s2, 0x3fb8aa3b
	v_mul_f32_e32 v35, 0x3fb8aa3b, v34
	v_fma_f32 v36, v34, s2, -v35
	v_rndne_f32_e32 v37, v35
	v_fmac_f32_e32 v36, 0x32a5705f, v34
	v_sub_f32_e32 v35, v35, v37
	v_add_f32_e32 v35, v35, v36
	v_exp_f32_e32 v35, v35
	v_cvt_i32_f32_e32 v36, v37
	s_mov_b32 s2, 0xc2ce8ed0
	v_cmp_ngt_f32_e32 vcc, s2, v34
	s_mov_b32 s2, 0x42b17218
	v_ldexp_f32 v35, v35, v36
	v_cndmask_b32_e32 v35, 0, v35, vcc
	v_mov_b32_e32 v36, 0x7f800000
	v_cmp_nlt_f32_e32 vcc, s2, v34
	v_cndmask_b32_e32 v50, v36, v35, vcc
	v_add_f32_e32 v36, 1.0, v50
	v_add_f32_e32 v34, -1.0, v36
	v_sub_f32_e32 v35, v34, v36
	v_add_f32_e32 v35, 1.0, v35
	v_sub_f32_e32 v34, v50, v34
	v_add_f32_e32 v37, v34, v35
	v_frexp_mant_f32_e32 v38, v36
	s_mov_b32 s2, 0x3f2aaaab
	v_cvt_f64_f32_e32 v[34:35], v36
	v_frexp_exp_i32_f64_e32 v34, v[34:35]
	v_cmp_gt_f32_e32 vcc, s2, v38
	v_subbrev_co_u32_e32 v42, vcc, 0, v34, vcc
	v_sub_u32_e32 v34, 0, v42
	v_ldexp_f32 v35, v36, v34
	v_add_f32_e32 v36, -1.0, v35
	v_add_f32_e32 v38, 1.0, v35
	v_ldexp_f32 v34, v37, v34
	v_add_f32_e32 v37, 1.0, v36
	v_add_f32_e32 v39, -1.0, v38
	v_sub_f32_e32 v37, v35, v37
	v_sub_f32_e32 v35, v35, v39
	v_add_f32_e32 v37, v34, v37
	v_add_f32_e32 v34, v34, v35
	;; [unrolled: 1-line block ×3, first 2 shown]
	v_rcp_f32_e32 v45, v43
	v_sub_f32_e32 v35, v38, v43
	v_add_f32_e32 v44, v34, v35
	v_add_f32_e32 v35, v36, v37
	v_mul_f32_e32 v47, v35, v45
	v_sub_f32_e32 v34, v36, v35
	v_mul_f32_e32 v36, v43, v47
	v_fma_f32 v38, v47, v43, -v36
	v_fmac_f32_e32 v38, v47, v44
	v_add_f32_e32 v46, v37, v34
	v_add_f32_e32 v34, v36, v38
	v_sub_f32_e32 v37, v35, v34
	v_pk_add_f32 v[40:41], v[34:35], v[36:37] neg_lo:[0,1] neg_hi:[0,1]
	v_mov_b32_e32 v39, v34
	v_pk_add_f32 v[34:35], v[40:41], v[38:39] neg_lo:[0,1] neg_hi:[0,1]
	v_add_f32_e32 v35, v46, v35
	v_add_f32_e32 v34, v34, v35
	;; [unrolled: 1-line block ×3, first 2 shown]
	v_mul_f32_e32 v46, v45, v35
	v_mul_f32_e32 v36, v43, v46
	v_fma_f32 v38, v46, v43, -v36
	v_fmac_f32_e32 v38, v46, v44
	v_sub_f32_e32 v37, v37, v35
	v_add_f32_e32 v43, v34, v37
	v_add_f32_e32 v34, v36, v38
	v_sub_f32_e32 v37, v35, v34
	v_pk_add_f32 v[40:41], v[34:35], v[36:37] neg_lo:[0,1] neg_hi:[0,1]
	v_mov_b32_e32 v39, v34
	v_pk_add_f32 v[34:35], v[40:41], v[38:39] neg_lo:[0,1] neg_hi:[0,1]
	v_add_f32_e32 v35, v43, v35
	v_add_f32_e32 v34, v34, v35
	;; [unrolled: 1-line block ×4, first 2 shown]
	v_sub_f32_e32 v35, v37, v47
	v_mul_f32_e32 v34, v45, v34
	v_sub_f32_e32 v35, v46, v35
	v_add_f32_e32 v34, v35, v34
	v_add_f32_e32 v38, v37, v34
	v_mul_f32_e32 v40, v38, v38
	v_mov_b32_e32 v36, 0x3ecc95a3
	v_fmac_f32_e32 v36, 0x3e9b6dac, v40
	v_mov_b32_e32 v35, 0x3f2aaada
	v_fmac_f32_e32 v35, v40, v36
	v_cvt_f32_i32_e32 v36, v42
	v_sub_f32_e32 v37, v38, v37
	v_sub_f32_e32 v34, v34, v37
	v_ldexp_f32 v41, v34, 1
	v_mul_f32_e32 v37, v38, v40
	v_mov_b32_e32 v34, 0x3f317218
	s_mov_b32 s2, 0x3f317218
	v_pk_mul_f32 v[34:35], v[36:37], v[34:35]
	v_ldexp_f32 v39, v38, 1
	v_fma_f32 v38, v36, s2, -v34
	v_fmac_f32_e32 v38, 0xb102e308, v36
	v_pk_add_f32 v[36:37], v[34:35], v[38:39]
	v_sub_f32_e32 v39, v37, v39
	v_sub_f32_e32 v39, v35, v39
	v_add_f32_e32 v41, v41, v39
	v_mov_b32_e32 v40, v34
	v_pk_add_f32 v[34:35], v[36:37], v[34:35] neg_lo:[0,1] neg_hi:[0,1]
	v_pk_add_f32 v[42:43], v[36:37], v[40:41]
	v_mov_b32_e32 v35, v43
	v_mov_b32_e32 v39, v36
	v_pk_add_f32 v[44:45], v[38:39], v[34:35] neg_lo:[0,1] neg_hi:[0,1]
	v_pk_add_f32 v[34:35], v[38:39], v[34:35]
	v_mov_b32_e32 v38, v35
	v_pk_add_f32 v[46:47], v[38:39], v[36:37] neg_lo:[0,1] neg_hi:[0,1]
	v_mov_b32_e32 v39, v46
	v_pk_add_f32 v[48:49], v[42:43], v[38:39] neg_lo:[0,1] neg_hi:[0,1]
	v_mov_b32_e32 v34, v43
	v_mov_b32_e32 v42, v37
	;; [unrolled: 1-line block ×4, first 2 shown]
	v_pk_add_f32 v[34:35], v[34:35], v[42:43] neg_lo:[0,1] neg_hi:[0,1]
	v_mov_b32_e32 v40, v41
	v_mov_b32_e32 v41, v36
	v_pk_add_f32 v[34:35], v[40:41], v[34:35] neg_lo:[0,1] neg_hi:[0,1]
	v_mov_b32_e32 v48, v44
	v_pk_add_f32 v[36:37], v[48:49], v[34:35]
	v_mov_b32_e32 v40, v37
	v_pk_add_f32 v[40:41], v[36:37], v[40:41]
	v_pk_add_f32 v[38:39], v[38:39], v[40:41]
	v_mov_b32_e32 v37, v38
	v_pk_add_f32 v[42:43], v[36:37], v[44:45] neg_lo:[0,1] neg_hi:[0,1]
	v_mov_b32_e32 v35, v40
	v_sub_f32_e32 v36, v36, v42
	v_pk_add_f32 v[34:35], v[34:35], v[42:43] neg_lo:[0,1] neg_hi:[0,1]
	v_sub_f32_e32 v36, v44, v36
	s_mov_b32 s3, 0x7f800000
	v_add_f32_e32 v34, v34, v36
	s_mov_b32 s2, 0x33800000
	v_add_f32_e32 v34, v34, v35
	v_cmp_eq_f32_e32 vcc, s3, v50
	v_cmp_lt_f32_e64 s[2:3], |v50|, s2
	v_add_f32_e32 v34, v38, v34
	s_or_b64 vcc, vcc, s[2:3]
	v_cndmask_b32_e32 v34, v34, v50, vcc
	v_add_f32_e32 v32, v32, v34
	v_cvt_f16_f32_e32 v35, v32
.LBB391_103:
	s_or_b64 exec, exec, s[4:5]
	v_and_b32_e32 v34, 0xffff, v35
	v_mov_b32_e32 v32, v35
.LBB391_104:
	s_or_b64 exec, exec, s[0:1]
	v_mov_b32_dpp v35, v34 row_shr:4 row_mask:0xf bank_mask:0xf
	v_cmp_lt_u32_e32 vcc, 3, v33
	s_and_saveexec_b64 s[0:1], vcc
	s_cbranch_execz .LBB391_108
; %bb.105:
	v_cvt_f32_f16_e32 v36, v35
	v_cvt_f32_f16_e32 v37, v32
	v_cmp_u_f16_e32 vcc, v35, v35
	v_cmp_u_f16_e64 s[4:5], v32, v32
	s_movk_i32 s2, 0x1f8
	v_min_f32_e32 v32, v36, v37
	v_cndmask_b32_e32 v32, v32, v36, vcc
	v_cndmask_b32_e64 v34, v32, v37, s[4:5]
	v_max_f32_e32 v32, v36, v37
	v_cndmask_b32_e32 v32, v32, v36, vcc
	v_cndmask_b32_e64 v32, v32, v37, s[4:5]
	v_cmp_neq_f32_e32 vcc, v34, v32
	v_cmp_class_f32_e64 s[2:3], v34, s2
	s_or_b64 s[2:3], vcc, s[2:3]
	s_and_saveexec_b64 s[4:5], s[2:3]
	s_cbranch_execz .LBB391_107
; %bb.106:
	v_sub_f32_e32 v34, v34, v32
	s_mov_b32 s2, 0x3fb8aa3b
	v_mul_f32_e32 v35, 0x3fb8aa3b, v34
	v_fma_f32 v36, v34, s2, -v35
	v_rndne_f32_e32 v37, v35
	v_fmac_f32_e32 v36, 0x32a5705f, v34
	v_sub_f32_e32 v35, v35, v37
	v_add_f32_e32 v35, v35, v36
	v_exp_f32_e32 v35, v35
	v_cvt_i32_f32_e32 v36, v37
	s_mov_b32 s2, 0xc2ce8ed0
	v_cmp_ngt_f32_e32 vcc, s2, v34
	s_mov_b32 s2, 0x42b17218
	v_ldexp_f32 v35, v35, v36
	v_cndmask_b32_e32 v35, 0, v35, vcc
	v_mov_b32_e32 v36, 0x7f800000
	v_cmp_nlt_f32_e32 vcc, s2, v34
	v_cndmask_b32_e32 v50, v36, v35, vcc
	v_add_f32_e32 v36, 1.0, v50
	v_add_f32_e32 v34, -1.0, v36
	v_sub_f32_e32 v35, v34, v36
	v_add_f32_e32 v35, 1.0, v35
	v_sub_f32_e32 v34, v50, v34
	v_add_f32_e32 v37, v34, v35
	v_frexp_mant_f32_e32 v38, v36
	s_mov_b32 s2, 0x3f2aaaab
	v_cvt_f64_f32_e32 v[34:35], v36
	v_frexp_exp_i32_f64_e32 v34, v[34:35]
	v_cmp_gt_f32_e32 vcc, s2, v38
	v_subbrev_co_u32_e32 v42, vcc, 0, v34, vcc
	v_sub_u32_e32 v34, 0, v42
	v_ldexp_f32 v35, v36, v34
	v_add_f32_e32 v36, -1.0, v35
	v_add_f32_e32 v38, 1.0, v35
	v_ldexp_f32 v34, v37, v34
	v_add_f32_e32 v37, 1.0, v36
	v_add_f32_e32 v39, -1.0, v38
	v_sub_f32_e32 v37, v35, v37
	v_sub_f32_e32 v35, v35, v39
	v_add_f32_e32 v37, v34, v37
	v_add_f32_e32 v34, v34, v35
	;; [unrolled: 1-line block ×3, first 2 shown]
	v_rcp_f32_e32 v45, v43
	v_sub_f32_e32 v35, v38, v43
	v_add_f32_e32 v44, v34, v35
	v_add_f32_e32 v35, v36, v37
	v_mul_f32_e32 v47, v35, v45
	v_sub_f32_e32 v34, v36, v35
	v_mul_f32_e32 v36, v43, v47
	v_fma_f32 v38, v47, v43, -v36
	v_fmac_f32_e32 v38, v47, v44
	v_add_f32_e32 v46, v37, v34
	v_add_f32_e32 v34, v36, v38
	v_sub_f32_e32 v37, v35, v34
	v_pk_add_f32 v[40:41], v[34:35], v[36:37] neg_lo:[0,1] neg_hi:[0,1]
	v_mov_b32_e32 v39, v34
	v_pk_add_f32 v[34:35], v[40:41], v[38:39] neg_lo:[0,1] neg_hi:[0,1]
	v_add_f32_e32 v35, v46, v35
	v_add_f32_e32 v34, v34, v35
	;; [unrolled: 1-line block ×3, first 2 shown]
	v_mul_f32_e32 v46, v45, v35
	v_mul_f32_e32 v36, v43, v46
	v_fma_f32 v38, v46, v43, -v36
	v_fmac_f32_e32 v38, v46, v44
	v_sub_f32_e32 v37, v37, v35
	v_add_f32_e32 v43, v34, v37
	v_add_f32_e32 v34, v36, v38
	v_sub_f32_e32 v37, v35, v34
	v_pk_add_f32 v[40:41], v[34:35], v[36:37] neg_lo:[0,1] neg_hi:[0,1]
	v_mov_b32_e32 v39, v34
	v_pk_add_f32 v[34:35], v[40:41], v[38:39] neg_lo:[0,1] neg_hi:[0,1]
	v_add_f32_e32 v35, v43, v35
	v_add_f32_e32 v34, v34, v35
	;; [unrolled: 1-line block ×4, first 2 shown]
	v_sub_f32_e32 v35, v37, v47
	v_mul_f32_e32 v34, v45, v34
	v_sub_f32_e32 v35, v46, v35
	v_add_f32_e32 v34, v35, v34
	v_add_f32_e32 v38, v37, v34
	v_mul_f32_e32 v40, v38, v38
	v_mov_b32_e32 v36, 0x3ecc95a3
	v_fmac_f32_e32 v36, 0x3e9b6dac, v40
	v_mov_b32_e32 v35, 0x3f2aaada
	v_fmac_f32_e32 v35, v40, v36
	v_cvt_f32_i32_e32 v36, v42
	v_sub_f32_e32 v37, v38, v37
	v_sub_f32_e32 v34, v34, v37
	v_ldexp_f32 v41, v34, 1
	v_mul_f32_e32 v37, v38, v40
	v_mov_b32_e32 v34, 0x3f317218
	s_mov_b32 s2, 0x3f317218
	v_pk_mul_f32 v[34:35], v[36:37], v[34:35]
	v_ldexp_f32 v39, v38, 1
	v_fma_f32 v38, v36, s2, -v34
	v_fmac_f32_e32 v38, 0xb102e308, v36
	v_pk_add_f32 v[36:37], v[34:35], v[38:39]
	v_sub_f32_e32 v39, v37, v39
	v_sub_f32_e32 v39, v35, v39
	v_add_f32_e32 v41, v41, v39
	v_mov_b32_e32 v40, v34
	v_pk_add_f32 v[34:35], v[36:37], v[34:35] neg_lo:[0,1] neg_hi:[0,1]
	v_pk_add_f32 v[42:43], v[36:37], v[40:41]
	v_mov_b32_e32 v35, v43
	v_mov_b32_e32 v39, v36
	v_pk_add_f32 v[44:45], v[38:39], v[34:35] neg_lo:[0,1] neg_hi:[0,1]
	v_pk_add_f32 v[34:35], v[38:39], v[34:35]
	v_mov_b32_e32 v38, v35
	v_pk_add_f32 v[46:47], v[38:39], v[36:37] neg_lo:[0,1] neg_hi:[0,1]
	v_mov_b32_e32 v39, v46
	v_pk_add_f32 v[48:49], v[42:43], v[38:39] neg_lo:[0,1] neg_hi:[0,1]
	v_mov_b32_e32 v34, v43
	v_mov_b32_e32 v42, v37
	;; [unrolled: 1-line block ×4, first 2 shown]
	v_pk_add_f32 v[34:35], v[34:35], v[42:43] neg_lo:[0,1] neg_hi:[0,1]
	v_mov_b32_e32 v40, v41
	v_mov_b32_e32 v41, v36
	v_pk_add_f32 v[34:35], v[40:41], v[34:35] neg_lo:[0,1] neg_hi:[0,1]
	v_mov_b32_e32 v48, v44
	v_pk_add_f32 v[36:37], v[48:49], v[34:35]
	v_mov_b32_e32 v40, v37
	v_pk_add_f32 v[40:41], v[36:37], v[40:41]
	v_pk_add_f32 v[38:39], v[38:39], v[40:41]
	v_mov_b32_e32 v37, v38
	v_pk_add_f32 v[42:43], v[36:37], v[44:45] neg_lo:[0,1] neg_hi:[0,1]
	v_mov_b32_e32 v35, v40
	v_sub_f32_e32 v36, v36, v42
	v_pk_add_f32 v[34:35], v[34:35], v[42:43] neg_lo:[0,1] neg_hi:[0,1]
	v_sub_f32_e32 v36, v44, v36
	s_mov_b32 s3, 0x7f800000
	v_add_f32_e32 v34, v34, v36
	s_mov_b32 s2, 0x33800000
	v_add_f32_e32 v34, v34, v35
	v_cmp_eq_f32_e32 vcc, s3, v50
	v_cmp_lt_f32_e64 s[2:3], |v50|, s2
	v_add_f32_e32 v34, v38, v34
	s_or_b64 vcc, vcc, s[2:3]
	v_cndmask_b32_e32 v34, v34, v50, vcc
	v_add_f32_e32 v32, v32, v34
	v_cvt_f16_f32_e32 v35, v32
.LBB391_107:
	s_or_b64 exec, exec, s[4:5]
	v_and_b32_e32 v34, 0xffff, v35
	v_mov_b32_e32 v32, v35
.LBB391_108:
	s_or_b64 exec, exec, s[0:1]
	v_mov_b32_dpp v35, v34 row_shr:8 row_mask:0xf bank_mask:0xf
	v_cmp_lt_u32_e32 vcc, 7, v33
	s_and_saveexec_b64 s[0:1], vcc
	s_cbranch_execz .LBB391_112
; %bb.109:
	v_cvt_f32_f16_e32 v34, v35
	v_cvt_f32_f16_e32 v36, v32
	v_cmp_u_f16_e32 vcc, v35, v35
	v_cmp_u_f16_e64 s[4:5], v32, v32
	s_movk_i32 s2, 0x1f8
	v_min_f32_e32 v32, v34, v36
	v_cndmask_b32_e32 v32, v32, v34, vcc
	v_cndmask_b32_e64 v33, v32, v36, s[4:5]
	v_max_f32_e32 v32, v34, v36
	v_cndmask_b32_e32 v32, v32, v34, vcc
	v_cndmask_b32_e64 v32, v32, v36, s[4:5]
	v_cmp_neq_f32_e32 vcc, v33, v32
	v_cmp_class_f32_e64 s[2:3], v33, s2
	s_or_b64 s[2:3], vcc, s[2:3]
	s_and_saveexec_b64 s[4:5], s[2:3]
	s_cbranch_execz .LBB391_111
; %bb.110:
	v_sub_f32_e32 v33, v33, v32
	s_mov_b32 s2, 0x3fb8aa3b
	v_mul_f32_e32 v34, 0x3fb8aa3b, v33
	v_fma_f32 v35, v33, s2, -v34
	v_rndne_f32_e32 v36, v34
	v_fmac_f32_e32 v35, 0x32a5705f, v33
	v_sub_f32_e32 v34, v34, v36
	v_add_f32_e32 v34, v34, v35
	v_exp_f32_e32 v34, v34
	v_cvt_i32_f32_e32 v35, v36
	s_mov_b32 s2, 0xc2ce8ed0
	v_cmp_ngt_f32_e32 vcc, s2, v33
	s_mov_b32 s2, 0x42b17218
	v_ldexp_f32 v34, v34, v35
	v_cndmask_b32_e32 v34, 0, v34, vcc
	v_mov_b32_e32 v35, 0x7f800000
	v_cmp_nlt_f32_e32 vcc, s2, v33
	v_cndmask_b32_e32 v50, v35, v34, vcc
	v_add_f32_e32 v33, 1.0, v50
	v_add_f32_e32 v34, -1.0, v33
	v_sub_f32_e32 v35, v34, v33
	v_add_f32_e32 v35, 1.0, v35
	v_sub_f32_e32 v34, v50, v34
	v_add_f32_e32 v36, v34, v35
	v_frexp_mant_f32_e32 v37, v33
	s_mov_b32 s2, 0x3f2aaaab
	v_cvt_f64_f32_e32 v[34:35], v33
	v_frexp_exp_i32_f64_e32 v34, v[34:35]
	v_cmp_gt_f32_e32 vcc, s2, v37
	v_subbrev_co_u32_e32 v42, vcc, 0, v34, vcc
	v_sub_u32_e32 v34, 0, v42
	v_ldexp_f32 v33, v33, v34
	v_ldexp_f32 v34, v36, v34
	v_add_f32_e32 v36, -1.0, v33
	v_add_f32_e32 v35, 1.0, v36
	v_sub_f32_e32 v35, v33, v35
	v_add_f32_e32 v37, v34, v35
	v_add_f32_e32 v35, 1.0, v33
	v_add_f32_e32 v38, -1.0, v35
	v_sub_f32_e32 v33, v33, v38
	v_add_f32_e32 v33, v34, v33
	v_add_f32_e32 v43, v35, v33
	v_rcp_f32_e32 v44, v43
	v_sub_f32_e32 v34, v35, v43
	v_add_f32_e32 v35, v36, v37
	v_add_f32_e32 v33, v33, v34
	v_mul_f32_e32 v46, v35, v44
	v_sub_f32_e32 v34, v36, v35
	v_mul_f32_e32 v36, v43, v46
	v_fma_f32 v38, v46, v43, -v36
	v_fmac_f32_e32 v38, v46, v33
	v_add_f32_e32 v45, v37, v34
	v_add_f32_e32 v34, v36, v38
	v_sub_f32_e32 v37, v35, v34
	v_pk_add_f32 v[40:41], v[34:35], v[36:37] neg_lo:[0,1] neg_hi:[0,1]
	v_mov_b32_e32 v39, v34
	v_pk_add_f32 v[34:35], v[40:41], v[38:39] neg_lo:[0,1] neg_hi:[0,1]
	v_add_f32_e32 v35, v45, v35
	v_add_f32_e32 v34, v34, v35
	;; [unrolled: 1-line block ×3, first 2 shown]
	v_mul_f32_e32 v45, v44, v35
	v_mul_f32_e32 v36, v43, v45
	v_fma_f32 v38, v45, v43, -v36
	v_fmac_f32_e32 v38, v45, v33
	v_sub_f32_e32 v33, v37, v35
	v_add_f32_e32 v33, v34, v33
	v_add_f32_e32 v34, v36, v38
	v_sub_f32_e32 v37, v35, v34
	v_pk_add_f32 v[40:41], v[34:35], v[36:37] neg_lo:[0,1] neg_hi:[0,1]
	v_mov_b32_e32 v39, v34
	v_pk_add_f32 v[34:35], v[40:41], v[38:39] neg_lo:[0,1] neg_hi:[0,1]
	v_add_f32_e32 v33, v33, v35
	v_add_f32_e32 v33, v34, v33
	;; [unrolled: 1-line block ×4, first 2 shown]
	v_sub_f32_e32 v35, v34, v46
	v_mul_f32_e32 v33, v44, v33
	v_sub_f32_e32 v35, v45, v35
	v_add_f32_e32 v33, v35, v33
	v_add_f32_e32 v37, v34, v33
	v_mul_f32_e32 v38, v37, v37
	v_mov_b32_e32 v36, 0x3ecc95a3
	v_fmac_f32_e32 v36, 0x3e9b6dac, v38
	v_mov_b32_e32 v35, 0x3f2aaada
	v_fmac_f32_e32 v35, v38, v36
	v_cvt_f32_i32_e32 v36, v42
	v_sub_f32_e32 v34, v37, v34
	v_sub_f32_e32 v33, v33, v34
	v_ldexp_f32 v39, v37, 1
	v_mul_f32_e32 v37, v37, v38
	v_mov_b32_e32 v34, 0x3f317218
	s_mov_b32 s2, 0x3f317218
	v_pk_mul_f32 v[34:35], v[36:37], v[34:35]
	v_fma_f32 v38, v36, s2, -v34
	v_fmac_f32_e32 v38, 0xb102e308, v36
	v_pk_add_f32 v[36:37], v[34:35], v[38:39]
	v_sub_f32_e32 v39, v37, v39
	v_ldexp_f32 v33, v33, 1
	v_sub_f32_e32 v39, v35, v39
	v_add_f32_e32 v41, v33, v39
	v_mov_b32_e32 v40, v34
	v_pk_add_f32 v[34:35], v[36:37], v[34:35] neg_lo:[0,1] neg_hi:[0,1]
	v_pk_add_f32 v[42:43], v[36:37], v[40:41]
	v_mov_b32_e32 v35, v43
	v_mov_b32_e32 v39, v36
	v_pk_add_f32 v[44:45], v[38:39], v[34:35] neg_lo:[0,1] neg_hi:[0,1]
	v_pk_add_f32 v[34:35], v[38:39], v[34:35]
	v_mov_b32_e32 v38, v35
	v_pk_add_f32 v[46:47], v[38:39], v[36:37] neg_lo:[0,1] neg_hi:[0,1]
	v_mov_b32_e32 v33, v46
	v_pk_add_f32 v[48:49], v[42:43], v[32:33] neg_lo:[0,1] neg_hi:[0,1]
	v_mov_b32_e32 v34, v43
	v_mov_b32_e32 v42, v37
	;; [unrolled: 1-line block ×4, first 2 shown]
	v_pk_add_f32 v[34:35], v[34:35], v[42:43] neg_lo:[0,1] neg_hi:[0,1]
	v_mov_b32_e32 v40, v41
	v_mov_b32_e32 v41, v36
	v_pk_add_f32 v[34:35], v[40:41], v[34:35] neg_lo:[0,1] neg_hi:[0,1]
	v_mov_b32_e32 v48, v44
	v_pk_add_f32 v[36:37], v[48:49], v[34:35]
	v_mov_b32_e32 v40, v37
	v_pk_add_f32 v[40:41], v[36:37], v[40:41]
	v_pk_add_f32 v[38:39], v[38:39], v[40:41]
	v_mov_b32_e32 v37, v38
	v_pk_add_f32 v[42:43], v[36:37], v[44:45] neg_lo:[0,1] neg_hi:[0,1]
	v_mov_b32_e32 v35, v40
	v_sub_f32_e32 v33, v36, v42
	v_pk_add_f32 v[34:35], v[34:35], v[42:43] neg_lo:[0,1] neg_hi:[0,1]
	v_sub_f32_e32 v33, v44, v33
	s_mov_b32 s3, 0x7f800000
	v_add_f32_e32 v33, v34, v33
	s_mov_b32 s2, 0x33800000
	v_add_f32_e32 v33, v33, v35
	v_cmp_eq_f32_e32 vcc, s3, v50
	v_cmp_lt_f32_e64 s[2:3], |v50|, s2
	v_add_f32_e32 v33, v38, v33
	s_or_b64 vcc, vcc, s[2:3]
	v_cndmask_b32_e32 v33, v33, v50, vcc
	v_add_f32_e32 v32, v32, v33
	v_cvt_f16_f32_e32 v35, v32
.LBB391_111:
	s_or_b64 exec, exec, s[4:5]
	v_and_b32_e32 v34, 0xffff, v35
	v_mov_b32_e32 v32, v35
.LBB391_112:
	s_or_b64 exec, exec, s[0:1]
	v_and_b32_e32 v35, 16, v31
	v_mov_b32_dpp v33, v34 row_bcast:15 row_mask:0xf bank_mask:0xf
	v_cmp_ne_u32_e32 vcc, 0, v35
	s_and_saveexec_b64 s[0:1], vcc
	s_cbranch_execz .LBB391_116
; %bb.113:
	v_cvt_f32_f16_e32 v35, v33
	v_cvt_f32_f16_e32 v36, v32
	v_cmp_u_f16_e32 vcc, v33, v33
	v_cmp_u_f16_e64 s[4:5], v32, v32
	s_movk_i32 s2, 0x1f8
	v_min_f32_e32 v32, v35, v36
	v_cndmask_b32_e32 v32, v32, v35, vcc
	v_cndmask_b32_e64 v34, v32, v36, s[4:5]
	v_max_f32_e32 v32, v35, v36
	v_cndmask_b32_e32 v32, v32, v35, vcc
	v_cndmask_b32_e64 v32, v32, v36, s[4:5]
	v_cmp_neq_f32_e32 vcc, v34, v32
	v_cmp_class_f32_e64 s[2:3], v34, s2
	s_or_b64 s[2:3], vcc, s[2:3]
	s_and_saveexec_b64 s[4:5], s[2:3]
	s_cbranch_execz .LBB391_115
; %bb.114:
	v_sub_f32_e32 v33, v34, v32
	s_mov_b32 s2, 0x3fb8aa3b
	v_mul_f32_e32 v34, 0x3fb8aa3b, v33
	v_fma_f32 v35, v33, s2, -v34
	v_rndne_f32_e32 v36, v34
	v_fmac_f32_e32 v35, 0x32a5705f, v33
	v_sub_f32_e32 v34, v34, v36
	v_add_f32_e32 v34, v34, v35
	v_exp_f32_e32 v34, v34
	v_cvt_i32_f32_e32 v35, v36
	s_mov_b32 s2, 0xc2ce8ed0
	v_cmp_ngt_f32_e32 vcc, s2, v33
	s_mov_b32 s2, 0x42b17218
	v_ldexp_f32 v34, v34, v35
	v_cndmask_b32_e32 v34, 0, v34, vcc
	v_mov_b32_e32 v35, 0x7f800000
	v_cmp_nlt_f32_e32 vcc, s2, v33
	v_cndmask_b32_e32 v50, v35, v34, vcc
	v_add_f32_e32 v33, 1.0, v50
	v_add_f32_e32 v34, -1.0, v33
	v_sub_f32_e32 v35, v34, v33
	v_add_f32_e32 v35, 1.0, v35
	v_sub_f32_e32 v34, v50, v34
	v_add_f32_e32 v36, v34, v35
	v_frexp_mant_f32_e32 v37, v33
	s_mov_b32 s2, 0x3f2aaaab
	v_cvt_f64_f32_e32 v[34:35], v33
	v_frexp_exp_i32_f64_e32 v34, v[34:35]
	v_cmp_gt_f32_e32 vcc, s2, v37
	v_subbrev_co_u32_e32 v42, vcc, 0, v34, vcc
	v_sub_u32_e32 v34, 0, v42
	v_ldexp_f32 v33, v33, v34
	v_ldexp_f32 v34, v36, v34
	v_add_f32_e32 v36, -1.0, v33
	v_add_f32_e32 v35, 1.0, v36
	v_sub_f32_e32 v35, v33, v35
	v_add_f32_e32 v37, v34, v35
	v_add_f32_e32 v35, 1.0, v33
	v_add_f32_e32 v38, -1.0, v35
	v_sub_f32_e32 v33, v33, v38
	v_add_f32_e32 v33, v34, v33
	v_add_f32_e32 v43, v35, v33
	v_rcp_f32_e32 v44, v43
	v_sub_f32_e32 v34, v35, v43
	v_add_f32_e32 v35, v36, v37
	v_add_f32_e32 v33, v33, v34
	v_mul_f32_e32 v46, v35, v44
	v_sub_f32_e32 v34, v36, v35
	v_mul_f32_e32 v36, v43, v46
	v_fma_f32 v38, v46, v43, -v36
	v_fmac_f32_e32 v38, v46, v33
	v_add_f32_e32 v45, v37, v34
	v_add_f32_e32 v34, v36, v38
	v_sub_f32_e32 v37, v35, v34
	v_pk_add_f32 v[40:41], v[34:35], v[36:37] neg_lo:[0,1] neg_hi:[0,1]
	v_mov_b32_e32 v39, v34
	v_pk_add_f32 v[34:35], v[40:41], v[38:39] neg_lo:[0,1] neg_hi:[0,1]
	v_add_f32_e32 v35, v45, v35
	v_add_f32_e32 v34, v34, v35
	;; [unrolled: 1-line block ×3, first 2 shown]
	v_mul_f32_e32 v45, v44, v35
	v_mul_f32_e32 v36, v43, v45
	v_fma_f32 v38, v45, v43, -v36
	v_fmac_f32_e32 v38, v45, v33
	v_sub_f32_e32 v33, v37, v35
	v_add_f32_e32 v33, v34, v33
	v_add_f32_e32 v34, v36, v38
	v_sub_f32_e32 v37, v35, v34
	v_pk_add_f32 v[40:41], v[34:35], v[36:37] neg_lo:[0,1] neg_hi:[0,1]
	v_mov_b32_e32 v39, v34
	v_pk_add_f32 v[34:35], v[40:41], v[38:39] neg_lo:[0,1] neg_hi:[0,1]
	v_add_f32_e32 v33, v33, v35
	v_add_f32_e32 v33, v34, v33
	;; [unrolled: 1-line block ×4, first 2 shown]
	v_sub_f32_e32 v35, v34, v46
	v_mul_f32_e32 v33, v44, v33
	v_sub_f32_e32 v35, v45, v35
	v_add_f32_e32 v33, v35, v33
	v_add_f32_e32 v37, v34, v33
	v_mul_f32_e32 v38, v37, v37
	v_mov_b32_e32 v36, 0x3ecc95a3
	v_fmac_f32_e32 v36, 0x3e9b6dac, v38
	v_mov_b32_e32 v35, 0x3f2aaada
	v_fmac_f32_e32 v35, v38, v36
	v_cvt_f32_i32_e32 v36, v42
	v_sub_f32_e32 v34, v37, v34
	v_sub_f32_e32 v33, v33, v34
	v_ldexp_f32 v39, v37, 1
	v_mul_f32_e32 v37, v37, v38
	v_mov_b32_e32 v34, 0x3f317218
	s_mov_b32 s2, 0x3f317218
	v_pk_mul_f32 v[34:35], v[36:37], v[34:35]
	v_fma_f32 v38, v36, s2, -v34
	v_fmac_f32_e32 v38, 0xb102e308, v36
	v_pk_add_f32 v[36:37], v[34:35], v[38:39]
	v_sub_f32_e32 v39, v37, v39
	v_ldexp_f32 v33, v33, 1
	v_sub_f32_e32 v39, v35, v39
	v_add_f32_e32 v41, v33, v39
	v_mov_b32_e32 v40, v34
	v_pk_add_f32 v[34:35], v[36:37], v[34:35] neg_lo:[0,1] neg_hi:[0,1]
	v_pk_add_f32 v[42:43], v[36:37], v[40:41]
	v_mov_b32_e32 v35, v43
	v_mov_b32_e32 v39, v36
	v_pk_add_f32 v[44:45], v[38:39], v[34:35] neg_lo:[0,1] neg_hi:[0,1]
	v_pk_add_f32 v[34:35], v[38:39], v[34:35]
	v_mov_b32_e32 v38, v35
	v_pk_add_f32 v[46:47], v[38:39], v[36:37] neg_lo:[0,1] neg_hi:[0,1]
	v_mov_b32_e32 v33, v46
	v_pk_add_f32 v[48:49], v[42:43], v[32:33] neg_lo:[0,1] neg_hi:[0,1]
	v_mov_b32_e32 v34, v43
	v_mov_b32_e32 v42, v37
	;; [unrolled: 1-line block ×4, first 2 shown]
	v_pk_add_f32 v[34:35], v[34:35], v[42:43] neg_lo:[0,1] neg_hi:[0,1]
	v_mov_b32_e32 v40, v41
	v_mov_b32_e32 v41, v36
	v_pk_add_f32 v[34:35], v[40:41], v[34:35] neg_lo:[0,1] neg_hi:[0,1]
	v_mov_b32_e32 v48, v44
	v_pk_add_f32 v[36:37], v[48:49], v[34:35]
	v_mov_b32_e32 v40, v37
	v_pk_add_f32 v[40:41], v[36:37], v[40:41]
	v_pk_add_f32 v[38:39], v[38:39], v[40:41]
	v_mov_b32_e32 v37, v38
	v_pk_add_f32 v[42:43], v[36:37], v[44:45] neg_lo:[0,1] neg_hi:[0,1]
	v_mov_b32_e32 v35, v40
	v_sub_f32_e32 v33, v36, v42
	v_pk_add_f32 v[34:35], v[34:35], v[42:43] neg_lo:[0,1] neg_hi:[0,1]
	v_sub_f32_e32 v33, v44, v33
	s_mov_b32 s3, 0x7f800000
	v_add_f32_e32 v33, v34, v33
	s_mov_b32 s2, 0x33800000
	v_add_f32_e32 v33, v33, v35
	v_cmp_eq_f32_e32 vcc, s3, v50
	v_cmp_lt_f32_e64 s[2:3], |v50|, s2
	v_add_f32_e32 v33, v38, v33
	s_or_b64 vcc, vcc, s[2:3]
	v_cndmask_b32_e32 v33, v33, v50, vcc
	v_add_f32_e32 v32, v32, v33
	v_cvt_f16_f32_e32 v33, v32
.LBB391_115:
	s_or_b64 exec, exec, s[4:5]
	v_and_b32_e32 v34, 0xffff, v33
	v_mov_b32_e32 v32, v33
.LBB391_116:
	s_or_b64 exec, exec, s[0:1]
	v_mov_b32_dpp v33, v34 row_bcast:31 row_mask:0xf bank_mask:0xf
	v_cmp_lt_u32_e32 vcc, 31, v31
	s_and_saveexec_b64 s[0:1], vcc
	s_cbranch_execz .LBB391_120
; %bb.117:
	v_cvt_f32_f16_e32 v35, v33
	v_cvt_f32_f16_e32 v36, v32
	v_cmp_u_f16_e32 vcc, v33, v33
	v_cmp_u_f16_e64 s[4:5], v32, v32
	s_movk_i32 s2, 0x1f8
	v_min_f32_e32 v32, v35, v36
	v_cndmask_b32_e32 v32, v32, v35, vcc
	v_cndmask_b32_e64 v34, v32, v36, s[4:5]
	v_max_f32_e32 v32, v35, v36
	v_cndmask_b32_e32 v32, v32, v35, vcc
	v_cndmask_b32_e64 v32, v32, v36, s[4:5]
	v_cmp_neq_f32_e32 vcc, v34, v32
	v_cmp_class_f32_e64 s[2:3], v34, s2
	s_or_b64 s[2:3], vcc, s[2:3]
	s_and_saveexec_b64 s[4:5], s[2:3]
	s_cbranch_execz .LBB391_119
; %bb.118:
	v_sub_f32_e32 v33, v34, v32
	s_mov_b32 s2, 0x3fb8aa3b
	v_mul_f32_e32 v34, 0x3fb8aa3b, v33
	v_fma_f32 v35, v33, s2, -v34
	v_rndne_f32_e32 v36, v34
	v_fmac_f32_e32 v35, 0x32a5705f, v33
	v_sub_f32_e32 v34, v34, v36
	v_add_f32_e32 v34, v34, v35
	v_exp_f32_e32 v34, v34
	v_cvt_i32_f32_e32 v35, v36
	s_mov_b32 s2, 0xc2ce8ed0
	v_cmp_ngt_f32_e32 vcc, s2, v33
	s_mov_b32 s2, 0x42b17218
	v_ldexp_f32 v34, v34, v35
	v_cndmask_b32_e32 v34, 0, v34, vcc
	v_mov_b32_e32 v35, 0x7f800000
	v_cmp_nlt_f32_e32 vcc, s2, v33
	v_cndmask_b32_e32 v50, v35, v34, vcc
	v_add_f32_e32 v33, 1.0, v50
	v_add_f32_e32 v34, -1.0, v33
	v_sub_f32_e32 v35, v34, v33
	v_add_f32_e32 v35, 1.0, v35
	v_sub_f32_e32 v34, v50, v34
	v_add_f32_e32 v36, v34, v35
	v_frexp_mant_f32_e32 v37, v33
	s_mov_b32 s2, 0x3f2aaaab
	v_cvt_f64_f32_e32 v[34:35], v33
	v_frexp_exp_i32_f64_e32 v34, v[34:35]
	v_cmp_gt_f32_e32 vcc, s2, v37
	v_subbrev_co_u32_e32 v42, vcc, 0, v34, vcc
	v_sub_u32_e32 v34, 0, v42
	v_ldexp_f32 v33, v33, v34
	v_ldexp_f32 v34, v36, v34
	v_add_f32_e32 v36, -1.0, v33
	v_add_f32_e32 v35, 1.0, v36
	v_sub_f32_e32 v35, v33, v35
	v_add_f32_e32 v37, v34, v35
	v_add_f32_e32 v35, 1.0, v33
	v_add_f32_e32 v38, -1.0, v35
	v_sub_f32_e32 v33, v33, v38
	v_add_f32_e32 v33, v34, v33
	v_add_f32_e32 v43, v35, v33
	v_rcp_f32_e32 v44, v43
	v_sub_f32_e32 v34, v35, v43
	v_add_f32_e32 v35, v36, v37
	v_add_f32_e32 v33, v33, v34
	v_mul_f32_e32 v46, v35, v44
	v_sub_f32_e32 v34, v36, v35
	v_mul_f32_e32 v36, v43, v46
	v_fma_f32 v38, v46, v43, -v36
	v_fmac_f32_e32 v38, v46, v33
	v_add_f32_e32 v45, v37, v34
	v_add_f32_e32 v34, v36, v38
	v_sub_f32_e32 v37, v35, v34
	v_pk_add_f32 v[40:41], v[34:35], v[36:37] neg_lo:[0,1] neg_hi:[0,1]
	v_mov_b32_e32 v39, v34
	v_pk_add_f32 v[34:35], v[40:41], v[38:39] neg_lo:[0,1] neg_hi:[0,1]
	v_add_f32_e32 v35, v45, v35
	v_add_f32_e32 v34, v34, v35
	;; [unrolled: 1-line block ×3, first 2 shown]
	v_mul_f32_e32 v45, v44, v35
	v_mul_f32_e32 v36, v43, v45
	v_fma_f32 v38, v45, v43, -v36
	v_fmac_f32_e32 v38, v45, v33
	v_sub_f32_e32 v33, v37, v35
	v_add_f32_e32 v33, v34, v33
	v_add_f32_e32 v34, v36, v38
	v_sub_f32_e32 v37, v35, v34
	v_pk_add_f32 v[40:41], v[34:35], v[36:37] neg_lo:[0,1] neg_hi:[0,1]
	v_mov_b32_e32 v39, v34
	v_pk_add_f32 v[34:35], v[40:41], v[38:39] neg_lo:[0,1] neg_hi:[0,1]
	v_add_f32_e32 v33, v33, v35
	v_add_f32_e32 v33, v34, v33
	;; [unrolled: 1-line block ×4, first 2 shown]
	v_sub_f32_e32 v35, v34, v46
	v_mul_f32_e32 v33, v44, v33
	v_sub_f32_e32 v35, v45, v35
	v_add_f32_e32 v33, v35, v33
	v_add_f32_e32 v37, v34, v33
	v_mul_f32_e32 v38, v37, v37
	v_mov_b32_e32 v36, 0x3ecc95a3
	v_fmac_f32_e32 v36, 0x3e9b6dac, v38
	v_mov_b32_e32 v35, 0x3f2aaada
	v_fmac_f32_e32 v35, v38, v36
	v_cvt_f32_i32_e32 v36, v42
	v_sub_f32_e32 v34, v37, v34
	v_sub_f32_e32 v33, v33, v34
	v_ldexp_f32 v39, v37, 1
	v_mul_f32_e32 v37, v37, v38
	v_mov_b32_e32 v34, 0x3f317218
	s_mov_b32 s2, 0x3f317218
	v_pk_mul_f32 v[34:35], v[36:37], v[34:35]
	v_fma_f32 v38, v36, s2, -v34
	v_fmac_f32_e32 v38, 0xb102e308, v36
	v_pk_add_f32 v[36:37], v[34:35], v[38:39]
	v_sub_f32_e32 v39, v37, v39
	v_ldexp_f32 v33, v33, 1
	v_sub_f32_e32 v39, v35, v39
	v_add_f32_e32 v41, v33, v39
	v_mov_b32_e32 v40, v34
	v_pk_add_f32 v[34:35], v[36:37], v[34:35] neg_lo:[0,1] neg_hi:[0,1]
	v_pk_add_f32 v[42:43], v[36:37], v[40:41]
	v_mov_b32_e32 v35, v43
	v_mov_b32_e32 v39, v36
	v_pk_add_f32 v[44:45], v[38:39], v[34:35] neg_lo:[0,1] neg_hi:[0,1]
	v_pk_add_f32 v[34:35], v[38:39], v[34:35]
	v_mov_b32_e32 v38, v35
	v_pk_add_f32 v[46:47], v[38:39], v[36:37] neg_lo:[0,1] neg_hi:[0,1]
	v_mov_b32_e32 v33, v46
	v_pk_add_f32 v[48:49], v[42:43], v[32:33] neg_lo:[0,1] neg_hi:[0,1]
	v_mov_b32_e32 v34, v43
	v_mov_b32_e32 v42, v37
	;; [unrolled: 1-line block ×4, first 2 shown]
	v_pk_add_f32 v[34:35], v[34:35], v[42:43] neg_lo:[0,1] neg_hi:[0,1]
	v_mov_b32_e32 v40, v41
	v_mov_b32_e32 v41, v36
	v_pk_add_f32 v[34:35], v[40:41], v[34:35] neg_lo:[0,1] neg_hi:[0,1]
	v_mov_b32_e32 v48, v44
	v_pk_add_f32 v[36:37], v[48:49], v[34:35]
	v_mov_b32_e32 v40, v37
	v_pk_add_f32 v[40:41], v[36:37], v[40:41]
	v_pk_add_f32 v[38:39], v[38:39], v[40:41]
	v_mov_b32_e32 v37, v38
	v_pk_add_f32 v[42:43], v[36:37], v[44:45] neg_lo:[0,1] neg_hi:[0,1]
	v_mov_b32_e32 v35, v40
	v_sub_f32_e32 v33, v36, v42
	v_pk_add_f32 v[34:35], v[34:35], v[42:43] neg_lo:[0,1] neg_hi:[0,1]
	v_sub_f32_e32 v33, v44, v33
	s_mov_b32 s3, 0x7f800000
	v_add_f32_e32 v33, v34, v33
	s_mov_b32 s2, 0x33800000
	v_add_f32_e32 v33, v33, v35
	v_cmp_eq_f32_e32 vcc, s3, v50
	v_cmp_lt_f32_e64 s[2:3], |v50|, s2
	v_add_f32_e32 v33, v38, v33
	s_or_b64 vcc, vcc, s[2:3]
	v_cndmask_b32_e32 v33, v33, v50, vcc
	v_add_f32_e32 v32, v32, v33
	v_cvt_f16_f32_e32 v33, v32
.LBB391_119:
	s_or_b64 exec, exec, s[4:5]
	v_mov_b32_e32 v32, v33
.LBB391_120:
	s_or_b64 exec, exec, s[0:1]
	v_cmp_eq_u32_e32 vcc, 63, v0
	s_and_saveexec_b64 s[0:1], vcc
	s_cbranch_execz .LBB391_122
; %bb.121:
	v_mov_b32_e32 v33, 0
	ds_write_b16 v33, v32
.LBB391_122:
	s_or_b64 exec, exec, s[0:1]
	v_add_u32_e32 v33, -1, v31
	v_and_b32_e32 v34, 64, v31
	v_cmp_lt_i32_e32 vcc, v33, v34
	v_cndmask_b32_e32 v31, v33, v31, vcc
	v_and_b32_e32 v32, 0xffff, v32
	v_lshlrev_b32_e32 v31, 2, v31
	ds_bpermute_b32 v32, v31, v32
	v_cmp_ne_u32_e32 vcc, 0, v0
	v_mov_b32_e32 v31, v2
	s_waitcnt lgkmcnt(0)
	; wave barrier
	s_waitcnt lgkmcnt(0)
	s_and_saveexec_b64 s[4:5], vcc
	s_cbranch_execz .LBB391_126
; %bb.123:
	v_cvt_f32_f16_e32 v33, v32
	v_max_f32_e32 v2, v15, v15
	v_cmp_u_f16_e32 vcc, v32, v32
	s_movk_i32 s0, 0x1f8
	v_min_f32_e32 v29, v33, v2
	v_max_f32_e32 v2, v33, v2
	v_cndmask_b32_e32 v29, v29, v33, vcc
	v_cndmask_b32_e32 v2, v2, v33, vcc
	v_cndmask_b32_e64 v29, v29, v15, s[94:95]
	v_cndmask_b32_e64 v2, v2, v15, s[94:95]
	v_cmp_neq_f32_e32 vcc, v29, v2
	v_cmp_class_f32_e64 s[0:1], v29, s0
	s_or_b64 s[2:3], vcc, s[0:1]
	s_and_saveexec_b64 s[0:1], s[2:3]
	s_cbranch_execz .LBB391_125
; %bb.124:
	v_sub_f32_e32 v15, v29, v2
	s_mov_b32 s2, 0x3fb8aa3b
	v_mul_f32_e32 v29, 0x3fb8aa3b, v15
	v_fma_f32 v30, v15, s2, -v29
	v_rndne_f32_e32 v31, v29
	v_fmac_f32_e32 v30, 0x32a5705f, v15
	v_sub_f32_e32 v29, v29, v31
	v_add_f32_e32 v29, v29, v30
	v_exp_f32_e32 v29, v29
	v_cvt_i32_f32_e32 v30, v31
	s_mov_b32 s2, 0xc2ce8ed0
	v_cmp_ngt_f32_e32 vcc, s2, v15
	s_mov_b32 s2, 0x42b17218
	v_ldexp_f32 v29, v29, v30
	v_cndmask_b32_e32 v29, 0, v29, vcc
	v_mov_b32_e32 v30, 0x7f800000
	v_cmp_nlt_f32_e32 vcc, s2, v15
	v_cndmask_b32_e32 v29, v30, v29, vcc
	v_add_f32_e32 v15, 1.0, v29
	v_add_f32_e32 v30, -1.0, v15
	v_sub_f32_e32 v31, v30, v15
	v_add_f32_e32 v31, 1.0, v31
	v_sub_f32_e32 v30, v29, v30
	v_add_f32_e32 v32, v30, v31
	v_frexp_mant_f32_e32 v33, v15
	s_mov_b32 s2, 0x3f2aaaab
	v_cvt_f64_f32_e32 v[30:31], v15
	v_frexp_exp_i32_f64_e32 v30, v[30:31]
	v_cmp_gt_f32_e32 vcc, s2, v33
	v_subbrev_co_u32_e32 v38, vcc, 0, v30, vcc
	v_sub_u32_e32 v30, 0, v38
	v_ldexp_f32 v15, v15, v30
	v_ldexp_f32 v30, v32, v30
	v_add_f32_e32 v32, -1.0, v15
	v_add_f32_e32 v31, 1.0, v32
	v_sub_f32_e32 v31, v15, v31
	v_add_f32_e32 v33, v30, v31
	v_add_f32_e32 v31, 1.0, v15
	v_add_f32_e32 v34, -1.0, v31
	v_sub_f32_e32 v15, v15, v34
	v_add_f32_e32 v15, v30, v15
	v_add_f32_e32 v39, v31, v15
	v_rcp_f32_e32 v40, v39
	v_sub_f32_e32 v30, v31, v39
	v_add_f32_e32 v31, v32, v33
	v_add_f32_e32 v15, v15, v30
	v_mul_f32_e32 v42, v31, v40
	v_sub_f32_e32 v30, v32, v31
	v_mul_f32_e32 v32, v39, v42
	v_fma_f32 v34, v42, v39, -v32
	v_fmac_f32_e32 v34, v42, v15
	v_add_f32_e32 v41, v33, v30
	v_add_f32_e32 v30, v32, v34
	v_sub_f32_e32 v33, v31, v30
	v_pk_add_f32 v[36:37], v[30:31], v[32:33] neg_lo:[0,1] neg_hi:[0,1]
	v_mov_b32_e32 v35, v30
	v_pk_add_f32 v[30:31], v[36:37], v[34:35] neg_lo:[0,1] neg_hi:[0,1]
	v_add_f32_e32 v31, v41, v31
	v_add_f32_e32 v30, v30, v31
	v_add_f32_e32 v31, v33, v30
	v_mul_f32_e32 v41, v40, v31
	v_mul_f32_e32 v32, v39, v41
	v_fma_f32 v34, v41, v39, -v32
	v_fmac_f32_e32 v34, v41, v15
	v_sub_f32_e32 v15, v33, v31
	v_add_f32_e32 v15, v30, v15
	v_add_f32_e32 v30, v32, v34
	v_sub_f32_e32 v33, v31, v30
	v_pk_add_f32 v[36:37], v[30:31], v[32:33] neg_lo:[0,1] neg_hi:[0,1]
	v_mov_b32_e32 v35, v30
	v_pk_add_f32 v[30:31], v[36:37], v[34:35] neg_lo:[0,1] neg_hi:[0,1]
	v_add_f32_e32 v15, v15, v31
	v_add_f32_e32 v15, v30, v15
	;; [unrolled: 1-line block ×4, first 2 shown]
	v_sub_f32_e32 v31, v30, v42
	v_mul_f32_e32 v15, v40, v15
	v_sub_f32_e32 v31, v41, v31
	v_add_f32_e32 v15, v31, v15
	v_add_f32_e32 v33, v30, v15
	v_mul_f32_e32 v34, v33, v33
	v_mov_b32_e32 v32, 0x3ecc95a3
	v_fmac_f32_e32 v32, 0x3e9b6dac, v34
	v_mov_b32_e32 v31, 0x3f2aaada
	v_fmac_f32_e32 v31, v34, v32
	v_cvt_f32_i32_e32 v32, v38
	v_sub_f32_e32 v30, v33, v30
	v_sub_f32_e32 v15, v15, v30
	v_ldexp_f32 v35, v33, 1
	v_mul_f32_e32 v33, v33, v34
	v_mov_b32_e32 v30, 0x3f317218
	s_mov_b32 s2, 0x3f317218
	v_pk_mul_f32 v[30:31], v[32:33], v[30:31]
	v_fma_f32 v34, v32, s2, -v30
	v_fmac_f32_e32 v34, 0xb102e308, v32
	v_pk_add_f32 v[32:33], v[30:31], v[34:35]
	v_sub_f32_e32 v35, v33, v35
	v_ldexp_f32 v15, v15, 1
	v_sub_f32_e32 v35, v31, v35
	v_add_f32_e32 v37, v15, v35
	v_mov_b32_e32 v36, v30
	v_pk_add_f32 v[30:31], v[32:33], v[30:31] neg_lo:[0,1] neg_hi:[0,1]
	v_pk_add_f32 v[38:39], v[32:33], v[36:37]
	v_mov_b32_e32 v31, v39
	v_mov_b32_e32 v35, v32
	v_pk_add_f32 v[40:41], v[34:35], v[30:31] neg_lo:[0,1] neg_hi:[0,1]
	v_pk_add_f32 v[30:31], v[34:35], v[30:31]
	v_mov_b32_e32 v34, v31
	v_pk_add_f32 v[42:43], v[34:35], v[32:33] neg_lo:[0,1] neg_hi:[0,1]
	v_mov_b32_e32 v15, v42
	v_pk_add_f32 v[44:45], v[38:39], v[14:15] neg_lo:[0,1] neg_hi:[0,1]
	v_mov_b32_e32 v30, v39
	v_mov_b32_e32 v38, v33
	v_mov_b32_e32 v39, v42
	v_mov_b32_e32 v41, v31
	v_pk_add_f32 v[30:31], v[30:31], v[38:39] neg_lo:[0,1] neg_hi:[0,1]
	v_mov_b32_e32 v36, v37
	v_mov_b32_e32 v37, v32
	v_pk_add_f32 v[30:31], v[36:37], v[30:31] neg_lo:[0,1] neg_hi:[0,1]
	v_mov_b32_e32 v44, v40
	v_pk_add_f32 v[32:33], v[44:45], v[30:31]
	v_mov_b32_e32 v36, v33
	v_pk_add_f32 v[36:37], v[32:33], v[36:37]
	v_pk_add_f32 v[34:35], v[34:35], v[36:37]
	v_mov_b32_e32 v33, v34
	v_pk_add_f32 v[38:39], v[32:33], v[40:41] neg_lo:[0,1] neg_hi:[0,1]
	v_mov_b32_e32 v31, v36
	v_sub_f32_e32 v15, v32, v38
	v_pk_add_f32 v[30:31], v[30:31], v[38:39] neg_lo:[0,1] neg_hi:[0,1]
	v_sub_f32_e32 v15, v40, v15
	s_mov_b32 s3, 0x7f800000
	v_add_f32_e32 v15, v30, v15
	s_mov_b32 s2, 0x33800000
	v_add_f32_e32 v15, v15, v31
	v_cmp_eq_f32_e32 vcc, s3, v29
	v_cmp_lt_f32_e64 s[2:3], |v29|, s2
	v_add_f32_e32 v15, v34, v15
	s_or_b64 vcc, vcc, s[2:3]
	v_cndmask_b32_e32 v15, v15, v29, vcc
	v_add_f32_e32 v2, v2, v15
	v_cvt_f16_f32_e32 v32, v2
	v_cvt_f32_f16_e32 v33, v32
.LBB391_125:
	s_or_b64 exec, exec, s[0:1]
	v_max_f32_e32 v2, v16, v16
	v_max_f32_e32 v15, v33, v33
	v_min_f32_e32 v29, v15, v2
	v_max_f32_e32 v30, v15, v2
	v_mov_b32_e32 v2, v32
	v_mov_b32_e32 v31, v32
	v_mov_b32_e32 v15, v33
	;;#ASMSTART
	;;#ASMEND
.LBB391_126:
	s_or_b64 exec, exec, s[4:5]
	v_cmp_u_f16_e32 vcc, v31, v31
	v_cndmask_b32_e32 v29, v29, v15, vcc
	v_cndmask_b32_e64 v32, v29, v16, s[48:49]
	v_cndmask_b32_e32 v29, v30, v15, vcc
	v_cndmask_b32_e64 v29, v29, v16, s[48:49]
	s_movk_i32 s4, 0x1f8
	v_cmp_neq_f32_e32 vcc, v32, v29
	v_cmp_class_f32_e64 s[0:1], v32, s4
	s_or_b64 s[2:3], vcc, s[0:1]
	v_mov_b32_e32 v16, v2
	s_and_saveexec_b64 s[0:1], s[2:3]
	s_cbranch_execz .LBB391_128
; %bb.127:
	v_sub_f32_e32 v15, v32, v29
	s_mov_b32 s2, 0x3fb8aa3b
	v_mul_f32_e32 v16, 0x3fb8aa3b, v15
	v_fma_f32 v30, v15, s2, -v16
	v_rndne_f32_e32 v31, v16
	v_fmac_f32_e32 v30, 0x32a5705f, v15
	v_sub_f32_e32 v16, v16, v31
	v_add_f32_e32 v16, v16, v30
	v_exp_f32_e32 v16, v16
	v_cvt_i32_f32_e32 v30, v31
	s_mov_b32 s2, 0xc2ce8ed0
	v_cmp_ngt_f32_e32 vcc, s2, v15
	s_mov_b32 s2, 0x42b17218
	v_ldexp_f32 v16, v16, v30
	v_cndmask_b32_e32 v16, 0, v16, vcc
	v_mov_b32_e32 v30, 0x7f800000
	v_cmp_nlt_f32_e32 vcc, s2, v15
	v_cndmask_b32_e32 v44, v30, v16, vcc
	v_add_f32_e32 v15, 1.0, v44
	v_add_f32_e32 v16, -1.0, v15
	v_sub_f32_e32 v30, v16, v15
	v_add_f32_e32 v30, 1.0, v30
	v_sub_f32_e32 v16, v44, v16
	v_add_f32_e32 v16, v16, v30
	v_frexp_mant_f32_e32 v32, v15
	s_mov_b32 s2, 0x3f2aaaab
	v_cvt_f64_f32_e32 v[30:31], v15
	v_frexp_exp_i32_f64_e32 v30, v[30:31]
	v_cmp_gt_f32_e32 vcc, s2, v32
	v_subbrev_co_u32_e32 v38, vcc, 0, v30, vcc
	v_sub_u32_e32 v30, 0, v38
	v_ldexp_f32 v15, v15, v30
	v_ldexp_f32 v16, v16, v30
	v_add_f32_e32 v30, -1.0, v15
	v_add_f32_e32 v31, 1.0, v30
	v_sub_f32_e32 v31, v15, v31
	v_add_f32_e32 v32, v16, v31
	v_add_f32_e32 v31, 1.0, v15
	v_add_f32_e32 v33, -1.0, v31
	v_sub_f32_e32 v15, v15, v33
	v_add_f32_e32 v15, v16, v15
	v_add_f32_e32 v16, v31, v15
	v_rcp_f32_e32 v39, v16
	v_sub_f32_e32 v31, v31, v16
	v_add_f32_e32 v15, v15, v31
	v_add_f32_e32 v31, v30, v32
	v_sub_f32_e32 v30, v30, v31
	v_mul_f32_e32 v41, v31, v39
	v_add_f32_e32 v40, v32, v30
	v_mul_f32_e32 v32, v16, v41
	v_fma_f32 v34, v41, v16, -v32
	v_fmac_f32_e32 v34, v41, v15
	v_add_f32_e32 v30, v32, v34
	v_sub_f32_e32 v33, v31, v30
	v_pk_add_f32 v[36:37], v[30:31], v[32:33] neg_lo:[0,1] neg_hi:[0,1]
	v_mov_b32_e32 v35, v30
	v_pk_add_f32 v[30:31], v[36:37], v[34:35] neg_lo:[0,1] neg_hi:[0,1]
	v_add_f32_e32 v31, v40, v31
	v_add_f32_e32 v30, v30, v31
	v_add_f32_e32 v31, v33, v30
	v_mul_f32_e32 v40, v39, v31
	v_mul_f32_e32 v32, v16, v40
	v_fma_f32 v34, v40, v16, -v32
	v_fmac_f32_e32 v34, v40, v15
	v_sub_f32_e32 v15, v33, v31
	v_add_f32_e32 v15, v30, v15
	v_add_f32_e32 v30, v32, v34
	v_sub_f32_e32 v33, v31, v30
	v_pk_add_f32 v[36:37], v[30:31], v[32:33] neg_lo:[0,1] neg_hi:[0,1]
	v_mov_b32_e32 v35, v30
	v_pk_add_f32 v[30:31], v[36:37], v[34:35] neg_lo:[0,1] neg_hi:[0,1]
	v_add_f32_e32 v15, v15, v31
	v_add_f32_e32 v15, v30, v15
	;; [unrolled: 1-line block ×4, first 2 shown]
	v_sub_f32_e32 v30, v16, v41
	v_mul_f32_e32 v15, v39, v15
	v_sub_f32_e32 v30, v40, v30
	v_add_f32_e32 v15, v30, v15
	v_add_f32_e32 v30, v16, v15
	v_mul_f32_e32 v33, v30, v30
	v_mov_b32_e32 v32, 0x3ecc95a3
	v_fmac_f32_e32 v32, 0x3e9b6dac, v33
	v_mov_b32_e32 v31, 0x3f2aaada
	v_fmac_f32_e32 v31, v33, v32
	v_cvt_f32_i32_e32 v32, v38
	v_sub_f32_e32 v16, v30, v16
	v_ldexp_f32 v35, v30, 1
	v_mul_f32_e32 v33, v30, v33
	v_mov_b32_e32 v30, 0x3f317218
	s_mov_b32 s2, 0x3f317218
	v_pk_mul_f32 v[30:31], v[32:33], v[30:31]
	v_fma_f32 v34, v32, s2, -v30
	v_fmac_f32_e32 v34, 0xb102e308, v32
	v_pk_add_f32 v[32:33], v[30:31], v[34:35]
	v_sub_f32_e32 v15, v15, v16
	v_sub_f32_e32 v16, v33, v35
	v_ldexp_f32 v15, v15, 1
	v_sub_f32_e32 v16, v31, v16
	v_add_f32_e32 v37, v15, v16
	v_mov_b32_e32 v36, v30
	v_pk_add_f32 v[30:31], v[32:33], v[30:31] neg_lo:[0,1] neg_hi:[0,1]
	v_pk_add_f32 v[38:39], v[32:33], v[36:37]
	v_mov_b32_e32 v31, v39
	v_mov_b32_e32 v35, v32
	v_pk_add_f32 v[40:41], v[34:35], v[30:31] neg_lo:[0,1] neg_hi:[0,1]
	v_pk_add_f32 v[30:31], v[34:35], v[30:31]
	v_mov_b32_e32 v16, v31
	v_pk_add_f32 v[34:35], v[16:17], v[32:33] neg_lo:[0,1] neg_hi:[0,1]
	v_mov_b32_e32 v15, v34
	v_pk_add_f32 v[42:43], v[38:39], v[14:15] neg_lo:[0,1] neg_hi:[0,1]
	v_mov_b32_e32 v30, v39
	v_mov_b32_e32 v38, v33
	;; [unrolled: 1-line block ×4, first 2 shown]
	v_pk_add_f32 v[30:31], v[30:31], v[38:39] neg_lo:[0,1] neg_hi:[0,1]
	v_mov_b32_e32 v34, v37
	v_mov_b32_e32 v35, v32
	v_pk_add_f32 v[30:31], v[34:35], v[30:31] neg_lo:[0,1] neg_hi:[0,1]
	v_mov_b32_e32 v42, v40
	v_pk_add_f32 v[32:33], v[42:43], v[30:31]
	v_mov_b32_e32 v34, v33
	v_pk_add_f32 v[34:35], v[32:33], v[34:35]
	v_pk_add_f32 v[36:37], v[16:17], v[34:35]
	v_mov_b32_e32 v33, v36
	v_pk_add_f32 v[38:39], v[32:33], v[40:41] neg_lo:[0,1] neg_hi:[0,1]
	v_mov_b32_e32 v31, v34
	v_sub_f32_e32 v15, v32, v38
	v_pk_add_f32 v[30:31], v[30:31], v[38:39] neg_lo:[0,1] neg_hi:[0,1]
	v_sub_f32_e32 v15, v40, v15
	s_mov_b32 s3, 0x7f800000
	v_add_f32_e32 v15, v30, v15
	s_mov_b32 s2, 0x33800000
	v_add_f32_e32 v15, v15, v31
	v_cmp_eq_f32_e32 vcc, s3, v44
	v_cmp_lt_f32_e64 s[2:3], |v44|, s2
	v_add_f32_e32 v15, v36, v15
	s_or_b64 vcc, vcc, s[2:3]
	v_cndmask_b32_e32 v15, v15, v44, vcc
	v_add_f32_e32 v15, v29, v15
	v_cvt_f16_f32_e32 v31, v15
	v_cvt_f32_f16_e32 v15, v31
	v_mov_b32_e32 v16, v31
.LBB391_128:
	s_or_b64 exec, exec, s[0:1]
	v_max_f32_e32 v29, v17, v17
	v_max_f32_e32 v32, v15, v15
	v_min_f32_e32 v30, v32, v29
	v_cmp_u_f16_e32 vcc, v31, v31
	v_max_f32_e32 v29, v32, v29
	v_cndmask_b32_e32 v30, v30, v15, vcc
	v_cndmask_b32_e32 v29, v29, v15, vcc
	v_cndmask_b32_e64 v30, v30, v17, s[50:51]
	v_cndmask_b32_e64 v29, v29, v17, s[50:51]
	v_cmp_neq_f32_e32 vcc, v30, v29
	v_cmp_class_f32_e64 s[0:1], v30, s4
	s_or_b64 s[2:3], vcc, s[0:1]
	v_mov_b32_e32 v17, v16
	s_and_saveexec_b64 s[0:1], s[2:3]
	s_cbranch_execz .LBB391_130
; %bb.129:
	v_sub_f32_e32 v15, v30, v29
	s_mov_b32 s2, 0x3fb8aa3b
	v_mul_f32_e32 v17, 0x3fb8aa3b, v15
	v_fma_f32 v30, v15, s2, -v17
	v_rndne_f32_e32 v31, v17
	v_fmac_f32_e32 v30, 0x32a5705f, v15
	v_sub_f32_e32 v17, v17, v31
	v_add_f32_e32 v17, v17, v30
	v_exp_f32_e32 v17, v17
	v_cvt_i32_f32_e32 v30, v31
	s_mov_b32 s2, 0xc2ce8ed0
	v_cmp_ngt_f32_e32 vcc, s2, v15
	s_mov_b32 s2, 0x42b17218
	v_ldexp_f32 v17, v17, v30
	v_cndmask_b32_e32 v17, 0, v17, vcc
	v_mov_b32_e32 v30, 0x7f800000
	v_cmp_nlt_f32_e32 vcc, s2, v15
	v_cndmask_b32_e32 v17, v30, v17, vcc
	v_add_f32_e32 v15, 1.0, v17
	v_add_f32_e32 v30, -1.0, v15
	v_sub_f32_e32 v31, v30, v15
	v_add_f32_e32 v31, 1.0, v31
	v_sub_f32_e32 v30, v17, v30
	v_add_f32_e32 v32, v30, v31
	v_frexp_mant_f32_e32 v33, v15
	s_mov_b32 s2, 0x3f2aaaab
	v_cvt_f64_f32_e32 v[30:31], v15
	v_frexp_exp_i32_f64_e32 v30, v[30:31]
	v_cmp_gt_f32_e32 vcc, s2, v33
	v_subbrev_co_u32_e32 v38, vcc, 0, v30, vcc
	v_sub_u32_e32 v30, 0, v38
	v_ldexp_f32 v15, v15, v30
	v_ldexp_f32 v30, v32, v30
	v_add_f32_e32 v32, -1.0, v15
	v_add_f32_e32 v31, 1.0, v32
	v_sub_f32_e32 v31, v15, v31
	v_add_f32_e32 v33, v30, v31
	v_add_f32_e32 v31, 1.0, v15
	v_add_f32_e32 v34, -1.0, v31
	v_sub_f32_e32 v15, v15, v34
	v_add_f32_e32 v15, v30, v15
	v_add_f32_e32 v39, v31, v15
	v_rcp_f32_e32 v40, v39
	v_sub_f32_e32 v30, v31, v39
	v_add_f32_e32 v31, v32, v33
	v_add_f32_e32 v15, v15, v30
	v_mul_f32_e32 v42, v31, v40
	v_sub_f32_e32 v30, v32, v31
	v_mul_f32_e32 v32, v39, v42
	v_fma_f32 v34, v42, v39, -v32
	v_fmac_f32_e32 v34, v42, v15
	v_add_f32_e32 v41, v33, v30
	v_add_f32_e32 v30, v32, v34
	v_sub_f32_e32 v33, v31, v30
	v_pk_add_f32 v[36:37], v[30:31], v[32:33] neg_lo:[0,1] neg_hi:[0,1]
	v_mov_b32_e32 v35, v30
	v_pk_add_f32 v[30:31], v[36:37], v[34:35] neg_lo:[0,1] neg_hi:[0,1]
	v_add_f32_e32 v31, v41, v31
	v_add_f32_e32 v30, v30, v31
	;; [unrolled: 1-line block ×3, first 2 shown]
	v_mul_f32_e32 v41, v40, v31
	v_mul_f32_e32 v32, v39, v41
	v_fma_f32 v34, v41, v39, -v32
	v_fmac_f32_e32 v34, v41, v15
	v_sub_f32_e32 v15, v33, v31
	v_add_f32_e32 v15, v30, v15
	v_add_f32_e32 v30, v32, v34
	v_sub_f32_e32 v33, v31, v30
	v_pk_add_f32 v[36:37], v[30:31], v[32:33] neg_lo:[0,1] neg_hi:[0,1]
	v_mov_b32_e32 v35, v30
	v_pk_add_f32 v[30:31], v[36:37], v[34:35] neg_lo:[0,1] neg_hi:[0,1]
	v_add_f32_e32 v15, v15, v31
	v_add_f32_e32 v15, v30, v15
	v_add_f32_e32 v30, v42, v41
	v_add_f32_e32 v15, v33, v15
	v_sub_f32_e32 v31, v30, v42
	v_mul_f32_e32 v15, v40, v15
	v_sub_f32_e32 v31, v41, v31
	v_add_f32_e32 v15, v31, v15
	v_add_f32_e32 v33, v30, v15
	v_mul_f32_e32 v34, v33, v33
	v_mov_b32_e32 v32, 0x3ecc95a3
	v_fmac_f32_e32 v32, 0x3e9b6dac, v34
	v_mov_b32_e32 v31, 0x3f2aaada
	v_fmac_f32_e32 v31, v34, v32
	v_cvt_f32_i32_e32 v32, v38
	v_sub_f32_e32 v30, v33, v30
	v_sub_f32_e32 v15, v15, v30
	v_ldexp_f32 v35, v33, 1
	v_mul_f32_e32 v33, v33, v34
	v_mov_b32_e32 v30, 0x3f317218
	s_mov_b32 s2, 0x3f317218
	v_pk_mul_f32 v[30:31], v[32:33], v[30:31]
	v_fma_f32 v34, v32, s2, -v30
	v_fmac_f32_e32 v34, 0xb102e308, v32
	v_pk_add_f32 v[32:33], v[30:31], v[34:35]
	v_sub_f32_e32 v35, v33, v35
	v_ldexp_f32 v15, v15, 1
	v_sub_f32_e32 v35, v31, v35
	v_add_f32_e32 v37, v15, v35
	v_mov_b32_e32 v36, v30
	v_pk_add_f32 v[30:31], v[32:33], v[30:31] neg_lo:[0,1] neg_hi:[0,1]
	v_pk_add_f32 v[38:39], v[32:33], v[36:37]
	v_mov_b32_e32 v31, v39
	v_mov_b32_e32 v35, v32
	v_pk_add_f32 v[40:41], v[34:35], v[30:31] neg_lo:[0,1] neg_hi:[0,1]
	v_pk_add_f32 v[30:31], v[34:35], v[30:31]
	v_mov_b32_e32 v34, v31
	v_pk_add_f32 v[42:43], v[34:35], v[32:33] neg_lo:[0,1] neg_hi:[0,1]
	v_mov_b32_e32 v15, v42
	v_pk_add_f32 v[44:45], v[38:39], v[14:15] neg_lo:[0,1] neg_hi:[0,1]
	v_mov_b32_e32 v30, v39
	v_mov_b32_e32 v38, v33
	;; [unrolled: 1-line block ×4, first 2 shown]
	v_pk_add_f32 v[30:31], v[30:31], v[38:39] neg_lo:[0,1] neg_hi:[0,1]
	v_mov_b32_e32 v36, v37
	v_mov_b32_e32 v37, v32
	v_pk_add_f32 v[30:31], v[36:37], v[30:31] neg_lo:[0,1] neg_hi:[0,1]
	v_mov_b32_e32 v44, v40
	v_pk_add_f32 v[32:33], v[44:45], v[30:31]
	v_mov_b32_e32 v36, v33
	v_pk_add_f32 v[36:37], v[32:33], v[36:37]
	v_pk_add_f32 v[34:35], v[34:35], v[36:37]
	v_mov_b32_e32 v33, v34
	v_pk_add_f32 v[38:39], v[32:33], v[40:41] neg_lo:[0,1] neg_hi:[0,1]
	v_mov_b32_e32 v31, v36
	v_sub_f32_e32 v15, v32, v38
	v_pk_add_f32 v[30:31], v[30:31], v[38:39] neg_lo:[0,1] neg_hi:[0,1]
	v_sub_f32_e32 v15, v40, v15
	s_mov_b32 s3, 0x7f800000
	v_add_f32_e32 v15, v30, v15
	s_mov_b32 s2, 0x33800000
	v_add_f32_e32 v15, v15, v31
	v_cmp_eq_f32_e32 vcc, s3, v17
	v_cmp_lt_f32_e64 s[2:3], |v17|, s2
	v_add_f32_e32 v15, v34, v15
	s_or_b64 vcc, vcc, s[2:3]
	v_cndmask_b32_e32 v15, v15, v17, vcc
	v_add_f32_e32 v15, v29, v15
	v_cvt_f16_f32_e32 v31, v15
	v_cvt_f32_f16_e32 v15, v31
	v_mov_b32_e32 v17, v31
.LBB391_130:
	s_or_b64 exec, exec, s[0:1]
	v_max_f32_e32 v29, v18, v18
	v_max_f32_e32 v32, v15, v15
	v_min_f32_e32 v30, v32, v29
	v_cmp_u_f16_e32 vcc, v31, v31
	v_max_f32_e32 v29, v32, v29
	v_cndmask_b32_e32 v30, v30, v15, vcc
	v_cndmask_b32_e32 v29, v29, v15, vcc
	v_cndmask_b32_e64 v30, v30, v18, s[52:53]
	v_cndmask_b32_e64 v29, v29, v18, s[52:53]
	v_cmp_neq_f32_e32 vcc, v30, v29
	v_cmp_class_f32_e64 s[0:1], v30, s4
	s_or_b64 s[2:3], vcc, s[0:1]
	v_mov_b32_e32 v18, v17
	s_and_saveexec_b64 s[0:1], s[2:3]
	s_cbranch_execz .LBB391_132
; %bb.131:
	v_sub_f32_e32 v15, v30, v29
	s_mov_b32 s2, 0x3fb8aa3b
	v_mul_f32_e32 v18, 0x3fb8aa3b, v15
	v_fma_f32 v30, v15, s2, -v18
	v_rndne_f32_e32 v31, v18
	v_fmac_f32_e32 v30, 0x32a5705f, v15
	v_sub_f32_e32 v18, v18, v31
	v_add_f32_e32 v18, v18, v30
	v_exp_f32_e32 v18, v18
	v_cvt_i32_f32_e32 v30, v31
	s_mov_b32 s2, 0xc2ce8ed0
	v_cmp_ngt_f32_e32 vcc, s2, v15
	s_mov_b32 s2, 0x42b17218
	v_ldexp_f32 v18, v18, v30
	v_cndmask_b32_e32 v18, 0, v18, vcc
	v_mov_b32_e32 v30, 0x7f800000
	v_cmp_nlt_f32_e32 vcc, s2, v15
	v_cndmask_b32_e32 v44, v30, v18, vcc
	v_add_f32_e32 v15, 1.0, v44
	v_add_f32_e32 v18, -1.0, v15
	v_sub_f32_e32 v30, v18, v15
	v_add_f32_e32 v30, 1.0, v30
	v_sub_f32_e32 v18, v44, v18
	v_add_f32_e32 v18, v18, v30
	v_frexp_mant_f32_e32 v32, v15
	s_mov_b32 s2, 0x3f2aaaab
	v_cvt_f64_f32_e32 v[30:31], v15
	v_frexp_exp_i32_f64_e32 v30, v[30:31]
	v_cmp_gt_f32_e32 vcc, s2, v32
	v_subbrev_co_u32_e32 v38, vcc, 0, v30, vcc
	v_sub_u32_e32 v30, 0, v38
	v_ldexp_f32 v15, v15, v30
	v_ldexp_f32 v18, v18, v30
	v_add_f32_e32 v30, -1.0, v15
	v_add_f32_e32 v31, 1.0, v30
	v_sub_f32_e32 v31, v15, v31
	v_add_f32_e32 v32, v18, v31
	v_add_f32_e32 v31, 1.0, v15
	v_add_f32_e32 v33, -1.0, v31
	v_sub_f32_e32 v15, v15, v33
	v_add_f32_e32 v15, v18, v15
	v_add_f32_e32 v18, v31, v15
	v_rcp_f32_e32 v39, v18
	v_sub_f32_e32 v31, v31, v18
	v_add_f32_e32 v15, v15, v31
	v_add_f32_e32 v31, v30, v32
	v_sub_f32_e32 v30, v30, v31
	v_mul_f32_e32 v41, v31, v39
	v_add_f32_e32 v40, v32, v30
	v_mul_f32_e32 v32, v18, v41
	v_fma_f32 v34, v41, v18, -v32
	v_fmac_f32_e32 v34, v41, v15
	v_add_f32_e32 v30, v32, v34
	v_sub_f32_e32 v33, v31, v30
	v_pk_add_f32 v[36:37], v[30:31], v[32:33] neg_lo:[0,1] neg_hi:[0,1]
	v_mov_b32_e32 v35, v30
	v_pk_add_f32 v[30:31], v[36:37], v[34:35] neg_lo:[0,1] neg_hi:[0,1]
	v_add_f32_e32 v31, v40, v31
	v_add_f32_e32 v30, v30, v31
	;; [unrolled: 1-line block ×3, first 2 shown]
	v_mul_f32_e32 v40, v39, v31
	v_mul_f32_e32 v32, v18, v40
	v_fma_f32 v34, v40, v18, -v32
	v_fmac_f32_e32 v34, v40, v15
	v_sub_f32_e32 v15, v33, v31
	v_add_f32_e32 v15, v30, v15
	v_add_f32_e32 v30, v32, v34
	v_sub_f32_e32 v33, v31, v30
	v_pk_add_f32 v[36:37], v[30:31], v[32:33] neg_lo:[0,1] neg_hi:[0,1]
	v_mov_b32_e32 v35, v30
	v_pk_add_f32 v[30:31], v[36:37], v[34:35] neg_lo:[0,1] neg_hi:[0,1]
	v_add_f32_e32 v15, v15, v31
	v_add_f32_e32 v15, v30, v15
	;; [unrolled: 1-line block ×4, first 2 shown]
	v_sub_f32_e32 v30, v18, v41
	v_mul_f32_e32 v15, v39, v15
	v_sub_f32_e32 v30, v40, v30
	v_add_f32_e32 v15, v30, v15
	v_add_f32_e32 v30, v18, v15
	v_mul_f32_e32 v33, v30, v30
	v_mov_b32_e32 v32, 0x3ecc95a3
	v_fmac_f32_e32 v32, 0x3e9b6dac, v33
	v_mov_b32_e32 v31, 0x3f2aaada
	v_fmac_f32_e32 v31, v33, v32
	v_cvt_f32_i32_e32 v32, v38
	v_sub_f32_e32 v18, v30, v18
	v_ldexp_f32 v35, v30, 1
	v_mul_f32_e32 v33, v30, v33
	v_mov_b32_e32 v30, 0x3f317218
	s_mov_b32 s2, 0x3f317218
	v_pk_mul_f32 v[30:31], v[32:33], v[30:31]
	v_fma_f32 v34, v32, s2, -v30
	v_fmac_f32_e32 v34, 0xb102e308, v32
	v_pk_add_f32 v[32:33], v[30:31], v[34:35]
	v_sub_f32_e32 v15, v15, v18
	v_sub_f32_e32 v18, v33, v35
	v_ldexp_f32 v15, v15, 1
	v_sub_f32_e32 v18, v31, v18
	v_add_f32_e32 v37, v15, v18
	v_mov_b32_e32 v36, v30
	v_pk_add_f32 v[30:31], v[32:33], v[30:31] neg_lo:[0,1] neg_hi:[0,1]
	v_pk_add_f32 v[38:39], v[32:33], v[36:37]
	v_mov_b32_e32 v31, v39
	v_mov_b32_e32 v35, v32
	v_pk_add_f32 v[40:41], v[34:35], v[30:31] neg_lo:[0,1] neg_hi:[0,1]
	v_pk_add_f32 v[30:31], v[34:35], v[30:31]
	v_mov_b32_e32 v18, v31
	v_pk_add_f32 v[34:35], v[18:19], v[32:33] neg_lo:[0,1] neg_hi:[0,1]
	v_mov_b32_e32 v15, v34
	v_pk_add_f32 v[42:43], v[38:39], v[14:15] neg_lo:[0,1] neg_hi:[0,1]
	v_mov_b32_e32 v30, v39
	v_mov_b32_e32 v38, v33
	v_mov_b32_e32 v39, v34
	v_mov_b32_e32 v41, v31
	v_pk_add_f32 v[30:31], v[30:31], v[38:39] neg_lo:[0,1] neg_hi:[0,1]
	v_mov_b32_e32 v34, v37
	v_mov_b32_e32 v35, v32
	v_pk_add_f32 v[30:31], v[34:35], v[30:31] neg_lo:[0,1] neg_hi:[0,1]
	v_mov_b32_e32 v42, v40
	v_pk_add_f32 v[32:33], v[42:43], v[30:31]
	v_mov_b32_e32 v34, v33
	v_pk_add_f32 v[34:35], v[32:33], v[34:35]
	v_pk_add_f32 v[36:37], v[18:19], v[34:35]
	v_mov_b32_e32 v33, v36
	v_pk_add_f32 v[38:39], v[32:33], v[40:41] neg_lo:[0,1] neg_hi:[0,1]
	v_mov_b32_e32 v31, v34
	v_sub_f32_e32 v15, v32, v38
	v_pk_add_f32 v[30:31], v[30:31], v[38:39] neg_lo:[0,1] neg_hi:[0,1]
	v_sub_f32_e32 v15, v40, v15
	s_mov_b32 s3, 0x7f800000
	v_add_f32_e32 v15, v30, v15
	s_mov_b32 s2, 0x33800000
	v_add_f32_e32 v15, v15, v31
	v_cmp_eq_f32_e32 vcc, s3, v44
	v_cmp_lt_f32_e64 s[2:3], |v44|, s2
	v_add_f32_e32 v15, v36, v15
	s_or_b64 vcc, vcc, s[2:3]
	v_cndmask_b32_e32 v15, v15, v44, vcc
	v_add_f32_e32 v15, v29, v15
	v_cvt_f16_f32_e32 v31, v15
	v_cvt_f32_f16_e32 v15, v31
	v_mov_b32_e32 v18, v31
.LBB391_132:
	s_or_b64 exec, exec, s[0:1]
	v_max_f32_e32 v29, v3, v3
	v_max_f32_e32 v32, v15, v15
	v_min_f32_e32 v30, v32, v29
	v_cmp_u_f16_e32 vcc, v31, v31
	v_max_f32_e32 v29, v32, v29
	v_cndmask_b32_e32 v30, v30, v15, vcc
	v_cndmask_b32_e32 v29, v29, v15, vcc
	v_cndmask_b32_e64 v30, v30, v3, s[54:55]
	v_cndmask_b32_e64 v29, v29, v3, s[54:55]
	v_cmp_neq_f32_e32 vcc, v30, v29
	v_cmp_class_f32_e64 s[0:1], v30, s4
	s_or_b64 s[2:3], vcc, s[0:1]
	v_mov_b32_e32 v3, v18
	s_and_saveexec_b64 s[0:1], s[2:3]
	s_cbranch_execz .LBB391_134
; %bb.133:
	v_sub_f32_e32 v3, v30, v29
	s_mov_b32 s2, 0x3fb8aa3b
	v_mul_f32_e32 v15, 0x3fb8aa3b, v3
	v_fma_f32 v30, v3, s2, -v15
	v_rndne_f32_e32 v31, v15
	v_fmac_f32_e32 v30, 0x32a5705f, v3
	v_sub_f32_e32 v15, v15, v31
	v_add_f32_e32 v15, v15, v30
	v_exp_f32_e32 v15, v15
	v_cvt_i32_f32_e32 v30, v31
	s_mov_b32 s2, 0xc2ce8ed0
	v_cmp_ngt_f32_e32 vcc, s2, v3
	s_mov_b32 s2, 0x42b17218
	v_ldexp_f32 v15, v15, v30
	v_cndmask_b32_e32 v15, 0, v15, vcc
	v_mov_b32_e32 v30, 0x7f800000
	v_cmp_nlt_f32_e32 vcc, s2, v3
	v_cndmask_b32_e32 v15, v30, v15, vcc
	v_add_f32_e32 v3, 1.0, v15
	v_add_f32_e32 v30, -1.0, v3
	v_sub_f32_e32 v31, v30, v3
	v_add_f32_e32 v31, 1.0, v31
	v_sub_f32_e32 v30, v15, v30
	v_add_f32_e32 v32, v30, v31
	v_frexp_mant_f32_e32 v33, v3
	s_mov_b32 s2, 0x3f2aaaab
	v_cvt_f64_f32_e32 v[30:31], v3
	v_frexp_exp_i32_f64_e32 v30, v[30:31]
	v_cmp_gt_f32_e32 vcc, s2, v33
	v_subbrev_co_u32_e32 v38, vcc, 0, v30, vcc
	v_sub_u32_e32 v30, 0, v38
	v_ldexp_f32 v3, v3, v30
	v_ldexp_f32 v30, v32, v30
	v_add_f32_e32 v32, -1.0, v3
	v_add_f32_e32 v31, 1.0, v32
	v_sub_f32_e32 v31, v3, v31
	v_add_f32_e32 v33, v30, v31
	v_add_f32_e32 v31, 1.0, v3
	v_add_f32_e32 v34, -1.0, v31
	v_sub_f32_e32 v3, v3, v34
	v_add_f32_e32 v3, v30, v3
	v_add_f32_e32 v39, v31, v3
	v_rcp_f32_e32 v40, v39
	v_sub_f32_e32 v30, v31, v39
	v_add_f32_e32 v31, v32, v33
	v_add_f32_e32 v3, v3, v30
	v_mul_f32_e32 v42, v31, v40
	v_sub_f32_e32 v30, v32, v31
	v_mul_f32_e32 v32, v39, v42
	v_fma_f32 v34, v42, v39, -v32
	v_fmac_f32_e32 v34, v42, v3
	v_add_f32_e32 v41, v33, v30
	v_add_f32_e32 v30, v32, v34
	v_sub_f32_e32 v33, v31, v30
	v_pk_add_f32 v[36:37], v[30:31], v[32:33] neg_lo:[0,1] neg_hi:[0,1]
	v_mov_b32_e32 v35, v30
	v_pk_add_f32 v[30:31], v[36:37], v[34:35] neg_lo:[0,1] neg_hi:[0,1]
	v_add_f32_e32 v31, v41, v31
	v_add_f32_e32 v30, v30, v31
	;; [unrolled: 1-line block ×3, first 2 shown]
	v_mul_f32_e32 v41, v40, v31
	v_mul_f32_e32 v32, v39, v41
	v_fma_f32 v34, v41, v39, -v32
	v_fmac_f32_e32 v34, v41, v3
	v_sub_f32_e32 v3, v33, v31
	v_add_f32_e32 v3, v30, v3
	v_add_f32_e32 v30, v32, v34
	v_sub_f32_e32 v33, v31, v30
	v_pk_add_f32 v[36:37], v[30:31], v[32:33] neg_lo:[0,1] neg_hi:[0,1]
	v_mov_b32_e32 v35, v30
	v_pk_add_f32 v[30:31], v[36:37], v[34:35] neg_lo:[0,1] neg_hi:[0,1]
	v_add_f32_e32 v3, v3, v31
	v_add_f32_e32 v3, v30, v3
	;; [unrolled: 1-line block ×4, first 2 shown]
	v_sub_f32_e32 v31, v30, v42
	v_mul_f32_e32 v3, v40, v3
	v_sub_f32_e32 v31, v41, v31
	v_add_f32_e32 v3, v31, v3
	v_add_f32_e32 v33, v30, v3
	v_mul_f32_e32 v34, v33, v33
	v_mov_b32_e32 v32, 0x3ecc95a3
	v_fmac_f32_e32 v32, 0x3e9b6dac, v34
	v_mov_b32_e32 v31, 0x3f2aaada
	v_fmac_f32_e32 v31, v34, v32
	v_cvt_f32_i32_e32 v32, v38
	v_sub_f32_e32 v30, v33, v30
	v_sub_f32_e32 v3, v3, v30
	v_ldexp_f32 v35, v33, 1
	v_mul_f32_e32 v33, v33, v34
	v_mov_b32_e32 v30, 0x3f317218
	s_mov_b32 s2, 0x3f317218
	v_pk_mul_f32 v[30:31], v[32:33], v[30:31]
	v_fma_f32 v34, v32, s2, -v30
	v_fmac_f32_e32 v34, 0xb102e308, v32
	v_pk_add_f32 v[32:33], v[30:31], v[34:35]
	v_sub_f32_e32 v35, v33, v35
	v_ldexp_f32 v3, v3, 1
	v_sub_f32_e32 v35, v31, v35
	v_add_f32_e32 v37, v3, v35
	v_mov_b32_e32 v36, v30
	v_pk_add_f32 v[30:31], v[32:33], v[30:31] neg_lo:[0,1] neg_hi:[0,1]
	v_pk_add_f32 v[38:39], v[32:33], v[36:37]
	v_mov_b32_e32 v31, v39
	v_mov_b32_e32 v35, v32
	v_pk_add_f32 v[40:41], v[34:35], v[30:31] neg_lo:[0,1] neg_hi:[0,1]
	v_pk_add_f32 v[30:31], v[34:35], v[30:31]
	v_mov_b32_e32 v34, v31
	v_pk_add_f32 v[42:43], v[34:35], v[32:33] neg_lo:[0,1] neg_hi:[0,1]
	v_mov_b32_e32 v3, v42
	v_pk_add_f32 v[44:45], v[38:39], v[2:3] neg_lo:[0,1] neg_hi:[0,1]
	v_mov_b32_e32 v30, v39
	v_mov_b32_e32 v38, v33
	v_mov_b32_e32 v39, v42
	v_mov_b32_e32 v41, v31
	v_pk_add_f32 v[30:31], v[30:31], v[38:39] neg_lo:[0,1] neg_hi:[0,1]
	v_mov_b32_e32 v36, v37
	v_mov_b32_e32 v37, v32
	v_pk_add_f32 v[30:31], v[36:37], v[30:31] neg_lo:[0,1] neg_hi:[0,1]
	v_mov_b32_e32 v44, v40
	v_pk_add_f32 v[32:33], v[44:45], v[30:31]
	v_mov_b32_e32 v36, v33
	v_pk_add_f32 v[36:37], v[32:33], v[36:37]
	v_pk_add_f32 v[34:35], v[34:35], v[36:37]
	v_mov_b32_e32 v33, v34
	v_pk_add_f32 v[38:39], v[32:33], v[40:41] neg_lo:[0,1] neg_hi:[0,1]
	v_mov_b32_e32 v31, v36
	v_sub_f32_e32 v3, v32, v38
	v_pk_add_f32 v[30:31], v[30:31], v[38:39] neg_lo:[0,1] neg_hi:[0,1]
	v_sub_f32_e32 v3, v40, v3
	s_mov_b32 s3, 0x7f800000
	v_add_f32_e32 v3, v30, v3
	s_mov_b32 s2, 0x33800000
	v_add_f32_e32 v3, v3, v31
	v_cmp_eq_f32_e32 vcc, s3, v15
	v_cmp_lt_f32_e64 s[2:3], |v15|, s2
	v_add_f32_e32 v3, v34, v3
	s_or_b64 vcc, vcc, s[2:3]
	v_cndmask_b32_e32 v3, v3, v15, vcc
	v_add_f32_e32 v3, v29, v3
	v_cvt_f16_f32_e32 v31, v3
	v_cvt_f32_f16_e32 v15, v31
	v_mov_b32_e32 v3, v31
.LBB391_134:
	s_or_b64 exec, exec, s[0:1]
	v_max_f32_e32 v29, v19, v19
	v_max_f32_e32 v32, v15, v15
	v_min_f32_e32 v30, v32, v29
	v_cmp_u_f16_e32 vcc, v31, v31
	v_max_f32_e32 v29, v32, v29
	v_cndmask_b32_e32 v30, v30, v15, vcc
	v_cndmask_b32_e32 v29, v29, v15, vcc
	v_cndmask_b32_e64 v30, v30, v19, s[56:57]
	v_cndmask_b32_e64 v29, v29, v19, s[56:57]
	v_cmp_neq_f32_e32 vcc, v30, v29
	v_cmp_class_f32_e64 s[0:1], v30, s4
	s_or_b64 s[2:3], vcc, s[0:1]
	v_mov_b32_e32 v19, v3
	s_and_saveexec_b64 s[0:1], s[2:3]
	s_cbranch_execz .LBB391_136
; %bb.135:
	v_sub_f32_e32 v15, v30, v29
	s_mov_b32 s2, 0x3fb8aa3b
	v_mul_f32_e32 v19, 0x3fb8aa3b, v15
	v_fma_f32 v30, v15, s2, -v19
	v_rndne_f32_e32 v31, v19
	v_fmac_f32_e32 v30, 0x32a5705f, v15
	v_sub_f32_e32 v19, v19, v31
	v_add_f32_e32 v19, v19, v30
	v_exp_f32_e32 v19, v19
	v_cvt_i32_f32_e32 v30, v31
	s_mov_b32 s2, 0xc2ce8ed0
	v_cmp_ngt_f32_e32 vcc, s2, v15
	s_mov_b32 s2, 0x42b17218
	v_ldexp_f32 v19, v19, v30
	v_cndmask_b32_e32 v19, 0, v19, vcc
	v_mov_b32_e32 v30, 0x7f800000
	v_cmp_nlt_f32_e32 vcc, s2, v15
	v_cndmask_b32_e32 v19, v30, v19, vcc
	v_add_f32_e32 v15, 1.0, v19
	v_add_f32_e32 v30, -1.0, v15
	v_sub_f32_e32 v31, v30, v15
	v_add_f32_e32 v31, 1.0, v31
	v_sub_f32_e32 v30, v19, v30
	v_add_f32_e32 v32, v30, v31
	v_frexp_mant_f32_e32 v33, v15
	s_mov_b32 s2, 0x3f2aaaab
	v_cvt_f64_f32_e32 v[30:31], v15
	v_frexp_exp_i32_f64_e32 v30, v[30:31]
	v_cmp_gt_f32_e32 vcc, s2, v33
	v_subbrev_co_u32_e32 v38, vcc, 0, v30, vcc
	v_sub_u32_e32 v30, 0, v38
	v_ldexp_f32 v15, v15, v30
	v_ldexp_f32 v30, v32, v30
	v_add_f32_e32 v32, -1.0, v15
	v_add_f32_e32 v31, 1.0, v32
	v_sub_f32_e32 v31, v15, v31
	v_add_f32_e32 v33, v30, v31
	v_add_f32_e32 v31, 1.0, v15
	v_add_f32_e32 v34, -1.0, v31
	v_sub_f32_e32 v15, v15, v34
	v_add_f32_e32 v15, v30, v15
	v_add_f32_e32 v39, v31, v15
	v_rcp_f32_e32 v40, v39
	v_sub_f32_e32 v30, v31, v39
	v_add_f32_e32 v31, v32, v33
	v_add_f32_e32 v15, v15, v30
	v_mul_f32_e32 v42, v31, v40
	v_sub_f32_e32 v30, v32, v31
	v_mul_f32_e32 v32, v39, v42
	v_fma_f32 v34, v42, v39, -v32
	v_fmac_f32_e32 v34, v42, v15
	v_add_f32_e32 v41, v33, v30
	v_add_f32_e32 v30, v32, v34
	v_sub_f32_e32 v33, v31, v30
	v_pk_add_f32 v[36:37], v[30:31], v[32:33] neg_lo:[0,1] neg_hi:[0,1]
	v_mov_b32_e32 v35, v30
	v_pk_add_f32 v[30:31], v[36:37], v[34:35] neg_lo:[0,1] neg_hi:[0,1]
	v_add_f32_e32 v31, v41, v31
	v_add_f32_e32 v30, v30, v31
	;; [unrolled: 1-line block ×3, first 2 shown]
	v_mul_f32_e32 v41, v40, v31
	v_mul_f32_e32 v32, v39, v41
	v_fma_f32 v34, v41, v39, -v32
	v_fmac_f32_e32 v34, v41, v15
	v_sub_f32_e32 v15, v33, v31
	v_add_f32_e32 v15, v30, v15
	v_add_f32_e32 v30, v32, v34
	v_sub_f32_e32 v33, v31, v30
	v_pk_add_f32 v[36:37], v[30:31], v[32:33] neg_lo:[0,1] neg_hi:[0,1]
	v_mov_b32_e32 v35, v30
	v_pk_add_f32 v[30:31], v[36:37], v[34:35] neg_lo:[0,1] neg_hi:[0,1]
	v_add_f32_e32 v15, v15, v31
	v_add_f32_e32 v15, v30, v15
	;; [unrolled: 1-line block ×4, first 2 shown]
	v_sub_f32_e32 v31, v30, v42
	v_mul_f32_e32 v15, v40, v15
	v_sub_f32_e32 v31, v41, v31
	v_add_f32_e32 v15, v31, v15
	v_add_f32_e32 v33, v30, v15
	v_mul_f32_e32 v34, v33, v33
	v_mov_b32_e32 v32, 0x3ecc95a3
	v_fmac_f32_e32 v32, 0x3e9b6dac, v34
	v_mov_b32_e32 v31, 0x3f2aaada
	v_fmac_f32_e32 v31, v34, v32
	v_cvt_f32_i32_e32 v32, v38
	v_sub_f32_e32 v30, v33, v30
	v_sub_f32_e32 v15, v15, v30
	v_ldexp_f32 v35, v33, 1
	v_mul_f32_e32 v33, v33, v34
	v_mov_b32_e32 v30, 0x3f317218
	s_mov_b32 s2, 0x3f317218
	v_pk_mul_f32 v[30:31], v[32:33], v[30:31]
	v_fma_f32 v34, v32, s2, -v30
	v_fmac_f32_e32 v34, 0xb102e308, v32
	v_pk_add_f32 v[32:33], v[30:31], v[34:35]
	v_sub_f32_e32 v35, v33, v35
	v_ldexp_f32 v15, v15, 1
	v_sub_f32_e32 v35, v31, v35
	v_add_f32_e32 v37, v15, v35
	v_mov_b32_e32 v36, v30
	v_pk_add_f32 v[30:31], v[32:33], v[30:31] neg_lo:[0,1] neg_hi:[0,1]
	v_pk_add_f32 v[38:39], v[32:33], v[36:37]
	v_mov_b32_e32 v31, v39
	v_mov_b32_e32 v35, v32
	v_pk_add_f32 v[40:41], v[34:35], v[30:31] neg_lo:[0,1] neg_hi:[0,1]
	v_pk_add_f32 v[30:31], v[34:35], v[30:31]
	v_mov_b32_e32 v34, v31
	v_pk_add_f32 v[42:43], v[34:35], v[32:33] neg_lo:[0,1] neg_hi:[0,1]
	v_mov_b32_e32 v15, v42
	v_pk_add_f32 v[44:45], v[38:39], v[14:15] neg_lo:[0,1] neg_hi:[0,1]
	v_mov_b32_e32 v30, v39
	v_mov_b32_e32 v38, v33
	;; [unrolled: 1-line block ×4, first 2 shown]
	v_pk_add_f32 v[30:31], v[30:31], v[38:39] neg_lo:[0,1] neg_hi:[0,1]
	v_mov_b32_e32 v36, v37
	v_mov_b32_e32 v37, v32
	v_pk_add_f32 v[30:31], v[36:37], v[30:31] neg_lo:[0,1] neg_hi:[0,1]
	v_mov_b32_e32 v44, v40
	v_pk_add_f32 v[32:33], v[44:45], v[30:31]
	v_mov_b32_e32 v36, v33
	v_pk_add_f32 v[36:37], v[32:33], v[36:37]
	v_pk_add_f32 v[34:35], v[34:35], v[36:37]
	v_mov_b32_e32 v33, v34
	v_pk_add_f32 v[38:39], v[32:33], v[40:41] neg_lo:[0,1] neg_hi:[0,1]
	v_mov_b32_e32 v31, v36
	v_sub_f32_e32 v15, v32, v38
	v_pk_add_f32 v[30:31], v[30:31], v[38:39] neg_lo:[0,1] neg_hi:[0,1]
	v_sub_f32_e32 v15, v40, v15
	s_mov_b32 s3, 0x7f800000
	v_add_f32_e32 v15, v30, v15
	s_mov_b32 s2, 0x33800000
	v_add_f32_e32 v15, v15, v31
	v_cmp_eq_f32_e32 vcc, s3, v19
	v_cmp_lt_f32_e64 s[2:3], |v19|, s2
	v_add_f32_e32 v15, v34, v15
	s_or_b64 vcc, vcc, s[2:3]
	v_cndmask_b32_e32 v15, v15, v19, vcc
	v_add_f32_e32 v15, v29, v15
	v_cvt_f16_f32_e32 v31, v15
	v_cvt_f32_f16_e32 v15, v31
	v_mov_b32_e32 v19, v31
.LBB391_136:
	s_or_b64 exec, exec, s[0:1]
	v_max_f32_e32 v29, v4, v4
	v_max_f32_e32 v32, v15, v15
	v_min_f32_e32 v30, v32, v29
	v_cmp_u_f16_e32 vcc, v31, v31
	v_max_f32_e32 v29, v32, v29
	v_cndmask_b32_e32 v30, v30, v15, vcc
	v_cndmask_b32_e32 v29, v29, v15, vcc
	v_cndmask_b32_e64 v30, v30, v4, s[58:59]
	v_cndmask_b32_e64 v29, v29, v4, s[58:59]
	v_cmp_neq_f32_e32 vcc, v30, v29
	v_cmp_class_f32_e64 s[0:1], v30, s4
	s_or_b64 s[2:3], vcc, s[0:1]
	v_mov_b32_e32 v4, v19
	s_and_saveexec_b64 s[0:1], s[2:3]
	s_cbranch_execz .LBB391_138
; %bb.137:
	v_sub_f32_e32 v4, v30, v29
	s_mov_b32 s2, 0x3fb8aa3b
	v_mul_f32_e32 v15, 0x3fb8aa3b, v4
	v_fma_f32 v30, v4, s2, -v15
	v_rndne_f32_e32 v31, v15
	v_fmac_f32_e32 v30, 0x32a5705f, v4
	v_sub_f32_e32 v15, v15, v31
	v_add_f32_e32 v15, v15, v30
	v_exp_f32_e32 v15, v15
	v_cvt_i32_f32_e32 v30, v31
	s_mov_b32 s2, 0xc2ce8ed0
	v_cmp_ngt_f32_e32 vcc, s2, v4
	s_mov_b32 s2, 0x42b17218
	v_ldexp_f32 v15, v15, v30
	v_cndmask_b32_e32 v15, 0, v15, vcc
	v_mov_b32_e32 v30, 0x7f800000
	v_cmp_nlt_f32_e32 vcc, s2, v4
	v_cndmask_b32_e32 v44, v30, v15, vcc
	v_add_f32_e32 v4, 1.0, v44
	v_add_f32_e32 v15, -1.0, v4
	v_sub_f32_e32 v30, v15, v4
	v_add_f32_e32 v30, 1.0, v30
	v_sub_f32_e32 v15, v44, v15
	v_add_f32_e32 v15, v15, v30
	v_frexp_mant_f32_e32 v32, v4
	s_mov_b32 s2, 0x3f2aaaab
	v_cvt_f64_f32_e32 v[30:31], v4
	v_frexp_exp_i32_f64_e32 v30, v[30:31]
	v_cmp_gt_f32_e32 vcc, s2, v32
	v_subbrev_co_u32_e32 v38, vcc, 0, v30, vcc
	v_sub_u32_e32 v30, 0, v38
	v_ldexp_f32 v4, v4, v30
	v_ldexp_f32 v15, v15, v30
	v_add_f32_e32 v30, -1.0, v4
	v_add_f32_e32 v31, 1.0, v30
	v_sub_f32_e32 v31, v4, v31
	v_add_f32_e32 v32, v15, v31
	v_add_f32_e32 v31, 1.0, v4
	v_add_f32_e32 v33, -1.0, v31
	v_sub_f32_e32 v4, v4, v33
	v_add_f32_e32 v4, v15, v4
	v_add_f32_e32 v15, v31, v4
	v_rcp_f32_e32 v39, v15
	v_sub_f32_e32 v31, v31, v15
	v_add_f32_e32 v4, v4, v31
	v_add_f32_e32 v31, v30, v32
	v_sub_f32_e32 v30, v30, v31
	v_mul_f32_e32 v41, v31, v39
	v_add_f32_e32 v40, v32, v30
	v_mul_f32_e32 v32, v15, v41
	v_fma_f32 v34, v41, v15, -v32
	v_fmac_f32_e32 v34, v41, v4
	v_add_f32_e32 v30, v32, v34
	v_sub_f32_e32 v33, v31, v30
	v_pk_add_f32 v[36:37], v[30:31], v[32:33] neg_lo:[0,1] neg_hi:[0,1]
	v_mov_b32_e32 v35, v30
	v_pk_add_f32 v[30:31], v[36:37], v[34:35] neg_lo:[0,1] neg_hi:[0,1]
	v_add_f32_e32 v31, v40, v31
	v_add_f32_e32 v30, v30, v31
	;; [unrolled: 1-line block ×3, first 2 shown]
	v_mul_f32_e32 v40, v39, v31
	v_mul_f32_e32 v32, v15, v40
	v_fma_f32 v34, v40, v15, -v32
	v_fmac_f32_e32 v34, v40, v4
	v_sub_f32_e32 v4, v33, v31
	v_add_f32_e32 v4, v30, v4
	v_add_f32_e32 v30, v32, v34
	v_sub_f32_e32 v33, v31, v30
	v_pk_add_f32 v[36:37], v[30:31], v[32:33] neg_lo:[0,1] neg_hi:[0,1]
	v_mov_b32_e32 v35, v30
	v_pk_add_f32 v[30:31], v[36:37], v[34:35] neg_lo:[0,1] neg_hi:[0,1]
	v_add_f32_e32 v4, v4, v31
	v_add_f32_e32 v4, v30, v4
	;; [unrolled: 1-line block ×4, first 2 shown]
	v_sub_f32_e32 v30, v15, v41
	v_mul_f32_e32 v4, v39, v4
	v_sub_f32_e32 v30, v40, v30
	v_add_f32_e32 v4, v30, v4
	v_add_f32_e32 v30, v15, v4
	v_mul_f32_e32 v33, v30, v30
	v_mov_b32_e32 v32, 0x3ecc95a3
	v_fmac_f32_e32 v32, 0x3e9b6dac, v33
	v_mov_b32_e32 v31, 0x3f2aaada
	v_fmac_f32_e32 v31, v33, v32
	v_cvt_f32_i32_e32 v32, v38
	v_sub_f32_e32 v15, v30, v15
	v_ldexp_f32 v35, v30, 1
	v_mul_f32_e32 v33, v30, v33
	v_mov_b32_e32 v30, 0x3f317218
	s_mov_b32 s2, 0x3f317218
	v_pk_mul_f32 v[30:31], v[32:33], v[30:31]
	v_fma_f32 v34, v32, s2, -v30
	v_fmac_f32_e32 v34, 0xb102e308, v32
	v_pk_add_f32 v[32:33], v[30:31], v[34:35]
	v_sub_f32_e32 v4, v4, v15
	v_sub_f32_e32 v15, v33, v35
	v_ldexp_f32 v4, v4, 1
	v_sub_f32_e32 v15, v31, v15
	v_add_f32_e32 v37, v4, v15
	v_mov_b32_e32 v36, v30
	v_pk_add_f32 v[30:31], v[32:33], v[30:31] neg_lo:[0,1] neg_hi:[0,1]
	v_pk_add_f32 v[38:39], v[32:33], v[36:37]
	v_mov_b32_e32 v31, v39
	v_mov_b32_e32 v35, v32
	v_pk_add_f32 v[40:41], v[34:35], v[30:31] neg_lo:[0,1] neg_hi:[0,1]
	v_pk_add_f32 v[30:31], v[34:35], v[30:31]
	v_mov_b32_e32 v4, v31
	v_pk_add_f32 v[34:35], v[4:5], v[32:33] neg_lo:[0,1] neg_hi:[0,1]
	v_mov_b32_e32 v15, v34
	v_pk_add_f32 v[42:43], v[38:39], v[14:15] neg_lo:[0,1] neg_hi:[0,1]
	v_mov_b32_e32 v30, v39
	v_mov_b32_e32 v38, v33
	;; [unrolled: 1-line block ×4, first 2 shown]
	v_pk_add_f32 v[30:31], v[30:31], v[38:39] neg_lo:[0,1] neg_hi:[0,1]
	v_mov_b32_e32 v34, v37
	v_mov_b32_e32 v35, v32
	v_pk_add_f32 v[30:31], v[34:35], v[30:31] neg_lo:[0,1] neg_hi:[0,1]
	v_mov_b32_e32 v42, v40
	v_pk_add_f32 v[32:33], v[42:43], v[30:31]
	v_mov_b32_e32 v34, v33
	v_pk_add_f32 v[34:35], v[32:33], v[34:35]
	v_pk_add_f32 v[36:37], v[4:5], v[34:35]
	v_mov_b32_e32 v33, v36
	v_pk_add_f32 v[38:39], v[32:33], v[40:41] neg_lo:[0,1] neg_hi:[0,1]
	v_mov_b32_e32 v31, v34
	v_sub_f32_e32 v4, v32, v38
	v_pk_add_f32 v[30:31], v[30:31], v[38:39] neg_lo:[0,1] neg_hi:[0,1]
	v_sub_f32_e32 v4, v40, v4
	s_mov_b32 s3, 0x7f800000
	v_add_f32_e32 v4, v30, v4
	s_mov_b32 s2, 0x33800000
	v_add_f32_e32 v4, v4, v31
	v_cmp_eq_f32_e32 vcc, s3, v44
	v_cmp_lt_f32_e64 s[2:3], |v44|, s2
	v_add_f32_e32 v4, v36, v4
	s_or_b64 vcc, vcc, s[2:3]
	v_cndmask_b32_e32 v4, v4, v44, vcc
	v_add_f32_e32 v4, v29, v4
	v_cvt_f16_f32_e32 v31, v4
	v_cvt_f32_f16_e32 v15, v31
	v_mov_b32_e32 v4, v31
.LBB391_138:
	s_or_b64 exec, exec, s[0:1]
	v_max_f32_e32 v29, v20, v20
	v_max_f32_e32 v32, v15, v15
	v_min_f32_e32 v30, v32, v29
	v_cmp_u_f16_e32 vcc, v31, v31
	v_max_f32_e32 v29, v32, v29
	v_cndmask_b32_e32 v30, v30, v15, vcc
	v_cndmask_b32_e32 v29, v29, v15, vcc
	v_cndmask_b32_e64 v30, v30, v20, s[60:61]
	v_cndmask_b32_e64 v29, v29, v20, s[60:61]
	v_cmp_neq_f32_e32 vcc, v30, v29
	v_cmp_class_f32_e64 s[0:1], v30, s4
	s_or_b64 s[2:3], vcc, s[0:1]
	v_mov_b32_e32 v20, v4
	s_and_saveexec_b64 s[0:1], s[2:3]
	s_cbranch_execz .LBB391_140
; %bb.139:
	v_sub_f32_e32 v15, v30, v29
	s_mov_b32 s2, 0x3fb8aa3b
	v_mul_f32_e32 v20, 0x3fb8aa3b, v15
	v_fma_f32 v30, v15, s2, -v20
	v_rndne_f32_e32 v31, v20
	v_fmac_f32_e32 v30, 0x32a5705f, v15
	v_sub_f32_e32 v20, v20, v31
	v_add_f32_e32 v20, v20, v30
	v_exp_f32_e32 v20, v20
	v_cvt_i32_f32_e32 v30, v31
	s_mov_b32 s2, 0xc2ce8ed0
	v_cmp_ngt_f32_e32 vcc, s2, v15
	s_mov_b32 s2, 0x42b17218
	v_ldexp_f32 v20, v20, v30
	v_cndmask_b32_e32 v20, 0, v20, vcc
	v_mov_b32_e32 v30, 0x7f800000
	v_cmp_nlt_f32_e32 vcc, s2, v15
	v_cndmask_b32_e32 v44, v30, v20, vcc
	v_add_f32_e32 v15, 1.0, v44
	v_add_f32_e32 v20, -1.0, v15
	v_sub_f32_e32 v30, v20, v15
	v_add_f32_e32 v30, 1.0, v30
	v_sub_f32_e32 v20, v44, v20
	v_add_f32_e32 v20, v20, v30
	v_frexp_mant_f32_e32 v32, v15
	s_mov_b32 s2, 0x3f2aaaab
	v_cvt_f64_f32_e32 v[30:31], v15
	v_frexp_exp_i32_f64_e32 v30, v[30:31]
	v_cmp_gt_f32_e32 vcc, s2, v32
	v_subbrev_co_u32_e32 v38, vcc, 0, v30, vcc
	v_sub_u32_e32 v30, 0, v38
	v_ldexp_f32 v15, v15, v30
	v_ldexp_f32 v20, v20, v30
	v_add_f32_e32 v30, -1.0, v15
	v_add_f32_e32 v31, 1.0, v30
	v_sub_f32_e32 v31, v15, v31
	v_add_f32_e32 v32, v20, v31
	v_add_f32_e32 v31, 1.0, v15
	v_add_f32_e32 v33, -1.0, v31
	v_sub_f32_e32 v15, v15, v33
	v_add_f32_e32 v15, v20, v15
	v_add_f32_e32 v20, v31, v15
	v_rcp_f32_e32 v39, v20
	v_sub_f32_e32 v31, v31, v20
	v_add_f32_e32 v15, v15, v31
	v_add_f32_e32 v31, v30, v32
	v_sub_f32_e32 v30, v30, v31
	v_mul_f32_e32 v41, v31, v39
	v_add_f32_e32 v40, v32, v30
	v_mul_f32_e32 v32, v20, v41
	v_fma_f32 v34, v41, v20, -v32
	v_fmac_f32_e32 v34, v41, v15
	v_add_f32_e32 v30, v32, v34
	v_sub_f32_e32 v33, v31, v30
	v_pk_add_f32 v[36:37], v[30:31], v[32:33] neg_lo:[0,1] neg_hi:[0,1]
	v_mov_b32_e32 v35, v30
	v_pk_add_f32 v[30:31], v[36:37], v[34:35] neg_lo:[0,1] neg_hi:[0,1]
	v_add_f32_e32 v31, v40, v31
	v_add_f32_e32 v30, v30, v31
	;; [unrolled: 1-line block ×3, first 2 shown]
	v_mul_f32_e32 v40, v39, v31
	v_mul_f32_e32 v32, v20, v40
	v_fma_f32 v34, v40, v20, -v32
	v_fmac_f32_e32 v34, v40, v15
	v_sub_f32_e32 v15, v33, v31
	v_add_f32_e32 v15, v30, v15
	v_add_f32_e32 v30, v32, v34
	v_sub_f32_e32 v33, v31, v30
	v_pk_add_f32 v[36:37], v[30:31], v[32:33] neg_lo:[0,1] neg_hi:[0,1]
	v_mov_b32_e32 v35, v30
	v_pk_add_f32 v[30:31], v[36:37], v[34:35] neg_lo:[0,1] neg_hi:[0,1]
	v_add_f32_e32 v15, v15, v31
	v_add_f32_e32 v15, v30, v15
	;; [unrolled: 1-line block ×4, first 2 shown]
	v_sub_f32_e32 v30, v20, v41
	v_mul_f32_e32 v15, v39, v15
	v_sub_f32_e32 v30, v40, v30
	v_add_f32_e32 v15, v30, v15
	v_add_f32_e32 v30, v20, v15
	v_mul_f32_e32 v33, v30, v30
	v_mov_b32_e32 v32, 0x3ecc95a3
	v_fmac_f32_e32 v32, 0x3e9b6dac, v33
	v_mov_b32_e32 v31, 0x3f2aaada
	v_fmac_f32_e32 v31, v33, v32
	v_cvt_f32_i32_e32 v32, v38
	v_sub_f32_e32 v20, v30, v20
	v_ldexp_f32 v35, v30, 1
	v_mul_f32_e32 v33, v30, v33
	v_mov_b32_e32 v30, 0x3f317218
	s_mov_b32 s2, 0x3f317218
	v_pk_mul_f32 v[30:31], v[32:33], v[30:31]
	v_fma_f32 v34, v32, s2, -v30
	v_fmac_f32_e32 v34, 0xb102e308, v32
	v_pk_add_f32 v[32:33], v[30:31], v[34:35]
	v_sub_f32_e32 v15, v15, v20
	v_sub_f32_e32 v20, v33, v35
	v_ldexp_f32 v15, v15, 1
	v_sub_f32_e32 v20, v31, v20
	v_add_f32_e32 v37, v15, v20
	v_mov_b32_e32 v36, v30
	v_pk_add_f32 v[30:31], v[32:33], v[30:31] neg_lo:[0,1] neg_hi:[0,1]
	v_pk_add_f32 v[38:39], v[32:33], v[36:37]
	v_mov_b32_e32 v31, v39
	v_mov_b32_e32 v35, v32
	v_pk_add_f32 v[40:41], v[34:35], v[30:31] neg_lo:[0,1] neg_hi:[0,1]
	v_pk_add_f32 v[30:31], v[34:35], v[30:31]
	v_mov_b32_e32 v20, v31
	v_pk_add_f32 v[34:35], v[20:21], v[32:33] neg_lo:[0,1] neg_hi:[0,1]
	v_mov_b32_e32 v15, v34
	v_pk_add_f32 v[42:43], v[38:39], v[14:15] neg_lo:[0,1] neg_hi:[0,1]
	v_mov_b32_e32 v30, v39
	v_mov_b32_e32 v38, v33
	;; [unrolled: 1-line block ×4, first 2 shown]
	v_pk_add_f32 v[30:31], v[30:31], v[38:39] neg_lo:[0,1] neg_hi:[0,1]
	v_mov_b32_e32 v34, v37
	v_mov_b32_e32 v35, v32
	v_pk_add_f32 v[30:31], v[34:35], v[30:31] neg_lo:[0,1] neg_hi:[0,1]
	v_mov_b32_e32 v42, v40
	v_pk_add_f32 v[32:33], v[42:43], v[30:31]
	v_mov_b32_e32 v34, v33
	v_pk_add_f32 v[34:35], v[32:33], v[34:35]
	v_pk_add_f32 v[36:37], v[20:21], v[34:35]
	v_mov_b32_e32 v33, v36
	v_pk_add_f32 v[38:39], v[32:33], v[40:41] neg_lo:[0,1] neg_hi:[0,1]
	v_mov_b32_e32 v31, v34
	v_sub_f32_e32 v15, v32, v38
	v_pk_add_f32 v[30:31], v[30:31], v[38:39] neg_lo:[0,1] neg_hi:[0,1]
	v_sub_f32_e32 v15, v40, v15
	s_mov_b32 s3, 0x7f800000
	v_add_f32_e32 v15, v30, v15
	s_mov_b32 s2, 0x33800000
	v_add_f32_e32 v15, v15, v31
	v_cmp_eq_f32_e32 vcc, s3, v44
	v_cmp_lt_f32_e64 s[2:3], |v44|, s2
	v_add_f32_e32 v15, v36, v15
	s_or_b64 vcc, vcc, s[2:3]
	v_cndmask_b32_e32 v15, v15, v44, vcc
	v_add_f32_e32 v15, v29, v15
	v_cvt_f16_f32_e32 v31, v15
	v_cvt_f32_f16_e32 v15, v31
	v_mov_b32_e32 v20, v31
.LBB391_140:
	s_or_b64 exec, exec, s[0:1]
	v_max_f32_e32 v29, v5, v5
	v_max_f32_e32 v32, v15, v15
	v_min_f32_e32 v30, v32, v29
	v_cmp_u_f16_e32 vcc, v31, v31
	v_max_f32_e32 v29, v32, v29
	v_cndmask_b32_e32 v30, v30, v15, vcc
	v_cndmask_b32_e32 v29, v29, v15, vcc
	v_cndmask_b32_e64 v30, v30, v5, s[62:63]
	v_cndmask_b32_e64 v29, v29, v5, s[62:63]
	v_cmp_neq_f32_e32 vcc, v30, v29
	v_cmp_class_f32_e64 s[0:1], v30, s4
	s_or_b64 s[2:3], vcc, s[0:1]
	v_mov_b32_e32 v5, v20
	s_and_saveexec_b64 s[0:1], s[2:3]
	s_cbranch_execz .LBB391_142
; %bb.141:
	v_sub_f32_e32 v5, v30, v29
	s_mov_b32 s2, 0x3fb8aa3b
	v_mul_f32_e32 v15, 0x3fb8aa3b, v5
	v_fma_f32 v30, v5, s2, -v15
	v_rndne_f32_e32 v31, v15
	v_fmac_f32_e32 v30, 0x32a5705f, v5
	v_sub_f32_e32 v15, v15, v31
	v_add_f32_e32 v15, v15, v30
	v_exp_f32_e32 v15, v15
	v_cvt_i32_f32_e32 v30, v31
	s_mov_b32 s2, 0xc2ce8ed0
	v_cmp_ngt_f32_e32 vcc, s2, v5
	s_mov_b32 s2, 0x42b17218
	v_ldexp_f32 v15, v15, v30
	v_cndmask_b32_e32 v15, 0, v15, vcc
	v_mov_b32_e32 v30, 0x7f800000
	v_cmp_nlt_f32_e32 vcc, s2, v5
	v_cndmask_b32_e32 v15, v30, v15, vcc
	v_add_f32_e32 v5, 1.0, v15
	v_add_f32_e32 v30, -1.0, v5
	v_sub_f32_e32 v31, v30, v5
	v_add_f32_e32 v31, 1.0, v31
	v_sub_f32_e32 v30, v15, v30
	v_add_f32_e32 v32, v30, v31
	v_frexp_mant_f32_e32 v33, v5
	s_mov_b32 s2, 0x3f2aaaab
	v_cvt_f64_f32_e32 v[30:31], v5
	v_frexp_exp_i32_f64_e32 v30, v[30:31]
	v_cmp_gt_f32_e32 vcc, s2, v33
	v_subbrev_co_u32_e32 v38, vcc, 0, v30, vcc
	v_sub_u32_e32 v30, 0, v38
	v_ldexp_f32 v5, v5, v30
	v_ldexp_f32 v30, v32, v30
	v_add_f32_e32 v32, -1.0, v5
	v_add_f32_e32 v31, 1.0, v32
	v_sub_f32_e32 v31, v5, v31
	v_add_f32_e32 v33, v30, v31
	v_add_f32_e32 v31, 1.0, v5
	v_add_f32_e32 v34, -1.0, v31
	v_sub_f32_e32 v5, v5, v34
	v_add_f32_e32 v5, v30, v5
	v_add_f32_e32 v39, v31, v5
	v_rcp_f32_e32 v40, v39
	v_sub_f32_e32 v30, v31, v39
	v_add_f32_e32 v31, v32, v33
	v_add_f32_e32 v5, v5, v30
	v_mul_f32_e32 v42, v31, v40
	v_sub_f32_e32 v30, v32, v31
	v_mul_f32_e32 v32, v39, v42
	v_fma_f32 v34, v42, v39, -v32
	v_fmac_f32_e32 v34, v42, v5
	v_add_f32_e32 v41, v33, v30
	v_add_f32_e32 v30, v32, v34
	v_sub_f32_e32 v33, v31, v30
	v_pk_add_f32 v[36:37], v[30:31], v[32:33] neg_lo:[0,1] neg_hi:[0,1]
	v_mov_b32_e32 v35, v30
	v_pk_add_f32 v[30:31], v[36:37], v[34:35] neg_lo:[0,1] neg_hi:[0,1]
	v_add_f32_e32 v31, v41, v31
	v_add_f32_e32 v30, v30, v31
	;; [unrolled: 1-line block ×3, first 2 shown]
	v_mul_f32_e32 v41, v40, v31
	v_mul_f32_e32 v32, v39, v41
	v_fma_f32 v34, v41, v39, -v32
	v_fmac_f32_e32 v34, v41, v5
	v_sub_f32_e32 v5, v33, v31
	v_add_f32_e32 v5, v30, v5
	v_add_f32_e32 v30, v32, v34
	v_sub_f32_e32 v33, v31, v30
	v_pk_add_f32 v[36:37], v[30:31], v[32:33] neg_lo:[0,1] neg_hi:[0,1]
	v_mov_b32_e32 v35, v30
	v_pk_add_f32 v[30:31], v[36:37], v[34:35] neg_lo:[0,1] neg_hi:[0,1]
	v_add_f32_e32 v5, v5, v31
	v_add_f32_e32 v5, v30, v5
	;; [unrolled: 1-line block ×4, first 2 shown]
	v_sub_f32_e32 v31, v30, v42
	v_mul_f32_e32 v5, v40, v5
	v_sub_f32_e32 v31, v41, v31
	v_add_f32_e32 v5, v31, v5
	v_add_f32_e32 v33, v30, v5
	v_mul_f32_e32 v34, v33, v33
	v_mov_b32_e32 v32, 0x3ecc95a3
	v_fmac_f32_e32 v32, 0x3e9b6dac, v34
	v_mov_b32_e32 v31, 0x3f2aaada
	v_fmac_f32_e32 v31, v34, v32
	v_cvt_f32_i32_e32 v32, v38
	v_sub_f32_e32 v30, v33, v30
	v_sub_f32_e32 v5, v5, v30
	v_ldexp_f32 v35, v33, 1
	v_mul_f32_e32 v33, v33, v34
	v_mov_b32_e32 v30, 0x3f317218
	s_mov_b32 s2, 0x3f317218
	v_pk_mul_f32 v[30:31], v[32:33], v[30:31]
	v_fma_f32 v34, v32, s2, -v30
	v_fmac_f32_e32 v34, 0xb102e308, v32
	v_pk_add_f32 v[32:33], v[30:31], v[34:35]
	v_sub_f32_e32 v35, v33, v35
	v_ldexp_f32 v5, v5, 1
	v_sub_f32_e32 v35, v31, v35
	v_add_f32_e32 v37, v5, v35
	v_mov_b32_e32 v36, v30
	v_pk_add_f32 v[30:31], v[32:33], v[30:31] neg_lo:[0,1] neg_hi:[0,1]
	v_pk_add_f32 v[38:39], v[32:33], v[36:37]
	v_mov_b32_e32 v31, v39
	v_mov_b32_e32 v35, v32
	v_pk_add_f32 v[40:41], v[34:35], v[30:31] neg_lo:[0,1] neg_hi:[0,1]
	v_pk_add_f32 v[30:31], v[34:35], v[30:31]
	v_mov_b32_e32 v34, v31
	v_pk_add_f32 v[42:43], v[34:35], v[32:33] neg_lo:[0,1] neg_hi:[0,1]
	v_mov_b32_e32 v5, v42
	v_pk_add_f32 v[44:45], v[38:39], v[4:5] neg_lo:[0,1] neg_hi:[0,1]
	v_mov_b32_e32 v30, v39
	v_mov_b32_e32 v38, v33
	;; [unrolled: 1-line block ×4, first 2 shown]
	v_pk_add_f32 v[30:31], v[30:31], v[38:39] neg_lo:[0,1] neg_hi:[0,1]
	v_mov_b32_e32 v36, v37
	v_mov_b32_e32 v37, v32
	v_pk_add_f32 v[30:31], v[36:37], v[30:31] neg_lo:[0,1] neg_hi:[0,1]
	v_mov_b32_e32 v44, v40
	v_pk_add_f32 v[32:33], v[44:45], v[30:31]
	v_mov_b32_e32 v36, v33
	v_pk_add_f32 v[36:37], v[32:33], v[36:37]
	v_pk_add_f32 v[34:35], v[34:35], v[36:37]
	v_mov_b32_e32 v33, v34
	v_pk_add_f32 v[38:39], v[32:33], v[40:41] neg_lo:[0,1] neg_hi:[0,1]
	v_mov_b32_e32 v31, v36
	v_sub_f32_e32 v5, v32, v38
	v_pk_add_f32 v[30:31], v[30:31], v[38:39] neg_lo:[0,1] neg_hi:[0,1]
	v_sub_f32_e32 v5, v40, v5
	s_mov_b32 s3, 0x7f800000
	v_add_f32_e32 v5, v30, v5
	s_mov_b32 s2, 0x33800000
	v_add_f32_e32 v5, v5, v31
	v_cmp_eq_f32_e32 vcc, s3, v15
	v_cmp_lt_f32_e64 s[2:3], |v15|, s2
	v_add_f32_e32 v5, v34, v5
	s_or_b64 vcc, vcc, s[2:3]
	v_cndmask_b32_e32 v5, v5, v15, vcc
	v_add_f32_e32 v5, v29, v5
	v_cvt_f16_f32_e32 v31, v5
	v_cvt_f32_f16_e32 v15, v31
	v_mov_b32_e32 v5, v31
.LBB391_142:
	s_or_b64 exec, exec, s[0:1]
	v_max_f32_e32 v29, v21, v21
	v_max_f32_e32 v32, v15, v15
	v_min_f32_e32 v30, v32, v29
	v_cmp_u_f16_e32 vcc, v31, v31
	v_max_f32_e32 v29, v32, v29
	v_cndmask_b32_e32 v30, v30, v15, vcc
	v_cndmask_b32_e32 v29, v29, v15, vcc
	v_cndmask_b32_e64 v30, v30, v21, s[64:65]
	v_cndmask_b32_e64 v29, v29, v21, s[64:65]
	v_cmp_neq_f32_e32 vcc, v30, v29
	v_cmp_class_f32_e64 s[0:1], v30, s4
	s_or_b64 s[2:3], vcc, s[0:1]
	v_mov_b32_e32 v21, v5
	s_and_saveexec_b64 s[0:1], s[2:3]
	s_cbranch_execz .LBB391_144
; %bb.143:
	v_sub_f32_e32 v15, v30, v29
	s_mov_b32 s2, 0x3fb8aa3b
	v_mul_f32_e32 v21, 0x3fb8aa3b, v15
	v_fma_f32 v30, v15, s2, -v21
	v_rndne_f32_e32 v31, v21
	v_fmac_f32_e32 v30, 0x32a5705f, v15
	v_sub_f32_e32 v21, v21, v31
	v_add_f32_e32 v21, v21, v30
	v_exp_f32_e32 v21, v21
	v_cvt_i32_f32_e32 v30, v31
	s_mov_b32 s2, 0xc2ce8ed0
	v_cmp_ngt_f32_e32 vcc, s2, v15
	s_mov_b32 s2, 0x42b17218
	v_ldexp_f32 v21, v21, v30
	v_cndmask_b32_e32 v21, 0, v21, vcc
	v_mov_b32_e32 v30, 0x7f800000
	v_cmp_nlt_f32_e32 vcc, s2, v15
	v_cndmask_b32_e32 v21, v30, v21, vcc
	v_add_f32_e32 v15, 1.0, v21
	v_add_f32_e32 v30, -1.0, v15
	v_sub_f32_e32 v31, v30, v15
	v_add_f32_e32 v31, 1.0, v31
	v_sub_f32_e32 v30, v21, v30
	v_add_f32_e32 v32, v30, v31
	v_frexp_mant_f32_e32 v33, v15
	s_mov_b32 s2, 0x3f2aaaab
	v_cvt_f64_f32_e32 v[30:31], v15
	v_frexp_exp_i32_f64_e32 v30, v[30:31]
	v_cmp_gt_f32_e32 vcc, s2, v33
	v_subbrev_co_u32_e32 v38, vcc, 0, v30, vcc
	v_sub_u32_e32 v30, 0, v38
	v_ldexp_f32 v15, v15, v30
	v_ldexp_f32 v30, v32, v30
	v_add_f32_e32 v32, -1.0, v15
	v_add_f32_e32 v31, 1.0, v32
	v_sub_f32_e32 v31, v15, v31
	v_add_f32_e32 v33, v30, v31
	v_add_f32_e32 v31, 1.0, v15
	v_add_f32_e32 v34, -1.0, v31
	v_sub_f32_e32 v15, v15, v34
	v_add_f32_e32 v15, v30, v15
	v_add_f32_e32 v39, v31, v15
	v_rcp_f32_e32 v40, v39
	v_sub_f32_e32 v30, v31, v39
	v_add_f32_e32 v31, v32, v33
	v_add_f32_e32 v15, v15, v30
	v_mul_f32_e32 v42, v31, v40
	v_sub_f32_e32 v30, v32, v31
	v_mul_f32_e32 v32, v39, v42
	v_fma_f32 v34, v42, v39, -v32
	v_fmac_f32_e32 v34, v42, v15
	v_add_f32_e32 v41, v33, v30
	v_add_f32_e32 v30, v32, v34
	v_sub_f32_e32 v33, v31, v30
	v_pk_add_f32 v[36:37], v[30:31], v[32:33] neg_lo:[0,1] neg_hi:[0,1]
	v_mov_b32_e32 v35, v30
	v_pk_add_f32 v[30:31], v[36:37], v[34:35] neg_lo:[0,1] neg_hi:[0,1]
	v_add_f32_e32 v31, v41, v31
	v_add_f32_e32 v30, v30, v31
	;; [unrolled: 1-line block ×3, first 2 shown]
	v_mul_f32_e32 v41, v40, v31
	v_mul_f32_e32 v32, v39, v41
	v_fma_f32 v34, v41, v39, -v32
	v_fmac_f32_e32 v34, v41, v15
	v_sub_f32_e32 v15, v33, v31
	v_add_f32_e32 v15, v30, v15
	v_add_f32_e32 v30, v32, v34
	v_sub_f32_e32 v33, v31, v30
	v_pk_add_f32 v[36:37], v[30:31], v[32:33] neg_lo:[0,1] neg_hi:[0,1]
	v_mov_b32_e32 v35, v30
	v_pk_add_f32 v[30:31], v[36:37], v[34:35] neg_lo:[0,1] neg_hi:[0,1]
	v_add_f32_e32 v15, v15, v31
	v_add_f32_e32 v15, v30, v15
	;; [unrolled: 1-line block ×4, first 2 shown]
	v_sub_f32_e32 v31, v30, v42
	v_mul_f32_e32 v15, v40, v15
	v_sub_f32_e32 v31, v41, v31
	v_add_f32_e32 v15, v31, v15
	v_add_f32_e32 v33, v30, v15
	v_mul_f32_e32 v34, v33, v33
	v_mov_b32_e32 v32, 0x3ecc95a3
	v_fmac_f32_e32 v32, 0x3e9b6dac, v34
	v_mov_b32_e32 v31, 0x3f2aaada
	v_fmac_f32_e32 v31, v34, v32
	v_cvt_f32_i32_e32 v32, v38
	v_sub_f32_e32 v30, v33, v30
	v_sub_f32_e32 v15, v15, v30
	v_ldexp_f32 v35, v33, 1
	v_mul_f32_e32 v33, v33, v34
	v_mov_b32_e32 v30, 0x3f317218
	s_mov_b32 s2, 0x3f317218
	v_pk_mul_f32 v[30:31], v[32:33], v[30:31]
	v_fma_f32 v34, v32, s2, -v30
	v_fmac_f32_e32 v34, 0xb102e308, v32
	v_pk_add_f32 v[32:33], v[30:31], v[34:35]
	v_sub_f32_e32 v35, v33, v35
	v_ldexp_f32 v15, v15, 1
	v_sub_f32_e32 v35, v31, v35
	v_add_f32_e32 v37, v15, v35
	v_mov_b32_e32 v36, v30
	v_pk_add_f32 v[30:31], v[32:33], v[30:31] neg_lo:[0,1] neg_hi:[0,1]
	v_pk_add_f32 v[38:39], v[32:33], v[36:37]
	v_mov_b32_e32 v31, v39
	v_mov_b32_e32 v35, v32
	v_pk_add_f32 v[40:41], v[34:35], v[30:31] neg_lo:[0,1] neg_hi:[0,1]
	v_pk_add_f32 v[30:31], v[34:35], v[30:31]
	v_mov_b32_e32 v34, v31
	v_pk_add_f32 v[42:43], v[34:35], v[32:33] neg_lo:[0,1] neg_hi:[0,1]
	v_mov_b32_e32 v15, v42
	v_pk_add_f32 v[44:45], v[38:39], v[14:15] neg_lo:[0,1] neg_hi:[0,1]
	v_mov_b32_e32 v30, v39
	v_mov_b32_e32 v38, v33
	;; [unrolled: 1-line block ×4, first 2 shown]
	v_pk_add_f32 v[30:31], v[30:31], v[38:39] neg_lo:[0,1] neg_hi:[0,1]
	v_mov_b32_e32 v36, v37
	v_mov_b32_e32 v37, v32
	v_pk_add_f32 v[30:31], v[36:37], v[30:31] neg_lo:[0,1] neg_hi:[0,1]
	v_mov_b32_e32 v44, v40
	v_pk_add_f32 v[32:33], v[44:45], v[30:31]
	v_mov_b32_e32 v36, v33
	v_pk_add_f32 v[36:37], v[32:33], v[36:37]
	v_pk_add_f32 v[34:35], v[34:35], v[36:37]
	v_mov_b32_e32 v33, v34
	v_pk_add_f32 v[38:39], v[32:33], v[40:41] neg_lo:[0,1] neg_hi:[0,1]
	v_mov_b32_e32 v31, v36
	v_sub_f32_e32 v15, v32, v38
	v_pk_add_f32 v[30:31], v[30:31], v[38:39] neg_lo:[0,1] neg_hi:[0,1]
	v_sub_f32_e32 v15, v40, v15
	s_mov_b32 s3, 0x7f800000
	v_add_f32_e32 v15, v30, v15
	s_mov_b32 s2, 0x33800000
	v_add_f32_e32 v15, v15, v31
	v_cmp_eq_f32_e32 vcc, s3, v21
	v_cmp_lt_f32_e64 s[2:3], |v21|, s2
	v_add_f32_e32 v15, v34, v15
	s_or_b64 vcc, vcc, s[2:3]
	v_cndmask_b32_e32 v15, v15, v21, vcc
	v_add_f32_e32 v15, v29, v15
	v_cvt_f16_f32_e32 v31, v15
	v_cvt_f32_f16_e32 v15, v31
	v_mov_b32_e32 v21, v31
.LBB391_144:
	s_or_b64 exec, exec, s[0:1]
	v_max_f32_e32 v29, v10, v10
	v_max_f32_e32 v32, v15, v15
	v_min_f32_e32 v30, v32, v29
	v_cmp_u_f16_e32 vcc, v31, v31
	v_max_f32_e32 v29, v32, v29
	v_cndmask_b32_e32 v30, v30, v15, vcc
	v_cndmask_b32_e32 v29, v29, v15, vcc
	v_cndmask_b32_e64 v30, v30, v10, s[66:67]
	v_cndmask_b32_e64 v29, v29, v10, s[66:67]
	v_cmp_neq_f32_e32 vcc, v30, v29
	v_cmp_class_f32_e64 s[0:1], v30, s4
	s_or_b64 s[2:3], vcc, s[0:1]
	v_mov_b32_e32 v10, v21
	s_and_saveexec_b64 s[0:1], s[2:3]
	s_cbranch_execz .LBB391_146
; %bb.145:
	v_sub_f32_e32 v10, v30, v29
	s_mov_b32 s2, 0x3fb8aa3b
	v_mul_f32_e32 v15, 0x3fb8aa3b, v10
	v_fma_f32 v30, v10, s2, -v15
	v_rndne_f32_e32 v31, v15
	v_fmac_f32_e32 v30, 0x32a5705f, v10
	v_sub_f32_e32 v15, v15, v31
	v_add_f32_e32 v15, v15, v30
	v_exp_f32_e32 v15, v15
	v_cvt_i32_f32_e32 v30, v31
	s_mov_b32 s2, 0xc2ce8ed0
	v_cmp_ngt_f32_e32 vcc, s2, v10
	s_mov_b32 s2, 0x42b17218
	v_ldexp_f32 v15, v15, v30
	v_cndmask_b32_e32 v15, 0, v15, vcc
	v_mov_b32_e32 v30, 0x7f800000
	v_cmp_nlt_f32_e32 vcc, s2, v10
	v_cndmask_b32_e32 v44, v30, v15, vcc
	v_add_f32_e32 v10, 1.0, v44
	v_add_f32_e32 v15, -1.0, v10
	v_sub_f32_e32 v30, v15, v10
	v_add_f32_e32 v30, 1.0, v30
	v_sub_f32_e32 v15, v44, v15
	v_add_f32_e32 v15, v15, v30
	v_frexp_mant_f32_e32 v32, v10
	s_mov_b32 s2, 0x3f2aaaab
	v_cvt_f64_f32_e32 v[30:31], v10
	v_frexp_exp_i32_f64_e32 v30, v[30:31]
	v_cmp_gt_f32_e32 vcc, s2, v32
	v_subbrev_co_u32_e32 v38, vcc, 0, v30, vcc
	v_sub_u32_e32 v30, 0, v38
	v_ldexp_f32 v10, v10, v30
	v_ldexp_f32 v15, v15, v30
	v_add_f32_e32 v30, -1.0, v10
	v_add_f32_e32 v31, 1.0, v30
	v_sub_f32_e32 v31, v10, v31
	v_add_f32_e32 v32, v15, v31
	v_add_f32_e32 v31, 1.0, v10
	v_add_f32_e32 v33, -1.0, v31
	v_sub_f32_e32 v10, v10, v33
	v_add_f32_e32 v10, v15, v10
	v_add_f32_e32 v15, v31, v10
	v_rcp_f32_e32 v39, v15
	v_sub_f32_e32 v31, v31, v15
	v_add_f32_e32 v10, v10, v31
	v_add_f32_e32 v31, v30, v32
	v_sub_f32_e32 v30, v30, v31
	v_mul_f32_e32 v41, v31, v39
	v_add_f32_e32 v40, v32, v30
	v_mul_f32_e32 v32, v15, v41
	v_fma_f32 v34, v41, v15, -v32
	v_fmac_f32_e32 v34, v41, v10
	v_add_f32_e32 v30, v32, v34
	v_sub_f32_e32 v33, v31, v30
	v_pk_add_f32 v[36:37], v[30:31], v[32:33] neg_lo:[0,1] neg_hi:[0,1]
	v_mov_b32_e32 v35, v30
	v_pk_add_f32 v[30:31], v[36:37], v[34:35] neg_lo:[0,1] neg_hi:[0,1]
	v_add_f32_e32 v31, v40, v31
	v_add_f32_e32 v30, v30, v31
	v_add_f32_e32 v31, v33, v30
	v_mul_f32_e32 v40, v39, v31
	v_mul_f32_e32 v32, v15, v40
	v_fma_f32 v34, v40, v15, -v32
	v_fmac_f32_e32 v34, v40, v10
	v_sub_f32_e32 v10, v33, v31
	v_add_f32_e32 v10, v30, v10
	v_add_f32_e32 v30, v32, v34
	v_sub_f32_e32 v33, v31, v30
	v_pk_add_f32 v[36:37], v[30:31], v[32:33] neg_lo:[0,1] neg_hi:[0,1]
	v_mov_b32_e32 v35, v30
	v_pk_add_f32 v[30:31], v[36:37], v[34:35] neg_lo:[0,1] neg_hi:[0,1]
	v_add_f32_e32 v10, v10, v31
	v_add_f32_e32 v10, v30, v10
	;; [unrolled: 1-line block ×4, first 2 shown]
	v_sub_f32_e32 v30, v15, v41
	v_mul_f32_e32 v10, v39, v10
	v_sub_f32_e32 v30, v40, v30
	v_add_f32_e32 v10, v30, v10
	v_add_f32_e32 v30, v15, v10
	v_mul_f32_e32 v33, v30, v30
	v_mov_b32_e32 v32, 0x3ecc95a3
	v_fmac_f32_e32 v32, 0x3e9b6dac, v33
	v_mov_b32_e32 v31, 0x3f2aaada
	v_fmac_f32_e32 v31, v33, v32
	v_cvt_f32_i32_e32 v32, v38
	v_sub_f32_e32 v15, v30, v15
	v_ldexp_f32 v35, v30, 1
	v_mul_f32_e32 v33, v30, v33
	v_mov_b32_e32 v30, 0x3f317218
	s_mov_b32 s2, 0x3f317218
	v_pk_mul_f32 v[30:31], v[32:33], v[30:31]
	v_fma_f32 v34, v32, s2, -v30
	v_fmac_f32_e32 v34, 0xb102e308, v32
	v_pk_add_f32 v[32:33], v[30:31], v[34:35]
	v_sub_f32_e32 v10, v10, v15
	v_sub_f32_e32 v15, v33, v35
	v_ldexp_f32 v10, v10, 1
	v_sub_f32_e32 v15, v31, v15
	v_add_f32_e32 v37, v10, v15
	v_mov_b32_e32 v36, v30
	v_pk_add_f32 v[30:31], v[32:33], v[30:31] neg_lo:[0,1] neg_hi:[0,1]
	v_pk_add_f32 v[38:39], v[32:33], v[36:37]
	v_mov_b32_e32 v31, v39
	v_mov_b32_e32 v35, v32
	v_pk_add_f32 v[40:41], v[34:35], v[30:31] neg_lo:[0,1] neg_hi:[0,1]
	v_pk_add_f32 v[30:31], v[34:35], v[30:31]
	v_mov_b32_e32 v10, v31
	v_pk_add_f32 v[34:35], v[10:11], v[32:33] neg_lo:[0,1] neg_hi:[0,1]
	v_mov_b32_e32 v15, v34
	v_pk_add_f32 v[42:43], v[38:39], v[14:15] neg_lo:[0,1] neg_hi:[0,1]
	v_mov_b32_e32 v30, v39
	v_mov_b32_e32 v38, v33
	;; [unrolled: 1-line block ×4, first 2 shown]
	v_pk_add_f32 v[30:31], v[30:31], v[38:39] neg_lo:[0,1] neg_hi:[0,1]
	v_mov_b32_e32 v34, v37
	v_mov_b32_e32 v35, v32
	v_pk_add_f32 v[30:31], v[34:35], v[30:31] neg_lo:[0,1] neg_hi:[0,1]
	v_mov_b32_e32 v42, v40
	v_pk_add_f32 v[32:33], v[42:43], v[30:31]
	v_mov_b32_e32 v34, v33
	v_pk_add_f32 v[34:35], v[32:33], v[34:35]
	v_pk_add_f32 v[36:37], v[10:11], v[34:35]
	v_mov_b32_e32 v33, v36
	v_pk_add_f32 v[38:39], v[32:33], v[40:41] neg_lo:[0,1] neg_hi:[0,1]
	v_mov_b32_e32 v31, v34
	v_sub_f32_e32 v10, v32, v38
	v_pk_add_f32 v[30:31], v[30:31], v[38:39] neg_lo:[0,1] neg_hi:[0,1]
	v_sub_f32_e32 v10, v40, v10
	s_mov_b32 s3, 0x7f800000
	v_add_f32_e32 v10, v30, v10
	s_mov_b32 s2, 0x33800000
	v_add_f32_e32 v10, v10, v31
	v_cmp_eq_f32_e32 vcc, s3, v44
	v_cmp_lt_f32_e64 s[2:3], |v44|, s2
	v_add_f32_e32 v10, v36, v10
	s_or_b64 vcc, vcc, s[2:3]
	v_cndmask_b32_e32 v10, v10, v44, vcc
	v_add_f32_e32 v10, v29, v10
	v_cvt_f16_f32_e32 v31, v10
	v_cvt_f32_f16_e32 v15, v31
	v_mov_b32_e32 v10, v31
.LBB391_146:
	s_or_b64 exec, exec, s[0:1]
	v_max_f32_e32 v29, v22, v22
	v_max_f32_e32 v32, v15, v15
	v_min_f32_e32 v30, v32, v29
	v_cmp_u_f16_e32 vcc, v31, v31
	v_max_f32_e32 v29, v32, v29
	v_cndmask_b32_e32 v30, v30, v15, vcc
	v_cndmask_b32_e32 v29, v29, v15, vcc
	v_cndmask_b32_e64 v30, v30, v22, s[68:69]
	v_cndmask_b32_e64 v29, v29, v22, s[68:69]
	v_cmp_neq_f32_e32 vcc, v30, v29
	v_cmp_class_f32_e64 s[0:1], v30, s4
	s_or_b64 s[2:3], vcc, s[0:1]
	v_mov_b32_e32 v22, v10
	s_and_saveexec_b64 s[0:1], s[2:3]
	s_cbranch_execz .LBB391_148
; %bb.147:
	v_sub_f32_e32 v15, v30, v29
	s_mov_b32 s2, 0x3fb8aa3b
	v_mul_f32_e32 v22, 0x3fb8aa3b, v15
	v_fma_f32 v30, v15, s2, -v22
	v_rndne_f32_e32 v31, v22
	v_fmac_f32_e32 v30, 0x32a5705f, v15
	v_sub_f32_e32 v22, v22, v31
	v_add_f32_e32 v22, v22, v30
	v_exp_f32_e32 v22, v22
	v_cvt_i32_f32_e32 v30, v31
	s_mov_b32 s2, 0xc2ce8ed0
	v_cmp_ngt_f32_e32 vcc, s2, v15
	s_mov_b32 s2, 0x42b17218
	v_ldexp_f32 v22, v22, v30
	v_cndmask_b32_e32 v22, 0, v22, vcc
	v_mov_b32_e32 v30, 0x7f800000
	v_cmp_nlt_f32_e32 vcc, s2, v15
	v_cndmask_b32_e32 v44, v30, v22, vcc
	v_add_f32_e32 v15, 1.0, v44
	v_add_f32_e32 v22, -1.0, v15
	v_sub_f32_e32 v30, v22, v15
	v_add_f32_e32 v30, 1.0, v30
	v_sub_f32_e32 v22, v44, v22
	v_add_f32_e32 v22, v22, v30
	v_frexp_mant_f32_e32 v32, v15
	s_mov_b32 s2, 0x3f2aaaab
	v_cvt_f64_f32_e32 v[30:31], v15
	v_frexp_exp_i32_f64_e32 v30, v[30:31]
	v_cmp_gt_f32_e32 vcc, s2, v32
	v_subbrev_co_u32_e32 v38, vcc, 0, v30, vcc
	v_sub_u32_e32 v30, 0, v38
	v_ldexp_f32 v15, v15, v30
	v_ldexp_f32 v22, v22, v30
	v_add_f32_e32 v30, -1.0, v15
	v_add_f32_e32 v31, 1.0, v30
	v_sub_f32_e32 v31, v15, v31
	v_add_f32_e32 v32, v22, v31
	v_add_f32_e32 v31, 1.0, v15
	v_add_f32_e32 v33, -1.0, v31
	v_sub_f32_e32 v15, v15, v33
	v_add_f32_e32 v15, v22, v15
	v_add_f32_e32 v22, v31, v15
	v_rcp_f32_e32 v39, v22
	v_sub_f32_e32 v31, v31, v22
	v_add_f32_e32 v15, v15, v31
	v_add_f32_e32 v31, v30, v32
	v_sub_f32_e32 v30, v30, v31
	v_mul_f32_e32 v41, v31, v39
	v_add_f32_e32 v40, v32, v30
	v_mul_f32_e32 v32, v22, v41
	v_fma_f32 v34, v41, v22, -v32
	v_fmac_f32_e32 v34, v41, v15
	v_add_f32_e32 v30, v32, v34
	v_sub_f32_e32 v33, v31, v30
	v_pk_add_f32 v[36:37], v[30:31], v[32:33] neg_lo:[0,1] neg_hi:[0,1]
	v_mov_b32_e32 v35, v30
	v_pk_add_f32 v[30:31], v[36:37], v[34:35] neg_lo:[0,1] neg_hi:[0,1]
	v_add_f32_e32 v31, v40, v31
	v_add_f32_e32 v30, v30, v31
	;; [unrolled: 1-line block ×3, first 2 shown]
	v_mul_f32_e32 v40, v39, v31
	v_mul_f32_e32 v32, v22, v40
	v_fma_f32 v34, v40, v22, -v32
	v_fmac_f32_e32 v34, v40, v15
	v_sub_f32_e32 v15, v33, v31
	v_add_f32_e32 v15, v30, v15
	v_add_f32_e32 v30, v32, v34
	v_sub_f32_e32 v33, v31, v30
	v_pk_add_f32 v[36:37], v[30:31], v[32:33] neg_lo:[0,1] neg_hi:[0,1]
	v_mov_b32_e32 v35, v30
	v_pk_add_f32 v[30:31], v[36:37], v[34:35] neg_lo:[0,1] neg_hi:[0,1]
	v_add_f32_e32 v15, v15, v31
	v_add_f32_e32 v15, v30, v15
	;; [unrolled: 1-line block ×4, first 2 shown]
	v_sub_f32_e32 v30, v22, v41
	v_mul_f32_e32 v15, v39, v15
	v_sub_f32_e32 v30, v40, v30
	v_add_f32_e32 v15, v30, v15
	v_add_f32_e32 v30, v22, v15
	v_mul_f32_e32 v33, v30, v30
	v_mov_b32_e32 v32, 0x3ecc95a3
	v_fmac_f32_e32 v32, 0x3e9b6dac, v33
	v_mov_b32_e32 v31, 0x3f2aaada
	v_fmac_f32_e32 v31, v33, v32
	v_cvt_f32_i32_e32 v32, v38
	v_sub_f32_e32 v22, v30, v22
	v_ldexp_f32 v35, v30, 1
	v_mul_f32_e32 v33, v30, v33
	v_mov_b32_e32 v30, 0x3f317218
	s_mov_b32 s2, 0x3f317218
	v_pk_mul_f32 v[30:31], v[32:33], v[30:31]
	v_fma_f32 v34, v32, s2, -v30
	v_fmac_f32_e32 v34, 0xb102e308, v32
	v_pk_add_f32 v[32:33], v[30:31], v[34:35]
	v_sub_f32_e32 v15, v15, v22
	v_sub_f32_e32 v22, v33, v35
	v_ldexp_f32 v15, v15, 1
	v_sub_f32_e32 v22, v31, v22
	v_add_f32_e32 v37, v15, v22
	v_mov_b32_e32 v36, v30
	v_pk_add_f32 v[30:31], v[32:33], v[30:31] neg_lo:[0,1] neg_hi:[0,1]
	v_pk_add_f32 v[38:39], v[32:33], v[36:37]
	v_mov_b32_e32 v31, v39
	v_mov_b32_e32 v35, v32
	v_pk_add_f32 v[40:41], v[34:35], v[30:31] neg_lo:[0,1] neg_hi:[0,1]
	v_pk_add_f32 v[30:31], v[34:35], v[30:31]
	v_mov_b32_e32 v22, v31
	v_pk_add_f32 v[34:35], v[22:23], v[32:33] neg_lo:[0,1] neg_hi:[0,1]
	v_mov_b32_e32 v15, v34
	v_pk_add_f32 v[42:43], v[38:39], v[14:15] neg_lo:[0,1] neg_hi:[0,1]
	v_mov_b32_e32 v30, v39
	v_mov_b32_e32 v38, v33
	;; [unrolled: 1-line block ×4, first 2 shown]
	v_pk_add_f32 v[30:31], v[30:31], v[38:39] neg_lo:[0,1] neg_hi:[0,1]
	v_mov_b32_e32 v34, v37
	v_mov_b32_e32 v35, v32
	v_pk_add_f32 v[30:31], v[34:35], v[30:31] neg_lo:[0,1] neg_hi:[0,1]
	v_mov_b32_e32 v42, v40
	v_pk_add_f32 v[32:33], v[42:43], v[30:31]
	v_mov_b32_e32 v34, v33
	v_pk_add_f32 v[34:35], v[32:33], v[34:35]
	v_pk_add_f32 v[36:37], v[22:23], v[34:35]
	v_mov_b32_e32 v33, v36
	v_pk_add_f32 v[38:39], v[32:33], v[40:41] neg_lo:[0,1] neg_hi:[0,1]
	v_mov_b32_e32 v31, v34
	v_sub_f32_e32 v15, v32, v38
	v_pk_add_f32 v[30:31], v[30:31], v[38:39] neg_lo:[0,1] neg_hi:[0,1]
	v_sub_f32_e32 v15, v40, v15
	s_mov_b32 s3, 0x7f800000
	v_add_f32_e32 v15, v30, v15
	s_mov_b32 s2, 0x33800000
	v_add_f32_e32 v15, v15, v31
	v_cmp_eq_f32_e32 vcc, s3, v44
	v_cmp_lt_f32_e64 s[2:3], |v44|, s2
	v_add_f32_e32 v15, v36, v15
	s_or_b64 vcc, vcc, s[2:3]
	v_cndmask_b32_e32 v15, v15, v44, vcc
	v_add_f32_e32 v15, v29, v15
	v_cvt_f16_f32_e32 v31, v15
	v_cvt_f32_f16_e32 v15, v31
	v_mov_b32_e32 v22, v31
.LBB391_148:
	s_or_b64 exec, exec, s[0:1]
	v_max_f32_e32 v29, v11, v11
	v_max_f32_e32 v32, v15, v15
	v_min_f32_e32 v30, v32, v29
	v_cmp_u_f16_e32 vcc, v31, v31
	v_max_f32_e32 v29, v32, v29
	v_cndmask_b32_e32 v30, v30, v15, vcc
	v_cndmask_b32_e32 v29, v29, v15, vcc
	v_cndmask_b32_e64 v30, v30, v11, s[70:71]
	v_cndmask_b32_e64 v29, v29, v11, s[70:71]
	v_cmp_neq_f32_e32 vcc, v30, v29
	v_cmp_class_f32_e64 s[0:1], v30, s4
	s_or_b64 s[2:3], vcc, s[0:1]
	v_mov_b32_e32 v11, v22
	s_and_saveexec_b64 s[0:1], s[2:3]
	s_cbranch_execz .LBB391_150
; %bb.149:
	v_sub_f32_e32 v11, v30, v29
	s_mov_b32 s2, 0x3fb8aa3b
	v_mul_f32_e32 v15, 0x3fb8aa3b, v11
	v_fma_f32 v30, v11, s2, -v15
	v_rndne_f32_e32 v31, v15
	v_fmac_f32_e32 v30, 0x32a5705f, v11
	v_sub_f32_e32 v15, v15, v31
	v_add_f32_e32 v15, v15, v30
	v_exp_f32_e32 v15, v15
	v_cvt_i32_f32_e32 v30, v31
	s_mov_b32 s2, 0xc2ce8ed0
	v_cmp_ngt_f32_e32 vcc, s2, v11
	s_mov_b32 s2, 0x42b17218
	v_ldexp_f32 v15, v15, v30
	v_cndmask_b32_e32 v15, 0, v15, vcc
	v_mov_b32_e32 v30, 0x7f800000
	v_cmp_nlt_f32_e32 vcc, s2, v11
	v_cndmask_b32_e32 v15, v30, v15, vcc
	v_add_f32_e32 v11, 1.0, v15
	v_add_f32_e32 v30, -1.0, v11
	v_sub_f32_e32 v31, v30, v11
	v_add_f32_e32 v31, 1.0, v31
	v_sub_f32_e32 v30, v15, v30
	v_add_f32_e32 v32, v30, v31
	v_frexp_mant_f32_e32 v33, v11
	s_mov_b32 s2, 0x3f2aaaab
	v_cvt_f64_f32_e32 v[30:31], v11
	v_frexp_exp_i32_f64_e32 v30, v[30:31]
	v_cmp_gt_f32_e32 vcc, s2, v33
	v_subbrev_co_u32_e32 v38, vcc, 0, v30, vcc
	v_sub_u32_e32 v30, 0, v38
	v_ldexp_f32 v11, v11, v30
	v_ldexp_f32 v30, v32, v30
	v_add_f32_e32 v32, -1.0, v11
	v_add_f32_e32 v31, 1.0, v32
	v_sub_f32_e32 v31, v11, v31
	v_add_f32_e32 v33, v30, v31
	v_add_f32_e32 v31, 1.0, v11
	v_add_f32_e32 v34, -1.0, v31
	v_sub_f32_e32 v11, v11, v34
	v_add_f32_e32 v11, v30, v11
	v_add_f32_e32 v39, v31, v11
	v_rcp_f32_e32 v40, v39
	v_sub_f32_e32 v30, v31, v39
	v_add_f32_e32 v31, v32, v33
	v_add_f32_e32 v11, v11, v30
	v_mul_f32_e32 v42, v31, v40
	v_sub_f32_e32 v30, v32, v31
	v_mul_f32_e32 v32, v39, v42
	v_fma_f32 v34, v42, v39, -v32
	v_fmac_f32_e32 v34, v42, v11
	v_add_f32_e32 v41, v33, v30
	v_add_f32_e32 v30, v32, v34
	v_sub_f32_e32 v33, v31, v30
	v_pk_add_f32 v[36:37], v[30:31], v[32:33] neg_lo:[0,1] neg_hi:[0,1]
	v_mov_b32_e32 v35, v30
	v_pk_add_f32 v[30:31], v[36:37], v[34:35] neg_lo:[0,1] neg_hi:[0,1]
	v_add_f32_e32 v31, v41, v31
	v_add_f32_e32 v30, v30, v31
	;; [unrolled: 1-line block ×3, first 2 shown]
	v_mul_f32_e32 v41, v40, v31
	v_mul_f32_e32 v32, v39, v41
	v_fma_f32 v34, v41, v39, -v32
	v_fmac_f32_e32 v34, v41, v11
	v_sub_f32_e32 v11, v33, v31
	v_add_f32_e32 v11, v30, v11
	v_add_f32_e32 v30, v32, v34
	v_sub_f32_e32 v33, v31, v30
	v_pk_add_f32 v[36:37], v[30:31], v[32:33] neg_lo:[0,1] neg_hi:[0,1]
	v_mov_b32_e32 v35, v30
	v_pk_add_f32 v[30:31], v[36:37], v[34:35] neg_lo:[0,1] neg_hi:[0,1]
	v_add_f32_e32 v11, v11, v31
	v_add_f32_e32 v11, v30, v11
	;; [unrolled: 1-line block ×4, first 2 shown]
	v_sub_f32_e32 v31, v30, v42
	v_mul_f32_e32 v11, v40, v11
	v_sub_f32_e32 v31, v41, v31
	v_add_f32_e32 v11, v31, v11
	v_add_f32_e32 v33, v30, v11
	v_mul_f32_e32 v34, v33, v33
	v_mov_b32_e32 v32, 0x3ecc95a3
	v_fmac_f32_e32 v32, 0x3e9b6dac, v34
	v_mov_b32_e32 v31, 0x3f2aaada
	v_fmac_f32_e32 v31, v34, v32
	v_cvt_f32_i32_e32 v32, v38
	v_sub_f32_e32 v30, v33, v30
	v_sub_f32_e32 v11, v11, v30
	v_ldexp_f32 v35, v33, 1
	v_mul_f32_e32 v33, v33, v34
	v_mov_b32_e32 v30, 0x3f317218
	s_mov_b32 s2, 0x3f317218
	v_pk_mul_f32 v[30:31], v[32:33], v[30:31]
	v_fma_f32 v34, v32, s2, -v30
	v_fmac_f32_e32 v34, 0xb102e308, v32
	v_pk_add_f32 v[32:33], v[30:31], v[34:35]
	v_sub_f32_e32 v35, v33, v35
	v_ldexp_f32 v11, v11, 1
	v_sub_f32_e32 v35, v31, v35
	v_add_f32_e32 v37, v11, v35
	v_mov_b32_e32 v36, v30
	v_pk_add_f32 v[30:31], v[32:33], v[30:31] neg_lo:[0,1] neg_hi:[0,1]
	v_pk_add_f32 v[38:39], v[32:33], v[36:37]
	v_mov_b32_e32 v31, v39
	v_mov_b32_e32 v35, v32
	v_pk_add_f32 v[40:41], v[34:35], v[30:31] neg_lo:[0,1] neg_hi:[0,1]
	v_pk_add_f32 v[30:31], v[34:35], v[30:31]
	v_mov_b32_e32 v34, v31
	v_pk_add_f32 v[42:43], v[34:35], v[32:33] neg_lo:[0,1] neg_hi:[0,1]
	v_mov_b32_e32 v11, v42
	v_pk_add_f32 v[44:45], v[38:39], v[10:11] neg_lo:[0,1] neg_hi:[0,1]
	v_mov_b32_e32 v30, v39
	v_mov_b32_e32 v38, v33
	;; [unrolled: 1-line block ×4, first 2 shown]
	v_pk_add_f32 v[30:31], v[30:31], v[38:39] neg_lo:[0,1] neg_hi:[0,1]
	v_mov_b32_e32 v36, v37
	v_mov_b32_e32 v37, v32
	v_pk_add_f32 v[30:31], v[36:37], v[30:31] neg_lo:[0,1] neg_hi:[0,1]
	v_mov_b32_e32 v44, v40
	v_pk_add_f32 v[32:33], v[44:45], v[30:31]
	v_mov_b32_e32 v36, v33
	v_pk_add_f32 v[36:37], v[32:33], v[36:37]
	v_pk_add_f32 v[34:35], v[34:35], v[36:37]
	v_mov_b32_e32 v33, v34
	v_pk_add_f32 v[38:39], v[32:33], v[40:41] neg_lo:[0,1] neg_hi:[0,1]
	v_mov_b32_e32 v31, v36
	v_sub_f32_e32 v11, v32, v38
	v_pk_add_f32 v[30:31], v[30:31], v[38:39] neg_lo:[0,1] neg_hi:[0,1]
	v_sub_f32_e32 v11, v40, v11
	s_mov_b32 s3, 0x7f800000
	v_add_f32_e32 v11, v30, v11
	s_mov_b32 s2, 0x33800000
	v_add_f32_e32 v11, v11, v31
	v_cmp_eq_f32_e32 vcc, s3, v15
	v_cmp_lt_f32_e64 s[2:3], |v15|, s2
	v_add_f32_e32 v11, v34, v11
	s_or_b64 vcc, vcc, s[2:3]
	v_cndmask_b32_e32 v11, v11, v15, vcc
	v_add_f32_e32 v11, v29, v11
	v_cvt_f16_f32_e32 v31, v11
	v_cvt_f32_f16_e32 v15, v31
	v_mov_b32_e32 v11, v31
.LBB391_150:
	s_or_b64 exec, exec, s[0:1]
	v_max_f32_e32 v29, v23, v23
	v_max_f32_e32 v32, v15, v15
	v_min_f32_e32 v30, v32, v29
	v_cmp_u_f16_e32 vcc, v31, v31
	v_max_f32_e32 v29, v32, v29
	v_cndmask_b32_e32 v30, v30, v15, vcc
	v_cndmask_b32_e32 v29, v29, v15, vcc
	v_cndmask_b32_e64 v30, v30, v23, s[72:73]
	v_cndmask_b32_e64 v29, v29, v23, s[72:73]
	v_cmp_neq_f32_e32 vcc, v30, v29
	v_cmp_class_f32_e64 s[0:1], v30, s4
	s_or_b64 s[2:3], vcc, s[0:1]
	v_mov_b32_e32 v23, v11
	s_and_saveexec_b64 s[0:1], s[2:3]
	s_cbranch_execz .LBB391_152
; %bb.151:
	v_sub_f32_e32 v15, v30, v29
	s_mov_b32 s2, 0x3fb8aa3b
	v_mul_f32_e32 v23, 0x3fb8aa3b, v15
	v_fma_f32 v30, v15, s2, -v23
	v_rndne_f32_e32 v31, v23
	v_fmac_f32_e32 v30, 0x32a5705f, v15
	v_sub_f32_e32 v23, v23, v31
	v_add_f32_e32 v23, v23, v30
	v_exp_f32_e32 v23, v23
	v_cvt_i32_f32_e32 v30, v31
	s_mov_b32 s2, 0xc2ce8ed0
	v_cmp_ngt_f32_e32 vcc, s2, v15
	s_mov_b32 s2, 0x42b17218
	v_ldexp_f32 v23, v23, v30
	v_cndmask_b32_e32 v23, 0, v23, vcc
	v_mov_b32_e32 v30, 0x7f800000
	v_cmp_nlt_f32_e32 vcc, s2, v15
	v_cndmask_b32_e32 v23, v30, v23, vcc
	v_add_f32_e32 v15, 1.0, v23
	v_add_f32_e32 v30, -1.0, v15
	v_sub_f32_e32 v31, v30, v15
	v_add_f32_e32 v31, 1.0, v31
	v_sub_f32_e32 v30, v23, v30
	v_add_f32_e32 v32, v30, v31
	v_frexp_mant_f32_e32 v33, v15
	s_mov_b32 s2, 0x3f2aaaab
	v_cvt_f64_f32_e32 v[30:31], v15
	v_frexp_exp_i32_f64_e32 v30, v[30:31]
	v_cmp_gt_f32_e32 vcc, s2, v33
	v_subbrev_co_u32_e32 v38, vcc, 0, v30, vcc
	v_sub_u32_e32 v30, 0, v38
	v_ldexp_f32 v15, v15, v30
	v_ldexp_f32 v30, v32, v30
	v_add_f32_e32 v32, -1.0, v15
	v_add_f32_e32 v31, 1.0, v32
	v_sub_f32_e32 v31, v15, v31
	v_add_f32_e32 v33, v30, v31
	v_add_f32_e32 v31, 1.0, v15
	v_add_f32_e32 v34, -1.0, v31
	v_sub_f32_e32 v15, v15, v34
	v_add_f32_e32 v15, v30, v15
	v_add_f32_e32 v39, v31, v15
	v_rcp_f32_e32 v40, v39
	v_sub_f32_e32 v30, v31, v39
	v_add_f32_e32 v31, v32, v33
	v_add_f32_e32 v15, v15, v30
	v_mul_f32_e32 v42, v31, v40
	v_sub_f32_e32 v30, v32, v31
	v_mul_f32_e32 v32, v39, v42
	v_fma_f32 v34, v42, v39, -v32
	v_fmac_f32_e32 v34, v42, v15
	v_add_f32_e32 v41, v33, v30
	v_add_f32_e32 v30, v32, v34
	v_sub_f32_e32 v33, v31, v30
	v_pk_add_f32 v[36:37], v[30:31], v[32:33] neg_lo:[0,1] neg_hi:[0,1]
	v_mov_b32_e32 v35, v30
	v_pk_add_f32 v[30:31], v[36:37], v[34:35] neg_lo:[0,1] neg_hi:[0,1]
	v_add_f32_e32 v31, v41, v31
	v_add_f32_e32 v30, v30, v31
	;; [unrolled: 1-line block ×3, first 2 shown]
	v_mul_f32_e32 v41, v40, v31
	v_mul_f32_e32 v32, v39, v41
	v_fma_f32 v34, v41, v39, -v32
	v_fmac_f32_e32 v34, v41, v15
	v_sub_f32_e32 v15, v33, v31
	v_add_f32_e32 v15, v30, v15
	v_add_f32_e32 v30, v32, v34
	v_sub_f32_e32 v33, v31, v30
	v_pk_add_f32 v[36:37], v[30:31], v[32:33] neg_lo:[0,1] neg_hi:[0,1]
	v_mov_b32_e32 v35, v30
	v_pk_add_f32 v[30:31], v[36:37], v[34:35] neg_lo:[0,1] neg_hi:[0,1]
	v_add_f32_e32 v15, v15, v31
	v_add_f32_e32 v15, v30, v15
	;; [unrolled: 1-line block ×4, first 2 shown]
	v_sub_f32_e32 v31, v30, v42
	v_mul_f32_e32 v15, v40, v15
	v_sub_f32_e32 v31, v41, v31
	v_add_f32_e32 v15, v31, v15
	v_add_f32_e32 v33, v30, v15
	v_mul_f32_e32 v34, v33, v33
	v_mov_b32_e32 v32, 0x3ecc95a3
	v_fmac_f32_e32 v32, 0x3e9b6dac, v34
	v_mov_b32_e32 v31, 0x3f2aaada
	v_fmac_f32_e32 v31, v34, v32
	v_cvt_f32_i32_e32 v32, v38
	v_sub_f32_e32 v30, v33, v30
	v_sub_f32_e32 v15, v15, v30
	v_ldexp_f32 v35, v33, 1
	v_mul_f32_e32 v33, v33, v34
	v_mov_b32_e32 v30, 0x3f317218
	s_mov_b32 s2, 0x3f317218
	v_pk_mul_f32 v[30:31], v[32:33], v[30:31]
	v_fma_f32 v34, v32, s2, -v30
	v_fmac_f32_e32 v34, 0xb102e308, v32
	v_pk_add_f32 v[32:33], v[30:31], v[34:35]
	v_sub_f32_e32 v35, v33, v35
	v_ldexp_f32 v15, v15, 1
	v_sub_f32_e32 v35, v31, v35
	v_add_f32_e32 v37, v15, v35
	v_mov_b32_e32 v36, v30
	v_pk_add_f32 v[30:31], v[32:33], v[30:31] neg_lo:[0,1] neg_hi:[0,1]
	v_pk_add_f32 v[38:39], v[32:33], v[36:37]
	v_mov_b32_e32 v31, v39
	v_mov_b32_e32 v35, v32
	v_pk_add_f32 v[40:41], v[34:35], v[30:31] neg_lo:[0,1] neg_hi:[0,1]
	v_pk_add_f32 v[30:31], v[34:35], v[30:31]
	v_mov_b32_e32 v34, v31
	v_pk_add_f32 v[42:43], v[34:35], v[32:33] neg_lo:[0,1] neg_hi:[0,1]
	v_mov_b32_e32 v15, v42
	v_pk_add_f32 v[44:45], v[38:39], v[14:15] neg_lo:[0,1] neg_hi:[0,1]
	v_mov_b32_e32 v30, v39
	v_mov_b32_e32 v38, v33
	v_mov_b32_e32 v39, v42
	v_mov_b32_e32 v41, v31
	v_pk_add_f32 v[30:31], v[30:31], v[38:39] neg_lo:[0,1] neg_hi:[0,1]
	v_mov_b32_e32 v36, v37
	v_mov_b32_e32 v37, v32
	v_pk_add_f32 v[30:31], v[36:37], v[30:31] neg_lo:[0,1] neg_hi:[0,1]
	v_mov_b32_e32 v44, v40
	v_pk_add_f32 v[32:33], v[44:45], v[30:31]
	v_mov_b32_e32 v36, v33
	v_pk_add_f32 v[36:37], v[32:33], v[36:37]
	v_pk_add_f32 v[34:35], v[34:35], v[36:37]
	v_mov_b32_e32 v33, v34
	v_pk_add_f32 v[38:39], v[32:33], v[40:41] neg_lo:[0,1] neg_hi:[0,1]
	v_mov_b32_e32 v31, v36
	v_sub_f32_e32 v15, v32, v38
	v_pk_add_f32 v[30:31], v[30:31], v[38:39] neg_lo:[0,1] neg_hi:[0,1]
	v_sub_f32_e32 v15, v40, v15
	s_mov_b32 s3, 0x7f800000
	v_add_f32_e32 v15, v30, v15
	s_mov_b32 s2, 0x33800000
	v_add_f32_e32 v15, v15, v31
	v_cmp_eq_f32_e32 vcc, s3, v23
	v_cmp_lt_f32_e64 s[2:3], |v23|, s2
	v_add_f32_e32 v15, v34, v15
	s_or_b64 vcc, vcc, s[2:3]
	v_cndmask_b32_e32 v15, v15, v23, vcc
	v_add_f32_e32 v15, v29, v15
	v_cvt_f16_f32_e32 v31, v15
	v_cvt_f32_f16_e32 v15, v31
	v_mov_b32_e32 v23, v31
.LBB391_152:
	s_or_b64 exec, exec, s[0:1]
	v_max_f32_e32 v29, v12, v12
	v_max_f32_e32 v32, v15, v15
	v_min_f32_e32 v30, v32, v29
	v_cmp_u_f16_e32 vcc, v31, v31
	v_max_f32_e32 v29, v32, v29
	v_cndmask_b32_e32 v30, v30, v15, vcc
	v_cndmask_b32_e32 v29, v29, v15, vcc
	v_cndmask_b32_e64 v30, v30, v12, s[74:75]
	v_cndmask_b32_e64 v29, v29, v12, s[74:75]
	v_cmp_neq_f32_e32 vcc, v30, v29
	v_cmp_class_f32_e64 s[0:1], v30, s4
	s_or_b64 s[2:3], vcc, s[0:1]
	v_mov_b32_e32 v12, v23
	s_and_saveexec_b64 s[0:1], s[2:3]
	s_cbranch_execz .LBB391_154
; %bb.153:
	v_sub_f32_e32 v12, v30, v29
	s_mov_b32 s2, 0x3fb8aa3b
	v_mul_f32_e32 v15, 0x3fb8aa3b, v12
	v_fma_f32 v30, v12, s2, -v15
	v_rndne_f32_e32 v31, v15
	v_fmac_f32_e32 v30, 0x32a5705f, v12
	v_sub_f32_e32 v15, v15, v31
	v_add_f32_e32 v15, v15, v30
	v_exp_f32_e32 v15, v15
	v_cvt_i32_f32_e32 v30, v31
	s_mov_b32 s2, 0xc2ce8ed0
	v_cmp_ngt_f32_e32 vcc, s2, v12
	s_mov_b32 s2, 0x42b17218
	v_ldexp_f32 v15, v15, v30
	v_cndmask_b32_e32 v15, 0, v15, vcc
	v_mov_b32_e32 v30, 0x7f800000
	v_cmp_nlt_f32_e32 vcc, s2, v12
	v_cndmask_b32_e32 v44, v30, v15, vcc
	v_add_f32_e32 v12, 1.0, v44
	v_add_f32_e32 v15, -1.0, v12
	v_sub_f32_e32 v30, v15, v12
	v_add_f32_e32 v30, 1.0, v30
	v_sub_f32_e32 v15, v44, v15
	v_add_f32_e32 v15, v15, v30
	v_frexp_mant_f32_e32 v32, v12
	s_mov_b32 s2, 0x3f2aaaab
	v_cvt_f64_f32_e32 v[30:31], v12
	v_frexp_exp_i32_f64_e32 v30, v[30:31]
	v_cmp_gt_f32_e32 vcc, s2, v32
	v_subbrev_co_u32_e32 v38, vcc, 0, v30, vcc
	v_sub_u32_e32 v30, 0, v38
	v_ldexp_f32 v12, v12, v30
	v_ldexp_f32 v15, v15, v30
	v_add_f32_e32 v30, -1.0, v12
	v_add_f32_e32 v31, 1.0, v30
	v_sub_f32_e32 v31, v12, v31
	v_add_f32_e32 v32, v15, v31
	v_add_f32_e32 v31, 1.0, v12
	v_add_f32_e32 v33, -1.0, v31
	v_sub_f32_e32 v12, v12, v33
	v_add_f32_e32 v12, v15, v12
	v_add_f32_e32 v15, v31, v12
	v_rcp_f32_e32 v39, v15
	v_sub_f32_e32 v31, v31, v15
	v_add_f32_e32 v12, v12, v31
	v_add_f32_e32 v31, v30, v32
	v_sub_f32_e32 v30, v30, v31
	v_mul_f32_e32 v41, v31, v39
	v_add_f32_e32 v40, v32, v30
	v_mul_f32_e32 v32, v15, v41
	v_fma_f32 v34, v41, v15, -v32
	v_fmac_f32_e32 v34, v41, v12
	v_add_f32_e32 v30, v32, v34
	v_sub_f32_e32 v33, v31, v30
	v_pk_add_f32 v[36:37], v[30:31], v[32:33] neg_lo:[0,1] neg_hi:[0,1]
	v_mov_b32_e32 v35, v30
	v_pk_add_f32 v[30:31], v[36:37], v[34:35] neg_lo:[0,1] neg_hi:[0,1]
	v_add_f32_e32 v31, v40, v31
	v_add_f32_e32 v30, v30, v31
	;; [unrolled: 1-line block ×3, first 2 shown]
	v_mul_f32_e32 v40, v39, v31
	v_mul_f32_e32 v32, v15, v40
	v_fma_f32 v34, v40, v15, -v32
	v_fmac_f32_e32 v34, v40, v12
	v_sub_f32_e32 v12, v33, v31
	v_add_f32_e32 v12, v30, v12
	v_add_f32_e32 v30, v32, v34
	v_sub_f32_e32 v33, v31, v30
	v_pk_add_f32 v[36:37], v[30:31], v[32:33] neg_lo:[0,1] neg_hi:[0,1]
	v_mov_b32_e32 v35, v30
	v_pk_add_f32 v[30:31], v[36:37], v[34:35] neg_lo:[0,1] neg_hi:[0,1]
	v_add_f32_e32 v12, v12, v31
	v_add_f32_e32 v12, v30, v12
	;; [unrolled: 1-line block ×4, first 2 shown]
	v_sub_f32_e32 v30, v15, v41
	v_mul_f32_e32 v12, v39, v12
	v_sub_f32_e32 v30, v40, v30
	v_add_f32_e32 v12, v30, v12
	v_add_f32_e32 v30, v15, v12
	v_mul_f32_e32 v33, v30, v30
	v_mov_b32_e32 v32, 0x3ecc95a3
	v_fmac_f32_e32 v32, 0x3e9b6dac, v33
	v_mov_b32_e32 v31, 0x3f2aaada
	v_fmac_f32_e32 v31, v33, v32
	v_cvt_f32_i32_e32 v32, v38
	v_sub_f32_e32 v15, v30, v15
	v_ldexp_f32 v35, v30, 1
	v_mul_f32_e32 v33, v30, v33
	v_mov_b32_e32 v30, 0x3f317218
	s_mov_b32 s2, 0x3f317218
	v_pk_mul_f32 v[30:31], v[32:33], v[30:31]
	v_fma_f32 v34, v32, s2, -v30
	v_fmac_f32_e32 v34, 0xb102e308, v32
	v_pk_add_f32 v[32:33], v[30:31], v[34:35]
	v_sub_f32_e32 v12, v12, v15
	v_sub_f32_e32 v15, v33, v35
	v_ldexp_f32 v12, v12, 1
	v_sub_f32_e32 v15, v31, v15
	v_add_f32_e32 v37, v12, v15
	v_mov_b32_e32 v36, v30
	v_pk_add_f32 v[30:31], v[32:33], v[30:31] neg_lo:[0,1] neg_hi:[0,1]
	v_pk_add_f32 v[38:39], v[32:33], v[36:37]
	v_mov_b32_e32 v31, v39
	v_mov_b32_e32 v35, v32
	v_pk_add_f32 v[40:41], v[34:35], v[30:31] neg_lo:[0,1] neg_hi:[0,1]
	v_pk_add_f32 v[30:31], v[34:35], v[30:31]
	v_mov_b32_e32 v12, v31
	v_pk_add_f32 v[34:35], v[12:13], v[32:33] neg_lo:[0,1] neg_hi:[0,1]
	v_mov_b32_e32 v15, v34
	v_pk_add_f32 v[42:43], v[38:39], v[14:15] neg_lo:[0,1] neg_hi:[0,1]
	v_mov_b32_e32 v30, v39
	v_mov_b32_e32 v38, v33
	;; [unrolled: 1-line block ×4, first 2 shown]
	v_pk_add_f32 v[30:31], v[30:31], v[38:39] neg_lo:[0,1] neg_hi:[0,1]
	v_mov_b32_e32 v34, v37
	v_mov_b32_e32 v35, v32
	v_pk_add_f32 v[30:31], v[34:35], v[30:31] neg_lo:[0,1] neg_hi:[0,1]
	v_mov_b32_e32 v42, v40
	v_pk_add_f32 v[32:33], v[42:43], v[30:31]
	v_mov_b32_e32 v34, v33
	v_pk_add_f32 v[34:35], v[32:33], v[34:35]
	v_pk_add_f32 v[36:37], v[12:13], v[34:35]
	v_mov_b32_e32 v33, v36
	v_pk_add_f32 v[38:39], v[32:33], v[40:41] neg_lo:[0,1] neg_hi:[0,1]
	v_mov_b32_e32 v31, v34
	v_sub_f32_e32 v12, v32, v38
	v_pk_add_f32 v[30:31], v[30:31], v[38:39] neg_lo:[0,1] neg_hi:[0,1]
	v_sub_f32_e32 v12, v40, v12
	s_mov_b32 s3, 0x7f800000
	v_add_f32_e32 v12, v30, v12
	s_mov_b32 s2, 0x33800000
	v_add_f32_e32 v12, v12, v31
	v_cmp_eq_f32_e32 vcc, s3, v44
	v_cmp_lt_f32_e64 s[2:3], |v44|, s2
	v_add_f32_e32 v12, v36, v12
	s_or_b64 vcc, vcc, s[2:3]
	v_cndmask_b32_e32 v12, v12, v44, vcc
	v_add_f32_e32 v12, v29, v12
	v_cvt_f16_f32_e32 v31, v12
	v_cvt_f32_f16_e32 v15, v31
	v_mov_b32_e32 v12, v31
.LBB391_154:
	s_or_b64 exec, exec, s[0:1]
	v_max_f32_e32 v29, v24, v24
	v_max_f32_e32 v32, v15, v15
	v_min_f32_e32 v30, v32, v29
	v_cmp_u_f16_e32 vcc, v31, v31
	v_max_f32_e32 v29, v32, v29
	v_cndmask_b32_e32 v30, v30, v15, vcc
	v_cndmask_b32_e32 v29, v29, v15, vcc
	v_cndmask_b32_e64 v30, v30, v24, s[76:77]
	v_cndmask_b32_e64 v29, v29, v24, s[76:77]
	v_cmp_neq_f32_e32 vcc, v30, v29
	v_cmp_class_f32_e64 s[0:1], v30, s4
	s_or_b64 s[2:3], vcc, s[0:1]
	v_mov_b32_e32 v24, v12
	s_and_saveexec_b64 s[0:1], s[2:3]
	s_cbranch_execz .LBB391_156
; %bb.155:
	v_sub_f32_e32 v15, v30, v29
	s_mov_b32 s2, 0x3fb8aa3b
	v_mul_f32_e32 v24, 0x3fb8aa3b, v15
	v_fma_f32 v30, v15, s2, -v24
	v_rndne_f32_e32 v31, v24
	v_fmac_f32_e32 v30, 0x32a5705f, v15
	v_sub_f32_e32 v24, v24, v31
	v_add_f32_e32 v24, v24, v30
	v_exp_f32_e32 v24, v24
	v_cvt_i32_f32_e32 v30, v31
	s_mov_b32 s2, 0xc2ce8ed0
	v_cmp_ngt_f32_e32 vcc, s2, v15
	s_mov_b32 s2, 0x42b17218
	v_ldexp_f32 v24, v24, v30
	v_cndmask_b32_e32 v24, 0, v24, vcc
	v_mov_b32_e32 v30, 0x7f800000
	v_cmp_nlt_f32_e32 vcc, s2, v15
	v_cndmask_b32_e32 v44, v30, v24, vcc
	v_add_f32_e32 v15, 1.0, v44
	v_add_f32_e32 v24, -1.0, v15
	v_sub_f32_e32 v30, v24, v15
	v_add_f32_e32 v30, 1.0, v30
	v_sub_f32_e32 v24, v44, v24
	v_add_f32_e32 v24, v24, v30
	v_frexp_mant_f32_e32 v32, v15
	s_mov_b32 s2, 0x3f2aaaab
	v_cvt_f64_f32_e32 v[30:31], v15
	v_frexp_exp_i32_f64_e32 v30, v[30:31]
	v_cmp_gt_f32_e32 vcc, s2, v32
	v_subbrev_co_u32_e32 v38, vcc, 0, v30, vcc
	v_sub_u32_e32 v30, 0, v38
	v_ldexp_f32 v15, v15, v30
	v_ldexp_f32 v24, v24, v30
	v_add_f32_e32 v30, -1.0, v15
	v_add_f32_e32 v31, 1.0, v30
	v_sub_f32_e32 v31, v15, v31
	v_add_f32_e32 v32, v24, v31
	v_add_f32_e32 v31, 1.0, v15
	v_add_f32_e32 v33, -1.0, v31
	v_sub_f32_e32 v15, v15, v33
	v_add_f32_e32 v15, v24, v15
	v_add_f32_e32 v24, v31, v15
	v_rcp_f32_e32 v39, v24
	v_sub_f32_e32 v31, v31, v24
	v_add_f32_e32 v15, v15, v31
	v_add_f32_e32 v31, v30, v32
	v_sub_f32_e32 v30, v30, v31
	v_mul_f32_e32 v41, v31, v39
	v_add_f32_e32 v40, v32, v30
	v_mul_f32_e32 v32, v24, v41
	v_fma_f32 v34, v41, v24, -v32
	v_fmac_f32_e32 v34, v41, v15
	v_add_f32_e32 v30, v32, v34
	v_sub_f32_e32 v33, v31, v30
	v_pk_add_f32 v[36:37], v[30:31], v[32:33] neg_lo:[0,1] neg_hi:[0,1]
	v_mov_b32_e32 v35, v30
	v_pk_add_f32 v[30:31], v[36:37], v[34:35] neg_lo:[0,1] neg_hi:[0,1]
	v_add_f32_e32 v31, v40, v31
	v_add_f32_e32 v30, v30, v31
	;; [unrolled: 1-line block ×3, first 2 shown]
	v_mul_f32_e32 v40, v39, v31
	v_mul_f32_e32 v32, v24, v40
	v_fma_f32 v34, v40, v24, -v32
	v_fmac_f32_e32 v34, v40, v15
	v_sub_f32_e32 v15, v33, v31
	v_add_f32_e32 v15, v30, v15
	v_add_f32_e32 v30, v32, v34
	v_sub_f32_e32 v33, v31, v30
	v_pk_add_f32 v[36:37], v[30:31], v[32:33] neg_lo:[0,1] neg_hi:[0,1]
	v_mov_b32_e32 v35, v30
	v_pk_add_f32 v[30:31], v[36:37], v[34:35] neg_lo:[0,1] neg_hi:[0,1]
	v_add_f32_e32 v15, v15, v31
	v_add_f32_e32 v15, v30, v15
	;; [unrolled: 1-line block ×4, first 2 shown]
	v_sub_f32_e32 v30, v24, v41
	v_mul_f32_e32 v15, v39, v15
	v_sub_f32_e32 v30, v40, v30
	v_add_f32_e32 v15, v30, v15
	v_add_f32_e32 v30, v24, v15
	v_mul_f32_e32 v33, v30, v30
	v_mov_b32_e32 v32, 0x3ecc95a3
	v_fmac_f32_e32 v32, 0x3e9b6dac, v33
	v_mov_b32_e32 v31, 0x3f2aaada
	v_fmac_f32_e32 v31, v33, v32
	v_cvt_f32_i32_e32 v32, v38
	v_sub_f32_e32 v24, v30, v24
	v_ldexp_f32 v35, v30, 1
	v_mul_f32_e32 v33, v30, v33
	v_mov_b32_e32 v30, 0x3f317218
	s_mov_b32 s2, 0x3f317218
	v_pk_mul_f32 v[30:31], v[32:33], v[30:31]
	v_fma_f32 v34, v32, s2, -v30
	v_fmac_f32_e32 v34, 0xb102e308, v32
	v_pk_add_f32 v[32:33], v[30:31], v[34:35]
	v_sub_f32_e32 v15, v15, v24
	v_sub_f32_e32 v24, v33, v35
	v_ldexp_f32 v15, v15, 1
	v_sub_f32_e32 v24, v31, v24
	v_add_f32_e32 v37, v15, v24
	v_mov_b32_e32 v36, v30
	v_pk_add_f32 v[30:31], v[32:33], v[30:31] neg_lo:[0,1] neg_hi:[0,1]
	v_pk_add_f32 v[38:39], v[32:33], v[36:37]
	v_mov_b32_e32 v31, v39
	v_mov_b32_e32 v35, v32
	v_pk_add_f32 v[40:41], v[34:35], v[30:31] neg_lo:[0,1] neg_hi:[0,1]
	v_pk_add_f32 v[30:31], v[34:35], v[30:31]
	v_mov_b32_e32 v24, v31
	v_pk_add_f32 v[34:35], v[24:25], v[32:33] neg_lo:[0,1] neg_hi:[0,1]
	v_mov_b32_e32 v15, v34
	v_pk_add_f32 v[42:43], v[38:39], v[14:15] neg_lo:[0,1] neg_hi:[0,1]
	v_mov_b32_e32 v30, v39
	v_mov_b32_e32 v38, v33
	;; [unrolled: 1-line block ×4, first 2 shown]
	v_pk_add_f32 v[30:31], v[30:31], v[38:39] neg_lo:[0,1] neg_hi:[0,1]
	v_mov_b32_e32 v34, v37
	v_mov_b32_e32 v35, v32
	v_pk_add_f32 v[30:31], v[34:35], v[30:31] neg_lo:[0,1] neg_hi:[0,1]
	v_mov_b32_e32 v42, v40
	v_pk_add_f32 v[32:33], v[42:43], v[30:31]
	v_mov_b32_e32 v34, v33
	v_pk_add_f32 v[34:35], v[32:33], v[34:35]
	v_pk_add_f32 v[36:37], v[24:25], v[34:35]
	v_mov_b32_e32 v33, v36
	v_pk_add_f32 v[38:39], v[32:33], v[40:41] neg_lo:[0,1] neg_hi:[0,1]
	v_mov_b32_e32 v31, v34
	v_sub_f32_e32 v15, v32, v38
	v_pk_add_f32 v[30:31], v[30:31], v[38:39] neg_lo:[0,1] neg_hi:[0,1]
	v_sub_f32_e32 v15, v40, v15
	s_mov_b32 s3, 0x7f800000
	v_add_f32_e32 v15, v30, v15
	s_mov_b32 s2, 0x33800000
	v_add_f32_e32 v15, v15, v31
	v_cmp_eq_f32_e32 vcc, s3, v44
	v_cmp_lt_f32_e64 s[2:3], |v44|, s2
	v_add_f32_e32 v15, v36, v15
	s_or_b64 vcc, vcc, s[2:3]
	v_cndmask_b32_e32 v15, v15, v44, vcc
	v_add_f32_e32 v15, v29, v15
	v_cvt_f16_f32_e32 v31, v15
	v_cvt_f32_f16_e32 v15, v31
	v_mov_b32_e32 v24, v31
.LBB391_156:
	s_or_b64 exec, exec, s[0:1]
	v_max_f32_e32 v29, v13, v13
	v_max_f32_e32 v32, v15, v15
	v_min_f32_e32 v30, v32, v29
	v_cmp_u_f16_e32 vcc, v31, v31
	v_max_f32_e32 v29, v32, v29
	v_cndmask_b32_e32 v30, v30, v15, vcc
	v_cndmask_b32_e32 v29, v29, v15, vcc
	v_cndmask_b32_e64 v30, v30, v13, s[78:79]
	v_cndmask_b32_e64 v29, v29, v13, s[78:79]
	v_cmp_neq_f32_e32 vcc, v30, v29
	v_cmp_class_f32_e64 s[0:1], v30, s4
	s_or_b64 s[2:3], vcc, s[0:1]
	v_mov_b32_e32 v13, v24
	s_and_saveexec_b64 s[0:1], s[2:3]
	s_cbranch_execz .LBB391_158
; %bb.157:
	v_sub_f32_e32 v13, v30, v29
	s_mov_b32 s2, 0x3fb8aa3b
	v_mul_f32_e32 v15, 0x3fb8aa3b, v13
	v_fma_f32 v30, v13, s2, -v15
	v_rndne_f32_e32 v31, v15
	v_fmac_f32_e32 v30, 0x32a5705f, v13
	v_sub_f32_e32 v15, v15, v31
	v_add_f32_e32 v15, v15, v30
	v_exp_f32_e32 v15, v15
	v_cvt_i32_f32_e32 v30, v31
	s_mov_b32 s2, 0xc2ce8ed0
	v_cmp_ngt_f32_e32 vcc, s2, v13
	s_mov_b32 s2, 0x42b17218
	v_ldexp_f32 v15, v15, v30
	v_cndmask_b32_e32 v15, 0, v15, vcc
	v_mov_b32_e32 v30, 0x7f800000
	v_cmp_nlt_f32_e32 vcc, s2, v13
	v_cndmask_b32_e32 v15, v30, v15, vcc
	v_add_f32_e32 v13, 1.0, v15
	v_add_f32_e32 v30, -1.0, v13
	v_sub_f32_e32 v31, v30, v13
	v_add_f32_e32 v31, 1.0, v31
	v_sub_f32_e32 v30, v15, v30
	v_add_f32_e32 v32, v30, v31
	v_frexp_mant_f32_e32 v33, v13
	s_mov_b32 s2, 0x3f2aaaab
	v_cvt_f64_f32_e32 v[30:31], v13
	v_frexp_exp_i32_f64_e32 v30, v[30:31]
	v_cmp_gt_f32_e32 vcc, s2, v33
	v_subbrev_co_u32_e32 v38, vcc, 0, v30, vcc
	v_sub_u32_e32 v30, 0, v38
	v_ldexp_f32 v13, v13, v30
	v_ldexp_f32 v30, v32, v30
	v_add_f32_e32 v32, -1.0, v13
	v_add_f32_e32 v31, 1.0, v32
	v_sub_f32_e32 v31, v13, v31
	v_add_f32_e32 v33, v30, v31
	v_add_f32_e32 v31, 1.0, v13
	v_add_f32_e32 v34, -1.0, v31
	v_sub_f32_e32 v13, v13, v34
	v_add_f32_e32 v13, v30, v13
	v_add_f32_e32 v39, v31, v13
	v_rcp_f32_e32 v40, v39
	v_sub_f32_e32 v30, v31, v39
	v_add_f32_e32 v31, v32, v33
	v_add_f32_e32 v13, v13, v30
	v_mul_f32_e32 v42, v31, v40
	v_sub_f32_e32 v30, v32, v31
	v_mul_f32_e32 v32, v39, v42
	v_fma_f32 v34, v42, v39, -v32
	v_fmac_f32_e32 v34, v42, v13
	v_add_f32_e32 v41, v33, v30
	v_add_f32_e32 v30, v32, v34
	v_sub_f32_e32 v33, v31, v30
	v_pk_add_f32 v[36:37], v[30:31], v[32:33] neg_lo:[0,1] neg_hi:[0,1]
	v_mov_b32_e32 v35, v30
	v_pk_add_f32 v[30:31], v[36:37], v[34:35] neg_lo:[0,1] neg_hi:[0,1]
	v_add_f32_e32 v31, v41, v31
	v_add_f32_e32 v30, v30, v31
	;; [unrolled: 1-line block ×3, first 2 shown]
	v_mul_f32_e32 v41, v40, v31
	v_mul_f32_e32 v32, v39, v41
	v_fma_f32 v34, v41, v39, -v32
	v_fmac_f32_e32 v34, v41, v13
	v_sub_f32_e32 v13, v33, v31
	v_add_f32_e32 v13, v30, v13
	v_add_f32_e32 v30, v32, v34
	v_sub_f32_e32 v33, v31, v30
	v_pk_add_f32 v[36:37], v[30:31], v[32:33] neg_lo:[0,1] neg_hi:[0,1]
	v_mov_b32_e32 v35, v30
	v_pk_add_f32 v[30:31], v[36:37], v[34:35] neg_lo:[0,1] neg_hi:[0,1]
	v_add_f32_e32 v13, v13, v31
	v_add_f32_e32 v13, v30, v13
	;; [unrolled: 1-line block ×4, first 2 shown]
	v_sub_f32_e32 v31, v30, v42
	v_mul_f32_e32 v13, v40, v13
	v_sub_f32_e32 v31, v41, v31
	v_add_f32_e32 v13, v31, v13
	v_add_f32_e32 v33, v30, v13
	v_mul_f32_e32 v34, v33, v33
	v_mov_b32_e32 v32, 0x3ecc95a3
	v_fmac_f32_e32 v32, 0x3e9b6dac, v34
	v_mov_b32_e32 v31, 0x3f2aaada
	v_fmac_f32_e32 v31, v34, v32
	v_cvt_f32_i32_e32 v32, v38
	v_sub_f32_e32 v30, v33, v30
	v_sub_f32_e32 v13, v13, v30
	v_ldexp_f32 v35, v33, 1
	v_mul_f32_e32 v33, v33, v34
	v_mov_b32_e32 v30, 0x3f317218
	s_mov_b32 s2, 0x3f317218
	v_pk_mul_f32 v[30:31], v[32:33], v[30:31]
	v_fma_f32 v34, v32, s2, -v30
	v_fmac_f32_e32 v34, 0xb102e308, v32
	v_pk_add_f32 v[32:33], v[30:31], v[34:35]
	v_sub_f32_e32 v35, v33, v35
	v_ldexp_f32 v13, v13, 1
	v_sub_f32_e32 v35, v31, v35
	v_add_f32_e32 v37, v13, v35
	v_mov_b32_e32 v36, v30
	v_pk_add_f32 v[30:31], v[32:33], v[30:31] neg_lo:[0,1] neg_hi:[0,1]
	v_pk_add_f32 v[38:39], v[32:33], v[36:37]
	v_mov_b32_e32 v31, v39
	v_mov_b32_e32 v35, v32
	v_pk_add_f32 v[40:41], v[34:35], v[30:31] neg_lo:[0,1] neg_hi:[0,1]
	v_pk_add_f32 v[30:31], v[34:35], v[30:31]
	v_mov_b32_e32 v34, v31
	v_pk_add_f32 v[42:43], v[34:35], v[32:33] neg_lo:[0,1] neg_hi:[0,1]
	v_mov_b32_e32 v13, v42
	v_pk_add_f32 v[44:45], v[38:39], v[12:13] neg_lo:[0,1] neg_hi:[0,1]
	v_mov_b32_e32 v30, v39
	v_mov_b32_e32 v38, v33
	;; [unrolled: 1-line block ×4, first 2 shown]
	v_pk_add_f32 v[30:31], v[30:31], v[38:39] neg_lo:[0,1] neg_hi:[0,1]
	v_mov_b32_e32 v36, v37
	v_mov_b32_e32 v37, v32
	v_pk_add_f32 v[30:31], v[36:37], v[30:31] neg_lo:[0,1] neg_hi:[0,1]
	v_mov_b32_e32 v44, v40
	v_pk_add_f32 v[32:33], v[44:45], v[30:31]
	v_mov_b32_e32 v36, v33
	v_pk_add_f32 v[36:37], v[32:33], v[36:37]
	v_pk_add_f32 v[34:35], v[34:35], v[36:37]
	v_mov_b32_e32 v33, v34
	v_pk_add_f32 v[38:39], v[32:33], v[40:41] neg_lo:[0,1] neg_hi:[0,1]
	v_mov_b32_e32 v31, v36
	v_sub_f32_e32 v13, v32, v38
	v_pk_add_f32 v[30:31], v[30:31], v[38:39] neg_lo:[0,1] neg_hi:[0,1]
	v_sub_f32_e32 v13, v40, v13
	s_mov_b32 s3, 0x7f800000
	v_add_f32_e32 v13, v30, v13
	s_mov_b32 s2, 0x33800000
	v_add_f32_e32 v13, v13, v31
	v_cmp_eq_f32_e32 vcc, s3, v15
	v_cmp_lt_f32_e64 s[2:3], |v15|, s2
	v_add_f32_e32 v13, v34, v13
	s_or_b64 vcc, vcc, s[2:3]
	v_cndmask_b32_e32 v13, v13, v15, vcc
	v_add_f32_e32 v13, v29, v13
	v_cvt_f16_f32_e32 v31, v13
	v_cvt_f32_f16_e32 v15, v31
	v_mov_b32_e32 v13, v31
.LBB391_158:
	s_or_b64 exec, exec, s[0:1]
	v_max_f32_e32 v29, v25, v25
	v_max_f32_e32 v32, v15, v15
	v_min_f32_e32 v30, v32, v29
	v_cmp_u_f16_e32 vcc, v31, v31
	v_max_f32_e32 v29, v32, v29
	v_cndmask_b32_e32 v30, v30, v15, vcc
	v_cndmask_b32_e32 v29, v29, v15, vcc
	v_cndmask_b32_e64 v30, v30, v25, s[80:81]
	v_cndmask_b32_e64 v29, v29, v25, s[80:81]
	v_cmp_neq_f32_e32 vcc, v30, v29
	v_cmp_class_f32_e64 s[0:1], v30, s4
	s_or_b64 s[2:3], vcc, s[0:1]
	v_mov_b32_e32 v25, v13
	s_and_saveexec_b64 s[0:1], s[2:3]
	s_cbranch_execz .LBB391_160
; %bb.159:
	v_sub_f32_e32 v15, v30, v29
	s_mov_b32 s2, 0x3fb8aa3b
	v_mul_f32_e32 v25, 0x3fb8aa3b, v15
	v_fma_f32 v30, v15, s2, -v25
	v_rndne_f32_e32 v31, v25
	v_fmac_f32_e32 v30, 0x32a5705f, v15
	v_sub_f32_e32 v25, v25, v31
	v_add_f32_e32 v25, v25, v30
	v_exp_f32_e32 v25, v25
	v_cvt_i32_f32_e32 v30, v31
	s_mov_b32 s2, 0xc2ce8ed0
	v_cmp_ngt_f32_e32 vcc, s2, v15
	s_mov_b32 s2, 0x42b17218
	v_ldexp_f32 v25, v25, v30
	v_cndmask_b32_e32 v25, 0, v25, vcc
	v_mov_b32_e32 v30, 0x7f800000
	v_cmp_nlt_f32_e32 vcc, s2, v15
	v_cndmask_b32_e32 v25, v30, v25, vcc
	v_add_f32_e32 v15, 1.0, v25
	v_add_f32_e32 v30, -1.0, v15
	v_sub_f32_e32 v31, v30, v15
	v_add_f32_e32 v31, 1.0, v31
	v_sub_f32_e32 v30, v25, v30
	v_add_f32_e32 v32, v30, v31
	v_frexp_mant_f32_e32 v33, v15
	s_mov_b32 s2, 0x3f2aaaab
	v_cvt_f64_f32_e32 v[30:31], v15
	v_frexp_exp_i32_f64_e32 v30, v[30:31]
	v_cmp_gt_f32_e32 vcc, s2, v33
	v_subbrev_co_u32_e32 v38, vcc, 0, v30, vcc
	v_sub_u32_e32 v30, 0, v38
	v_ldexp_f32 v15, v15, v30
	v_ldexp_f32 v30, v32, v30
	v_add_f32_e32 v32, -1.0, v15
	v_add_f32_e32 v31, 1.0, v32
	v_sub_f32_e32 v31, v15, v31
	v_add_f32_e32 v33, v30, v31
	v_add_f32_e32 v31, 1.0, v15
	v_add_f32_e32 v34, -1.0, v31
	v_sub_f32_e32 v15, v15, v34
	v_add_f32_e32 v15, v30, v15
	v_add_f32_e32 v39, v31, v15
	v_rcp_f32_e32 v40, v39
	v_sub_f32_e32 v30, v31, v39
	v_add_f32_e32 v31, v32, v33
	v_add_f32_e32 v15, v15, v30
	v_mul_f32_e32 v42, v31, v40
	v_sub_f32_e32 v30, v32, v31
	v_mul_f32_e32 v32, v39, v42
	v_fma_f32 v34, v42, v39, -v32
	v_fmac_f32_e32 v34, v42, v15
	v_add_f32_e32 v41, v33, v30
	v_add_f32_e32 v30, v32, v34
	v_sub_f32_e32 v33, v31, v30
	v_pk_add_f32 v[36:37], v[30:31], v[32:33] neg_lo:[0,1] neg_hi:[0,1]
	v_mov_b32_e32 v35, v30
	v_pk_add_f32 v[30:31], v[36:37], v[34:35] neg_lo:[0,1] neg_hi:[0,1]
	v_add_f32_e32 v31, v41, v31
	v_add_f32_e32 v30, v30, v31
	v_add_f32_e32 v31, v33, v30
	v_mul_f32_e32 v41, v40, v31
	v_mul_f32_e32 v32, v39, v41
	v_fma_f32 v34, v41, v39, -v32
	v_fmac_f32_e32 v34, v41, v15
	v_sub_f32_e32 v15, v33, v31
	v_add_f32_e32 v15, v30, v15
	v_add_f32_e32 v30, v32, v34
	v_sub_f32_e32 v33, v31, v30
	v_pk_add_f32 v[36:37], v[30:31], v[32:33] neg_lo:[0,1] neg_hi:[0,1]
	v_mov_b32_e32 v35, v30
	v_pk_add_f32 v[30:31], v[36:37], v[34:35] neg_lo:[0,1] neg_hi:[0,1]
	v_add_f32_e32 v15, v15, v31
	v_add_f32_e32 v15, v30, v15
	;; [unrolled: 1-line block ×4, first 2 shown]
	v_sub_f32_e32 v31, v30, v42
	v_mul_f32_e32 v15, v40, v15
	v_sub_f32_e32 v31, v41, v31
	v_add_f32_e32 v15, v31, v15
	v_add_f32_e32 v33, v30, v15
	v_mul_f32_e32 v34, v33, v33
	v_mov_b32_e32 v32, 0x3ecc95a3
	v_fmac_f32_e32 v32, 0x3e9b6dac, v34
	v_mov_b32_e32 v31, 0x3f2aaada
	v_fmac_f32_e32 v31, v34, v32
	v_cvt_f32_i32_e32 v32, v38
	v_sub_f32_e32 v30, v33, v30
	v_sub_f32_e32 v15, v15, v30
	v_ldexp_f32 v35, v33, 1
	v_mul_f32_e32 v33, v33, v34
	v_mov_b32_e32 v30, 0x3f317218
	s_mov_b32 s2, 0x3f317218
	v_pk_mul_f32 v[30:31], v[32:33], v[30:31]
	v_fma_f32 v34, v32, s2, -v30
	v_fmac_f32_e32 v34, 0xb102e308, v32
	v_pk_add_f32 v[32:33], v[30:31], v[34:35]
	v_sub_f32_e32 v35, v33, v35
	v_ldexp_f32 v15, v15, 1
	v_sub_f32_e32 v35, v31, v35
	v_add_f32_e32 v37, v15, v35
	v_mov_b32_e32 v36, v30
	v_pk_add_f32 v[30:31], v[32:33], v[30:31] neg_lo:[0,1] neg_hi:[0,1]
	v_pk_add_f32 v[38:39], v[32:33], v[36:37]
	v_mov_b32_e32 v31, v39
	v_mov_b32_e32 v35, v32
	v_pk_add_f32 v[40:41], v[34:35], v[30:31] neg_lo:[0,1] neg_hi:[0,1]
	v_pk_add_f32 v[30:31], v[34:35], v[30:31]
	v_mov_b32_e32 v34, v31
	v_pk_add_f32 v[42:43], v[34:35], v[32:33] neg_lo:[0,1] neg_hi:[0,1]
	v_mov_b32_e32 v15, v42
	v_pk_add_f32 v[44:45], v[38:39], v[14:15] neg_lo:[0,1] neg_hi:[0,1]
	v_mov_b32_e32 v30, v39
	v_mov_b32_e32 v38, v33
	;; [unrolled: 1-line block ×4, first 2 shown]
	v_pk_add_f32 v[30:31], v[30:31], v[38:39] neg_lo:[0,1] neg_hi:[0,1]
	v_mov_b32_e32 v36, v37
	v_mov_b32_e32 v37, v32
	v_pk_add_f32 v[30:31], v[36:37], v[30:31] neg_lo:[0,1] neg_hi:[0,1]
	v_mov_b32_e32 v44, v40
	v_pk_add_f32 v[32:33], v[44:45], v[30:31]
	v_mov_b32_e32 v36, v33
	v_pk_add_f32 v[36:37], v[32:33], v[36:37]
	v_pk_add_f32 v[34:35], v[34:35], v[36:37]
	v_mov_b32_e32 v33, v34
	v_pk_add_f32 v[38:39], v[32:33], v[40:41] neg_lo:[0,1] neg_hi:[0,1]
	v_mov_b32_e32 v31, v36
	v_sub_f32_e32 v15, v32, v38
	v_pk_add_f32 v[30:31], v[30:31], v[38:39] neg_lo:[0,1] neg_hi:[0,1]
	v_sub_f32_e32 v15, v40, v15
	s_mov_b32 s3, 0x7f800000
	v_add_f32_e32 v15, v30, v15
	s_mov_b32 s2, 0x33800000
	v_add_f32_e32 v15, v15, v31
	v_cmp_eq_f32_e32 vcc, s3, v25
	v_cmp_lt_f32_e64 s[2:3], |v25|, s2
	v_add_f32_e32 v15, v34, v15
	s_or_b64 vcc, vcc, s[2:3]
	v_cndmask_b32_e32 v15, v15, v25, vcc
	v_add_f32_e32 v15, v29, v15
	v_cvt_f16_f32_e32 v31, v15
	v_cvt_f32_f16_e32 v15, v31
	v_mov_b32_e32 v25, v31
.LBB391_160:
	s_or_b64 exec, exec, s[0:1]
	v_max_f32_e32 v29, v6, v6
	v_max_f32_e32 v32, v15, v15
	v_min_f32_e32 v30, v32, v29
	v_cmp_u_f16_e32 vcc, v31, v31
	v_max_f32_e32 v29, v32, v29
	v_cndmask_b32_e32 v30, v30, v15, vcc
	v_cndmask_b32_e32 v29, v29, v15, vcc
	v_cndmask_b32_e64 v30, v30, v6, s[82:83]
	v_cndmask_b32_e64 v29, v29, v6, s[82:83]
	v_cmp_neq_f32_e32 vcc, v30, v29
	v_cmp_class_f32_e64 s[0:1], v30, s4
	s_or_b64 s[2:3], vcc, s[0:1]
	v_mov_b32_e32 v6, v25
	s_and_saveexec_b64 s[0:1], s[2:3]
	s_cbranch_execz .LBB391_162
; %bb.161:
	v_sub_f32_e32 v6, v30, v29
	s_mov_b32 s2, 0x3fb8aa3b
	v_mul_f32_e32 v15, 0x3fb8aa3b, v6
	v_fma_f32 v30, v6, s2, -v15
	v_rndne_f32_e32 v31, v15
	v_fmac_f32_e32 v30, 0x32a5705f, v6
	v_sub_f32_e32 v15, v15, v31
	v_add_f32_e32 v15, v15, v30
	v_exp_f32_e32 v15, v15
	v_cvt_i32_f32_e32 v30, v31
	s_mov_b32 s2, 0xc2ce8ed0
	v_cmp_ngt_f32_e32 vcc, s2, v6
	s_mov_b32 s2, 0x42b17218
	v_ldexp_f32 v15, v15, v30
	v_cndmask_b32_e32 v15, 0, v15, vcc
	v_mov_b32_e32 v30, 0x7f800000
	v_cmp_nlt_f32_e32 vcc, s2, v6
	v_cndmask_b32_e32 v44, v30, v15, vcc
	v_add_f32_e32 v6, 1.0, v44
	v_add_f32_e32 v15, -1.0, v6
	v_sub_f32_e32 v30, v15, v6
	v_add_f32_e32 v30, 1.0, v30
	v_sub_f32_e32 v15, v44, v15
	v_add_f32_e32 v15, v15, v30
	v_frexp_mant_f32_e32 v32, v6
	s_mov_b32 s2, 0x3f2aaaab
	v_cvt_f64_f32_e32 v[30:31], v6
	v_frexp_exp_i32_f64_e32 v30, v[30:31]
	v_cmp_gt_f32_e32 vcc, s2, v32
	v_subbrev_co_u32_e32 v38, vcc, 0, v30, vcc
	v_sub_u32_e32 v30, 0, v38
	v_ldexp_f32 v6, v6, v30
	v_ldexp_f32 v15, v15, v30
	v_add_f32_e32 v30, -1.0, v6
	v_add_f32_e32 v31, 1.0, v30
	v_sub_f32_e32 v31, v6, v31
	v_add_f32_e32 v32, v15, v31
	v_add_f32_e32 v31, 1.0, v6
	v_add_f32_e32 v33, -1.0, v31
	v_sub_f32_e32 v6, v6, v33
	v_add_f32_e32 v6, v15, v6
	v_add_f32_e32 v15, v31, v6
	v_rcp_f32_e32 v39, v15
	v_sub_f32_e32 v31, v31, v15
	v_add_f32_e32 v6, v6, v31
	v_add_f32_e32 v31, v30, v32
	v_sub_f32_e32 v30, v30, v31
	v_mul_f32_e32 v41, v31, v39
	v_add_f32_e32 v40, v32, v30
	v_mul_f32_e32 v32, v15, v41
	v_fma_f32 v34, v41, v15, -v32
	v_fmac_f32_e32 v34, v41, v6
	v_add_f32_e32 v30, v32, v34
	v_sub_f32_e32 v33, v31, v30
	v_pk_add_f32 v[36:37], v[30:31], v[32:33] neg_lo:[0,1] neg_hi:[0,1]
	v_mov_b32_e32 v35, v30
	v_pk_add_f32 v[30:31], v[36:37], v[34:35] neg_lo:[0,1] neg_hi:[0,1]
	v_add_f32_e32 v31, v40, v31
	v_add_f32_e32 v30, v30, v31
	;; [unrolled: 1-line block ×3, first 2 shown]
	v_mul_f32_e32 v40, v39, v31
	v_mul_f32_e32 v32, v15, v40
	v_fma_f32 v34, v40, v15, -v32
	v_fmac_f32_e32 v34, v40, v6
	v_sub_f32_e32 v6, v33, v31
	v_add_f32_e32 v6, v30, v6
	v_add_f32_e32 v30, v32, v34
	v_sub_f32_e32 v33, v31, v30
	v_pk_add_f32 v[36:37], v[30:31], v[32:33] neg_lo:[0,1] neg_hi:[0,1]
	v_mov_b32_e32 v35, v30
	v_pk_add_f32 v[30:31], v[36:37], v[34:35] neg_lo:[0,1] neg_hi:[0,1]
	v_add_f32_e32 v6, v6, v31
	v_add_f32_e32 v6, v30, v6
	;; [unrolled: 1-line block ×4, first 2 shown]
	v_sub_f32_e32 v30, v15, v41
	v_mul_f32_e32 v6, v39, v6
	v_sub_f32_e32 v30, v40, v30
	v_add_f32_e32 v6, v30, v6
	v_add_f32_e32 v30, v15, v6
	v_mul_f32_e32 v33, v30, v30
	v_mov_b32_e32 v32, 0x3ecc95a3
	v_fmac_f32_e32 v32, 0x3e9b6dac, v33
	v_mov_b32_e32 v31, 0x3f2aaada
	v_fmac_f32_e32 v31, v33, v32
	v_cvt_f32_i32_e32 v32, v38
	v_sub_f32_e32 v15, v30, v15
	v_ldexp_f32 v35, v30, 1
	v_mul_f32_e32 v33, v30, v33
	v_mov_b32_e32 v30, 0x3f317218
	s_mov_b32 s2, 0x3f317218
	v_pk_mul_f32 v[30:31], v[32:33], v[30:31]
	v_fma_f32 v34, v32, s2, -v30
	v_fmac_f32_e32 v34, 0xb102e308, v32
	v_pk_add_f32 v[32:33], v[30:31], v[34:35]
	v_sub_f32_e32 v6, v6, v15
	v_sub_f32_e32 v15, v33, v35
	v_ldexp_f32 v6, v6, 1
	v_sub_f32_e32 v15, v31, v15
	v_add_f32_e32 v37, v6, v15
	v_mov_b32_e32 v36, v30
	v_pk_add_f32 v[30:31], v[32:33], v[30:31] neg_lo:[0,1] neg_hi:[0,1]
	v_pk_add_f32 v[38:39], v[32:33], v[36:37]
	v_mov_b32_e32 v31, v39
	v_mov_b32_e32 v35, v32
	v_pk_add_f32 v[40:41], v[34:35], v[30:31] neg_lo:[0,1] neg_hi:[0,1]
	v_pk_add_f32 v[30:31], v[34:35], v[30:31]
	v_mov_b32_e32 v6, v31
	v_pk_add_f32 v[34:35], v[6:7], v[32:33] neg_lo:[0,1] neg_hi:[0,1]
	v_mov_b32_e32 v15, v34
	v_pk_add_f32 v[42:43], v[38:39], v[14:15] neg_lo:[0,1] neg_hi:[0,1]
	v_mov_b32_e32 v30, v39
	v_mov_b32_e32 v38, v33
	;; [unrolled: 1-line block ×4, first 2 shown]
	v_pk_add_f32 v[30:31], v[30:31], v[38:39] neg_lo:[0,1] neg_hi:[0,1]
	v_mov_b32_e32 v34, v37
	v_mov_b32_e32 v35, v32
	v_pk_add_f32 v[30:31], v[34:35], v[30:31] neg_lo:[0,1] neg_hi:[0,1]
	v_mov_b32_e32 v42, v40
	v_pk_add_f32 v[32:33], v[42:43], v[30:31]
	v_mov_b32_e32 v34, v33
	v_pk_add_f32 v[34:35], v[32:33], v[34:35]
	v_pk_add_f32 v[36:37], v[6:7], v[34:35]
	v_mov_b32_e32 v33, v36
	v_pk_add_f32 v[38:39], v[32:33], v[40:41] neg_lo:[0,1] neg_hi:[0,1]
	v_mov_b32_e32 v31, v34
	v_sub_f32_e32 v6, v32, v38
	v_pk_add_f32 v[30:31], v[30:31], v[38:39] neg_lo:[0,1] neg_hi:[0,1]
	v_sub_f32_e32 v6, v40, v6
	s_mov_b32 s3, 0x7f800000
	v_add_f32_e32 v6, v30, v6
	s_mov_b32 s2, 0x33800000
	v_add_f32_e32 v6, v6, v31
	v_cmp_eq_f32_e32 vcc, s3, v44
	v_cmp_lt_f32_e64 s[2:3], |v44|, s2
	v_add_f32_e32 v6, v36, v6
	s_or_b64 vcc, vcc, s[2:3]
	v_cndmask_b32_e32 v6, v6, v44, vcc
	v_add_f32_e32 v6, v29, v6
	v_cvt_f16_f32_e32 v31, v6
	v_cvt_f32_f16_e32 v15, v31
	v_mov_b32_e32 v6, v31
.LBB391_162:
	s_or_b64 exec, exec, s[0:1]
	v_max_f32_e32 v29, v26, v26
	v_max_f32_e32 v32, v15, v15
	v_min_f32_e32 v30, v32, v29
	v_cmp_u_f16_e32 vcc, v31, v31
	v_max_f32_e32 v29, v32, v29
	v_cndmask_b32_e32 v30, v30, v15, vcc
	v_cndmask_b32_e32 v29, v29, v15, vcc
	v_cndmask_b32_e64 v30, v30, v26, s[84:85]
	v_cndmask_b32_e64 v29, v29, v26, s[84:85]
	v_cmp_neq_f32_e32 vcc, v30, v29
	v_cmp_class_f32_e64 s[0:1], v30, s4
	s_or_b64 s[2:3], vcc, s[0:1]
	v_mov_b32_e32 v26, v6
	s_and_saveexec_b64 s[0:1], s[2:3]
	s_cbranch_execz .LBB391_164
; %bb.163:
	v_sub_f32_e32 v15, v30, v29
	s_mov_b32 s2, 0x3fb8aa3b
	v_mul_f32_e32 v26, 0x3fb8aa3b, v15
	v_fma_f32 v30, v15, s2, -v26
	v_rndne_f32_e32 v31, v26
	v_fmac_f32_e32 v30, 0x32a5705f, v15
	v_sub_f32_e32 v26, v26, v31
	v_add_f32_e32 v26, v26, v30
	v_exp_f32_e32 v26, v26
	v_cvt_i32_f32_e32 v30, v31
	s_mov_b32 s2, 0xc2ce8ed0
	v_cmp_ngt_f32_e32 vcc, s2, v15
	s_mov_b32 s2, 0x42b17218
	v_ldexp_f32 v26, v26, v30
	v_cndmask_b32_e32 v26, 0, v26, vcc
	v_mov_b32_e32 v30, 0x7f800000
	v_cmp_nlt_f32_e32 vcc, s2, v15
	v_cndmask_b32_e32 v44, v30, v26, vcc
	v_add_f32_e32 v15, 1.0, v44
	v_add_f32_e32 v26, -1.0, v15
	v_sub_f32_e32 v30, v26, v15
	v_add_f32_e32 v30, 1.0, v30
	v_sub_f32_e32 v26, v44, v26
	v_add_f32_e32 v26, v26, v30
	v_frexp_mant_f32_e32 v32, v15
	s_mov_b32 s2, 0x3f2aaaab
	v_cvt_f64_f32_e32 v[30:31], v15
	v_frexp_exp_i32_f64_e32 v30, v[30:31]
	v_cmp_gt_f32_e32 vcc, s2, v32
	v_subbrev_co_u32_e32 v38, vcc, 0, v30, vcc
	v_sub_u32_e32 v30, 0, v38
	v_ldexp_f32 v15, v15, v30
	v_ldexp_f32 v26, v26, v30
	v_add_f32_e32 v30, -1.0, v15
	v_add_f32_e32 v31, 1.0, v30
	v_sub_f32_e32 v31, v15, v31
	v_add_f32_e32 v32, v26, v31
	v_add_f32_e32 v31, 1.0, v15
	v_add_f32_e32 v33, -1.0, v31
	v_sub_f32_e32 v15, v15, v33
	v_add_f32_e32 v15, v26, v15
	v_add_f32_e32 v26, v31, v15
	v_rcp_f32_e32 v39, v26
	v_sub_f32_e32 v31, v31, v26
	v_add_f32_e32 v15, v15, v31
	v_add_f32_e32 v31, v30, v32
	v_sub_f32_e32 v30, v30, v31
	v_mul_f32_e32 v41, v31, v39
	v_add_f32_e32 v40, v32, v30
	v_mul_f32_e32 v32, v26, v41
	v_fma_f32 v34, v41, v26, -v32
	v_fmac_f32_e32 v34, v41, v15
	v_add_f32_e32 v30, v32, v34
	v_sub_f32_e32 v33, v31, v30
	v_pk_add_f32 v[36:37], v[30:31], v[32:33] neg_lo:[0,1] neg_hi:[0,1]
	v_mov_b32_e32 v35, v30
	v_pk_add_f32 v[30:31], v[36:37], v[34:35] neg_lo:[0,1] neg_hi:[0,1]
	v_add_f32_e32 v31, v40, v31
	v_add_f32_e32 v30, v30, v31
	;; [unrolled: 1-line block ×3, first 2 shown]
	v_mul_f32_e32 v40, v39, v31
	v_mul_f32_e32 v32, v26, v40
	v_fma_f32 v34, v40, v26, -v32
	v_fmac_f32_e32 v34, v40, v15
	v_sub_f32_e32 v15, v33, v31
	v_add_f32_e32 v15, v30, v15
	v_add_f32_e32 v30, v32, v34
	v_sub_f32_e32 v33, v31, v30
	v_pk_add_f32 v[36:37], v[30:31], v[32:33] neg_lo:[0,1] neg_hi:[0,1]
	v_mov_b32_e32 v35, v30
	v_pk_add_f32 v[30:31], v[36:37], v[34:35] neg_lo:[0,1] neg_hi:[0,1]
	v_add_f32_e32 v15, v15, v31
	v_add_f32_e32 v15, v30, v15
	;; [unrolled: 1-line block ×4, first 2 shown]
	v_sub_f32_e32 v30, v26, v41
	v_mul_f32_e32 v15, v39, v15
	v_sub_f32_e32 v30, v40, v30
	v_add_f32_e32 v15, v30, v15
	v_add_f32_e32 v30, v26, v15
	v_mul_f32_e32 v33, v30, v30
	v_mov_b32_e32 v32, 0x3ecc95a3
	v_fmac_f32_e32 v32, 0x3e9b6dac, v33
	v_mov_b32_e32 v31, 0x3f2aaada
	v_fmac_f32_e32 v31, v33, v32
	v_cvt_f32_i32_e32 v32, v38
	v_sub_f32_e32 v26, v30, v26
	v_ldexp_f32 v35, v30, 1
	v_mul_f32_e32 v33, v30, v33
	v_mov_b32_e32 v30, 0x3f317218
	s_mov_b32 s2, 0x3f317218
	v_pk_mul_f32 v[30:31], v[32:33], v[30:31]
	v_fma_f32 v34, v32, s2, -v30
	v_fmac_f32_e32 v34, 0xb102e308, v32
	v_pk_add_f32 v[32:33], v[30:31], v[34:35]
	v_sub_f32_e32 v15, v15, v26
	v_sub_f32_e32 v26, v33, v35
	v_ldexp_f32 v15, v15, 1
	v_sub_f32_e32 v26, v31, v26
	v_add_f32_e32 v37, v15, v26
	v_mov_b32_e32 v36, v30
	v_pk_add_f32 v[30:31], v[32:33], v[30:31] neg_lo:[0,1] neg_hi:[0,1]
	v_pk_add_f32 v[38:39], v[32:33], v[36:37]
	v_mov_b32_e32 v31, v39
	v_mov_b32_e32 v35, v32
	v_pk_add_f32 v[40:41], v[34:35], v[30:31] neg_lo:[0,1] neg_hi:[0,1]
	v_pk_add_f32 v[30:31], v[34:35], v[30:31]
	v_mov_b32_e32 v26, v31
	v_pk_add_f32 v[34:35], v[26:27], v[32:33] neg_lo:[0,1] neg_hi:[0,1]
	v_mov_b32_e32 v15, v34
	v_pk_add_f32 v[42:43], v[38:39], v[14:15] neg_lo:[0,1] neg_hi:[0,1]
	v_mov_b32_e32 v30, v39
	v_mov_b32_e32 v38, v33
	;; [unrolled: 1-line block ×4, first 2 shown]
	v_pk_add_f32 v[30:31], v[30:31], v[38:39] neg_lo:[0,1] neg_hi:[0,1]
	v_mov_b32_e32 v34, v37
	v_mov_b32_e32 v35, v32
	v_pk_add_f32 v[30:31], v[34:35], v[30:31] neg_lo:[0,1] neg_hi:[0,1]
	v_mov_b32_e32 v42, v40
	v_pk_add_f32 v[32:33], v[42:43], v[30:31]
	v_mov_b32_e32 v34, v33
	v_pk_add_f32 v[34:35], v[32:33], v[34:35]
	v_pk_add_f32 v[36:37], v[26:27], v[34:35]
	v_mov_b32_e32 v33, v36
	v_pk_add_f32 v[38:39], v[32:33], v[40:41] neg_lo:[0,1] neg_hi:[0,1]
	v_mov_b32_e32 v31, v34
	v_sub_f32_e32 v15, v32, v38
	v_pk_add_f32 v[30:31], v[30:31], v[38:39] neg_lo:[0,1] neg_hi:[0,1]
	v_sub_f32_e32 v15, v40, v15
	s_mov_b32 s3, 0x7f800000
	v_add_f32_e32 v15, v30, v15
	s_mov_b32 s2, 0x33800000
	v_add_f32_e32 v15, v15, v31
	v_cmp_eq_f32_e32 vcc, s3, v44
	v_cmp_lt_f32_e64 s[2:3], |v44|, s2
	v_add_f32_e32 v15, v36, v15
	s_or_b64 vcc, vcc, s[2:3]
	v_cndmask_b32_e32 v15, v15, v44, vcc
	v_add_f32_e32 v15, v29, v15
	v_cvt_f16_f32_e32 v31, v15
	v_cvt_f32_f16_e32 v15, v31
	v_mov_b32_e32 v26, v31
.LBB391_164:
	s_or_b64 exec, exec, s[0:1]
	v_max_f32_e32 v29, v7, v7
	v_max_f32_e32 v32, v15, v15
	v_min_f32_e32 v30, v32, v29
	v_cmp_u_f16_e32 vcc, v31, v31
	v_max_f32_e32 v29, v32, v29
	v_cndmask_b32_e32 v30, v30, v15, vcc
	v_cndmask_b32_e32 v29, v29, v15, vcc
	v_cndmask_b32_e64 v30, v30, v7, s[86:87]
	v_cndmask_b32_e64 v29, v29, v7, s[86:87]
	v_cmp_neq_f32_e32 vcc, v30, v29
	v_cmp_class_f32_e64 s[0:1], v30, s4
	s_or_b64 s[2:3], vcc, s[0:1]
	v_mov_b32_e32 v7, v26
	s_and_saveexec_b64 s[0:1], s[2:3]
	s_cbranch_execz .LBB391_166
; %bb.165:
	v_sub_f32_e32 v7, v30, v29
	s_mov_b32 s2, 0x3fb8aa3b
	v_mul_f32_e32 v15, 0x3fb8aa3b, v7
	v_fma_f32 v30, v7, s2, -v15
	v_rndne_f32_e32 v31, v15
	v_fmac_f32_e32 v30, 0x32a5705f, v7
	v_sub_f32_e32 v15, v15, v31
	v_add_f32_e32 v15, v15, v30
	v_exp_f32_e32 v15, v15
	v_cvt_i32_f32_e32 v30, v31
	s_mov_b32 s2, 0xc2ce8ed0
	v_cmp_ngt_f32_e32 vcc, s2, v7
	s_mov_b32 s2, 0x42b17218
	v_ldexp_f32 v15, v15, v30
	v_cndmask_b32_e32 v15, 0, v15, vcc
	v_mov_b32_e32 v30, 0x7f800000
	v_cmp_nlt_f32_e32 vcc, s2, v7
	v_cndmask_b32_e32 v15, v30, v15, vcc
	v_add_f32_e32 v7, 1.0, v15
	v_add_f32_e32 v30, -1.0, v7
	v_sub_f32_e32 v31, v30, v7
	v_add_f32_e32 v31, 1.0, v31
	v_sub_f32_e32 v30, v15, v30
	v_add_f32_e32 v32, v30, v31
	v_frexp_mant_f32_e32 v33, v7
	s_mov_b32 s2, 0x3f2aaaab
	v_cvt_f64_f32_e32 v[30:31], v7
	v_frexp_exp_i32_f64_e32 v30, v[30:31]
	v_cmp_gt_f32_e32 vcc, s2, v33
	v_subbrev_co_u32_e32 v38, vcc, 0, v30, vcc
	v_sub_u32_e32 v30, 0, v38
	v_ldexp_f32 v7, v7, v30
	v_ldexp_f32 v30, v32, v30
	v_add_f32_e32 v32, -1.0, v7
	v_add_f32_e32 v31, 1.0, v32
	v_sub_f32_e32 v31, v7, v31
	v_add_f32_e32 v33, v30, v31
	v_add_f32_e32 v31, 1.0, v7
	v_add_f32_e32 v34, -1.0, v31
	v_sub_f32_e32 v7, v7, v34
	v_add_f32_e32 v7, v30, v7
	v_add_f32_e32 v39, v31, v7
	v_rcp_f32_e32 v40, v39
	v_sub_f32_e32 v30, v31, v39
	v_add_f32_e32 v31, v32, v33
	v_add_f32_e32 v7, v7, v30
	v_mul_f32_e32 v42, v31, v40
	v_sub_f32_e32 v30, v32, v31
	v_mul_f32_e32 v32, v39, v42
	v_fma_f32 v34, v42, v39, -v32
	v_fmac_f32_e32 v34, v42, v7
	v_add_f32_e32 v41, v33, v30
	v_add_f32_e32 v30, v32, v34
	v_sub_f32_e32 v33, v31, v30
	v_pk_add_f32 v[36:37], v[30:31], v[32:33] neg_lo:[0,1] neg_hi:[0,1]
	v_mov_b32_e32 v35, v30
	v_pk_add_f32 v[30:31], v[36:37], v[34:35] neg_lo:[0,1] neg_hi:[0,1]
	v_add_f32_e32 v31, v41, v31
	v_add_f32_e32 v30, v30, v31
	v_add_f32_e32 v31, v33, v30
	v_mul_f32_e32 v41, v40, v31
	v_mul_f32_e32 v32, v39, v41
	v_fma_f32 v34, v41, v39, -v32
	v_fmac_f32_e32 v34, v41, v7
	v_sub_f32_e32 v7, v33, v31
	v_add_f32_e32 v7, v30, v7
	v_add_f32_e32 v30, v32, v34
	v_sub_f32_e32 v33, v31, v30
	v_pk_add_f32 v[36:37], v[30:31], v[32:33] neg_lo:[0,1] neg_hi:[0,1]
	v_mov_b32_e32 v35, v30
	v_pk_add_f32 v[30:31], v[36:37], v[34:35] neg_lo:[0,1] neg_hi:[0,1]
	v_add_f32_e32 v7, v7, v31
	v_add_f32_e32 v7, v30, v7
	;; [unrolled: 1-line block ×4, first 2 shown]
	v_sub_f32_e32 v31, v30, v42
	v_mul_f32_e32 v7, v40, v7
	v_sub_f32_e32 v31, v41, v31
	v_add_f32_e32 v7, v31, v7
	v_add_f32_e32 v33, v30, v7
	v_mul_f32_e32 v34, v33, v33
	v_mov_b32_e32 v32, 0x3ecc95a3
	v_fmac_f32_e32 v32, 0x3e9b6dac, v34
	v_mov_b32_e32 v31, 0x3f2aaada
	v_fmac_f32_e32 v31, v34, v32
	v_cvt_f32_i32_e32 v32, v38
	v_sub_f32_e32 v30, v33, v30
	v_sub_f32_e32 v7, v7, v30
	v_ldexp_f32 v35, v33, 1
	v_mul_f32_e32 v33, v33, v34
	v_mov_b32_e32 v30, 0x3f317218
	s_mov_b32 s2, 0x3f317218
	v_pk_mul_f32 v[30:31], v[32:33], v[30:31]
	v_fma_f32 v34, v32, s2, -v30
	v_fmac_f32_e32 v34, 0xb102e308, v32
	v_pk_add_f32 v[32:33], v[30:31], v[34:35]
	v_sub_f32_e32 v35, v33, v35
	v_ldexp_f32 v7, v7, 1
	v_sub_f32_e32 v35, v31, v35
	v_add_f32_e32 v37, v7, v35
	v_mov_b32_e32 v36, v30
	v_pk_add_f32 v[30:31], v[32:33], v[30:31] neg_lo:[0,1] neg_hi:[0,1]
	v_pk_add_f32 v[38:39], v[32:33], v[36:37]
	v_mov_b32_e32 v31, v39
	v_mov_b32_e32 v35, v32
	v_pk_add_f32 v[40:41], v[34:35], v[30:31] neg_lo:[0,1] neg_hi:[0,1]
	v_pk_add_f32 v[30:31], v[34:35], v[30:31]
	v_mov_b32_e32 v34, v31
	v_pk_add_f32 v[42:43], v[34:35], v[32:33] neg_lo:[0,1] neg_hi:[0,1]
	v_mov_b32_e32 v7, v42
	v_pk_add_f32 v[44:45], v[38:39], v[6:7] neg_lo:[0,1] neg_hi:[0,1]
	v_mov_b32_e32 v30, v39
	v_mov_b32_e32 v38, v33
	;; [unrolled: 1-line block ×4, first 2 shown]
	v_pk_add_f32 v[30:31], v[30:31], v[38:39] neg_lo:[0,1] neg_hi:[0,1]
	v_mov_b32_e32 v36, v37
	v_mov_b32_e32 v37, v32
	v_pk_add_f32 v[30:31], v[36:37], v[30:31] neg_lo:[0,1] neg_hi:[0,1]
	v_mov_b32_e32 v44, v40
	v_pk_add_f32 v[32:33], v[44:45], v[30:31]
	v_mov_b32_e32 v36, v33
	v_pk_add_f32 v[36:37], v[32:33], v[36:37]
	v_pk_add_f32 v[34:35], v[34:35], v[36:37]
	v_mov_b32_e32 v33, v34
	v_pk_add_f32 v[38:39], v[32:33], v[40:41] neg_lo:[0,1] neg_hi:[0,1]
	v_mov_b32_e32 v31, v36
	v_sub_f32_e32 v7, v32, v38
	v_pk_add_f32 v[30:31], v[30:31], v[38:39] neg_lo:[0,1] neg_hi:[0,1]
	v_sub_f32_e32 v7, v40, v7
	s_mov_b32 s3, 0x7f800000
	v_add_f32_e32 v7, v30, v7
	s_mov_b32 s2, 0x33800000
	v_add_f32_e32 v7, v7, v31
	v_cmp_eq_f32_e32 vcc, s3, v15
	v_cmp_lt_f32_e64 s[2:3], |v15|, s2
	v_add_f32_e32 v7, v34, v7
	s_or_b64 vcc, vcc, s[2:3]
	v_cndmask_b32_e32 v7, v7, v15, vcc
	v_add_f32_e32 v7, v29, v7
	v_cvt_f16_f32_e32 v31, v7
	v_cvt_f32_f16_e32 v15, v31
	v_mov_b32_e32 v7, v31
.LBB391_166:
	s_or_b64 exec, exec, s[0:1]
	v_max_f32_e32 v29, v27, v27
	v_max_f32_e32 v32, v15, v15
	v_min_f32_e32 v30, v32, v29
	v_cmp_u_f16_e32 vcc, v31, v31
	v_max_f32_e32 v29, v32, v29
	v_cndmask_b32_e32 v30, v30, v15, vcc
	v_cndmask_b32_e32 v29, v29, v15, vcc
	v_cndmask_b32_e64 v30, v30, v27, s[88:89]
	v_cndmask_b32_e64 v29, v29, v27, s[88:89]
	v_cmp_neq_f32_e32 vcc, v30, v29
	v_cmp_class_f32_e64 s[0:1], v30, s4
	s_or_b64 s[2:3], vcc, s[0:1]
	v_mov_b32_e32 v27, v7
	s_and_saveexec_b64 s[0:1], s[2:3]
	s_cbranch_execz .LBB391_168
; %bb.167:
	v_sub_f32_e32 v15, v30, v29
	s_mov_b32 s2, 0x3fb8aa3b
	v_mul_f32_e32 v27, 0x3fb8aa3b, v15
	v_fma_f32 v30, v15, s2, -v27
	v_rndne_f32_e32 v31, v27
	v_fmac_f32_e32 v30, 0x32a5705f, v15
	v_sub_f32_e32 v27, v27, v31
	v_add_f32_e32 v27, v27, v30
	v_exp_f32_e32 v27, v27
	v_cvt_i32_f32_e32 v30, v31
	s_mov_b32 s2, 0xc2ce8ed0
	v_cmp_ngt_f32_e32 vcc, s2, v15
	s_mov_b32 s2, 0x42b17218
	v_ldexp_f32 v27, v27, v30
	v_cndmask_b32_e32 v27, 0, v27, vcc
	v_mov_b32_e32 v30, 0x7f800000
	v_cmp_nlt_f32_e32 vcc, s2, v15
	v_cndmask_b32_e32 v27, v30, v27, vcc
	v_add_f32_e32 v15, 1.0, v27
	v_add_f32_e32 v30, -1.0, v15
	v_sub_f32_e32 v31, v30, v15
	v_add_f32_e32 v31, 1.0, v31
	v_sub_f32_e32 v30, v27, v30
	v_add_f32_e32 v32, v30, v31
	v_frexp_mant_f32_e32 v33, v15
	s_mov_b32 s2, 0x3f2aaaab
	v_cvt_f64_f32_e32 v[30:31], v15
	v_frexp_exp_i32_f64_e32 v30, v[30:31]
	v_cmp_gt_f32_e32 vcc, s2, v33
	v_subbrev_co_u32_e32 v38, vcc, 0, v30, vcc
	v_sub_u32_e32 v30, 0, v38
	v_ldexp_f32 v15, v15, v30
	v_ldexp_f32 v30, v32, v30
	v_add_f32_e32 v32, -1.0, v15
	v_add_f32_e32 v31, 1.0, v32
	v_sub_f32_e32 v31, v15, v31
	v_add_f32_e32 v33, v30, v31
	v_add_f32_e32 v31, 1.0, v15
	v_add_f32_e32 v34, -1.0, v31
	v_sub_f32_e32 v15, v15, v34
	v_add_f32_e32 v15, v30, v15
	v_add_f32_e32 v39, v31, v15
	v_rcp_f32_e32 v40, v39
	v_sub_f32_e32 v30, v31, v39
	v_add_f32_e32 v31, v32, v33
	v_add_f32_e32 v15, v15, v30
	v_mul_f32_e32 v42, v31, v40
	v_sub_f32_e32 v30, v32, v31
	v_mul_f32_e32 v32, v39, v42
	v_fma_f32 v34, v42, v39, -v32
	v_fmac_f32_e32 v34, v42, v15
	v_add_f32_e32 v41, v33, v30
	v_add_f32_e32 v30, v32, v34
	v_sub_f32_e32 v33, v31, v30
	v_pk_add_f32 v[36:37], v[30:31], v[32:33] neg_lo:[0,1] neg_hi:[0,1]
	v_mov_b32_e32 v35, v30
	v_pk_add_f32 v[30:31], v[36:37], v[34:35] neg_lo:[0,1] neg_hi:[0,1]
	v_add_f32_e32 v31, v41, v31
	v_add_f32_e32 v30, v30, v31
	v_add_f32_e32 v31, v33, v30
	v_mul_f32_e32 v41, v40, v31
	v_mul_f32_e32 v32, v39, v41
	v_fma_f32 v34, v41, v39, -v32
	v_fmac_f32_e32 v34, v41, v15
	v_sub_f32_e32 v15, v33, v31
	v_add_f32_e32 v15, v30, v15
	v_add_f32_e32 v30, v32, v34
	v_sub_f32_e32 v33, v31, v30
	v_pk_add_f32 v[36:37], v[30:31], v[32:33] neg_lo:[0,1] neg_hi:[0,1]
	v_mov_b32_e32 v35, v30
	v_pk_add_f32 v[30:31], v[36:37], v[34:35] neg_lo:[0,1] neg_hi:[0,1]
	v_add_f32_e32 v15, v15, v31
	v_add_f32_e32 v15, v30, v15
	;; [unrolled: 1-line block ×4, first 2 shown]
	v_sub_f32_e32 v31, v30, v42
	v_mul_f32_e32 v15, v40, v15
	v_sub_f32_e32 v31, v41, v31
	v_add_f32_e32 v15, v31, v15
	v_add_f32_e32 v33, v30, v15
	v_mul_f32_e32 v34, v33, v33
	v_mov_b32_e32 v32, 0x3ecc95a3
	v_fmac_f32_e32 v32, 0x3e9b6dac, v34
	v_mov_b32_e32 v31, 0x3f2aaada
	v_fmac_f32_e32 v31, v34, v32
	v_cvt_f32_i32_e32 v32, v38
	v_sub_f32_e32 v30, v33, v30
	v_sub_f32_e32 v15, v15, v30
	v_ldexp_f32 v35, v33, 1
	v_mul_f32_e32 v33, v33, v34
	v_mov_b32_e32 v30, 0x3f317218
	s_mov_b32 s2, 0x3f317218
	v_pk_mul_f32 v[30:31], v[32:33], v[30:31]
	v_fma_f32 v34, v32, s2, -v30
	v_fmac_f32_e32 v34, 0xb102e308, v32
	v_pk_add_f32 v[32:33], v[30:31], v[34:35]
	v_sub_f32_e32 v35, v33, v35
	v_ldexp_f32 v15, v15, 1
	v_sub_f32_e32 v35, v31, v35
	v_add_f32_e32 v37, v15, v35
	v_mov_b32_e32 v36, v30
	v_pk_add_f32 v[30:31], v[32:33], v[30:31] neg_lo:[0,1] neg_hi:[0,1]
	v_pk_add_f32 v[38:39], v[32:33], v[36:37]
	v_mov_b32_e32 v31, v39
	v_mov_b32_e32 v35, v32
	v_pk_add_f32 v[40:41], v[34:35], v[30:31] neg_lo:[0,1] neg_hi:[0,1]
	v_pk_add_f32 v[30:31], v[34:35], v[30:31]
	v_mov_b32_e32 v34, v31
	v_pk_add_f32 v[42:43], v[34:35], v[32:33] neg_lo:[0,1] neg_hi:[0,1]
	v_mov_b32_e32 v15, v42
	v_pk_add_f32 v[44:45], v[38:39], v[14:15] neg_lo:[0,1] neg_hi:[0,1]
	v_mov_b32_e32 v30, v39
	v_mov_b32_e32 v38, v33
	;; [unrolled: 1-line block ×4, first 2 shown]
	v_pk_add_f32 v[30:31], v[30:31], v[38:39] neg_lo:[0,1] neg_hi:[0,1]
	v_mov_b32_e32 v36, v37
	v_mov_b32_e32 v37, v32
	v_pk_add_f32 v[30:31], v[36:37], v[30:31] neg_lo:[0,1] neg_hi:[0,1]
	v_mov_b32_e32 v44, v40
	v_pk_add_f32 v[32:33], v[44:45], v[30:31]
	v_mov_b32_e32 v36, v33
	v_pk_add_f32 v[36:37], v[32:33], v[36:37]
	v_pk_add_f32 v[34:35], v[34:35], v[36:37]
	v_mov_b32_e32 v33, v34
	v_pk_add_f32 v[38:39], v[32:33], v[40:41] neg_lo:[0,1] neg_hi:[0,1]
	v_mov_b32_e32 v31, v36
	v_sub_f32_e32 v15, v32, v38
	v_pk_add_f32 v[30:31], v[30:31], v[38:39] neg_lo:[0,1] neg_hi:[0,1]
	v_sub_f32_e32 v15, v40, v15
	s_mov_b32 s3, 0x7f800000
	v_add_f32_e32 v15, v30, v15
	s_mov_b32 s2, 0x33800000
	v_add_f32_e32 v15, v15, v31
	v_cmp_eq_f32_e32 vcc, s3, v27
	v_cmp_lt_f32_e64 s[2:3], |v27|, s2
	v_add_f32_e32 v15, v34, v15
	s_or_b64 vcc, vcc, s[2:3]
	v_cndmask_b32_e32 v15, v15, v27, vcc
	v_add_f32_e32 v15, v29, v15
	v_cvt_f16_f32_e32 v31, v15
	v_cvt_f32_f16_e32 v15, v31
	v_mov_b32_e32 v27, v31
.LBB391_168:
	s_or_b64 exec, exec, s[0:1]
	v_max_f32_e32 v29, v8, v8
	v_max_f32_e32 v32, v15, v15
	v_min_f32_e32 v30, v32, v29
	v_cmp_u_f16_e32 vcc, v31, v31
	v_max_f32_e32 v29, v32, v29
	v_cndmask_b32_e32 v30, v30, v15, vcc
	v_cndmask_b32_e32 v29, v29, v15, vcc
	v_cndmask_b32_e64 v30, v30, v8, s[90:91]
	v_cndmask_b32_e64 v29, v29, v8, s[90:91]
	v_cmp_neq_f32_e32 vcc, v30, v29
	v_cmp_class_f32_e64 s[0:1], v30, s4
	s_or_b64 s[2:3], vcc, s[0:1]
	v_mov_b32_e32 v8, v27
	s_and_saveexec_b64 s[0:1], s[2:3]
	s_cbranch_execz .LBB391_170
; %bb.169:
	v_sub_f32_e32 v8, v30, v29
	s_mov_b32 s2, 0x3fb8aa3b
	v_mul_f32_e32 v15, 0x3fb8aa3b, v8
	v_fma_f32 v30, v8, s2, -v15
	v_rndne_f32_e32 v31, v15
	v_fmac_f32_e32 v30, 0x32a5705f, v8
	v_sub_f32_e32 v15, v15, v31
	v_add_f32_e32 v15, v15, v30
	v_exp_f32_e32 v15, v15
	v_cvt_i32_f32_e32 v30, v31
	s_mov_b32 s2, 0xc2ce8ed0
	v_cmp_ngt_f32_e32 vcc, s2, v8
	s_mov_b32 s2, 0x42b17218
	v_ldexp_f32 v15, v15, v30
	v_cndmask_b32_e32 v15, 0, v15, vcc
	v_mov_b32_e32 v30, 0x7f800000
	v_cmp_nlt_f32_e32 vcc, s2, v8
	v_cndmask_b32_e32 v44, v30, v15, vcc
	v_add_f32_e32 v8, 1.0, v44
	v_add_f32_e32 v15, -1.0, v8
	v_sub_f32_e32 v30, v15, v8
	v_add_f32_e32 v30, 1.0, v30
	v_sub_f32_e32 v15, v44, v15
	v_add_f32_e32 v15, v15, v30
	v_frexp_mant_f32_e32 v32, v8
	s_mov_b32 s2, 0x3f2aaaab
	v_cvt_f64_f32_e32 v[30:31], v8
	v_frexp_exp_i32_f64_e32 v30, v[30:31]
	v_cmp_gt_f32_e32 vcc, s2, v32
	v_subbrev_co_u32_e32 v38, vcc, 0, v30, vcc
	v_sub_u32_e32 v30, 0, v38
	v_ldexp_f32 v8, v8, v30
	v_ldexp_f32 v15, v15, v30
	v_add_f32_e32 v30, -1.0, v8
	v_add_f32_e32 v31, 1.0, v30
	v_sub_f32_e32 v31, v8, v31
	v_add_f32_e32 v32, v15, v31
	v_add_f32_e32 v31, 1.0, v8
	v_add_f32_e32 v33, -1.0, v31
	v_sub_f32_e32 v8, v8, v33
	v_add_f32_e32 v8, v15, v8
	v_add_f32_e32 v15, v31, v8
	v_rcp_f32_e32 v39, v15
	v_sub_f32_e32 v31, v31, v15
	v_add_f32_e32 v8, v8, v31
	v_add_f32_e32 v31, v30, v32
	v_sub_f32_e32 v30, v30, v31
	v_mul_f32_e32 v41, v31, v39
	v_add_f32_e32 v40, v32, v30
	v_mul_f32_e32 v32, v15, v41
	v_fma_f32 v34, v41, v15, -v32
	v_fmac_f32_e32 v34, v41, v8
	v_add_f32_e32 v30, v32, v34
	v_sub_f32_e32 v33, v31, v30
	v_pk_add_f32 v[36:37], v[30:31], v[32:33] neg_lo:[0,1] neg_hi:[0,1]
	v_mov_b32_e32 v35, v30
	v_pk_add_f32 v[30:31], v[36:37], v[34:35] neg_lo:[0,1] neg_hi:[0,1]
	v_add_f32_e32 v31, v40, v31
	v_add_f32_e32 v30, v30, v31
	;; [unrolled: 1-line block ×3, first 2 shown]
	v_mul_f32_e32 v40, v39, v31
	v_mul_f32_e32 v32, v15, v40
	v_fma_f32 v34, v40, v15, -v32
	v_fmac_f32_e32 v34, v40, v8
	v_sub_f32_e32 v8, v33, v31
	v_add_f32_e32 v8, v30, v8
	v_add_f32_e32 v30, v32, v34
	v_sub_f32_e32 v33, v31, v30
	v_pk_add_f32 v[36:37], v[30:31], v[32:33] neg_lo:[0,1] neg_hi:[0,1]
	v_mov_b32_e32 v35, v30
	v_pk_add_f32 v[30:31], v[36:37], v[34:35] neg_lo:[0,1] neg_hi:[0,1]
	v_add_f32_e32 v8, v8, v31
	v_add_f32_e32 v8, v30, v8
	;; [unrolled: 1-line block ×4, first 2 shown]
	v_sub_f32_e32 v30, v15, v41
	v_mul_f32_e32 v8, v39, v8
	v_sub_f32_e32 v30, v40, v30
	v_add_f32_e32 v8, v30, v8
	v_add_f32_e32 v30, v15, v8
	v_mul_f32_e32 v33, v30, v30
	v_mov_b32_e32 v32, 0x3ecc95a3
	v_fmac_f32_e32 v32, 0x3e9b6dac, v33
	v_mov_b32_e32 v31, 0x3f2aaada
	v_fmac_f32_e32 v31, v33, v32
	v_cvt_f32_i32_e32 v32, v38
	v_sub_f32_e32 v15, v30, v15
	v_ldexp_f32 v35, v30, 1
	v_mul_f32_e32 v33, v30, v33
	v_mov_b32_e32 v30, 0x3f317218
	s_mov_b32 s2, 0x3f317218
	v_pk_mul_f32 v[30:31], v[32:33], v[30:31]
	v_fma_f32 v34, v32, s2, -v30
	v_fmac_f32_e32 v34, 0xb102e308, v32
	v_pk_add_f32 v[32:33], v[30:31], v[34:35]
	v_sub_f32_e32 v8, v8, v15
	v_sub_f32_e32 v15, v33, v35
	v_ldexp_f32 v8, v8, 1
	v_sub_f32_e32 v15, v31, v15
	v_add_f32_e32 v37, v8, v15
	v_mov_b32_e32 v36, v30
	v_pk_add_f32 v[30:31], v[32:33], v[30:31] neg_lo:[0,1] neg_hi:[0,1]
	v_pk_add_f32 v[38:39], v[32:33], v[36:37]
	v_mov_b32_e32 v31, v39
	v_mov_b32_e32 v35, v32
	v_pk_add_f32 v[40:41], v[34:35], v[30:31] neg_lo:[0,1] neg_hi:[0,1]
	v_pk_add_f32 v[30:31], v[34:35], v[30:31]
	v_mov_b32_e32 v8, v31
	v_pk_add_f32 v[34:35], v[8:9], v[32:33] neg_lo:[0,1] neg_hi:[0,1]
	v_mov_b32_e32 v15, v34
	v_pk_add_f32 v[42:43], v[38:39], v[14:15] neg_lo:[0,1] neg_hi:[0,1]
	v_mov_b32_e32 v30, v39
	v_mov_b32_e32 v38, v33
	;; [unrolled: 1-line block ×4, first 2 shown]
	v_pk_add_f32 v[30:31], v[30:31], v[38:39] neg_lo:[0,1] neg_hi:[0,1]
	v_mov_b32_e32 v34, v37
	v_mov_b32_e32 v35, v32
	v_pk_add_f32 v[30:31], v[34:35], v[30:31] neg_lo:[0,1] neg_hi:[0,1]
	v_mov_b32_e32 v42, v40
	v_pk_add_f32 v[32:33], v[42:43], v[30:31]
	v_mov_b32_e32 v34, v33
	v_pk_add_f32 v[34:35], v[32:33], v[34:35]
	v_pk_add_f32 v[36:37], v[8:9], v[34:35]
	v_mov_b32_e32 v33, v36
	v_pk_add_f32 v[38:39], v[32:33], v[40:41] neg_lo:[0,1] neg_hi:[0,1]
	v_mov_b32_e32 v31, v34
	v_sub_f32_e32 v8, v32, v38
	v_pk_add_f32 v[30:31], v[30:31], v[38:39] neg_lo:[0,1] neg_hi:[0,1]
	v_sub_f32_e32 v8, v40, v8
	s_mov_b32 s3, 0x7f800000
	v_add_f32_e32 v8, v30, v8
	s_mov_b32 s2, 0x33800000
	v_add_f32_e32 v8, v8, v31
	v_cmp_eq_f32_e32 vcc, s3, v44
	v_cmp_lt_f32_e64 s[2:3], |v44|, s2
	v_add_f32_e32 v8, v36, v8
	s_or_b64 vcc, vcc, s[2:3]
	v_cndmask_b32_e32 v8, v8, v44, vcc
	v_add_f32_e32 v8, v29, v8
	v_cvt_f16_f32_e32 v31, v8
	v_cvt_f32_f16_e32 v15, v31
	v_mov_b32_e32 v8, v31
.LBB391_170:
	s_or_b64 exec, exec, s[0:1]
	v_max_f32_e32 v30, v28, v28
	v_max_f32_e32 v32, v15, v15
	v_min_f32_e32 v29, v32, v30
	v_cmp_u_f16_e32 vcc, v31, v31
	v_max_f32_e32 v30, v32, v30
	v_cndmask_b32_e32 v29, v29, v15, vcc
	v_cndmask_b32_e32 v15, v30, v15, vcc
	v_cndmask_b32_e64 v29, v29, v28, s[92:93]
	v_cndmask_b32_e64 v15, v15, v28, s[92:93]
	s_movk_i32 s0, 0x1f8
	v_cmp_neq_f32_e32 vcc, v29, v15
	v_cmp_class_f32_e64 s[0:1], v29, s0
	s_or_b64 s[2:3], vcc, s[0:1]
	v_mov_b32_e32 v28, v8
	s_and_saveexec_b64 s[0:1], s[2:3]
	s_cbranch_execz .LBB391_172
; %bb.171:
	v_sub_f32_e32 v28, v29, v15
	s_mov_b32 s2, 0x3fb8aa3b
	v_mul_f32_e32 v29, 0x3fb8aa3b, v28
	v_fma_f32 v30, v28, s2, -v29
	v_rndne_f32_e32 v31, v29
	v_fmac_f32_e32 v30, 0x32a5705f, v28
	v_sub_f32_e32 v29, v29, v31
	v_add_f32_e32 v29, v29, v30
	v_exp_f32_e32 v29, v29
	v_cvt_i32_f32_e32 v30, v31
	s_mov_b32 s2, 0xc2ce8ed0
	v_cmp_ngt_f32_e32 vcc, s2, v28
	s_mov_b32 s2, 0x42b17218
	v_ldexp_f32 v29, v29, v30
	v_cndmask_b32_e32 v29, 0, v29, vcc
	v_mov_b32_e32 v30, 0x7f800000
	v_cmp_nlt_f32_e32 vcc, s2, v28
	v_cndmask_b32_e32 v44, v30, v29, vcc
	v_add_f32_e32 v30, 1.0, v44
	v_add_f32_e32 v28, -1.0, v30
	v_sub_f32_e32 v29, v28, v30
	v_add_f32_e32 v29, 1.0, v29
	v_sub_f32_e32 v28, v44, v28
	v_add_f32_e32 v31, v28, v29
	v_frexp_mant_f32_e32 v32, v30
	s_mov_b32 s2, 0x3f2aaaab
	v_cvt_f64_f32_e32 v[28:29], v30
	v_frexp_exp_i32_f64_e32 v28, v[28:29]
	v_cmp_gt_f32_e32 vcc, s2, v32
	v_subbrev_co_u32_e32 v36, vcc, 0, v28, vcc
	v_sub_u32_e32 v28, 0, v36
	v_ldexp_f32 v29, v30, v28
	v_add_f32_e32 v30, -1.0, v29
	v_add_f32_e32 v32, 1.0, v29
	v_ldexp_f32 v28, v31, v28
	v_add_f32_e32 v31, 1.0, v30
	v_add_f32_e32 v33, -1.0, v32
	v_sub_f32_e32 v31, v29, v31
	v_sub_f32_e32 v29, v29, v33
	v_add_f32_e32 v31, v28, v31
	v_add_f32_e32 v28, v28, v29
	;; [unrolled: 1-line block ×3, first 2 shown]
	v_rcp_f32_e32 v39, v37
	v_sub_f32_e32 v29, v32, v37
	v_add_f32_e32 v38, v28, v29
	v_add_f32_e32 v29, v30, v31
	v_mul_f32_e32 v41, v29, v39
	v_sub_f32_e32 v28, v30, v29
	v_mul_f32_e32 v30, v37, v41
	v_fma_f32 v32, v41, v37, -v30
	v_fmac_f32_e32 v32, v41, v38
	v_add_f32_e32 v40, v31, v28
	v_add_f32_e32 v28, v30, v32
	v_sub_f32_e32 v31, v29, v28
	v_pk_add_f32 v[34:35], v[28:29], v[30:31] neg_lo:[0,1] neg_hi:[0,1]
	v_mov_b32_e32 v33, v28
	v_pk_add_f32 v[28:29], v[34:35], v[32:33] neg_lo:[0,1] neg_hi:[0,1]
	v_add_f32_e32 v29, v40, v29
	v_add_f32_e32 v28, v28, v29
	;; [unrolled: 1-line block ×3, first 2 shown]
	v_mul_f32_e32 v40, v39, v29
	v_mul_f32_e32 v30, v37, v40
	v_fma_f32 v32, v40, v37, -v30
	v_fmac_f32_e32 v32, v40, v38
	v_sub_f32_e32 v31, v31, v29
	v_add_f32_e32 v37, v28, v31
	v_add_f32_e32 v28, v30, v32
	v_sub_f32_e32 v31, v29, v28
	v_pk_add_f32 v[34:35], v[28:29], v[30:31] neg_lo:[0,1] neg_hi:[0,1]
	v_mov_b32_e32 v33, v28
	v_pk_add_f32 v[28:29], v[34:35], v[32:33] neg_lo:[0,1] neg_hi:[0,1]
	v_add_f32_e32 v29, v37, v29
	v_add_f32_e32 v28, v28, v29
	;; [unrolled: 1-line block ×4, first 2 shown]
	v_sub_f32_e32 v29, v31, v41
	v_mul_f32_e32 v28, v39, v28
	v_sub_f32_e32 v29, v40, v29
	v_add_f32_e32 v28, v29, v28
	v_add_f32_e32 v32, v31, v28
	v_mul_f32_e32 v34, v32, v32
	v_mov_b32_e32 v30, 0x3ecc95a3
	v_fmac_f32_e32 v30, 0x3e9b6dac, v34
	v_mov_b32_e32 v29, 0x3f2aaada
	v_fmac_f32_e32 v29, v34, v30
	v_cvt_f32_i32_e32 v30, v36
	v_sub_f32_e32 v31, v32, v31
	v_sub_f32_e32 v28, v28, v31
	v_ldexp_f32 v35, v28, 1
	v_mul_f32_e32 v31, v32, v34
	v_mov_b32_e32 v28, 0x3f317218
	s_mov_b32 s2, 0x3f317218
	v_pk_mul_f32 v[28:29], v[30:31], v[28:29]
	v_ldexp_f32 v33, v32, 1
	v_fma_f32 v32, v30, s2, -v28
	v_fmac_f32_e32 v32, 0xb102e308, v30
	v_pk_add_f32 v[30:31], v[28:29], v[32:33]
	v_sub_f32_e32 v33, v31, v33
	v_sub_f32_e32 v33, v29, v33
	v_add_f32_e32 v35, v35, v33
	v_mov_b32_e32 v34, v28
	v_pk_add_f32 v[28:29], v[30:31], v[28:29] neg_lo:[0,1] neg_hi:[0,1]
	v_pk_add_f32 v[36:37], v[30:31], v[34:35]
	v_mov_b32_e32 v29, v37
	v_mov_b32_e32 v33, v30
	v_pk_add_f32 v[38:39], v[32:33], v[28:29] neg_lo:[0,1] neg_hi:[0,1]
	v_pk_add_f32 v[28:29], v[32:33], v[28:29]
	v_mov_b32_e32 v32, v29
	v_pk_add_f32 v[40:41], v[32:33], v[30:31] neg_lo:[0,1] neg_hi:[0,1]
	v_mov_b32_e32 v33, v40
	v_pk_add_f32 v[42:43], v[36:37], v[32:33] neg_lo:[0,1] neg_hi:[0,1]
	v_mov_b32_e32 v28, v37
	v_mov_b32_e32 v36, v31
	;; [unrolled: 1-line block ×4, first 2 shown]
	v_pk_add_f32 v[28:29], v[28:29], v[36:37] neg_lo:[0,1] neg_hi:[0,1]
	v_mov_b32_e32 v34, v35
	v_mov_b32_e32 v35, v30
	v_pk_add_f32 v[28:29], v[34:35], v[28:29] neg_lo:[0,1] neg_hi:[0,1]
	v_mov_b32_e32 v42, v38
	v_pk_add_f32 v[30:31], v[42:43], v[28:29]
	v_mov_b32_e32 v34, v31
	v_pk_add_f32 v[34:35], v[30:31], v[34:35]
	v_pk_add_f32 v[32:33], v[32:33], v[34:35]
	v_mov_b32_e32 v31, v32
	v_pk_add_f32 v[36:37], v[30:31], v[38:39] neg_lo:[0,1] neg_hi:[0,1]
	v_mov_b32_e32 v29, v34
	v_sub_f32_e32 v30, v30, v36
	v_pk_add_f32 v[28:29], v[28:29], v[36:37] neg_lo:[0,1] neg_hi:[0,1]
	v_sub_f32_e32 v30, v38, v30
	s_mov_b32 s3, 0x7f800000
	v_add_f32_e32 v28, v28, v30
	s_mov_b32 s2, 0x33800000
	v_add_f32_e32 v28, v28, v29
	v_cmp_eq_f32_e32 vcc, s3, v44
	v_cmp_lt_f32_e64 s[2:3], |v44|, s2
	v_add_f32_e32 v28, v32, v28
	s_or_b64 vcc, vcc, s[2:3]
	v_cndmask_b32_e32 v28, v28, v44, vcc
	v_add_f32_e32 v15, v15, v28
	v_cvt_f16_f32_e32 v28, v15
.LBB391_172:
	s_or_b64 exec, exec, s[0:1]
	s_mov_b32 s0, 0x5040100
	v_add_u32_e32 v9, v14, v9
	v_perm_b32 v33, v20, v4, s0
	v_perm_b32 v32, v19, v3, s0
	;; [unrolled: 1-line block ×12, first 2 shown]
	s_waitcnt lgkmcnt(0)
	; wave barrier
	ds_write_b128 v9, v[30:33]
	ds_write_b128 v9, v[16:19] offset:16
	ds_write_b128 v9, v[2:5] offset:32
	s_waitcnt lgkmcnt(0)
	; wave barrier
	s_waitcnt lgkmcnt(0)
	ds_read_u16 v25, v14 offset:128
	ds_read_u16 v24, v14 offset:256
	ds_read_u16 v23, v14 offset:384
	ds_read_u16 v22, v14 offset:512
	ds_read_u16 v21, v14 offset:640
	ds_read_u16 v20, v14 offset:768
	ds_read_u16 v19, v14 offset:896
	ds_read_u16 v18, v14 offset:1024
	ds_read_u16 v17, v14 offset:1152
	ds_read_u16 v16, v14 offset:1280
	ds_read_u16 v15, v14 offset:1408
	ds_read_u16 v13, v14 offset:1536
	ds_read_u16 v12, v14 offset:1664
	ds_read_u16 v11, v14 offset:1792
	ds_read_u16 v10, v14 offset:1920
	ds_read_u16 v9, v14 offset:2048
	ds_read_u16 v8, v14 offset:2176
	ds_read_u16 v7, v14 offset:2304
	ds_read_u16 v6, v14 offset:2432
	ds_read_u16 v5, v14 offset:2560
	ds_read_u16 v4, v14 offset:2688
	ds_read_u16 v3, v14 offset:2816
	ds_read_u16 v2, v14 offset:2944
	v_readlane_b32 s0, v51, 8
	v_lshlrev_b64 v[0:1], 1, v[0:1]
	v_readlane_b32 s1, v51, 9
	v_mov_b32_e32 v26, s1
	v_add_co_u32_e32 v0, vcc, s0, v0
	v_addc_co_u32_e32 v1, vcc, v26, v1, vcc
	s_mov_b64 s[0:1], exec
	v_readlane_b32 s2, v51, 0
	v_readlane_b32 s3, v51, 1
	s_and_b64 s[2:3], s[0:1], s[2:3]
	s_mov_b64 exec, s[2:3]
	s_cbranch_execz .LBB391_174
; %bb.173:
	ds_read_u16 v14, v14
	s_waitcnt lgkmcnt(0)
	global_store_short v[0:1], v14, off
.LBB391_174:
	s_or_b64 exec, exec, s[0:1]
	s_mov_b64 s[0:1], exec
	v_readlane_b32 s2, v51, 2
	v_readlane_b32 s3, v51, 3
	s_and_b64 s[2:3], s[0:1], s[2:3]
	s_mov_b64 exec, s[2:3]
	s_cbranch_execz .LBB391_176
; %bb.175:
	s_waitcnt lgkmcnt(14)
	global_store_short v[0:1], v25, off offset:128
.LBB391_176:
	s_or_b64 exec, exec, s[0:1]
	s_mov_b64 s[0:1], exec
	v_readlane_b32 s2, v51, 4
	v_readlane_b32 s3, v51, 5
	s_and_b64 s[2:3], s[0:1], s[2:3]
	s_mov_b64 exec, s[2:3]
	s_cbranch_execnz .LBB391_201
; %bb.177:
	s_or_b64 exec, exec, s[0:1]
	s_and_saveexec_b64 s[0:1], s[46:47]
	s_cbranch_execnz .LBB391_202
.LBB391_178:
	s_or_b64 exec, exec, s[0:1]
	s_and_saveexec_b64 s[0:1], s[6:7]
	s_cbranch_execnz .LBB391_203
.LBB391_179:
	s_or_b64 exec, exec, s[0:1]
	s_and_saveexec_b64 s[0:1], s[8:9]
	s_cbranch_execnz .LBB391_204
.LBB391_180:
	s_or_b64 exec, exec, s[0:1]
	s_and_saveexec_b64 s[0:1], s[10:11]
	s_cbranch_execnz .LBB391_205
.LBB391_181:
	s_or_b64 exec, exec, s[0:1]
	s_and_saveexec_b64 s[0:1], s[12:13]
	s_cbranch_execnz .LBB391_206
.LBB391_182:
	s_or_b64 exec, exec, s[0:1]
	s_and_saveexec_b64 s[0:1], s[14:15]
	s_cbranch_execnz .LBB391_207
.LBB391_183:
	s_or_b64 exec, exec, s[0:1]
	s_and_saveexec_b64 s[0:1], s[16:17]
	s_cbranch_execnz .LBB391_208
.LBB391_184:
	s_or_b64 exec, exec, s[0:1]
	s_and_saveexec_b64 s[0:1], s[18:19]
	s_cbranch_execnz .LBB391_209
.LBB391_185:
	s_or_b64 exec, exec, s[0:1]
	s_and_saveexec_b64 s[0:1], s[20:21]
	s_cbranch_execnz .LBB391_210
.LBB391_186:
	s_or_b64 exec, exec, s[0:1]
	s_and_saveexec_b64 s[0:1], s[22:23]
	s_cbranch_execnz .LBB391_211
.LBB391_187:
	s_or_b64 exec, exec, s[0:1]
	s_and_saveexec_b64 s[0:1], s[24:25]
	s_cbranch_execnz .LBB391_212
.LBB391_188:
	s_or_b64 exec, exec, s[0:1]
	s_and_saveexec_b64 s[0:1], s[26:27]
	s_cbranch_execnz .LBB391_213
.LBB391_189:
	s_or_b64 exec, exec, s[0:1]
	s_and_saveexec_b64 s[0:1], s[28:29]
	s_cbranch_execnz .LBB391_214
.LBB391_190:
	s_or_b64 exec, exec, s[0:1]
	s_and_saveexec_b64 s[0:1], s[30:31]
	s_cbranch_execnz .LBB391_215
.LBB391_191:
	s_or_b64 exec, exec, s[0:1]
	s_and_saveexec_b64 s[0:1], s[34:35]
	s_cbranch_execnz .LBB391_216
.LBB391_192:
	s_or_b64 exec, exec, s[0:1]
	s_and_saveexec_b64 s[0:1], s[36:37]
	s_cbranch_execnz .LBB391_217
.LBB391_193:
	s_or_b64 exec, exec, s[0:1]
	s_and_saveexec_b64 s[0:1], s[38:39]
	s_cbranch_execnz .LBB391_218
.LBB391_194:
	s_or_b64 exec, exec, s[0:1]
	s_and_saveexec_b64 s[0:1], s[40:41]
	s_cbranch_execnz .LBB391_219
.LBB391_195:
	s_or_b64 exec, exec, s[0:1]
	s_and_saveexec_b64 s[0:1], s[42:43]
	s_cbranch_execnz .LBB391_220
.LBB391_196:
	s_or_b64 exec, exec, s[0:1]
	s_and_saveexec_b64 s[0:1], s[44:45]
	s_cbranch_execz .LBB391_198
.LBB391_197:
	s_waitcnt lgkmcnt(1)
	global_store_short v[0:1], v3, off offset:2816
.LBB391_198:
	s_or_b64 exec, exec, s[0:1]
	v_readlane_b32 s2, v51, 6
	v_readlane_b32 s3, v51, 7
	s_and_saveexec_b64 s[0:1], s[2:3]
	s_cbranch_execz .LBB391_200
; %bb.199:
	s_waitcnt lgkmcnt(0)
	global_store_short v[0:1], v2, off offset:2944
.LBB391_200:
	s_endpgm
.LBB391_201:
	s_waitcnt lgkmcnt(14)
	global_store_short v[0:1], v24, off offset:256
	s_or_b64 exec, exec, s[0:1]
	s_and_saveexec_b64 s[0:1], s[46:47]
	s_cbranch_execz .LBB391_178
.LBB391_202:
	s_waitcnt lgkmcnt(14)
	global_store_short v[0:1], v23, off offset:384
	s_or_b64 exec, exec, s[0:1]
	s_and_saveexec_b64 s[0:1], s[6:7]
	s_cbranch_execz .LBB391_179
.LBB391_203:
	s_waitcnt lgkmcnt(14)
	global_store_short v[0:1], v22, off offset:512
	s_or_b64 exec, exec, s[0:1]
	s_and_saveexec_b64 s[0:1], s[8:9]
	s_cbranch_execz .LBB391_180
.LBB391_204:
	s_waitcnt lgkmcnt(14)
	global_store_short v[0:1], v21, off offset:640
	s_or_b64 exec, exec, s[0:1]
	s_and_saveexec_b64 s[0:1], s[10:11]
	s_cbranch_execz .LBB391_181
.LBB391_205:
	s_waitcnt lgkmcnt(14)
	global_store_short v[0:1], v20, off offset:768
	s_or_b64 exec, exec, s[0:1]
	s_and_saveexec_b64 s[0:1], s[12:13]
	s_cbranch_execz .LBB391_182
.LBB391_206:
	s_waitcnt lgkmcnt(14)
	global_store_short v[0:1], v19, off offset:896
	s_or_b64 exec, exec, s[0:1]
	s_and_saveexec_b64 s[0:1], s[14:15]
	s_cbranch_execz .LBB391_183
.LBB391_207:
	s_waitcnt lgkmcnt(14)
	global_store_short v[0:1], v18, off offset:1024
	s_or_b64 exec, exec, s[0:1]
	s_and_saveexec_b64 s[0:1], s[16:17]
	s_cbranch_execz .LBB391_184
.LBB391_208:
	s_waitcnt lgkmcnt(14)
	global_store_short v[0:1], v17, off offset:1152
	s_or_b64 exec, exec, s[0:1]
	s_and_saveexec_b64 s[0:1], s[18:19]
	s_cbranch_execz .LBB391_185
.LBB391_209:
	s_waitcnt lgkmcnt(13)
	global_store_short v[0:1], v16, off offset:1280
	s_or_b64 exec, exec, s[0:1]
	s_and_saveexec_b64 s[0:1], s[20:21]
	s_cbranch_execz .LBB391_186
.LBB391_210:
	s_waitcnt lgkmcnt(12)
	global_store_short v[0:1], v15, off offset:1408
	s_or_b64 exec, exec, s[0:1]
	s_and_saveexec_b64 s[0:1], s[22:23]
	s_cbranch_execz .LBB391_187
.LBB391_211:
	s_waitcnt lgkmcnt(11)
	global_store_short v[0:1], v13, off offset:1536
	s_or_b64 exec, exec, s[0:1]
	s_and_saveexec_b64 s[0:1], s[24:25]
	s_cbranch_execz .LBB391_188
.LBB391_212:
	s_waitcnt lgkmcnt(10)
	global_store_short v[0:1], v12, off offset:1664
	s_or_b64 exec, exec, s[0:1]
	s_and_saveexec_b64 s[0:1], s[26:27]
	s_cbranch_execz .LBB391_189
.LBB391_213:
	s_waitcnt lgkmcnt(9)
	global_store_short v[0:1], v11, off offset:1792
	s_or_b64 exec, exec, s[0:1]
	s_and_saveexec_b64 s[0:1], s[28:29]
	s_cbranch_execz .LBB391_190
.LBB391_214:
	s_waitcnt lgkmcnt(8)
	global_store_short v[0:1], v10, off offset:1920
	s_or_b64 exec, exec, s[0:1]
	s_and_saveexec_b64 s[0:1], s[30:31]
	s_cbranch_execz .LBB391_191
.LBB391_215:
	s_waitcnt lgkmcnt(7)
	global_store_short v[0:1], v9, off offset:2048
	s_or_b64 exec, exec, s[0:1]
	s_and_saveexec_b64 s[0:1], s[34:35]
	s_cbranch_execz .LBB391_192
.LBB391_216:
	s_waitcnt lgkmcnt(6)
	global_store_short v[0:1], v8, off offset:2176
	s_or_b64 exec, exec, s[0:1]
	s_and_saveexec_b64 s[0:1], s[36:37]
	s_cbranch_execz .LBB391_193
.LBB391_217:
	s_waitcnt lgkmcnt(5)
	global_store_short v[0:1], v7, off offset:2304
	s_or_b64 exec, exec, s[0:1]
	s_and_saveexec_b64 s[0:1], s[38:39]
	s_cbranch_execz .LBB391_194
.LBB391_218:
	s_waitcnt lgkmcnt(4)
	global_store_short v[0:1], v6, off offset:2432
	s_or_b64 exec, exec, s[0:1]
	s_and_saveexec_b64 s[0:1], s[40:41]
	s_cbranch_execz .LBB391_195
.LBB391_219:
	s_waitcnt lgkmcnt(3)
	global_store_short v[0:1], v5, off offset:2560
	s_or_b64 exec, exec, s[0:1]
	s_and_saveexec_b64 s[0:1], s[42:43]
	s_cbranch_execz .LBB391_196
.LBB391_220:
	s_waitcnt lgkmcnt(2)
	global_store_short v[0:1], v4, off offset:2688
	s_or_b64 exec, exec, s[0:1]
	s_and_saveexec_b64 s[0:1], s[44:45]
	s_cbranch_execnz .LBB391_197
	s_branch .LBB391_198
	.section	.rodata,"a",@progbits
	.p2align	6, 0x0
	.amdhsa_kernel _ZN7rocprim17ROCPRIM_400000_NS6detail17trampoline_kernelINS0_14default_configENS1_20scan_config_selectorIN3c104HalfEEEZZNS1_9scan_implILNS1_25lookback_scan_determinismE0ELb0ELb0ES3_PKS6_PS6_S6_ZZZN2at6native31launch_logcumsumexp_cuda_kernelERKNSD_10TensorBaseESH_lENKUlvE_clEvENKUlvE3_clEvEUlS6_S6_E_S6_EEDaPvRmT3_T4_T5_mT6_P12ihipStream_tbENKUlT_T0_E_clISt17integral_constantIbLb1EESY_EEDaST_SU_EUlST_E0_NS1_11comp_targetILNS1_3genE4ELNS1_11target_archE910ELNS1_3gpuE8ELNS1_3repE0EEENS1_30default_config_static_selectorELNS0_4arch9wavefront6targetE1EEEvT1_
		.amdhsa_group_segment_fixed_size 3072
		.amdhsa_private_segment_fixed_size 0
		.amdhsa_kernarg_size 32
		.amdhsa_user_sgpr_count 6
		.amdhsa_user_sgpr_private_segment_buffer 1
		.amdhsa_user_sgpr_dispatch_ptr 0
		.amdhsa_user_sgpr_queue_ptr 0
		.amdhsa_user_sgpr_kernarg_segment_ptr 1
		.amdhsa_user_sgpr_dispatch_id 0
		.amdhsa_user_sgpr_flat_scratch_init 0
		.amdhsa_user_sgpr_kernarg_preload_length 0
		.amdhsa_user_sgpr_kernarg_preload_offset 0
		.amdhsa_user_sgpr_private_segment_size 0
		.amdhsa_uses_dynamic_stack 0
		.amdhsa_system_sgpr_private_segment_wavefront_offset 0
		.amdhsa_system_sgpr_workgroup_id_x 1
		.amdhsa_system_sgpr_workgroup_id_y 0
		.amdhsa_system_sgpr_workgroup_id_z 0
		.amdhsa_system_sgpr_workgroup_info 0
		.amdhsa_system_vgpr_workitem_id 0
		.amdhsa_next_free_vgpr 52
		.amdhsa_next_free_sgpr 96
		.amdhsa_accum_offset 52
		.amdhsa_reserve_vcc 1
		.amdhsa_reserve_flat_scratch 0
		.amdhsa_float_round_mode_32 0
		.amdhsa_float_round_mode_16_64 0
		.amdhsa_float_denorm_mode_32 3
		.amdhsa_float_denorm_mode_16_64 3
		.amdhsa_dx10_clamp 1
		.amdhsa_ieee_mode 1
		.amdhsa_fp16_overflow 0
		.amdhsa_tg_split 0
		.amdhsa_exception_fp_ieee_invalid_op 0
		.amdhsa_exception_fp_denorm_src 0
		.amdhsa_exception_fp_ieee_div_zero 0
		.amdhsa_exception_fp_ieee_overflow 0
		.amdhsa_exception_fp_ieee_underflow 0
		.amdhsa_exception_fp_ieee_inexact 0
		.amdhsa_exception_int_div_zero 0
	.end_amdhsa_kernel
	.section	.text._ZN7rocprim17ROCPRIM_400000_NS6detail17trampoline_kernelINS0_14default_configENS1_20scan_config_selectorIN3c104HalfEEEZZNS1_9scan_implILNS1_25lookback_scan_determinismE0ELb0ELb0ES3_PKS6_PS6_S6_ZZZN2at6native31launch_logcumsumexp_cuda_kernelERKNSD_10TensorBaseESH_lENKUlvE_clEvENKUlvE3_clEvEUlS6_S6_E_S6_EEDaPvRmT3_T4_T5_mT6_P12ihipStream_tbENKUlT_T0_E_clISt17integral_constantIbLb1EESY_EEDaST_SU_EUlST_E0_NS1_11comp_targetILNS1_3genE4ELNS1_11target_archE910ELNS1_3gpuE8ELNS1_3repE0EEENS1_30default_config_static_selectorELNS0_4arch9wavefront6targetE1EEEvT1_,"axG",@progbits,_ZN7rocprim17ROCPRIM_400000_NS6detail17trampoline_kernelINS0_14default_configENS1_20scan_config_selectorIN3c104HalfEEEZZNS1_9scan_implILNS1_25lookback_scan_determinismE0ELb0ELb0ES3_PKS6_PS6_S6_ZZZN2at6native31launch_logcumsumexp_cuda_kernelERKNSD_10TensorBaseESH_lENKUlvE_clEvENKUlvE3_clEvEUlS6_S6_E_S6_EEDaPvRmT3_T4_T5_mT6_P12ihipStream_tbENKUlT_T0_E_clISt17integral_constantIbLb1EESY_EEDaST_SU_EUlST_E0_NS1_11comp_targetILNS1_3genE4ELNS1_11target_archE910ELNS1_3gpuE8ELNS1_3repE0EEENS1_30default_config_static_selectorELNS0_4arch9wavefront6targetE1EEEvT1_,comdat
.Lfunc_end391:
	.size	_ZN7rocprim17ROCPRIM_400000_NS6detail17trampoline_kernelINS0_14default_configENS1_20scan_config_selectorIN3c104HalfEEEZZNS1_9scan_implILNS1_25lookback_scan_determinismE0ELb0ELb0ES3_PKS6_PS6_S6_ZZZN2at6native31launch_logcumsumexp_cuda_kernelERKNSD_10TensorBaseESH_lENKUlvE_clEvENKUlvE3_clEvEUlS6_S6_E_S6_EEDaPvRmT3_T4_T5_mT6_P12ihipStream_tbENKUlT_T0_E_clISt17integral_constantIbLb1EESY_EEDaST_SU_EUlST_E0_NS1_11comp_targetILNS1_3genE4ELNS1_11target_archE910ELNS1_3gpuE8ELNS1_3repE0EEENS1_30default_config_static_selectorELNS0_4arch9wavefront6targetE1EEEvT1_, .Lfunc_end391-_ZN7rocprim17ROCPRIM_400000_NS6detail17trampoline_kernelINS0_14default_configENS1_20scan_config_selectorIN3c104HalfEEEZZNS1_9scan_implILNS1_25lookback_scan_determinismE0ELb0ELb0ES3_PKS6_PS6_S6_ZZZN2at6native31launch_logcumsumexp_cuda_kernelERKNSD_10TensorBaseESH_lENKUlvE_clEvENKUlvE3_clEvEUlS6_S6_E_S6_EEDaPvRmT3_T4_T5_mT6_P12ihipStream_tbENKUlT_T0_E_clISt17integral_constantIbLb1EESY_EEDaST_SU_EUlST_E0_NS1_11comp_targetILNS1_3genE4ELNS1_11target_archE910ELNS1_3gpuE8ELNS1_3repE0EEENS1_30default_config_static_selectorELNS0_4arch9wavefront6targetE1EEEvT1_
                                        ; -- End function
	.section	.AMDGPU.csdata,"",@progbits
; Kernel info:
; codeLenInByte = 47852
; NumSgprs: 100
; NumVgprs: 52
; NumAgprs: 0
; TotalNumVgprs: 52
; ScratchSize: 0
; MemoryBound: 0
; FloatMode: 240
; IeeeMode: 1
; LDSByteSize: 3072 bytes/workgroup (compile time only)
; SGPRBlocks: 12
; VGPRBlocks: 6
; NumSGPRsForWavesPerEU: 100
; NumVGPRsForWavesPerEU: 52
; AccumOffset: 52
; Occupancy: 6
; WaveLimiterHint : 0
; COMPUTE_PGM_RSRC2:SCRATCH_EN: 0
; COMPUTE_PGM_RSRC2:USER_SGPR: 6
; COMPUTE_PGM_RSRC2:TRAP_HANDLER: 0
; COMPUTE_PGM_RSRC2:TGID_X_EN: 1
; COMPUTE_PGM_RSRC2:TGID_Y_EN: 0
; COMPUTE_PGM_RSRC2:TGID_Z_EN: 0
; COMPUTE_PGM_RSRC2:TIDIG_COMP_CNT: 0
; COMPUTE_PGM_RSRC3_GFX90A:ACCUM_OFFSET: 12
; COMPUTE_PGM_RSRC3_GFX90A:TG_SPLIT: 0
	.section	.text._ZN7rocprim17ROCPRIM_400000_NS6detail17trampoline_kernelINS0_14default_configENS1_20scan_config_selectorIN3c104HalfEEEZZNS1_9scan_implILNS1_25lookback_scan_determinismE0ELb0ELb0ES3_PKS6_PS6_S6_ZZZN2at6native31launch_logcumsumexp_cuda_kernelERKNSD_10TensorBaseESH_lENKUlvE_clEvENKUlvE3_clEvEUlS6_S6_E_S6_EEDaPvRmT3_T4_T5_mT6_P12ihipStream_tbENKUlT_T0_E_clISt17integral_constantIbLb1EESY_EEDaST_SU_EUlST_E0_NS1_11comp_targetILNS1_3genE3ELNS1_11target_archE908ELNS1_3gpuE7ELNS1_3repE0EEENS1_30default_config_static_selectorELNS0_4arch9wavefront6targetE1EEEvT1_,"axG",@progbits,_ZN7rocprim17ROCPRIM_400000_NS6detail17trampoline_kernelINS0_14default_configENS1_20scan_config_selectorIN3c104HalfEEEZZNS1_9scan_implILNS1_25lookback_scan_determinismE0ELb0ELb0ES3_PKS6_PS6_S6_ZZZN2at6native31launch_logcumsumexp_cuda_kernelERKNSD_10TensorBaseESH_lENKUlvE_clEvENKUlvE3_clEvEUlS6_S6_E_S6_EEDaPvRmT3_T4_T5_mT6_P12ihipStream_tbENKUlT_T0_E_clISt17integral_constantIbLb1EESY_EEDaST_SU_EUlST_E0_NS1_11comp_targetILNS1_3genE3ELNS1_11target_archE908ELNS1_3gpuE7ELNS1_3repE0EEENS1_30default_config_static_selectorELNS0_4arch9wavefront6targetE1EEEvT1_,comdat
	.globl	_ZN7rocprim17ROCPRIM_400000_NS6detail17trampoline_kernelINS0_14default_configENS1_20scan_config_selectorIN3c104HalfEEEZZNS1_9scan_implILNS1_25lookback_scan_determinismE0ELb0ELb0ES3_PKS6_PS6_S6_ZZZN2at6native31launch_logcumsumexp_cuda_kernelERKNSD_10TensorBaseESH_lENKUlvE_clEvENKUlvE3_clEvEUlS6_S6_E_S6_EEDaPvRmT3_T4_T5_mT6_P12ihipStream_tbENKUlT_T0_E_clISt17integral_constantIbLb1EESY_EEDaST_SU_EUlST_E0_NS1_11comp_targetILNS1_3genE3ELNS1_11target_archE908ELNS1_3gpuE7ELNS1_3repE0EEENS1_30default_config_static_selectorELNS0_4arch9wavefront6targetE1EEEvT1_ ; -- Begin function _ZN7rocprim17ROCPRIM_400000_NS6detail17trampoline_kernelINS0_14default_configENS1_20scan_config_selectorIN3c104HalfEEEZZNS1_9scan_implILNS1_25lookback_scan_determinismE0ELb0ELb0ES3_PKS6_PS6_S6_ZZZN2at6native31launch_logcumsumexp_cuda_kernelERKNSD_10TensorBaseESH_lENKUlvE_clEvENKUlvE3_clEvEUlS6_S6_E_S6_EEDaPvRmT3_T4_T5_mT6_P12ihipStream_tbENKUlT_T0_E_clISt17integral_constantIbLb1EESY_EEDaST_SU_EUlST_E0_NS1_11comp_targetILNS1_3genE3ELNS1_11target_archE908ELNS1_3gpuE7ELNS1_3repE0EEENS1_30default_config_static_selectorELNS0_4arch9wavefront6targetE1EEEvT1_
	.p2align	8
	.type	_ZN7rocprim17ROCPRIM_400000_NS6detail17trampoline_kernelINS0_14default_configENS1_20scan_config_selectorIN3c104HalfEEEZZNS1_9scan_implILNS1_25lookback_scan_determinismE0ELb0ELb0ES3_PKS6_PS6_S6_ZZZN2at6native31launch_logcumsumexp_cuda_kernelERKNSD_10TensorBaseESH_lENKUlvE_clEvENKUlvE3_clEvEUlS6_S6_E_S6_EEDaPvRmT3_T4_T5_mT6_P12ihipStream_tbENKUlT_T0_E_clISt17integral_constantIbLb1EESY_EEDaST_SU_EUlST_E0_NS1_11comp_targetILNS1_3genE3ELNS1_11target_archE908ELNS1_3gpuE7ELNS1_3repE0EEENS1_30default_config_static_selectorELNS0_4arch9wavefront6targetE1EEEvT1_,@function
_ZN7rocprim17ROCPRIM_400000_NS6detail17trampoline_kernelINS0_14default_configENS1_20scan_config_selectorIN3c104HalfEEEZZNS1_9scan_implILNS1_25lookback_scan_determinismE0ELb0ELb0ES3_PKS6_PS6_S6_ZZZN2at6native31launch_logcumsumexp_cuda_kernelERKNSD_10TensorBaseESH_lENKUlvE_clEvENKUlvE3_clEvEUlS6_S6_E_S6_EEDaPvRmT3_T4_T5_mT6_P12ihipStream_tbENKUlT_T0_E_clISt17integral_constantIbLb1EESY_EEDaST_SU_EUlST_E0_NS1_11comp_targetILNS1_3genE3ELNS1_11target_archE908ELNS1_3gpuE7ELNS1_3repE0EEENS1_30default_config_static_selectorELNS0_4arch9wavefront6targetE1EEEvT1_: ; @_ZN7rocprim17ROCPRIM_400000_NS6detail17trampoline_kernelINS0_14default_configENS1_20scan_config_selectorIN3c104HalfEEEZZNS1_9scan_implILNS1_25lookback_scan_determinismE0ELb0ELb0ES3_PKS6_PS6_S6_ZZZN2at6native31launch_logcumsumexp_cuda_kernelERKNSD_10TensorBaseESH_lENKUlvE_clEvENKUlvE3_clEvEUlS6_S6_E_S6_EEDaPvRmT3_T4_T5_mT6_P12ihipStream_tbENKUlT_T0_E_clISt17integral_constantIbLb1EESY_EEDaST_SU_EUlST_E0_NS1_11comp_targetILNS1_3genE3ELNS1_11target_archE908ELNS1_3gpuE7ELNS1_3repE0EEENS1_30default_config_static_selectorELNS0_4arch9wavefront6targetE1EEEvT1_
; %bb.0:
	.section	.rodata,"a",@progbits
	.p2align	6, 0x0
	.amdhsa_kernel _ZN7rocprim17ROCPRIM_400000_NS6detail17trampoline_kernelINS0_14default_configENS1_20scan_config_selectorIN3c104HalfEEEZZNS1_9scan_implILNS1_25lookback_scan_determinismE0ELb0ELb0ES3_PKS6_PS6_S6_ZZZN2at6native31launch_logcumsumexp_cuda_kernelERKNSD_10TensorBaseESH_lENKUlvE_clEvENKUlvE3_clEvEUlS6_S6_E_S6_EEDaPvRmT3_T4_T5_mT6_P12ihipStream_tbENKUlT_T0_E_clISt17integral_constantIbLb1EESY_EEDaST_SU_EUlST_E0_NS1_11comp_targetILNS1_3genE3ELNS1_11target_archE908ELNS1_3gpuE7ELNS1_3repE0EEENS1_30default_config_static_selectorELNS0_4arch9wavefront6targetE1EEEvT1_
		.amdhsa_group_segment_fixed_size 0
		.amdhsa_private_segment_fixed_size 0
		.amdhsa_kernarg_size 32
		.amdhsa_user_sgpr_count 6
		.amdhsa_user_sgpr_private_segment_buffer 1
		.amdhsa_user_sgpr_dispatch_ptr 0
		.amdhsa_user_sgpr_queue_ptr 0
		.amdhsa_user_sgpr_kernarg_segment_ptr 1
		.amdhsa_user_sgpr_dispatch_id 0
		.amdhsa_user_sgpr_flat_scratch_init 0
		.amdhsa_user_sgpr_kernarg_preload_length 0
		.amdhsa_user_sgpr_kernarg_preload_offset 0
		.amdhsa_user_sgpr_private_segment_size 0
		.amdhsa_uses_dynamic_stack 0
		.amdhsa_system_sgpr_private_segment_wavefront_offset 0
		.amdhsa_system_sgpr_workgroup_id_x 1
		.amdhsa_system_sgpr_workgroup_id_y 0
		.amdhsa_system_sgpr_workgroup_id_z 0
		.amdhsa_system_sgpr_workgroup_info 0
		.amdhsa_system_vgpr_workitem_id 0
		.amdhsa_next_free_vgpr 1
		.amdhsa_next_free_sgpr 0
		.amdhsa_accum_offset 4
		.amdhsa_reserve_vcc 0
		.amdhsa_reserve_flat_scratch 0
		.amdhsa_float_round_mode_32 0
		.amdhsa_float_round_mode_16_64 0
		.amdhsa_float_denorm_mode_32 3
		.amdhsa_float_denorm_mode_16_64 3
		.amdhsa_dx10_clamp 1
		.amdhsa_ieee_mode 1
		.amdhsa_fp16_overflow 0
		.amdhsa_tg_split 0
		.amdhsa_exception_fp_ieee_invalid_op 0
		.amdhsa_exception_fp_denorm_src 0
		.amdhsa_exception_fp_ieee_div_zero 0
		.amdhsa_exception_fp_ieee_overflow 0
		.amdhsa_exception_fp_ieee_underflow 0
		.amdhsa_exception_fp_ieee_inexact 0
		.amdhsa_exception_int_div_zero 0
	.end_amdhsa_kernel
	.section	.text._ZN7rocprim17ROCPRIM_400000_NS6detail17trampoline_kernelINS0_14default_configENS1_20scan_config_selectorIN3c104HalfEEEZZNS1_9scan_implILNS1_25lookback_scan_determinismE0ELb0ELb0ES3_PKS6_PS6_S6_ZZZN2at6native31launch_logcumsumexp_cuda_kernelERKNSD_10TensorBaseESH_lENKUlvE_clEvENKUlvE3_clEvEUlS6_S6_E_S6_EEDaPvRmT3_T4_T5_mT6_P12ihipStream_tbENKUlT_T0_E_clISt17integral_constantIbLb1EESY_EEDaST_SU_EUlST_E0_NS1_11comp_targetILNS1_3genE3ELNS1_11target_archE908ELNS1_3gpuE7ELNS1_3repE0EEENS1_30default_config_static_selectorELNS0_4arch9wavefront6targetE1EEEvT1_,"axG",@progbits,_ZN7rocprim17ROCPRIM_400000_NS6detail17trampoline_kernelINS0_14default_configENS1_20scan_config_selectorIN3c104HalfEEEZZNS1_9scan_implILNS1_25lookback_scan_determinismE0ELb0ELb0ES3_PKS6_PS6_S6_ZZZN2at6native31launch_logcumsumexp_cuda_kernelERKNSD_10TensorBaseESH_lENKUlvE_clEvENKUlvE3_clEvEUlS6_S6_E_S6_EEDaPvRmT3_T4_T5_mT6_P12ihipStream_tbENKUlT_T0_E_clISt17integral_constantIbLb1EESY_EEDaST_SU_EUlST_E0_NS1_11comp_targetILNS1_3genE3ELNS1_11target_archE908ELNS1_3gpuE7ELNS1_3repE0EEENS1_30default_config_static_selectorELNS0_4arch9wavefront6targetE1EEEvT1_,comdat
.Lfunc_end392:
	.size	_ZN7rocprim17ROCPRIM_400000_NS6detail17trampoline_kernelINS0_14default_configENS1_20scan_config_selectorIN3c104HalfEEEZZNS1_9scan_implILNS1_25lookback_scan_determinismE0ELb0ELb0ES3_PKS6_PS6_S6_ZZZN2at6native31launch_logcumsumexp_cuda_kernelERKNSD_10TensorBaseESH_lENKUlvE_clEvENKUlvE3_clEvEUlS6_S6_E_S6_EEDaPvRmT3_T4_T5_mT6_P12ihipStream_tbENKUlT_T0_E_clISt17integral_constantIbLb1EESY_EEDaST_SU_EUlST_E0_NS1_11comp_targetILNS1_3genE3ELNS1_11target_archE908ELNS1_3gpuE7ELNS1_3repE0EEENS1_30default_config_static_selectorELNS0_4arch9wavefront6targetE1EEEvT1_, .Lfunc_end392-_ZN7rocprim17ROCPRIM_400000_NS6detail17trampoline_kernelINS0_14default_configENS1_20scan_config_selectorIN3c104HalfEEEZZNS1_9scan_implILNS1_25lookback_scan_determinismE0ELb0ELb0ES3_PKS6_PS6_S6_ZZZN2at6native31launch_logcumsumexp_cuda_kernelERKNSD_10TensorBaseESH_lENKUlvE_clEvENKUlvE3_clEvEUlS6_S6_E_S6_EEDaPvRmT3_T4_T5_mT6_P12ihipStream_tbENKUlT_T0_E_clISt17integral_constantIbLb1EESY_EEDaST_SU_EUlST_E0_NS1_11comp_targetILNS1_3genE3ELNS1_11target_archE908ELNS1_3gpuE7ELNS1_3repE0EEENS1_30default_config_static_selectorELNS0_4arch9wavefront6targetE1EEEvT1_
                                        ; -- End function
	.section	.AMDGPU.csdata,"",@progbits
; Kernel info:
; codeLenInByte = 0
; NumSgprs: 4
; NumVgprs: 0
; NumAgprs: 0
; TotalNumVgprs: 0
; ScratchSize: 0
; MemoryBound: 0
; FloatMode: 240
; IeeeMode: 1
; LDSByteSize: 0 bytes/workgroup (compile time only)
; SGPRBlocks: 0
; VGPRBlocks: 0
; NumSGPRsForWavesPerEU: 4
; NumVGPRsForWavesPerEU: 1
; AccumOffset: 4
; Occupancy: 8
; WaveLimiterHint : 0
; COMPUTE_PGM_RSRC2:SCRATCH_EN: 0
; COMPUTE_PGM_RSRC2:USER_SGPR: 6
; COMPUTE_PGM_RSRC2:TRAP_HANDLER: 0
; COMPUTE_PGM_RSRC2:TGID_X_EN: 1
; COMPUTE_PGM_RSRC2:TGID_Y_EN: 0
; COMPUTE_PGM_RSRC2:TGID_Z_EN: 0
; COMPUTE_PGM_RSRC2:TIDIG_COMP_CNT: 0
; COMPUTE_PGM_RSRC3_GFX90A:ACCUM_OFFSET: 0
; COMPUTE_PGM_RSRC3_GFX90A:TG_SPLIT: 0
	.section	.text._ZN7rocprim17ROCPRIM_400000_NS6detail17trampoline_kernelINS0_14default_configENS1_20scan_config_selectorIN3c104HalfEEEZZNS1_9scan_implILNS1_25lookback_scan_determinismE0ELb0ELb0ES3_PKS6_PS6_S6_ZZZN2at6native31launch_logcumsumexp_cuda_kernelERKNSD_10TensorBaseESH_lENKUlvE_clEvENKUlvE3_clEvEUlS6_S6_E_S6_EEDaPvRmT3_T4_T5_mT6_P12ihipStream_tbENKUlT_T0_E_clISt17integral_constantIbLb1EESY_EEDaST_SU_EUlST_E0_NS1_11comp_targetILNS1_3genE2ELNS1_11target_archE906ELNS1_3gpuE6ELNS1_3repE0EEENS1_30default_config_static_selectorELNS0_4arch9wavefront6targetE1EEEvT1_,"axG",@progbits,_ZN7rocprim17ROCPRIM_400000_NS6detail17trampoline_kernelINS0_14default_configENS1_20scan_config_selectorIN3c104HalfEEEZZNS1_9scan_implILNS1_25lookback_scan_determinismE0ELb0ELb0ES3_PKS6_PS6_S6_ZZZN2at6native31launch_logcumsumexp_cuda_kernelERKNSD_10TensorBaseESH_lENKUlvE_clEvENKUlvE3_clEvEUlS6_S6_E_S6_EEDaPvRmT3_T4_T5_mT6_P12ihipStream_tbENKUlT_T0_E_clISt17integral_constantIbLb1EESY_EEDaST_SU_EUlST_E0_NS1_11comp_targetILNS1_3genE2ELNS1_11target_archE906ELNS1_3gpuE6ELNS1_3repE0EEENS1_30default_config_static_selectorELNS0_4arch9wavefront6targetE1EEEvT1_,comdat
	.globl	_ZN7rocprim17ROCPRIM_400000_NS6detail17trampoline_kernelINS0_14default_configENS1_20scan_config_selectorIN3c104HalfEEEZZNS1_9scan_implILNS1_25lookback_scan_determinismE0ELb0ELb0ES3_PKS6_PS6_S6_ZZZN2at6native31launch_logcumsumexp_cuda_kernelERKNSD_10TensorBaseESH_lENKUlvE_clEvENKUlvE3_clEvEUlS6_S6_E_S6_EEDaPvRmT3_T4_T5_mT6_P12ihipStream_tbENKUlT_T0_E_clISt17integral_constantIbLb1EESY_EEDaST_SU_EUlST_E0_NS1_11comp_targetILNS1_3genE2ELNS1_11target_archE906ELNS1_3gpuE6ELNS1_3repE0EEENS1_30default_config_static_selectorELNS0_4arch9wavefront6targetE1EEEvT1_ ; -- Begin function _ZN7rocprim17ROCPRIM_400000_NS6detail17trampoline_kernelINS0_14default_configENS1_20scan_config_selectorIN3c104HalfEEEZZNS1_9scan_implILNS1_25lookback_scan_determinismE0ELb0ELb0ES3_PKS6_PS6_S6_ZZZN2at6native31launch_logcumsumexp_cuda_kernelERKNSD_10TensorBaseESH_lENKUlvE_clEvENKUlvE3_clEvEUlS6_S6_E_S6_EEDaPvRmT3_T4_T5_mT6_P12ihipStream_tbENKUlT_T0_E_clISt17integral_constantIbLb1EESY_EEDaST_SU_EUlST_E0_NS1_11comp_targetILNS1_3genE2ELNS1_11target_archE906ELNS1_3gpuE6ELNS1_3repE0EEENS1_30default_config_static_selectorELNS0_4arch9wavefront6targetE1EEEvT1_
	.p2align	8
	.type	_ZN7rocprim17ROCPRIM_400000_NS6detail17trampoline_kernelINS0_14default_configENS1_20scan_config_selectorIN3c104HalfEEEZZNS1_9scan_implILNS1_25lookback_scan_determinismE0ELb0ELb0ES3_PKS6_PS6_S6_ZZZN2at6native31launch_logcumsumexp_cuda_kernelERKNSD_10TensorBaseESH_lENKUlvE_clEvENKUlvE3_clEvEUlS6_S6_E_S6_EEDaPvRmT3_T4_T5_mT6_P12ihipStream_tbENKUlT_T0_E_clISt17integral_constantIbLb1EESY_EEDaST_SU_EUlST_E0_NS1_11comp_targetILNS1_3genE2ELNS1_11target_archE906ELNS1_3gpuE6ELNS1_3repE0EEENS1_30default_config_static_selectorELNS0_4arch9wavefront6targetE1EEEvT1_,@function
_ZN7rocprim17ROCPRIM_400000_NS6detail17trampoline_kernelINS0_14default_configENS1_20scan_config_selectorIN3c104HalfEEEZZNS1_9scan_implILNS1_25lookback_scan_determinismE0ELb0ELb0ES3_PKS6_PS6_S6_ZZZN2at6native31launch_logcumsumexp_cuda_kernelERKNSD_10TensorBaseESH_lENKUlvE_clEvENKUlvE3_clEvEUlS6_S6_E_S6_EEDaPvRmT3_T4_T5_mT6_P12ihipStream_tbENKUlT_T0_E_clISt17integral_constantIbLb1EESY_EEDaST_SU_EUlST_E0_NS1_11comp_targetILNS1_3genE2ELNS1_11target_archE906ELNS1_3gpuE6ELNS1_3repE0EEENS1_30default_config_static_selectorELNS0_4arch9wavefront6targetE1EEEvT1_: ; @_ZN7rocprim17ROCPRIM_400000_NS6detail17trampoline_kernelINS0_14default_configENS1_20scan_config_selectorIN3c104HalfEEEZZNS1_9scan_implILNS1_25lookback_scan_determinismE0ELb0ELb0ES3_PKS6_PS6_S6_ZZZN2at6native31launch_logcumsumexp_cuda_kernelERKNSD_10TensorBaseESH_lENKUlvE_clEvENKUlvE3_clEvEUlS6_S6_E_S6_EEDaPvRmT3_T4_T5_mT6_P12ihipStream_tbENKUlT_T0_E_clISt17integral_constantIbLb1EESY_EEDaST_SU_EUlST_E0_NS1_11comp_targetILNS1_3genE2ELNS1_11target_archE906ELNS1_3gpuE6ELNS1_3repE0EEENS1_30default_config_static_selectorELNS0_4arch9wavefront6targetE1EEEvT1_
; %bb.0:
	.section	.rodata,"a",@progbits
	.p2align	6, 0x0
	.amdhsa_kernel _ZN7rocprim17ROCPRIM_400000_NS6detail17trampoline_kernelINS0_14default_configENS1_20scan_config_selectorIN3c104HalfEEEZZNS1_9scan_implILNS1_25lookback_scan_determinismE0ELb0ELb0ES3_PKS6_PS6_S6_ZZZN2at6native31launch_logcumsumexp_cuda_kernelERKNSD_10TensorBaseESH_lENKUlvE_clEvENKUlvE3_clEvEUlS6_S6_E_S6_EEDaPvRmT3_T4_T5_mT6_P12ihipStream_tbENKUlT_T0_E_clISt17integral_constantIbLb1EESY_EEDaST_SU_EUlST_E0_NS1_11comp_targetILNS1_3genE2ELNS1_11target_archE906ELNS1_3gpuE6ELNS1_3repE0EEENS1_30default_config_static_selectorELNS0_4arch9wavefront6targetE1EEEvT1_
		.amdhsa_group_segment_fixed_size 0
		.amdhsa_private_segment_fixed_size 0
		.amdhsa_kernarg_size 32
		.amdhsa_user_sgpr_count 6
		.amdhsa_user_sgpr_private_segment_buffer 1
		.amdhsa_user_sgpr_dispatch_ptr 0
		.amdhsa_user_sgpr_queue_ptr 0
		.amdhsa_user_sgpr_kernarg_segment_ptr 1
		.amdhsa_user_sgpr_dispatch_id 0
		.amdhsa_user_sgpr_flat_scratch_init 0
		.amdhsa_user_sgpr_kernarg_preload_length 0
		.amdhsa_user_sgpr_kernarg_preload_offset 0
		.amdhsa_user_sgpr_private_segment_size 0
		.amdhsa_uses_dynamic_stack 0
		.amdhsa_system_sgpr_private_segment_wavefront_offset 0
		.amdhsa_system_sgpr_workgroup_id_x 1
		.amdhsa_system_sgpr_workgroup_id_y 0
		.amdhsa_system_sgpr_workgroup_id_z 0
		.amdhsa_system_sgpr_workgroup_info 0
		.amdhsa_system_vgpr_workitem_id 0
		.amdhsa_next_free_vgpr 1
		.amdhsa_next_free_sgpr 0
		.amdhsa_accum_offset 4
		.amdhsa_reserve_vcc 0
		.amdhsa_reserve_flat_scratch 0
		.amdhsa_float_round_mode_32 0
		.amdhsa_float_round_mode_16_64 0
		.amdhsa_float_denorm_mode_32 3
		.amdhsa_float_denorm_mode_16_64 3
		.amdhsa_dx10_clamp 1
		.amdhsa_ieee_mode 1
		.amdhsa_fp16_overflow 0
		.amdhsa_tg_split 0
		.amdhsa_exception_fp_ieee_invalid_op 0
		.amdhsa_exception_fp_denorm_src 0
		.amdhsa_exception_fp_ieee_div_zero 0
		.amdhsa_exception_fp_ieee_overflow 0
		.amdhsa_exception_fp_ieee_underflow 0
		.amdhsa_exception_fp_ieee_inexact 0
		.amdhsa_exception_int_div_zero 0
	.end_amdhsa_kernel
	.section	.text._ZN7rocprim17ROCPRIM_400000_NS6detail17trampoline_kernelINS0_14default_configENS1_20scan_config_selectorIN3c104HalfEEEZZNS1_9scan_implILNS1_25lookback_scan_determinismE0ELb0ELb0ES3_PKS6_PS6_S6_ZZZN2at6native31launch_logcumsumexp_cuda_kernelERKNSD_10TensorBaseESH_lENKUlvE_clEvENKUlvE3_clEvEUlS6_S6_E_S6_EEDaPvRmT3_T4_T5_mT6_P12ihipStream_tbENKUlT_T0_E_clISt17integral_constantIbLb1EESY_EEDaST_SU_EUlST_E0_NS1_11comp_targetILNS1_3genE2ELNS1_11target_archE906ELNS1_3gpuE6ELNS1_3repE0EEENS1_30default_config_static_selectorELNS0_4arch9wavefront6targetE1EEEvT1_,"axG",@progbits,_ZN7rocprim17ROCPRIM_400000_NS6detail17trampoline_kernelINS0_14default_configENS1_20scan_config_selectorIN3c104HalfEEEZZNS1_9scan_implILNS1_25lookback_scan_determinismE0ELb0ELb0ES3_PKS6_PS6_S6_ZZZN2at6native31launch_logcumsumexp_cuda_kernelERKNSD_10TensorBaseESH_lENKUlvE_clEvENKUlvE3_clEvEUlS6_S6_E_S6_EEDaPvRmT3_T4_T5_mT6_P12ihipStream_tbENKUlT_T0_E_clISt17integral_constantIbLb1EESY_EEDaST_SU_EUlST_E0_NS1_11comp_targetILNS1_3genE2ELNS1_11target_archE906ELNS1_3gpuE6ELNS1_3repE0EEENS1_30default_config_static_selectorELNS0_4arch9wavefront6targetE1EEEvT1_,comdat
.Lfunc_end393:
	.size	_ZN7rocprim17ROCPRIM_400000_NS6detail17trampoline_kernelINS0_14default_configENS1_20scan_config_selectorIN3c104HalfEEEZZNS1_9scan_implILNS1_25lookback_scan_determinismE0ELb0ELb0ES3_PKS6_PS6_S6_ZZZN2at6native31launch_logcumsumexp_cuda_kernelERKNSD_10TensorBaseESH_lENKUlvE_clEvENKUlvE3_clEvEUlS6_S6_E_S6_EEDaPvRmT3_T4_T5_mT6_P12ihipStream_tbENKUlT_T0_E_clISt17integral_constantIbLb1EESY_EEDaST_SU_EUlST_E0_NS1_11comp_targetILNS1_3genE2ELNS1_11target_archE906ELNS1_3gpuE6ELNS1_3repE0EEENS1_30default_config_static_selectorELNS0_4arch9wavefront6targetE1EEEvT1_, .Lfunc_end393-_ZN7rocprim17ROCPRIM_400000_NS6detail17trampoline_kernelINS0_14default_configENS1_20scan_config_selectorIN3c104HalfEEEZZNS1_9scan_implILNS1_25lookback_scan_determinismE0ELb0ELb0ES3_PKS6_PS6_S6_ZZZN2at6native31launch_logcumsumexp_cuda_kernelERKNSD_10TensorBaseESH_lENKUlvE_clEvENKUlvE3_clEvEUlS6_S6_E_S6_EEDaPvRmT3_T4_T5_mT6_P12ihipStream_tbENKUlT_T0_E_clISt17integral_constantIbLb1EESY_EEDaST_SU_EUlST_E0_NS1_11comp_targetILNS1_3genE2ELNS1_11target_archE906ELNS1_3gpuE6ELNS1_3repE0EEENS1_30default_config_static_selectorELNS0_4arch9wavefront6targetE1EEEvT1_
                                        ; -- End function
	.section	.AMDGPU.csdata,"",@progbits
; Kernel info:
; codeLenInByte = 0
; NumSgprs: 4
; NumVgprs: 0
; NumAgprs: 0
; TotalNumVgprs: 0
; ScratchSize: 0
; MemoryBound: 0
; FloatMode: 240
; IeeeMode: 1
; LDSByteSize: 0 bytes/workgroup (compile time only)
; SGPRBlocks: 0
; VGPRBlocks: 0
; NumSGPRsForWavesPerEU: 4
; NumVGPRsForWavesPerEU: 1
; AccumOffset: 4
; Occupancy: 8
; WaveLimiterHint : 0
; COMPUTE_PGM_RSRC2:SCRATCH_EN: 0
; COMPUTE_PGM_RSRC2:USER_SGPR: 6
; COMPUTE_PGM_RSRC2:TRAP_HANDLER: 0
; COMPUTE_PGM_RSRC2:TGID_X_EN: 1
; COMPUTE_PGM_RSRC2:TGID_Y_EN: 0
; COMPUTE_PGM_RSRC2:TGID_Z_EN: 0
; COMPUTE_PGM_RSRC2:TIDIG_COMP_CNT: 0
; COMPUTE_PGM_RSRC3_GFX90A:ACCUM_OFFSET: 0
; COMPUTE_PGM_RSRC3_GFX90A:TG_SPLIT: 0
	.section	.text._ZN7rocprim17ROCPRIM_400000_NS6detail17trampoline_kernelINS0_14default_configENS1_20scan_config_selectorIN3c104HalfEEEZZNS1_9scan_implILNS1_25lookback_scan_determinismE0ELb0ELb0ES3_PKS6_PS6_S6_ZZZN2at6native31launch_logcumsumexp_cuda_kernelERKNSD_10TensorBaseESH_lENKUlvE_clEvENKUlvE3_clEvEUlS6_S6_E_S6_EEDaPvRmT3_T4_T5_mT6_P12ihipStream_tbENKUlT_T0_E_clISt17integral_constantIbLb1EESY_EEDaST_SU_EUlST_E0_NS1_11comp_targetILNS1_3genE10ELNS1_11target_archE1201ELNS1_3gpuE5ELNS1_3repE0EEENS1_30default_config_static_selectorELNS0_4arch9wavefront6targetE1EEEvT1_,"axG",@progbits,_ZN7rocprim17ROCPRIM_400000_NS6detail17trampoline_kernelINS0_14default_configENS1_20scan_config_selectorIN3c104HalfEEEZZNS1_9scan_implILNS1_25lookback_scan_determinismE0ELb0ELb0ES3_PKS6_PS6_S6_ZZZN2at6native31launch_logcumsumexp_cuda_kernelERKNSD_10TensorBaseESH_lENKUlvE_clEvENKUlvE3_clEvEUlS6_S6_E_S6_EEDaPvRmT3_T4_T5_mT6_P12ihipStream_tbENKUlT_T0_E_clISt17integral_constantIbLb1EESY_EEDaST_SU_EUlST_E0_NS1_11comp_targetILNS1_3genE10ELNS1_11target_archE1201ELNS1_3gpuE5ELNS1_3repE0EEENS1_30default_config_static_selectorELNS0_4arch9wavefront6targetE1EEEvT1_,comdat
	.globl	_ZN7rocprim17ROCPRIM_400000_NS6detail17trampoline_kernelINS0_14default_configENS1_20scan_config_selectorIN3c104HalfEEEZZNS1_9scan_implILNS1_25lookback_scan_determinismE0ELb0ELb0ES3_PKS6_PS6_S6_ZZZN2at6native31launch_logcumsumexp_cuda_kernelERKNSD_10TensorBaseESH_lENKUlvE_clEvENKUlvE3_clEvEUlS6_S6_E_S6_EEDaPvRmT3_T4_T5_mT6_P12ihipStream_tbENKUlT_T0_E_clISt17integral_constantIbLb1EESY_EEDaST_SU_EUlST_E0_NS1_11comp_targetILNS1_3genE10ELNS1_11target_archE1201ELNS1_3gpuE5ELNS1_3repE0EEENS1_30default_config_static_selectorELNS0_4arch9wavefront6targetE1EEEvT1_ ; -- Begin function _ZN7rocprim17ROCPRIM_400000_NS6detail17trampoline_kernelINS0_14default_configENS1_20scan_config_selectorIN3c104HalfEEEZZNS1_9scan_implILNS1_25lookback_scan_determinismE0ELb0ELb0ES3_PKS6_PS6_S6_ZZZN2at6native31launch_logcumsumexp_cuda_kernelERKNSD_10TensorBaseESH_lENKUlvE_clEvENKUlvE3_clEvEUlS6_S6_E_S6_EEDaPvRmT3_T4_T5_mT6_P12ihipStream_tbENKUlT_T0_E_clISt17integral_constantIbLb1EESY_EEDaST_SU_EUlST_E0_NS1_11comp_targetILNS1_3genE10ELNS1_11target_archE1201ELNS1_3gpuE5ELNS1_3repE0EEENS1_30default_config_static_selectorELNS0_4arch9wavefront6targetE1EEEvT1_
	.p2align	8
	.type	_ZN7rocprim17ROCPRIM_400000_NS6detail17trampoline_kernelINS0_14default_configENS1_20scan_config_selectorIN3c104HalfEEEZZNS1_9scan_implILNS1_25lookback_scan_determinismE0ELb0ELb0ES3_PKS6_PS6_S6_ZZZN2at6native31launch_logcumsumexp_cuda_kernelERKNSD_10TensorBaseESH_lENKUlvE_clEvENKUlvE3_clEvEUlS6_S6_E_S6_EEDaPvRmT3_T4_T5_mT6_P12ihipStream_tbENKUlT_T0_E_clISt17integral_constantIbLb1EESY_EEDaST_SU_EUlST_E0_NS1_11comp_targetILNS1_3genE10ELNS1_11target_archE1201ELNS1_3gpuE5ELNS1_3repE0EEENS1_30default_config_static_selectorELNS0_4arch9wavefront6targetE1EEEvT1_,@function
_ZN7rocprim17ROCPRIM_400000_NS6detail17trampoline_kernelINS0_14default_configENS1_20scan_config_selectorIN3c104HalfEEEZZNS1_9scan_implILNS1_25lookback_scan_determinismE0ELb0ELb0ES3_PKS6_PS6_S6_ZZZN2at6native31launch_logcumsumexp_cuda_kernelERKNSD_10TensorBaseESH_lENKUlvE_clEvENKUlvE3_clEvEUlS6_S6_E_S6_EEDaPvRmT3_T4_T5_mT6_P12ihipStream_tbENKUlT_T0_E_clISt17integral_constantIbLb1EESY_EEDaST_SU_EUlST_E0_NS1_11comp_targetILNS1_3genE10ELNS1_11target_archE1201ELNS1_3gpuE5ELNS1_3repE0EEENS1_30default_config_static_selectorELNS0_4arch9wavefront6targetE1EEEvT1_: ; @_ZN7rocprim17ROCPRIM_400000_NS6detail17trampoline_kernelINS0_14default_configENS1_20scan_config_selectorIN3c104HalfEEEZZNS1_9scan_implILNS1_25lookback_scan_determinismE0ELb0ELb0ES3_PKS6_PS6_S6_ZZZN2at6native31launch_logcumsumexp_cuda_kernelERKNSD_10TensorBaseESH_lENKUlvE_clEvENKUlvE3_clEvEUlS6_S6_E_S6_EEDaPvRmT3_T4_T5_mT6_P12ihipStream_tbENKUlT_T0_E_clISt17integral_constantIbLb1EESY_EEDaST_SU_EUlST_E0_NS1_11comp_targetILNS1_3genE10ELNS1_11target_archE1201ELNS1_3gpuE5ELNS1_3repE0EEENS1_30default_config_static_selectorELNS0_4arch9wavefront6targetE1EEEvT1_
; %bb.0:
	.section	.rodata,"a",@progbits
	.p2align	6, 0x0
	.amdhsa_kernel _ZN7rocprim17ROCPRIM_400000_NS6detail17trampoline_kernelINS0_14default_configENS1_20scan_config_selectorIN3c104HalfEEEZZNS1_9scan_implILNS1_25lookback_scan_determinismE0ELb0ELb0ES3_PKS6_PS6_S6_ZZZN2at6native31launch_logcumsumexp_cuda_kernelERKNSD_10TensorBaseESH_lENKUlvE_clEvENKUlvE3_clEvEUlS6_S6_E_S6_EEDaPvRmT3_T4_T5_mT6_P12ihipStream_tbENKUlT_T0_E_clISt17integral_constantIbLb1EESY_EEDaST_SU_EUlST_E0_NS1_11comp_targetILNS1_3genE10ELNS1_11target_archE1201ELNS1_3gpuE5ELNS1_3repE0EEENS1_30default_config_static_selectorELNS0_4arch9wavefront6targetE1EEEvT1_
		.amdhsa_group_segment_fixed_size 0
		.amdhsa_private_segment_fixed_size 0
		.amdhsa_kernarg_size 32
		.amdhsa_user_sgpr_count 6
		.amdhsa_user_sgpr_private_segment_buffer 1
		.amdhsa_user_sgpr_dispatch_ptr 0
		.amdhsa_user_sgpr_queue_ptr 0
		.amdhsa_user_sgpr_kernarg_segment_ptr 1
		.amdhsa_user_sgpr_dispatch_id 0
		.amdhsa_user_sgpr_flat_scratch_init 0
		.amdhsa_user_sgpr_kernarg_preload_length 0
		.amdhsa_user_sgpr_kernarg_preload_offset 0
		.amdhsa_user_sgpr_private_segment_size 0
		.amdhsa_uses_dynamic_stack 0
		.amdhsa_system_sgpr_private_segment_wavefront_offset 0
		.amdhsa_system_sgpr_workgroup_id_x 1
		.amdhsa_system_sgpr_workgroup_id_y 0
		.amdhsa_system_sgpr_workgroup_id_z 0
		.amdhsa_system_sgpr_workgroup_info 0
		.amdhsa_system_vgpr_workitem_id 0
		.amdhsa_next_free_vgpr 1
		.amdhsa_next_free_sgpr 0
		.amdhsa_accum_offset 4
		.amdhsa_reserve_vcc 0
		.amdhsa_reserve_flat_scratch 0
		.amdhsa_float_round_mode_32 0
		.amdhsa_float_round_mode_16_64 0
		.amdhsa_float_denorm_mode_32 3
		.amdhsa_float_denorm_mode_16_64 3
		.amdhsa_dx10_clamp 1
		.amdhsa_ieee_mode 1
		.amdhsa_fp16_overflow 0
		.amdhsa_tg_split 0
		.amdhsa_exception_fp_ieee_invalid_op 0
		.amdhsa_exception_fp_denorm_src 0
		.amdhsa_exception_fp_ieee_div_zero 0
		.amdhsa_exception_fp_ieee_overflow 0
		.amdhsa_exception_fp_ieee_underflow 0
		.amdhsa_exception_fp_ieee_inexact 0
		.amdhsa_exception_int_div_zero 0
	.end_amdhsa_kernel
	.section	.text._ZN7rocprim17ROCPRIM_400000_NS6detail17trampoline_kernelINS0_14default_configENS1_20scan_config_selectorIN3c104HalfEEEZZNS1_9scan_implILNS1_25lookback_scan_determinismE0ELb0ELb0ES3_PKS6_PS6_S6_ZZZN2at6native31launch_logcumsumexp_cuda_kernelERKNSD_10TensorBaseESH_lENKUlvE_clEvENKUlvE3_clEvEUlS6_S6_E_S6_EEDaPvRmT3_T4_T5_mT6_P12ihipStream_tbENKUlT_T0_E_clISt17integral_constantIbLb1EESY_EEDaST_SU_EUlST_E0_NS1_11comp_targetILNS1_3genE10ELNS1_11target_archE1201ELNS1_3gpuE5ELNS1_3repE0EEENS1_30default_config_static_selectorELNS0_4arch9wavefront6targetE1EEEvT1_,"axG",@progbits,_ZN7rocprim17ROCPRIM_400000_NS6detail17trampoline_kernelINS0_14default_configENS1_20scan_config_selectorIN3c104HalfEEEZZNS1_9scan_implILNS1_25lookback_scan_determinismE0ELb0ELb0ES3_PKS6_PS6_S6_ZZZN2at6native31launch_logcumsumexp_cuda_kernelERKNSD_10TensorBaseESH_lENKUlvE_clEvENKUlvE3_clEvEUlS6_S6_E_S6_EEDaPvRmT3_T4_T5_mT6_P12ihipStream_tbENKUlT_T0_E_clISt17integral_constantIbLb1EESY_EEDaST_SU_EUlST_E0_NS1_11comp_targetILNS1_3genE10ELNS1_11target_archE1201ELNS1_3gpuE5ELNS1_3repE0EEENS1_30default_config_static_selectorELNS0_4arch9wavefront6targetE1EEEvT1_,comdat
.Lfunc_end394:
	.size	_ZN7rocprim17ROCPRIM_400000_NS6detail17trampoline_kernelINS0_14default_configENS1_20scan_config_selectorIN3c104HalfEEEZZNS1_9scan_implILNS1_25lookback_scan_determinismE0ELb0ELb0ES3_PKS6_PS6_S6_ZZZN2at6native31launch_logcumsumexp_cuda_kernelERKNSD_10TensorBaseESH_lENKUlvE_clEvENKUlvE3_clEvEUlS6_S6_E_S6_EEDaPvRmT3_T4_T5_mT6_P12ihipStream_tbENKUlT_T0_E_clISt17integral_constantIbLb1EESY_EEDaST_SU_EUlST_E0_NS1_11comp_targetILNS1_3genE10ELNS1_11target_archE1201ELNS1_3gpuE5ELNS1_3repE0EEENS1_30default_config_static_selectorELNS0_4arch9wavefront6targetE1EEEvT1_, .Lfunc_end394-_ZN7rocprim17ROCPRIM_400000_NS6detail17trampoline_kernelINS0_14default_configENS1_20scan_config_selectorIN3c104HalfEEEZZNS1_9scan_implILNS1_25lookback_scan_determinismE0ELb0ELb0ES3_PKS6_PS6_S6_ZZZN2at6native31launch_logcumsumexp_cuda_kernelERKNSD_10TensorBaseESH_lENKUlvE_clEvENKUlvE3_clEvEUlS6_S6_E_S6_EEDaPvRmT3_T4_T5_mT6_P12ihipStream_tbENKUlT_T0_E_clISt17integral_constantIbLb1EESY_EEDaST_SU_EUlST_E0_NS1_11comp_targetILNS1_3genE10ELNS1_11target_archE1201ELNS1_3gpuE5ELNS1_3repE0EEENS1_30default_config_static_selectorELNS0_4arch9wavefront6targetE1EEEvT1_
                                        ; -- End function
	.section	.AMDGPU.csdata,"",@progbits
; Kernel info:
; codeLenInByte = 0
; NumSgprs: 4
; NumVgprs: 0
; NumAgprs: 0
; TotalNumVgprs: 0
; ScratchSize: 0
; MemoryBound: 0
; FloatMode: 240
; IeeeMode: 1
; LDSByteSize: 0 bytes/workgroup (compile time only)
; SGPRBlocks: 0
; VGPRBlocks: 0
; NumSGPRsForWavesPerEU: 4
; NumVGPRsForWavesPerEU: 1
; AccumOffset: 4
; Occupancy: 8
; WaveLimiterHint : 0
; COMPUTE_PGM_RSRC2:SCRATCH_EN: 0
; COMPUTE_PGM_RSRC2:USER_SGPR: 6
; COMPUTE_PGM_RSRC2:TRAP_HANDLER: 0
; COMPUTE_PGM_RSRC2:TGID_X_EN: 1
; COMPUTE_PGM_RSRC2:TGID_Y_EN: 0
; COMPUTE_PGM_RSRC2:TGID_Z_EN: 0
; COMPUTE_PGM_RSRC2:TIDIG_COMP_CNT: 0
; COMPUTE_PGM_RSRC3_GFX90A:ACCUM_OFFSET: 0
; COMPUTE_PGM_RSRC3_GFX90A:TG_SPLIT: 0
	.section	.text._ZN7rocprim17ROCPRIM_400000_NS6detail17trampoline_kernelINS0_14default_configENS1_20scan_config_selectorIN3c104HalfEEEZZNS1_9scan_implILNS1_25lookback_scan_determinismE0ELb0ELb0ES3_PKS6_PS6_S6_ZZZN2at6native31launch_logcumsumexp_cuda_kernelERKNSD_10TensorBaseESH_lENKUlvE_clEvENKUlvE3_clEvEUlS6_S6_E_S6_EEDaPvRmT3_T4_T5_mT6_P12ihipStream_tbENKUlT_T0_E_clISt17integral_constantIbLb1EESY_EEDaST_SU_EUlST_E0_NS1_11comp_targetILNS1_3genE10ELNS1_11target_archE1200ELNS1_3gpuE4ELNS1_3repE0EEENS1_30default_config_static_selectorELNS0_4arch9wavefront6targetE1EEEvT1_,"axG",@progbits,_ZN7rocprim17ROCPRIM_400000_NS6detail17trampoline_kernelINS0_14default_configENS1_20scan_config_selectorIN3c104HalfEEEZZNS1_9scan_implILNS1_25lookback_scan_determinismE0ELb0ELb0ES3_PKS6_PS6_S6_ZZZN2at6native31launch_logcumsumexp_cuda_kernelERKNSD_10TensorBaseESH_lENKUlvE_clEvENKUlvE3_clEvEUlS6_S6_E_S6_EEDaPvRmT3_T4_T5_mT6_P12ihipStream_tbENKUlT_T0_E_clISt17integral_constantIbLb1EESY_EEDaST_SU_EUlST_E0_NS1_11comp_targetILNS1_3genE10ELNS1_11target_archE1200ELNS1_3gpuE4ELNS1_3repE0EEENS1_30default_config_static_selectorELNS0_4arch9wavefront6targetE1EEEvT1_,comdat
	.globl	_ZN7rocprim17ROCPRIM_400000_NS6detail17trampoline_kernelINS0_14default_configENS1_20scan_config_selectorIN3c104HalfEEEZZNS1_9scan_implILNS1_25lookback_scan_determinismE0ELb0ELb0ES3_PKS6_PS6_S6_ZZZN2at6native31launch_logcumsumexp_cuda_kernelERKNSD_10TensorBaseESH_lENKUlvE_clEvENKUlvE3_clEvEUlS6_S6_E_S6_EEDaPvRmT3_T4_T5_mT6_P12ihipStream_tbENKUlT_T0_E_clISt17integral_constantIbLb1EESY_EEDaST_SU_EUlST_E0_NS1_11comp_targetILNS1_3genE10ELNS1_11target_archE1200ELNS1_3gpuE4ELNS1_3repE0EEENS1_30default_config_static_selectorELNS0_4arch9wavefront6targetE1EEEvT1_ ; -- Begin function _ZN7rocprim17ROCPRIM_400000_NS6detail17trampoline_kernelINS0_14default_configENS1_20scan_config_selectorIN3c104HalfEEEZZNS1_9scan_implILNS1_25lookback_scan_determinismE0ELb0ELb0ES3_PKS6_PS6_S6_ZZZN2at6native31launch_logcumsumexp_cuda_kernelERKNSD_10TensorBaseESH_lENKUlvE_clEvENKUlvE3_clEvEUlS6_S6_E_S6_EEDaPvRmT3_T4_T5_mT6_P12ihipStream_tbENKUlT_T0_E_clISt17integral_constantIbLb1EESY_EEDaST_SU_EUlST_E0_NS1_11comp_targetILNS1_3genE10ELNS1_11target_archE1200ELNS1_3gpuE4ELNS1_3repE0EEENS1_30default_config_static_selectorELNS0_4arch9wavefront6targetE1EEEvT1_
	.p2align	8
	.type	_ZN7rocprim17ROCPRIM_400000_NS6detail17trampoline_kernelINS0_14default_configENS1_20scan_config_selectorIN3c104HalfEEEZZNS1_9scan_implILNS1_25lookback_scan_determinismE0ELb0ELb0ES3_PKS6_PS6_S6_ZZZN2at6native31launch_logcumsumexp_cuda_kernelERKNSD_10TensorBaseESH_lENKUlvE_clEvENKUlvE3_clEvEUlS6_S6_E_S6_EEDaPvRmT3_T4_T5_mT6_P12ihipStream_tbENKUlT_T0_E_clISt17integral_constantIbLb1EESY_EEDaST_SU_EUlST_E0_NS1_11comp_targetILNS1_3genE10ELNS1_11target_archE1200ELNS1_3gpuE4ELNS1_3repE0EEENS1_30default_config_static_selectorELNS0_4arch9wavefront6targetE1EEEvT1_,@function
_ZN7rocprim17ROCPRIM_400000_NS6detail17trampoline_kernelINS0_14default_configENS1_20scan_config_selectorIN3c104HalfEEEZZNS1_9scan_implILNS1_25lookback_scan_determinismE0ELb0ELb0ES3_PKS6_PS6_S6_ZZZN2at6native31launch_logcumsumexp_cuda_kernelERKNSD_10TensorBaseESH_lENKUlvE_clEvENKUlvE3_clEvEUlS6_S6_E_S6_EEDaPvRmT3_T4_T5_mT6_P12ihipStream_tbENKUlT_T0_E_clISt17integral_constantIbLb1EESY_EEDaST_SU_EUlST_E0_NS1_11comp_targetILNS1_3genE10ELNS1_11target_archE1200ELNS1_3gpuE4ELNS1_3repE0EEENS1_30default_config_static_selectorELNS0_4arch9wavefront6targetE1EEEvT1_: ; @_ZN7rocprim17ROCPRIM_400000_NS6detail17trampoline_kernelINS0_14default_configENS1_20scan_config_selectorIN3c104HalfEEEZZNS1_9scan_implILNS1_25lookback_scan_determinismE0ELb0ELb0ES3_PKS6_PS6_S6_ZZZN2at6native31launch_logcumsumexp_cuda_kernelERKNSD_10TensorBaseESH_lENKUlvE_clEvENKUlvE3_clEvEUlS6_S6_E_S6_EEDaPvRmT3_T4_T5_mT6_P12ihipStream_tbENKUlT_T0_E_clISt17integral_constantIbLb1EESY_EEDaST_SU_EUlST_E0_NS1_11comp_targetILNS1_3genE10ELNS1_11target_archE1200ELNS1_3gpuE4ELNS1_3repE0EEENS1_30default_config_static_selectorELNS0_4arch9wavefront6targetE1EEEvT1_
; %bb.0:
	.section	.rodata,"a",@progbits
	.p2align	6, 0x0
	.amdhsa_kernel _ZN7rocprim17ROCPRIM_400000_NS6detail17trampoline_kernelINS0_14default_configENS1_20scan_config_selectorIN3c104HalfEEEZZNS1_9scan_implILNS1_25lookback_scan_determinismE0ELb0ELb0ES3_PKS6_PS6_S6_ZZZN2at6native31launch_logcumsumexp_cuda_kernelERKNSD_10TensorBaseESH_lENKUlvE_clEvENKUlvE3_clEvEUlS6_S6_E_S6_EEDaPvRmT3_T4_T5_mT6_P12ihipStream_tbENKUlT_T0_E_clISt17integral_constantIbLb1EESY_EEDaST_SU_EUlST_E0_NS1_11comp_targetILNS1_3genE10ELNS1_11target_archE1200ELNS1_3gpuE4ELNS1_3repE0EEENS1_30default_config_static_selectorELNS0_4arch9wavefront6targetE1EEEvT1_
		.amdhsa_group_segment_fixed_size 0
		.amdhsa_private_segment_fixed_size 0
		.amdhsa_kernarg_size 32
		.amdhsa_user_sgpr_count 6
		.amdhsa_user_sgpr_private_segment_buffer 1
		.amdhsa_user_sgpr_dispatch_ptr 0
		.amdhsa_user_sgpr_queue_ptr 0
		.amdhsa_user_sgpr_kernarg_segment_ptr 1
		.amdhsa_user_sgpr_dispatch_id 0
		.amdhsa_user_sgpr_flat_scratch_init 0
		.amdhsa_user_sgpr_kernarg_preload_length 0
		.amdhsa_user_sgpr_kernarg_preload_offset 0
		.amdhsa_user_sgpr_private_segment_size 0
		.amdhsa_uses_dynamic_stack 0
		.amdhsa_system_sgpr_private_segment_wavefront_offset 0
		.amdhsa_system_sgpr_workgroup_id_x 1
		.amdhsa_system_sgpr_workgroup_id_y 0
		.amdhsa_system_sgpr_workgroup_id_z 0
		.amdhsa_system_sgpr_workgroup_info 0
		.amdhsa_system_vgpr_workitem_id 0
		.amdhsa_next_free_vgpr 1
		.amdhsa_next_free_sgpr 0
		.amdhsa_accum_offset 4
		.amdhsa_reserve_vcc 0
		.amdhsa_reserve_flat_scratch 0
		.amdhsa_float_round_mode_32 0
		.amdhsa_float_round_mode_16_64 0
		.amdhsa_float_denorm_mode_32 3
		.amdhsa_float_denorm_mode_16_64 3
		.amdhsa_dx10_clamp 1
		.amdhsa_ieee_mode 1
		.amdhsa_fp16_overflow 0
		.amdhsa_tg_split 0
		.amdhsa_exception_fp_ieee_invalid_op 0
		.amdhsa_exception_fp_denorm_src 0
		.amdhsa_exception_fp_ieee_div_zero 0
		.amdhsa_exception_fp_ieee_overflow 0
		.amdhsa_exception_fp_ieee_underflow 0
		.amdhsa_exception_fp_ieee_inexact 0
		.amdhsa_exception_int_div_zero 0
	.end_amdhsa_kernel
	.section	.text._ZN7rocprim17ROCPRIM_400000_NS6detail17trampoline_kernelINS0_14default_configENS1_20scan_config_selectorIN3c104HalfEEEZZNS1_9scan_implILNS1_25lookback_scan_determinismE0ELb0ELb0ES3_PKS6_PS6_S6_ZZZN2at6native31launch_logcumsumexp_cuda_kernelERKNSD_10TensorBaseESH_lENKUlvE_clEvENKUlvE3_clEvEUlS6_S6_E_S6_EEDaPvRmT3_T4_T5_mT6_P12ihipStream_tbENKUlT_T0_E_clISt17integral_constantIbLb1EESY_EEDaST_SU_EUlST_E0_NS1_11comp_targetILNS1_3genE10ELNS1_11target_archE1200ELNS1_3gpuE4ELNS1_3repE0EEENS1_30default_config_static_selectorELNS0_4arch9wavefront6targetE1EEEvT1_,"axG",@progbits,_ZN7rocprim17ROCPRIM_400000_NS6detail17trampoline_kernelINS0_14default_configENS1_20scan_config_selectorIN3c104HalfEEEZZNS1_9scan_implILNS1_25lookback_scan_determinismE0ELb0ELb0ES3_PKS6_PS6_S6_ZZZN2at6native31launch_logcumsumexp_cuda_kernelERKNSD_10TensorBaseESH_lENKUlvE_clEvENKUlvE3_clEvEUlS6_S6_E_S6_EEDaPvRmT3_T4_T5_mT6_P12ihipStream_tbENKUlT_T0_E_clISt17integral_constantIbLb1EESY_EEDaST_SU_EUlST_E0_NS1_11comp_targetILNS1_3genE10ELNS1_11target_archE1200ELNS1_3gpuE4ELNS1_3repE0EEENS1_30default_config_static_selectorELNS0_4arch9wavefront6targetE1EEEvT1_,comdat
.Lfunc_end395:
	.size	_ZN7rocprim17ROCPRIM_400000_NS6detail17trampoline_kernelINS0_14default_configENS1_20scan_config_selectorIN3c104HalfEEEZZNS1_9scan_implILNS1_25lookback_scan_determinismE0ELb0ELb0ES3_PKS6_PS6_S6_ZZZN2at6native31launch_logcumsumexp_cuda_kernelERKNSD_10TensorBaseESH_lENKUlvE_clEvENKUlvE3_clEvEUlS6_S6_E_S6_EEDaPvRmT3_T4_T5_mT6_P12ihipStream_tbENKUlT_T0_E_clISt17integral_constantIbLb1EESY_EEDaST_SU_EUlST_E0_NS1_11comp_targetILNS1_3genE10ELNS1_11target_archE1200ELNS1_3gpuE4ELNS1_3repE0EEENS1_30default_config_static_selectorELNS0_4arch9wavefront6targetE1EEEvT1_, .Lfunc_end395-_ZN7rocprim17ROCPRIM_400000_NS6detail17trampoline_kernelINS0_14default_configENS1_20scan_config_selectorIN3c104HalfEEEZZNS1_9scan_implILNS1_25lookback_scan_determinismE0ELb0ELb0ES3_PKS6_PS6_S6_ZZZN2at6native31launch_logcumsumexp_cuda_kernelERKNSD_10TensorBaseESH_lENKUlvE_clEvENKUlvE3_clEvEUlS6_S6_E_S6_EEDaPvRmT3_T4_T5_mT6_P12ihipStream_tbENKUlT_T0_E_clISt17integral_constantIbLb1EESY_EEDaST_SU_EUlST_E0_NS1_11comp_targetILNS1_3genE10ELNS1_11target_archE1200ELNS1_3gpuE4ELNS1_3repE0EEENS1_30default_config_static_selectorELNS0_4arch9wavefront6targetE1EEEvT1_
                                        ; -- End function
	.section	.AMDGPU.csdata,"",@progbits
; Kernel info:
; codeLenInByte = 0
; NumSgprs: 4
; NumVgprs: 0
; NumAgprs: 0
; TotalNumVgprs: 0
; ScratchSize: 0
; MemoryBound: 0
; FloatMode: 240
; IeeeMode: 1
; LDSByteSize: 0 bytes/workgroup (compile time only)
; SGPRBlocks: 0
; VGPRBlocks: 0
; NumSGPRsForWavesPerEU: 4
; NumVGPRsForWavesPerEU: 1
; AccumOffset: 4
; Occupancy: 8
; WaveLimiterHint : 0
; COMPUTE_PGM_RSRC2:SCRATCH_EN: 0
; COMPUTE_PGM_RSRC2:USER_SGPR: 6
; COMPUTE_PGM_RSRC2:TRAP_HANDLER: 0
; COMPUTE_PGM_RSRC2:TGID_X_EN: 1
; COMPUTE_PGM_RSRC2:TGID_Y_EN: 0
; COMPUTE_PGM_RSRC2:TGID_Z_EN: 0
; COMPUTE_PGM_RSRC2:TIDIG_COMP_CNT: 0
; COMPUTE_PGM_RSRC3_GFX90A:ACCUM_OFFSET: 0
; COMPUTE_PGM_RSRC3_GFX90A:TG_SPLIT: 0
	.section	.text._ZN7rocprim17ROCPRIM_400000_NS6detail17trampoline_kernelINS0_14default_configENS1_20scan_config_selectorIN3c104HalfEEEZZNS1_9scan_implILNS1_25lookback_scan_determinismE0ELb0ELb0ES3_PKS6_PS6_S6_ZZZN2at6native31launch_logcumsumexp_cuda_kernelERKNSD_10TensorBaseESH_lENKUlvE_clEvENKUlvE3_clEvEUlS6_S6_E_S6_EEDaPvRmT3_T4_T5_mT6_P12ihipStream_tbENKUlT_T0_E_clISt17integral_constantIbLb1EESY_EEDaST_SU_EUlST_E0_NS1_11comp_targetILNS1_3genE9ELNS1_11target_archE1100ELNS1_3gpuE3ELNS1_3repE0EEENS1_30default_config_static_selectorELNS0_4arch9wavefront6targetE1EEEvT1_,"axG",@progbits,_ZN7rocprim17ROCPRIM_400000_NS6detail17trampoline_kernelINS0_14default_configENS1_20scan_config_selectorIN3c104HalfEEEZZNS1_9scan_implILNS1_25lookback_scan_determinismE0ELb0ELb0ES3_PKS6_PS6_S6_ZZZN2at6native31launch_logcumsumexp_cuda_kernelERKNSD_10TensorBaseESH_lENKUlvE_clEvENKUlvE3_clEvEUlS6_S6_E_S6_EEDaPvRmT3_T4_T5_mT6_P12ihipStream_tbENKUlT_T0_E_clISt17integral_constantIbLb1EESY_EEDaST_SU_EUlST_E0_NS1_11comp_targetILNS1_3genE9ELNS1_11target_archE1100ELNS1_3gpuE3ELNS1_3repE0EEENS1_30default_config_static_selectorELNS0_4arch9wavefront6targetE1EEEvT1_,comdat
	.globl	_ZN7rocprim17ROCPRIM_400000_NS6detail17trampoline_kernelINS0_14default_configENS1_20scan_config_selectorIN3c104HalfEEEZZNS1_9scan_implILNS1_25lookback_scan_determinismE0ELb0ELb0ES3_PKS6_PS6_S6_ZZZN2at6native31launch_logcumsumexp_cuda_kernelERKNSD_10TensorBaseESH_lENKUlvE_clEvENKUlvE3_clEvEUlS6_S6_E_S6_EEDaPvRmT3_T4_T5_mT6_P12ihipStream_tbENKUlT_T0_E_clISt17integral_constantIbLb1EESY_EEDaST_SU_EUlST_E0_NS1_11comp_targetILNS1_3genE9ELNS1_11target_archE1100ELNS1_3gpuE3ELNS1_3repE0EEENS1_30default_config_static_selectorELNS0_4arch9wavefront6targetE1EEEvT1_ ; -- Begin function _ZN7rocprim17ROCPRIM_400000_NS6detail17trampoline_kernelINS0_14default_configENS1_20scan_config_selectorIN3c104HalfEEEZZNS1_9scan_implILNS1_25lookback_scan_determinismE0ELb0ELb0ES3_PKS6_PS6_S6_ZZZN2at6native31launch_logcumsumexp_cuda_kernelERKNSD_10TensorBaseESH_lENKUlvE_clEvENKUlvE3_clEvEUlS6_S6_E_S6_EEDaPvRmT3_T4_T5_mT6_P12ihipStream_tbENKUlT_T0_E_clISt17integral_constantIbLb1EESY_EEDaST_SU_EUlST_E0_NS1_11comp_targetILNS1_3genE9ELNS1_11target_archE1100ELNS1_3gpuE3ELNS1_3repE0EEENS1_30default_config_static_selectorELNS0_4arch9wavefront6targetE1EEEvT1_
	.p2align	8
	.type	_ZN7rocprim17ROCPRIM_400000_NS6detail17trampoline_kernelINS0_14default_configENS1_20scan_config_selectorIN3c104HalfEEEZZNS1_9scan_implILNS1_25lookback_scan_determinismE0ELb0ELb0ES3_PKS6_PS6_S6_ZZZN2at6native31launch_logcumsumexp_cuda_kernelERKNSD_10TensorBaseESH_lENKUlvE_clEvENKUlvE3_clEvEUlS6_S6_E_S6_EEDaPvRmT3_T4_T5_mT6_P12ihipStream_tbENKUlT_T0_E_clISt17integral_constantIbLb1EESY_EEDaST_SU_EUlST_E0_NS1_11comp_targetILNS1_3genE9ELNS1_11target_archE1100ELNS1_3gpuE3ELNS1_3repE0EEENS1_30default_config_static_selectorELNS0_4arch9wavefront6targetE1EEEvT1_,@function
_ZN7rocprim17ROCPRIM_400000_NS6detail17trampoline_kernelINS0_14default_configENS1_20scan_config_selectorIN3c104HalfEEEZZNS1_9scan_implILNS1_25lookback_scan_determinismE0ELb0ELb0ES3_PKS6_PS6_S6_ZZZN2at6native31launch_logcumsumexp_cuda_kernelERKNSD_10TensorBaseESH_lENKUlvE_clEvENKUlvE3_clEvEUlS6_S6_E_S6_EEDaPvRmT3_T4_T5_mT6_P12ihipStream_tbENKUlT_T0_E_clISt17integral_constantIbLb1EESY_EEDaST_SU_EUlST_E0_NS1_11comp_targetILNS1_3genE9ELNS1_11target_archE1100ELNS1_3gpuE3ELNS1_3repE0EEENS1_30default_config_static_selectorELNS0_4arch9wavefront6targetE1EEEvT1_: ; @_ZN7rocprim17ROCPRIM_400000_NS6detail17trampoline_kernelINS0_14default_configENS1_20scan_config_selectorIN3c104HalfEEEZZNS1_9scan_implILNS1_25lookback_scan_determinismE0ELb0ELb0ES3_PKS6_PS6_S6_ZZZN2at6native31launch_logcumsumexp_cuda_kernelERKNSD_10TensorBaseESH_lENKUlvE_clEvENKUlvE3_clEvEUlS6_S6_E_S6_EEDaPvRmT3_T4_T5_mT6_P12ihipStream_tbENKUlT_T0_E_clISt17integral_constantIbLb1EESY_EEDaST_SU_EUlST_E0_NS1_11comp_targetILNS1_3genE9ELNS1_11target_archE1100ELNS1_3gpuE3ELNS1_3repE0EEENS1_30default_config_static_selectorELNS0_4arch9wavefront6targetE1EEEvT1_
; %bb.0:
	.section	.rodata,"a",@progbits
	.p2align	6, 0x0
	.amdhsa_kernel _ZN7rocprim17ROCPRIM_400000_NS6detail17trampoline_kernelINS0_14default_configENS1_20scan_config_selectorIN3c104HalfEEEZZNS1_9scan_implILNS1_25lookback_scan_determinismE0ELb0ELb0ES3_PKS6_PS6_S6_ZZZN2at6native31launch_logcumsumexp_cuda_kernelERKNSD_10TensorBaseESH_lENKUlvE_clEvENKUlvE3_clEvEUlS6_S6_E_S6_EEDaPvRmT3_T4_T5_mT6_P12ihipStream_tbENKUlT_T0_E_clISt17integral_constantIbLb1EESY_EEDaST_SU_EUlST_E0_NS1_11comp_targetILNS1_3genE9ELNS1_11target_archE1100ELNS1_3gpuE3ELNS1_3repE0EEENS1_30default_config_static_selectorELNS0_4arch9wavefront6targetE1EEEvT1_
		.amdhsa_group_segment_fixed_size 0
		.amdhsa_private_segment_fixed_size 0
		.amdhsa_kernarg_size 32
		.amdhsa_user_sgpr_count 6
		.amdhsa_user_sgpr_private_segment_buffer 1
		.amdhsa_user_sgpr_dispatch_ptr 0
		.amdhsa_user_sgpr_queue_ptr 0
		.amdhsa_user_sgpr_kernarg_segment_ptr 1
		.amdhsa_user_sgpr_dispatch_id 0
		.amdhsa_user_sgpr_flat_scratch_init 0
		.amdhsa_user_sgpr_kernarg_preload_length 0
		.amdhsa_user_sgpr_kernarg_preload_offset 0
		.amdhsa_user_sgpr_private_segment_size 0
		.amdhsa_uses_dynamic_stack 0
		.amdhsa_system_sgpr_private_segment_wavefront_offset 0
		.amdhsa_system_sgpr_workgroup_id_x 1
		.amdhsa_system_sgpr_workgroup_id_y 0
		.amdhsa_system_sgpr_workgroup_id_z 0
		.amdhsa_system_sgpr_workgroup_info 0
		.amdhsa_system_vgpr_workitem_id 0
		.amdhsa_next_free_vgpr 1
		.amdhsa_next_free_sgpr 0
		.amdhsa_accum_offset 4
		.amdhsa_reserve_vcc 0
		.amdhsa_reserve_flat_scratch 0
		.amdhsa_float_round_mode_32 0
		.amdhsa_float_round_mode_16_64 0
		.amdhsa_float_denorm_mode_32 3
		.amdhsa_float_denorm_mode_16_64 3
		.amdhsa_dx10_clamp 1
		.amdhsa_ieee_mode 1
		.amdhsa_fp16_overflow 0
		.amdhsa_tg_split 0
		.amdhsa_exception_fp_ieee_invalid_op 0
		.amdhsa_exception_fp_denorm_src 0
		.amdhsa_exception_fp_ieee_div_zero 0
		.amdhsa_exception_fp_ieee_overflow 0
		.amdhsa_exception_fp_ieee_underflow 0
		.amdhsa_exception_fp_ieee_inexact 0
		.amdhsa_exception_int_div_zero 0
	.end_amdhsa_kernel
	.section	.text._ZN7rocprim17ROCPRIM_400000_NS6detail17trampoline_kernelINS0_14default_configENS1_20scan_config_selectorIN3c104HalfEEEZZNS1_9scan_implILNS1_25lookback_scan_determinismE0ELb0ELb0ES3_PKS6_PS6_S6_ZZZN2at6native31launch_logcumsumexp_cuda_kernelERKNSD_10TensorBaseESH_lENKUlvE_clEvENKUlvE3_clEvEUlS6_S6_E_S6_EEDaPvRmT3_T4_T5_mT6_P12ihipStream_tbENKUlT_T0_E_clISt17integral_constantIbLb1EESY_EEDaST_SU_EUlST_E0_NS1_11comp_targetILNS1_3genE9ELNS1_11target_archE1100ELNS1_3gpuE3ELNS1_3repE0EEENS1_30default_config_static_selectorELNS0_4arch9wavefront6targetE1EEEvT1_,"axG",@progbits,_ZN7rocprim17ROCPRIM_400000_NS6detail17trampoline_kernelINS0_14default_configENS1_20scan_config_selectorIN3c104HalfEEEZZNS1_9scan_implILNS1_25lookback_scan_determinismE0ELb0ELb0ES3_PKS6_PS6_S6_ZZZN2at6native31launch_logcumsumexp_cuda_kernelERKNSD_10TensorBaseESH_lENKUlvE_clEvENKUlvE3_clEvEUlS6_S6_E_S6_EEDaPvRmT3_T4_T5_mT6_P12ihipStream_tbENKUlT_T0_E_clISt17integral_constantIbLb1EESY_EEDaST_SU_EUlST_E0_NS1_11comp_targetILNS1_3genE9ELNS1_11target_archE1100ELNS1_3gpuE3ELNS1_3repE0EEENS1_30default_config_static_selectorELNS0_4arch9wavefront6targetE1EEEvT1_,comdat
.Lfunc_end396:
	.size	_ZN7rocprim17ROCPRIM_400000_NS6detail17trampoline_kernelINS0_14default_configENS1_20scan_config_selectorIN3c104HalfEEEZZNS1_9scan_implILNS1_25lookback_scan_determinismE0ELb0ELb0ES3_PKS6_PS6_S6_ZZZN2at6native31launch_logcumsumexp_cuda_kernelERKNSD_10TensorBaseESH_lENKUlvE_clEvENKUlvE3_clEvEUlS6_S6_E_S6_EEDaPvRmT3_T4_T5_mT6_P12ihipStream_tbENKUlT_T0_E_clISt17integral_constantIbLb1EESY_EEDaST_SU_EUlST_E0_NS1_11comp_targetILNS1_3genE9ELNS1_11target_archE1100ELNS1_3gpuE3ELNS1_3repE0EEENS1_30default_config_static_selectorELNS0_4arch9wavefront6targetE1EEEvT1_, .Lfunc_end396-_ZN7rocprim17ROCPRIM_400000_NS6detail17trampoline_kernelINS0_14default_configENS1_20scan_config_selectorIN3c104HalfEEEZZNS1_9scan_implILNS1_25lookback_scan_determinismE0ELb0ELb0ES3_PKS6_PS6_S6_ZZZN2at6native31launch_logcumsumexp_cuda_kernelERKNSD_10TensorBaseESH_lENKUlvE_clEvENKUlvE3_clEvEUlS6_S6_E_S6_EEDaPvRmT3_T4_T5_mT6_P12ihipStream_tbENKUlT_T0_E_clISt17integral_constantIbLb1EESY_EEDaST_SU_EUlST_E0_NS1_11comp_targetILNS1_3genE9ELNS1_11target_archE1100ELNS1_3gpuE3ELNS1_3repE0EEENS1_30default_config_static_selectorELNS0_4arch9wavefront6targetE1EEEvT1_
                                        ; -- End function
	.section	.AMDGPU.csdata,"",@progbits
; Kernel info:
; codeLenInByte = 0
; NumSgprs: 4
; NumVgprs: 0
; NumAgprs: 0
; TotalNumVgprs: 0
; ScratchSize: 0
; MemoryBound: 0
; FloatMode: 240
; IeeeMode: 1
; LDSByteSize: 0 bytes/workgroup (compile time only)
; SGPRBlocks: 0
; VGPRBlocks: 0
; NumSGPRsForWavesPerEU: 4
; NumVGPRsForWavesPerEU: 1
; AccumOffset: 4
; Occupancy: 8
; WaveLimiterHint : 0
; COMPUTE_PGM_RSRC2:SCRATCH_EN: 0
; COMPUTE_PGM_RSRC2:USER_SGPR: 6
; COMPUTE_PGM_RSRC2:TRAP_HANDLER: 0
; COMPUTE_PGM_RSRC2:TGID_X_EN: 1
; COMPUTE_PGM_RSRC2:TGID_Y_EN: 0
; COMPUTE_PGM_RSRC2:TGID_Z_EN: 0
; COMPUTE_PGM_RSRC2:TIDIG_COMP_CNT: 0
; COMPUTE_PGM_RSRC3_GFX90A:ACCUM_OFFSET: 0
; COMPUTE_PGM_RSRC3_GFX90A:TG_SPLIT: 0
	.section	.text._ZN7rocprim17ROCPRIM_400000_NS6detail17trampoline_kernelINS0_14default_configENS1_20scan_config_selectorIN3c104HalfEEEZZNS1_9scan_implILNS1_25lookback_scan_determinismE0ELb0ELb0ES3_PKS6_PS6_S6_ZZZN2at6native31launch_logcumsumexp_cuda_kernelERKNSD_10TensorBaseESH_lENKUlvE_clEvENKUlvE3_clEvEUlS6_S6_E_S6_EEDaPvRmT3_T4_T5_mT6_P12ihipStream_tbENKUlT_T0_E_clISt17integral_constantIbLb1EESY_EEDaST_SU_EUlST_E0_NS1_11comp_targetILNS1_3genE8ELNS1_11target_archE1030ELNS1_3gpuE2ELNS1_3repE0EEENS1_30default_config_static_selectorELNS0_4arch9wavefront6targetE1EEEvT1_,"axG",@progbits,_ZN7rocprim17ROCPRIM_400000_NS6detail17trampoline_kernelINS0_14default_configENS1_20scan_config_selectorIN3c104HalfEEEZZNS1_9scan_implILNS1_25lookback_scan_determinismE0ELb0ELb0ES3_PKS6_PS6_S6_ZZZN2at6native31launch_logcumsumexp_cuda_kernelERKNSD_10TensorBaseESH_lENKUlvE_clEvENKUlvE3_clEvEUlS6_S6_E_S6_EEDaPvRmT3_T4_T5_mT6_P12ihipStream_tbENKUlT_T0_E_clISt17integral_constantIbLb1EESY_EEDaST_SU_EUlST_E0_NS1_11comp_targetILNS1_3genE8ELNS1_11target_archE1030ELNS1_3gpuE2ELNS1_3repE0EEENS1_30default_config_static_selectorELNS0_4arch9wavefront6targetE1EEEvT1_,comdat
	.globl	_ZN7rocprim17ROCPRIM_400000_NS6detail17trampoline_kernelINS0_14default_configENS1_20scan_config_selectorIN3c104HalfEEEZZNS1_9scan_implILNS1_25lookback_scan_determinismE0ELb0ELb0ES3_PKS6_PS6_S6_ZZZN2at6native31launch_logcumsumexp_cuda_kernelERKNSD_10TensorBaseESH_lENKUlvE_clEvENKUlvE3_clEvEUlS6_S6_E_S6_EEDaPvRmT3_T4_T5_mT6_P12ihipStream_tbENKUlT_T0_E_clISt17integral_constantIbLb1EESY_EEDaST_SU_EUlST_E0_NS1_11comp_targetILNS1_3genE8ELNS1_11target_archE1030ELNS1_3gpuE2ELNS1_3repE0EEENS1_30default_config_static_selectorELNS0_4arch9wavefront6targetE1EEEvT1_ ; -- Begin function _ZN7rocprim17ROCPRIM_400000_NS6detail17trampoline_kernelINS0_14default_configENS1_20scan_config_selectorIN3c104HalfEEEZZNS1_9scan_implILNS1_25lookback_scan_determinismE0ELb0ELb0ES3_PKS6_PS6_S6_ZZZN2at6native31launch_logcumsumexp_cuda_kernelERKNSD_10TensorBaseESH_lENKUlvE_clEvENKUlvE3_clEvEUlS6_S6_E_S6_EEDaPvRmT3_T4_T5_mT6_P12ihipStream_tbENKUlT_T0_E_clISt17integral_constantIbLb1EESY_EEDaST_SU_EUlST_E0_NS1_11comp_targetILNS1_3genE8ELNS1_11target_archE1030ELNS1_3gpuE2ELNS1_3repE0EEENS1_30default_config_static_selectorELNS0_4arch9wavefront6targetE1EEEvT1_
	.p2align	8
	.type	_ZN7rocprim17ROCPRIM_400000_NS6detail17trampoline_kernelINS0_14default_configENS1_20scan_config_selectorIN3c104HalfEEEZZNS1_9scan_implILNS1_25lookback_scan_determinismE0ELb0ELb0ES3_PKS6_PS6_S6_ZZZN2at6native31launch_logcumsumexp_cuda_kernelERKNSD_10TensorBaseESH_lENKUlvE_clEvENKUlvE3_clEvEUlS6_S6_E_S6_EEDaPvRmT3_T4_T5_mT6_P12ihipStream_tbENKUlT_T0_E_clISt17integral_constantIbLb1EESY_EEDaST_SU_EUlST_E0_NS1_11comp_targetILNS1_3genE8ELNS1_11target_archE1030ELNS1_3gpuE2ELNS1_3repE0EEENS1_30default_config_static_selectorELNS0_4arch9wavefront6targetE1EEEvT1_,@function
_ZN7rocprim17ROCPRIM_400000_NS6detail17trampoline_kernelINS0_14default_configENS1_20scan_config_selectorIN3c104HalfEEEZZNS1_9scan_implILNS1_25lookback_scan_determinismE0ELb0ELb0ES3_PKS6_PS6_S6_ZZZN2at6native31launch_logcumsumexp_cuda_kernelERKNSD_10TensorBaseESH_lENKUlvE_clEvENKUlvE3_clEvEUlS6_S6_E_S6_EEDaPvRmT3_T4_T5_mT6_P12ihipStream_tbENKUlT_T0_E_clISt17integral_constantIbLb1EESY_EEDaST_SU_EUlST_E0_NS1_11comp_targetILNS1_3genE8ELNS1_11target_archE1030ELNS1_3gpuE2ELNS1_3repE0EEENS1_30default_config_static_selectorELNS0_4arch9wavefront6targetE1EEEvT1_: ; @_ZN7rocprim17ROCPRIM_400000_NS6detail17trampoline_kernelINS0_14default_configENS1_20scan_config_selectorIN3c104HalfEEEZZNS1_9scan_implILNS1_25lookback_scan_determinismE0ELb0ELb0ES3_PKS6_PS6_S6_ZZZN2at6native31launch_logcumsumexp_cuda_kernelERKNSD_10TensorBaseESH_lENKUlvE_clEvENKUlvE3_clEvEUlS6_S6_E_S6_EEDaPvRmT3_T4_T5_mT6_P12ihipStream_tbENKUlT_T0_E_clISt17integral_constantIbLb1EESY_EEDaST_SU_EUlST_E0_NS1_11comp_targetILNS1_3genE8ELNS1_11target_archE1030ELNS1_3gpuE2ELNS1_3repE0EEENS1_30default_config_static_selectorELNS0_4arch9wavefront6targetE1EEEvT1_
; %bb.0:
	.section	.rodata,"a",@progbits
	.p2align	6, 0x0
	.amdhsa_kernel _ZN7rocprim17ROCPRIM_400000_NS6detail17trampoline_kernelINS0_14default_configENS1_20scan_config_selectorIN3c104HalfEEEZZNS1_9scan_implILNS1_25lookback_scan_determinismE0ELb0ELb0ES3_PKS6_PS6_S6_ZZZN2at6native31launch_logcumsumexp_cuda_kernelERKNSD_10TensorBaseESH_lENKUlvE_clEvENKUlvE3_clEvEUlS6_S6_E_S6_EEDaPvRmT3_T4_T5_mT6_P12ihipStream_tbENKUlT_T0_E_clISt17integral_constantIbLb1EESY_EEDaST_SU_EUlST_E0_NS1_11comp_targetILNS1_3genE8ELNS1_11target_archE1030ELNS1_3gpuE2ELNS1_3repE0EEENS1_30default_config_static_selectorELNS0_4arch9wavefront6targetE1EEEvT1_
		.amdhsa_group_segment_fixed_size 0
		.amdhsa_private_segment_fixed_size 0
		.amdhsa_kernarg_size 32
		.amdhsa_user_sgpr_count 6
		.amdhsa_user_sgpr_private_segment_buffer 1
		.amdhsa_user_sgpr_dispatch_ptr 0
		.amdhsa_user_sgpr_queue_ptr 0
		.amdhsa_user_sgpr_kernarg_segment_ptr 1
		.amdhsa_user_sgpr_dispatch_id 0
		.amdhsa_user_sgpr_flat_scratch_init 0
		.amdhsa_user_sgpr_kernarg_preload_length 0
		.amdhsa_user_sgpr_kernarg_preload_offset 0
		.amdhsa_user_sgpr_private_segment_size 0
		.amdhsa_uses_dynamic_stack 0
		.amdhsa_system_sgpr_private_segment_wavefront_offset 0
		.amdhsa_system_sgpr_workgroup_id_x 1
		.amdhsa_system_sgpr_workgroup_id_y 0
		.amdhsa_system_sgpr_workgroup_id_z 0
		.amdhsa_system_sgpr_workgroup_info 0
		.amdhsa_system_vgpr_workitem_id 0
		.amdhsa_next_free_vgpr 1
		.amdhsa_next_free_sgpr 0
		.amdhsa_accum_offset 4
		.amdhsa_reserve_vcc 0
		.amdhsa_reserve_flat_scratch 0
		.amdhsa_float_round_mode_32 0
		.amdhsa_float_round_mode_16_64 0
		.amdhsa_float_denorm_mode_32 3
		.amdhsa_float_denorm_mode_16_64 3
		.amdhsa_dx10_clamp 1
		.amdhsa_ieee_mode 1
		.amdhsa_fp16_overflow 0
		.amdhsa_tg_split 0
		.amdhsa_exception_fp_ieee_invalid_op 0
		.amdhsa_exception_fp_denorm_src 0
		.amdhsa_exception_fp_ieee_div_zero 0
		.amdhsa_exception_fp_ieee_overflow 0
		.amdhsa_exception_fp_ieee_underflow 0
		.amdhsa_exception_fp_ieee_inexact 0
		.amdhsa_exception_int_div_zero 0
	.end_amdhsa_kernel
	.section	.text._ZN7rocprim17ROCPRIM_400000_NS6detail17trampoline_kernelINS0_14default_configENS1_20scan_config_selectorIN3c104HalfEEEZZNS1_9scan_implILNS1_25lookback_scan_determinismE0ELb0ELb0ES3_PKS6_PS6_S6_ZZZN2at6native31launch_logcumsumexp_cuda_kernelERKNSD_10TensorBaseESH_lENKUlvE_clEvENKUlvE3_clEvEUlS6_S6_E_S6_EEDaPvRmT3_T4_T5_mT6_P12ihipStream_tbENKUlT_T0_E_clISt17integral_constantIbLb1EESY_EEDaST_SU_EUlST_E0_NS1_11comp_targetILNS1_3genE8ELNS1_11target_archE1030ELNS1_3gpuE2ELNS1_3repE0EEENS1_30default_config_static_selectorELNS0_4arch9wavefront6targetE1EEEvT1_,"axG",@progbits,_ZN7rocprim17ROCPRIM_400000_NS6detail17trampoline_kernelINS0_14default_configENS1_20scan_config_selectorIN3c104HalfEEEZZNS1_9scan_implILNS1_25lookback_scan_determinismE0ELb0ELb0ES3_PKS6_PS6_S6_ZZZN2at6native31launch_logcumsumexp_cuda_kernelERKNSD_10TensorBaseESH_lENKUlvE_clEvENKUlvE3_clEvEUlS6_S6_E_S6_EEDaPvRmT3_T4_T5_mT6_P12ihipStream_tbENKUlT_T0_E_clISt17integral_constantIbLb1EESY_EEDaST_SU_EUlST_E0_NS1_11comp_targetILNS1_3genE8ELNS1_11target_archE1030ELNS1_3gpuE2ELNS1_3repE0EEENS1_30default_config_static_selectorELNS0_4arch9wavefront6targetE1EEEvT1_,comdat
.Lfunc_end397:
	.size	_ZN7rocprim17ROCPRIM_400000_NS6detail17trampoline_kernelINS0_14default_configENS1_20scan_config_selectorIN3c104HalfEEEZZNS1_9scan_implILNS1_25lookback_scan_determinismE0ELb0ELb0ES3_PKS6_PS6_S6_ZZZN2at6native31launch_logcumsumexp_cuda_kernelERKNSD_10TensorBaseESH_lENKUlvE_clEvENKUlvE3_clEvEUlS6_S6_E_S6_EEDaPvRmT3_T4_T5_mT6_P12ihipStream_tbENKUlT_T0_E_clISt17integral_constantIbLb1EESY_EEDaST_SU_EUlST_E0_NS1_11comp_targetILNS1_3genE8ELNS1_11target_archE1030ELNS1_3gpuE2ELNS1_3repE0EEENS1_30default_config_static_selectorELNS0_4arch9wavefront6targetE1EEEvT1_, .Lfunc_end397-_ZN7rocprim17ROCPRIM_400000_NS6detail17trampoline_kernelINS0_14default_configENS1_20scan_config_selectorIN3c104HalfEEEZZNS1_9scan_implILNS1_25lookback_scan_determinismE0ELb0ELb0ES3_PKS6_PS6_S6_ZZZN2at6native31launch_logcumsumexp_cuda_kernelERKNSD_10TensorBaseESH_lENKUlvE_clEvENKUlvE3_clEvEUlS6_S6_E_S6_EEDaPvRmT3_T4_T5_mT6_P12ihipStream_tbENKUlT_T0_E_clISt17integral_constantIbLb1EESY_EEDaST_SU_EUlST_E0_NS1_11comp_targetILNS1_3genE8ELNS1_11target_archE1030ELNS1_3gpuE2ELNS1_3repE0EEENS1_30default_config_static_selectorELNS0_4arch9wavefront6targetE1EEEvT1_
                                        ; -- End function
	.section	.AMDGPU.csdata,"",@progbits
; Kernel info:
; codeLenInByte = 0
; NumSgprs: 4
; NumVgprs: 0
; NumAgprs: 0
; TotalNumVgprs: 0
; ScratchSize: 0
; MemoryBound: 0
; FloatMode: 240
; IeeeMode: 1
; LDSByteSize: 0 bytes/workgroup (compile time only)
; SGPRBlocks: 0
; VGPRBlocks: 0
; NumSGPRsForWavesPerEU: 4
; NumVGPRsForWavesPerEU: 1
; AccumOffset: 4
; Occupancy: 8
; WaveLimiterHint : 0
; COMPUTE_PGM_RSRC2:SCRATCH_EN: 0
; COMPUTE_PGM_RSRC2:USER_SGPR: 6
; COMPUTE_PGM_RSRC2:TRAP_HANDLER: 0
; COMPUTE_PGM_RSRC2:TGID_X_EN: 1
; COMPUTE_PGM_RSRC2:TGID_Y_EN: 0
; COMPUTE_PGM_RSRC2:TGID_Z_EN: 0
; COMPUTE_PGM_RSRC2:TIDIG_COMP_CNT: 0
; COMPUTE_PGM_RSRC3_GFX90A:ACCUM_OFFSET: 0
; COMPUTE_PGM_RSRC3_GFX90A:TG_SPLIT: 0
	.section	.text._ZN7rocprim17ROCPRIM_400000_NS6detail31init_lookback_scan_state_kernelINS1_19lookback_scan_stateIN3c104HalfELb1ELb1EEENS1_16block_id_wrapperIjLb0EEEEEvT_jT0_jPNS9_10value_typeE,"axG",@progbits,_ZN7rocprim17ROCPRIM_400000_NS6detail31init_lookback_scan_state_kernelINS1_19lookback_scan_stateIN3c104HalfELb1ELb1EEENS1_16block_id_wrapperIjLb0EEEEEvT_jT0_jPNS9_10value_typeE,comdat
	.protected	_ZN7rocprim17ROCPRIM_400000_NS6detail31init_lookback_scan_state_kernelINS1_19lookback_scan_stateIN3c104HalfELb1ELb1EEENS1_16block_id_wrapperIjLb0EEEEEvT_jT0_jPNS9_10value_typeE ; -- Begin function _ZN7rocprim17ROCPRIM_400000_NS6detail31init_lookback_scan_state_kernelINS1_19lookback_scan_stateIN3c104HalfELb1ELb1EEENS1_16block_id_wrapperIjLb0EEEEEvT_jT0_jPNS9_10value_typeE
	.globl	_ZN7rocprim17ROCPRIM_400000_NS6detail31init_lookback_scan_state_kernelINS1_19lookback_scan_stateIN3c104HalfELb1ELb1EEENS1_16block_id_wrapperIjLb0EEEEEvT_jT0_jPNS9_10value_typeE
	.p2align	8
	.type	_ZN7rocprim17ROCPRIM_400000_NS6detail31init_lookback_scan_state_kernelINS1_19lookback_scan_stateIN3c104HalfELb1ELb1EEENS1_16block_id_wrapperIjLb0EEEEEvT_jT0_jPNS9_10value_typeE,@function
_ZN7rocprim17ROCPRIM_400000_NS6detail31init_lookback_scan_state_kernelINS1_19lookback_scan_stateIN3c104HalfELb1ELb1EEENS1_16block_id_wrapperIjLb0EEEEEvT_jT0_jPNS9_10value_typeE: ; @_ZN7rocprim17ROCPRIM_400000_NS6detail31init_lookback_scan_state_kernelINS1_19lookback_scan_stateIN3c104HalfELb1ELb1EEENS1_16block_id_wrapperIjLb0EEEEEvT_jT0_jPNS9_10value_typeE
; %bb.0:
	s_load_dword s7, s[4:5], 0x2c
	s_load_dwordx2 s[2:3], s[4:5], 0x18
	s_load_dwordx2 s[0:1], s[4:5], 0x0
	s_load_dword s8, s[4:5], 0x8
	s_waitcnt lgkmcnt(0)
	s_and_b32 s7, s7, 0xffff
	s_mul_i32 s6, s6, s7
	s_cmp_eq_u64 s[2:3], 0
	v_add_u32_e32 v0, s6, v0
	s_cbranch_scc1 .LBB398_9
; %bb.1:
	s_load_dword s6, s[4:5], 0x10
	s_mov_b32 s7, 0
	s_waitcnt lgkmcnt(0)
	s_cmp_lt_u32 s6, s8
	s_cselect_b32 s4, s6, 0
	v_cmp_eq_u32_e32 vcc, s4, v0
	s_and_saveexec_b64 s[4:5], vcc
	s_cbranch_execz .LBB398_8
; %bb.2:
	s_add_i32 s6, s6, 64
	s_lshl_b64 s[6:7], s[6:7], 2
	s_add_u32 s6, s0, s6
	s_addc_u32 s7, s1, s7
	v_mov_b32_e32 v1, 0
	global_load_dword v2, v1, s[6:7] glc
	s_waitcnt vmcnt(0)
	v_and_b32_e32 v3, 0xff0000, v2
	v_cmp_ne_u32_e32 vcc, 0, v3
	s_cbranch_vccnz .LBB398_7
; %bb.3:
	s_mov_b32 s9, 1
.LBB398_4:                              ; =>This Loop Header: Depth=1
                                        ;     Child Loop BB398_5 Depth 2
	s_max_u32 s10, s9, 1
.LBB398_5:                              ;   Parent Loop BB398_4 Depth=1
                                        ; =>  This Inner Loop Header: Depth=2
	s_add_i32 s10, s10, -1
	s_cmp_eq_u32 s10, 0
	s_sleep 1
	s_cbranch_scc0 .LBB398_5
; %bb.6:                                ;   in Loop: Header=BB398_4 Depth=1
	global_load_dword v2, v1, s[6:7] glc
	s_cmp_lt_u32 s9, 32
	s_cselect_b64 s[10:11], -1, 0
	s_cmp_lg_u64 s[10:11], 0
	s_addc_u32 s9, s9, 0
	s_waitcnt vmcnt(0)
	v_and_b32_e32 v3, 0xff0000, v2
	v_cmp_ne_u32_e32 vcc, 0, v3
	s_cbranch_vccz .LBB398_4
.LBB398_7:
	v_mov_b32_e32 v1, 0
	global_store_short v1, v2, s[2:3]
.LBB398_8:
	s_or_b64 exec, exec, s[4:5]
.LBB398_9:
	v_cmp_gt_u32_e32 vcc, s8, v0
	s_and_saveexec_b64 s[2:3], vcc
	s_cbranch_execnz .LBB398_12
; %bb.10:
	s_or_b64 exec, exec, s[2:3]
	v_cmp_gt_u32_e32 vcc, 64, v0
	s_and_saveexec_b64 s[2:3], vcc
	s_cbranch_execnz .LBB398_13
.LBB398_11:
	s_endpgm
.LBB398_12:
	v_add_u32_e32 v2, 64, v0
	v_mov_b32_e32 v3, 0
	v_lshlrev_b64 v[4:5], 2, v[2:3]
	v_mov_b32_e32 v1, s1
	v_add_co_u32_e32 v4, vcc, s0, v4
	v_addc_co_u32_e32 v5, vcc, v1, v5, vcc
	global_store_dword v[4:5], v3, off
	s_or_b64 exec, exec, s[2:3]
	v_cmp_gt_u32_e32 vcc, 64, v0
	s_and_saveexec_b64 s[2:3], vcc
	s_cbranch_execz .LBB398_11
.LBB398_13:
	v_mov_b32_e32 v1, 0
	v_lshlrev_b64 v[0:1], 2, v[0:1]
	v_mov_b32_e32 v2, s1
	v_add_co_u32_e32 v0, vcc, s0, v0
	v_addc_co_u32_e32 v1, vcc, v2, v1, vcc
	v_mov_b32_e32 v2, 0xff0000
	global_store_dword v[0:1], v2, off
	s_endpgm
	.section	.rodata,"a",@progbits
	.p2align	6, 0x0
	.amdhsa_kernel _ZN7rocprim17ROCPRIM_400000_NS6detail31init_lookback_scan_state_kernelINS1_19lookback_scan_stateIN3c104HalfELb1ELb1EEENS1_16block_id_wrapperIjLb0EEEEEvT_jT0_jPNS9_10value_typeE
		.amdhsa_group_segment_fixed_size 0
		.amdhsa_private_segment_fixed_size 0
		.amdhsa_kernarg_size 288
		.amdhsa_user_sgpr_count 6
		.amdhsa_user_sgpr_private_segment_buffer 1
		.amdhsa_user_sgpr_dispatch_ptr 0
		.amdhsa_user_sgpr_queue_ptr 0
		.amdhsa_user_sgpr_kernarg_segment_ptr 1
		.amdhsa_user_sgpr_dispatch_id 0
		.amdhsa_user_sgpr_flat_scratch_init 0
		.amdhsa_user_sgpr_kernarg_preload_length 0
		.amdhsa_user_sgpr_kernarg_preload_offset 0
		.amdhsa_user_sgpr_private_segment_size 0
		.amdhsa_uses_dynamic_stack 0
		.amdhsa_system_sgpr_private_segment_wavefront_offset 0
		.amdhsa_system_sgpr_workgroup_id_x 1
		.amdhsa_system_sgpr_workgroup_id_y 0
		.amdhsa_system_sgpr_workgroup_id_z 0
		.amdhsa_system_sgpr_workgroup_info 0
		.amdhsa_system_vgpr_workitem_id 0
		.amdhsa_next_free_vgpr 6
		.amdhsa_next_free_sgpr 12
		.amdhsa_accum_offset 8
		.amdhsa_reserve_vcc 1
		.amdhsa_reserve_flat_scratch 0
		.amdhsa_float_round_mode_32 0
		.amdhsa_float_round_mode_16_64 0
		.amdhsa_float_denorm_mode_32 3
		.amdhsa_float_denorm_mode_16_64 3
		.amdhsa_dx10_clamp 1
		.amdhsa_ieee_mode 1
		.amdhsa_fp16_overflow 0
		.amdhsa_tg_split 0
		.amdhsa_exception_fp_ieee_invalid_op 0
		.amdhsa_exception_fp_denorm_src 0
		.amdhsa_exception_fp_ieee_div_zero 0
		.amdhsa_exception_fp_ieee_overflow 0
		.amdhsa_exception_fp_ieee_underflow 0
		.amdhsa_exception_fp_ieee_inexact 0
		.amdhsa_exception_int_div_zero 0
	.end_amdhsa_kernel
	.section	.text._ZN7rocprim17ROCPRIM_400000_NS6detail31init_lookback_scan_state_kernelINS1_19lookback_scan_stateIN3c104HalfELb1ELb1EEENS1_16block_id_wrapperIjLb0EEEEEvT_jT0_jPNS9_10value_typeE,"axG",@progbits,_ZN7rocprim17ROCPRIM_400000_NS6detail31init_lookback_scan_state_kernelINS1_19lookback_scan_stateIN3c104HalfELb1ELb1EEENS1_16block_id_wrapperIjLb0EEEEEvT_jT0_jPNS9_10value_typeE,comdat
.Lfunc_end398:
	.size	_ZN7rocprim17ROCPRIM_400000_NS6detail31init_lookback_scan_state_kernelINS1_19lookback_scan_stateIN3c104HalfELb1ELb1EEENS1_16block_id_wrapperIjLb0EEEEEvT_jT0_jPNS9_10value_typeE, .Lfunc_end398-_ZN7rocprim17ROCPRIM_400000_NS6detail31init_lookback_scan_state_kernelINS1_19lookback_scan_stateIN3c104HalfELb1ELb1EEENS1_16block_id_wrapperIjLb0EEEEEvT_jT0_jPNS9_10value_typeE
                                        ; -- End function
	.section	.AMDGPU.csdata,"",@progbits
; Kernel info:
; codeLenInByte = 356
; NumSgprs: 16
; NumVgprs: 6
; NumAgprs: 0
; TotalNumVgprs: 6
; ScratchSize: 0
; MemoryBound: 0
; FloatMode: 240
; IeeeMode: 1
; LDSByteSize: 0 bytes/workgroup (compile time only)
; SGPRBlocks: 1
; VGPRBlocks: 0
; NumSGPRsForWavesPerEU: 16
; NumVGPRsForWavesPerEU: 6
; AccumOffset: 8
; Occupancy: 8
; WaveLimiterHint : 0
; COMPUTE_PGM_RSRC2:SCRATCH_EN: 0
; COMPUTE_PGM_RSRC2:USER_SGPR: 6
; COMPUTE_PGM_RSRC2:TRAP_HANDLER: 0
; COMPUTE_PGM_RSRC2:TGID_X_EN: 1
; COMPUTE_PGM_RSRC2:TGID_Y_EN: 0
; COMPUTE_PGM_RSRC2:TGID_Z_EN: 0
; COMPUTE_PGM_RSRC2:TIDIG_COMP_CNT: 0
; COMPUTE_PGM_RSRC3_GFX90A:ACCUM_OFFSET: 1
; COMPUTE_PGM_RSRC3_GFX90A:TG_SPLIT: 0
	.section	.text._ZN7rocprim17ROCPRIM_400000_NS6detail17trampoline_kernelINS0_14default_configENS1_20scan_config_selectorIN3c104HalfEEEZZNS1_9scan_implILNS1_25lookback_scan_determinismE0ELb0ELb0ES3_PKS6_PS6_S6_ZZZN2at6native31launch_logcumsumexp_cuda_kernelERKNSD_10TensorBaseESH_lENKUlvE_clEvENKUlvE3_clEvEUlS6_S6_E_S6_EEDaPvRmT3_T4_T5_mT6_P12ihipStream_tbENKUlT_T0_E_clISt17integral_constantIbLb1EESX_IbLb0EEEEDaST_SU_EUlST_E_NS1_11comp_targetILNS1_3genE0ELNS1_11target_archE4294967295ELNS1_3gpuE0ELNS1_3repE0EEENS1_30default_config_static_selectorELNS0_4arch9wavefront6targetE1EEEvT1_,"axG",@progbits,_ZN7rocprim17ROCPRIM_400000_NS6detail17trampoline_kernelINS0_14default_configENS1_20scan_config_selectorIN3c104HalfEEEZZNS1_9scan_implILNS1_25lookback_scan_determinismE0ELb0ELb0ES3_PKS6_PS6_S6_ZZZN2at6native31launch_logcumsumexp_cuda_kernelERKNSD_10TensorBaseESH_lENKUlvE_clEvENKUlvE3_clEvEUlS6_S6_E_S6_EEDaPvRmT3_T4_T5_mT6_P12ihipStream_tbENKUlT_T0_E_clISt17integral_constantIbLb1EESX_IbLb0EEEEDaST_SU_EUlST_E_NS1_11comp_targetILNS1_3genE0ELNS1_11target_archE4294967295ELNS1_3gpuE0ELNS1_3repE0EEENS1_30default_config_static_selectorELNS0_4arch9wavefront6targetE1EEEvT1_,comdat
	.globl	_ZN7rocprim17ROCPRIM_400000_NS6detail17trampoline_kernelINS0_14default_configENS1_20scan_config_selectorIN3c104HalfEEEZZNS1_9scan_implILNS1_25lookback_scan_determinismE0ELb0ELb0ES3_PKS6_PS6_S6_ZZZN2at6native31launch_logcumsumexp_cuda_kernelERKNSD_10TensorBaseESH_lENKUlvE_clEvENKUlvE3_clEvEUlS6_S6_E_S6_EEDaPvRmT3_T4_T5_mT6_P12ihipStream_tbENKUlT_T0_E_clISt17integral_constantIbLb1EESX_IbLb0EEEEDaST_SU_EUlST_E_NS1_11comp_targetILNS1_3genE0ELNS1_11target_archE4294967295ELNS1_3gpuE0ELNS1_3repE0EEENS1_30default_config_static_selectorELNS0_4arch9wavefront6targetE1EEEvT1_ ; -- Begin function _ZN7rocprim17ROCPRIM_400000_NS6detail17trampoline_kernelINS0_14default_configENS1_20scan_config_selectorIN3c104HalfEEEZZNS1_9scan_implILNS1_25lookback_scan_determinismE0ELb0ELb0ES3_PKS6_PS6_S6_ZZZN2at6native31launch_logcumsumexp_cuda_kernelERKNSD_10TensorBaseESH_lENKUlvE_clEvENKUlvE3_clEvEUlS6_S6_E_S6_EEDaPvRmT3_T4_T5_mT6_P12ihipStream_tbENKUlT_T0_E_clISt17integral_constantIbLb1EESX_IbLb0EEEEDaST_SU_EUlST_E_NS1_11comp_targetILNS1_3genE0ELNS1_11target_archE4294967295ELNS1_3gpuE0ELNS1_3repE0EEENS1_30default_config_static_selectorELNS0_4arch9wavefront6targetE1EEEvT1_
	.p2align	8
	.type	_ZN7rocprim17ROCPRIM_400000_NS6detail17trampoline_kernelINS0_14default_configENS1_20scan_config_selectorIN3c104HalfEEEZZNS1_9scan_implILNS1_25lookback_scan_determinismE0ELb0ELb0ES3_PKS6_PS6_S6_ZZZN2at6native31launch_logcumsumexp_cuda_kernelERKNSD_10TensorBaseESH_lENKUlvE_clEvENKUlvE3_clEvEUlS6_S6_E_S6_EEDaPvRmT3_T4_T5_mT6_P12ihipStream_tbENKUlT_T0_E_clISt17integral_constantIbLb1EESX_IbLb0EEEEDaST_SU_EUlST_E_NS1_11comp_targetILNS1_3genE0ELNS1_11target_archE4294967295ELNS1_3gpuE0ELNS1_3repE0EEENS1_30default_config_static_selectorELNS0_4arch9wavefront6targetE1EEEvT1_,@function
_ZN7rocprim17ROCPRIM_400000_NS6detail17trampoline_kernelINS0_14default_configENS1_20scan_config_selectorIN3c104HalfEEEZZNS1_9scan_implILNS1_25lookback_scan_determinismE0ELb0ELb0ES3_PKS6_PS6_S6_ZZZN2at6native31launch_logcumsumexp_cuda_kernelERKNSD_10TensorBaseESH_lENKUlvE_clEvENKUlvE3_clEvEUlS6_S6_E_S6_EEDaPvRmT3_T4_T5_mT6_P12ihipStream_tbENKUlT_T0_E_clISt17integral_constantIbLb1EESX_IbLb0EEEEDaST_SU_EUlST_E_NS1_11comp_targetILNS1_3genE0ELNS1_11target_archE4294967295ELNS1_3gpuE0ELNS1_3repE0EEENS1_30default_config_static_selectorELNS0_4arch9wavefront6targetE1EEEvT1_: ; @_ZN7rocprim17ROCPRIM_400000_NS6detail17trampoline_kernelINS0_14default_configENS1_20scan_config_selectorIN3c104HalfEEEZZNS1_9scan_implILNS1_25lookback_scan_determinismE0ELb0ELb0ES3_PKS6_PS6_S6_ZZZN2at6native31launch_logcumsumexp_cuda_kernelERKNSD_10TensorBaseESH_lENKUlvE_clEvENKUlvE3_clEvEUlS6_S6_E_S6_EEDaPvRmT3_T4_T5_mT6_P12ihipStream_tbENKUlT_T0_E_clISt17integral_constantIbLb1EESX_IbLb0EEEEDaST_SU_EUlST_E_NS1_11comp_targetILNS1_3genE0ELNS1_11target_archE4294967295ELNS1_3gpuE0ELNS1_3repE0EEENS1_30default_config_static_selectorELNS0_4arch9wavefront6targetE1EEEvT1_
; %bb.0:
	.section	.rodata,"a",@progbits
	.p2align	6, 0x0
	.amdhsa_kernel _ZN7rocprim17ROCPRIM_400000_NS6detail17trampoline_kernelINS0_14default_configENS1_20scan_config_selectorIN3c104HalfEEEZZNS1_9scan_implILNS1_25lookback_scan_determinismE0ELb0ELb0ES3_PKS6_PS6_S6_ZZZN2at6native31launch_logcumsumexp_cuda_kernelERKNSD_10TensorBaseESH_lENKUlvE_clEvENKUlvE3_clEvEUlS6_S6_E_S6_EEDaPvRmT3_T4_T5_mT6_P12ihipStream_tbENKUlT_T0_E_clISt17integral_constantIbLb1EESX_IbLb0EEEEDaST_SU_EUlST_E_NS1_11comp_targetILNS1_3genE0ELNS1_11target_archE4294967295ELNS1_3gpuE0ELNS1_3repE0EEENS1_30default_config_static_selectorELNS0_4arch9wavefront6targetE1EEEvT1_
		.amdhsa_group_segment_fixed_size 0
		.amdhsa_private_segment_fixed_size 0
		.amdhsa_kernarg_size 96
		.amdhsa_user_sgpr_count 6
		.amdhsa_user_sgpr_private_segment_buffer 1
		.amdhsa_user_sgpr_dispatch_ptr 0
		.amdhsa_user_sgpr_queue_ptr 0
		.amdhsa_user_sgpr_kernarg_segment_ptr 1
		.amdhsa_user_sgpr_dispatch_id 0
		.amdhsa_user_sgpr_flat_scratch_init 0
		.amdhsa_user_sgpr_kernarg_preload_length 0
		.amdhsa_user_sgpr_kernarg_preload_offset 0
		.amdhsa_user_sgpr_private_segment_size 0
		.amdhsa_uses_dynamic_stack 0
		.amdhsa_system_sgpr_private_segment_wavefront_offset 0
		.amdhsa_system_sgpr_workgroup_id_x 1
		.amdhsa_system_sgpr_workgroup_id_y 0
		.amdhsa_system_sgpr_workgroup_id_z 0
		.amdhsa_system_sgpr_workgroup_info 0
		.amdhsa_system_vgpr_workitem_id 0
		.amdhsa_next_free_vgpr 1
		.amdhsa_next_free_sgpr 0
		.amdhsa_accum_offset 4
		.amdhsa_reserve_vcc 0
		.amdhsa_reserve_flat_scratch 0
		.amdhsa_float_round_mode_32 0
		.amdhsa_float_round_mode_16_64 0
		.amdhsa_float_denorm_mode_32 3
		.amdhsa_float_denorm_mode_16_64 3
		.amdhsa_dx10_clamp 1
		.amdhsa_ieee_mode 1
		.amdhsa_fp16_overflow 0
		.amdhsa_tg_split 0
		.amdhsa_exception_fp_ieee_invalid_op 0
		.amdhsa_exception_fp_denorm_src 0
		.amdhsa_exception_fp_ieee_div_zero 0
		.amdhsa_exception_fp_ieee_overflow 0
		.amdhsa_exception_fp_ieee_underflow 0
		.amdhsa_exception_fp_ieee_inexact 0
		.amdhsa_exception_int_div_zero 0
	.end_amdhsa_kernel
	.section	.text._ZN7rocprim17ROCPRIM_400000_NS6detail17trampoline_kernelINS0_14default_configENS1_20scan_config_selectorIN3c104HalfEEEZZNS1_9scan_implILNS1_25lookback_scan_determinismE0ELb0ELb0ES3_PKS6_PS6_S6_ZZZN2at6native31launch_logcumsumexp_cuda_kernelERKNSD_10TensorBaseESH_lENKUlvE_clEvENKUlvE3_clEvEUlS6_S6_E_S6_EEDaPvRmT3_T4_T5_mT6_P12ihipStream_tbENKUlT_T0_E_clISt17integral_constantIbLb1EESX_IbLb0EEEEDaST_SU_EUlST_E_NS1_11comp_targetILNS1_3genE0ELNS1_11target_archE4294967295ELNS1_3gpuE0ELNS1_3repE0EEENS1_30default_config_static_selectorELNS0_4arch9wavefront6targetE1EEEvT1_,"axG",@progbits,_ZN7rocprim17ROCPRIM_400000_NS6detail17trampoline_kernelINS0_14default_configENS1_20scan_config_selectorIN3c104HalfEEEZZNS1_9scan_implILNS1_25lookback_scan_determinismE0ELb0ELb0ES3_PKS6_PS6_S6_ZZZN2at6native31launch_logcumsumexp_cuda_kernelERKNSD_10TensorBaseESH_lENKUlvE_clEvENKUlvE3_clEvEUlS6_S6_E_S6_EEDaPvRmT3_T4_T5_mT6_P12ihipStream_tbENKUlT_T0_E_clISt17integral_constantIbLb1EESX_IbLb0EEEEDaST_SU_EUlST_E_NS1_11comp_targetILNS1_3genE0ELNS1_11target_archE4294967295ELNS1_3gpuE0ELNS1_3repE0EEENS1_30default_config_static_selectorELNS0_4arch9wavefront6targetE1EEEvT1_,comdat
.Lfunc_end399:
	.size	_ZN7rocprim17ROCPRIM_400000_NS6detail17trampoline_kernelINS0_14default_configENS1_20scan_config_selectorIN3c104HalfEEEZZNS1_9scan_implILNS1_25lookback_scan_determinismE0ELb0ELb0ES3_PKS6_PS6_S6_ZZZN2at6native31launch_logcumsumexp_cuda_kernelERKNSD_10TensorBaseESH_lENKUlvE_clEvENKUlvE3_clEvEUlS6_S6_E_S6_EEDaPvRmT3_T4_T5_mT6_P12ihipStream_tbENKUlT_T0_E_clISt17integral_constantIbLb1EESX_IbLb0EEEEDaST_SU_EUlST_E_NS1_11comp_targetILNS1_3genE0ELNS1_11target_archE4294967295ELNS1_3gpuE0ELNS1_3repE0EEENS1_30default_config_static_selectorELNS0_4arch9wavefront6targetE1EEEvT1_, .Lfunc_end399-_ZN7rocprim17ROCPRIM_400000_NS6detail17trampoline_kernelINS0_14default_configENS1_20scan_config_selectorIN3c104HalfEEEZZNS1_9scan_implILNS1_25lookback_scan_determinismE0ELb0ELb0ES3_PKS6_PS6_S6_ZZZN2at6native31launch_logcumsumexp_cuda_kernelERKNSD_10TensorBaseESH_lENKUlvE_clEvENKUlvE3_clEvEUlS6_S6_E_S6_EEDaPvRmT3_T4_T5_mT6_P12ihipStream_tbENKUlT_T0_E_clISt17integral_constantIbLb1EESX_IbLb0EEEEDaST_SU_EUlST_E_NS1_11comp_targetILNS1_3genE0ELNS1_11target_archE4294967295ELNS1_3gpuE0ELNS1_3repE0EEENS1_30default_config_static_selectorELNS0_4arch9wavefront6targetE1EEEvT1_
                                        ; -- End function
	.section	.AMDGPU.csdata,"",@progbits
; Kernel info:
; codeLenInByte = 0
; NumSgprs: 4
; NumVgprs: 0
; NumAgprs: 0
; TotalNumVgprs: 0
; ScratchSize: 0
; MemoryBound: 0
; FloatMode: 240
; IeeeMode: 1
; LDSByteSize: 0 bytes/workgroup (compile time only)
; SGPRBlocks: 0
; VGPRBlocks: 0
; NumSGPRsForWavesPerEU: 4
; NumVGPRsForWavesPerEU: 1
; AccumOffset: 4
; Occupancy: 8
; WaveLimiterHint : 0
; COMPUTE_PGM_RSRC2:SCRATCH_EN: 0
; COMPUTE_PGM_RSRC2:USER_SGPR: 6
; COMPUTE_PGM_RSRC2:TRAP_HANDLER: 0
; COMPUTE_PGM_RSRC2:TGID_X_EN: 1
; COMPUTE_PGM_RSRC2:TGID_Y_EN: 0
; COMPUTE_PGM_RSRC2:TGID_Z_EN: 0
; COMPUTE_PGM_RSRC2:TIDIG_COMP_CNT: 0
; COMPUTE_PGM_RSRC3_GFX90A:ACCUM_OFFSET: 0
; COMPUTE_PGM_RSRC3_GFX90A:TG_SPLIT: 0
	.section	.text._ZN7rocprim17ROCPRIM_400000_NS6detail17trampoline_kernelINS0_14default_configENS1_20scan_config_selectorIN3c104HalfEEEZZNS1_9scan_implILNS1_25lookback_scan_determinismE0ELb0ELb0ES3_PKS6_PS6_S6_ZZZN2at6native31launch_logcumsumexp_cuda_kernelERKNSD_10TensorBaseESH_lENKUlvE_clEvENKUlvE3_clEvEUlS6_S6_E_S6_EEDaPvRmT3_T4_T5_mT6_P12ihipStream_tbENKUlT_T0_E_clISt17integral_constantIbLb1EESX_IbLb0EEEEDaST_SU_EUlST_E_NS1_11comp_targetILNS1_3genE5ELNS1_11target_archE942ELNS1_3gpuE9ELNS1_3repE0EEENS1_30default_config_static_selectorELNS0_4arch9wavefront6targetE1EEEvT1_,"axG",@progbits,_ZN7rocprim17ROCPRIM_400000_NS6detail17trampoline_kernelINS0_14default_configENS1_20scan_config_selectorIN3c104HalfEEEZZNS1_9scan_implILNS1_25lookback_scan_determinismE0ELb0ELb0ES3_PKS6_PS6_S6_ZZZN2at6native31launch_logcumsumexp_cuda_kernelERKNSD_10TensorBaseESH_lENKUlvE_clEvENKUlvE3_clEvEUlS6_S6_E_S6_EEDaPvRmT3_T4_T5_mT6_P12ihipStream_tbENKUlT_T0_E_clISt17integral_constantIbLb1EESX_IbLb0EEEEDaST_SU_EUlST_E_NS1_11comp_targetILNS1_3genE5ELNS1_11target_archE942ELNS1_3gpuE9ELNS1_3repE0EEENS1_30default_config_static_selectorELNS0_4arch9wavefront6targetE1EEEvT1_,comdat
	.globl	_ZN7rocprim17ROCPRIM_400000_NS6detail17trampoline_kernelINS0_14default_configENS1_20scan_config_selectorIN3c104HalfEEEZZNS1_9scan_implILNS1_25lookback_scan_determinismE0ELb0ELb0ES3_PKS6_PS6_S6_ZZZN2at6native31launch_logcumsumexp_cuda_kernelERKNSD_10TensorBaseESH_lENKUlvE_clEvENKUlvE3_clEvEUlS6_S6_E_S6_EEDaPvRmT3_T4_T5_mT6_P12ihipStream_tbENKUlT_T0_E_clISt17integral_constantIbLb1EESX_IbLb0EEEEDaST_SU_EUlST_E_NS1_11comp_targetILNS1_3genE5ELNS1_11target_archE942ELNS1_3gpuE9ELNS1_3repE0EEENS1_30default_config_static_selectorELNS0_4arch9wavefront6targetE1EEEvT1_ ; -- Begin function _ZN7rocprim17ROCPRIM_400000_NS6detail17trampoline_kernelINS0_14default_configENS1_20scan_config_selectorIN3c104HalfEEEZZNS1_9scan_implILNS1_25lookback_scan_determinismE0ELb0ELb0ES3_PKS6_PS6_S6_ZZZN2at6native31launch_logcumsumexp_cuda_kernelERKNSD_10TensorBaseESH_lENKUlvE_clEvENKUlvE3_clEvEUlS6_S6_E_S6_EEDaPvRmT3_T4_T5_mT6_P12ihipStream_tbENKUlT_T0_E_clISt17integral_constantIbLb1EESX_IbLb0EEEEDaST_SU_EUlST_E_NS1_11comp_targetILNS1_3genE5ELNS1_11target_archE942ELNS1_3gpuE9ELNS1_3repE0EEENS1_30default_config_static_selectorELNS0_4arch9wavefront6targetE1EEEvT1_
	.p2align	8
	.type	_ZN7rocprim17ROCPRIM_400000_NS6detail17trampoline_kernelINS0_14default_configENS1_20scan_config_selectorIN3c104HalfEEEZZNS1_9scan_implILNS1_25lookback_scan_determinismE0ELb0ELb0ES3_PKS6_PS6_S6_ZZZN2at6native31launch_logcumsumexp_cuda_kernelERKNSD_10TensorBaseESH_lENKUlvE_clEvENKUlvE3_clEvEUlS6_S6_E_S6_EEDaPvRmT3_T4_T5_mT6_P12ihipStream_tbENKUlT_T0_E_clISt17integral_constantIbLb1EESX_IbLb0EEEEDaST_SU_EUlST_E_NS1_11comp_targetILNS1_3genE5ELNS1_11target_archE942ELNS1_3gpuE9ELNS1_3repE0EEENS1_30default_config_static_selectorELNS0_4arch9wavefront6targetE1EEEvT1_,@function
_ZN7rocprim17ROCPRIM_400000_NS6detail17trampoline_kernelINS0_14default_configENS1_20scan_config_selectorIN3c104HalfEEEZZNS1_9scan_implILNS1_25lookback_scan_determinismE0ELb0ELb0ES3_PKS6_PS6_S6_ZZZN2at6native31launch_logcumsumexp_cuda_kernelERKNSD_10TensorBaseESH_lENKUlvE_clEvENKUlvE3_clEvEUlS6_S6_E_S6_EEDaPvRmT3_T4_T5_mT6_P12ihipStream_tbENKUlT_T0_E_clISt17integral_constantIbLb1EESX_IbLb0EEEEDaST_SU_EUlST_E_NS1_11comp_targetILNS1_3genE5ELNS1_11target_archE942ELNS1_3gpuE9ELNS1_3repE0EEENS1_30default_config_static_selectorELNS0_4arch9wavefront6targetE1EEEvT1_: ; @_ZN7rocprim17ROCPRIM_400000_NS6detail17trampoline_kernelINS0_14default_configENS1_20scan_config_selectorIN3c104HalfEEEZZNS1_9scan_implILNS1_25lookback_scan_determinismE0ELb0ELb0ES3_PKS6_PS6_S6_ZZZN2at6native31launch_logcumsumexp_cuda_kernelERKNSD_10TensorBaseESH_lENKUlvE_clEvENKUlvE3_clEvEUlS6_S6_E_S6_EEDaPvRmT3_T4_T5_mT6_P12ihipStream_tbENKUlT_T0_E_clISt17integral_constantIbLb1EESX_IbLb0EEEEDaST_SU_EUlST_E_NS1_11comp_targetILNS1_3genE5ELNS1_11target_archE942ELNS1_3gpuE9ELNS1_3repE0EEENS1_30default_config_static_selectorELNS0_4arch9wavefront6targetE1EEEvT1_
; %bb.0:
	.section	.rodata,"a",@progbits
	.p2align	6, 0x0
	.amdhsa_kernel _ZN7rocprim17ROCPRIM_400000_NS6detail17trampoline_kernelINS0_14default_configENS1_20scan_config_selectorIN3c104HalfEEEZZNS1_9scan_implILNS1_25lookback_scan_determinismE0ELb0ELb0ES3_PKS6_PS6_S6_ZZZN2at6native31launch_logcumsumexp_cuda_kernelERKNSD_10TensorBaseESH_lENKUlvE_clEvENKUlvE3_clEvEUlS6_S6_E_S6_EEDaPvRmT3_T4_T5_mT6_P12ihipStream_tbENKUlT_T0_E_clISt17integral_constantIbLb1EESX_IbLb0EEEEDaST_SU_EUlST_E_NS1_11comp_targetILNS1_3genE5ELNS1_11target_archE942ELNS1_3gpuE9ELNS1_3repE0EEENS1_30default_config_static_selectorELNS0_4arch9wavefront6targetE1EEEvT1_
		.amdhsa_group_segment_fixed_size 0
		.amdhsa_private_segment_fixed_size 0
		.amdhsa_kernarg_size 96
		.amdhsa_user_sgpr_count 6
		.amdhsa_user_sgpr_private_segment_buffer 1
		.amdhsa_user_sgpr_dispatch_ptr 0
		.amdhsa_user_sgpr_queue_ptr 0
		.amdhsa_user_sgpr_kernarg_segment_ptr 1
		.amdhsa_user_sgpr_dispatch_id 0
		.amdhsa_user_sgpr_flat_scratch_init 0
		.amdhsa_user_sgpr_kernarg_preload_length 0
		.amdhsa_user_sgpr_kernarg_preload_offset 0
		.amdhsa_user_sgpr_private_segment_size 0
		.amdhsa_uses_dynamic_stack 0
		.amdhsa_system_sgpr_private_segment_wavefront_offset 0
		.amdhsa_system_sgpr_workgroup_id_x 1
		.amdhsa_system_sgpr_workgroup_id_y 0
		.amdhsa_system_sgpr_workgroup_id_z 0
		.amdhsa_system_sgpr_workgroup_info 0
		.amdhsa_system_vgpr_workitem_id 0
		.amdhsa_next_free_vgpr 1
		.amdhsa_next_free_sgpr 0
		.amdhsa_accum_offset 4
		.amdhsa_reserve_vcc 0
		.amdhsa_reserve_flat_scratch 0
		.amdhsa_float_round_mode_32 0
		.amdhsa_float_round_mode_16_64 0
		.amdhsa_float_denorm_mode_32 3
		.amdhsa_float_denorm_mode_16_64 3
		.amdhsa_dx10_clamp 1
		.amdhsa_ieee_mode 1
		.amdhsa_fp16_overflow 0
		.amdhsa_tg_split 0
		.amdhsa_exception_fp_ieee_invalid_op 0
		.amdhsa_exception_fp_denorm_src 0
		.amdhsa_exception_fp_ieee_div_zero 0
		.amdhsa_exception_fp_ieee_overflow 0
		.amdhsa_exception_fp_ieee_underflow 0
		.amdhsa_exception_fp_ieee_inexact 0
		.amdhsa_exception_int_div_zero 0
	.end_amdhsa_kernel
	.section	.text._ZN7rocprim17ROCPRIM_400000_NS6detail17trampoline_kernelINS0_14default_configENS1_20scan_config_selectorIN3c104HalfEEEZZNS1_9scan_implILNS1_25lookback_scan_determinismE0ELb0ELb0ES3_PKS6_PS6_S6_ZZZN2at6native31launch_logcumsumexp_cuda_kernelERKNSD_10TensorBaseESH_lENKUlvE_clEvENKUlvE3_clEvEUlS6_S6_E_S6_EEDaPvRmT3_T4_T5_mT6_P12ihipStream_tbENKUlT_T0_E_clISt17integral_constantIbLb1EESX_IbLb0EEEEDaST_SU_EUlST_E_NS1_11comp_targetILNS1_3genE5ELNS1_11target_archE942ELNS1_3gpuE9ELNS1_3repE0EEENS1_30default_config_static_selectorELNS0_4arch9wavefront6targetE1EEEvT1_,"axG",@progbits,_ZN7rocprim17ROCPRIM_400000_NS6detail17trampoline_kernelINS0_14default_configENS1_20scan_config_selectorIN3c104HalfEEEZZNS1_9scan_implILNS1_25lookback_scan_determinismE0ELb0ELb0ES3_PKS6_PS6_S6_ZZZN2at6native31launch_logcumsumexp_cuda_kernelERKNSD_10TensorBaseESH_lENKUlvE_clEvENKUlvE3_clEvEUlS6_S6_E_S6_EEDaPvRmT3_T4_T5_mT6_P12ihipStream_tbENKUlT_T0_E_clISt17integral_constantIbLb1EESX_IbLb0EEEEDaST_SU_EUlST_E_NS1_11comp_targetILNS1_3genE5ELNS1_11target_archE942ELNS1_3gpuE9ELNS1_3repE0EEENS1_30default_config_static_selectorELNS0_4arch9wavefront6targetE1EEEvT1_,comdat
.Lfunc_end400:
	.size	_ZN7rocprim17ROCPRIM_400000_NS6detail17trampoline_kernelINS0_14default_configENS1_20scan_config_selectorIN3c104HalfEEEZZNS1_9scan_implILNS1_25lookback_scan_determinismE0ELb0ELb0ES3_PKS6_PS6_S6_ZZZN2at6native31launch_logcumsumexp_cuda_kernelERKNSD_10TensorBaseESH_lENKUlvE_clEvENKUlvE3_clEvEUlS6_S6_E_S6_EEDaPvRmT3_T4_T5_mT6_P12ihipStream_tbENKUlT_T0_E_clISt17integral_constantIbLb1EESX_IbLb0EEEEDaST_SU_EUlST_E_NS1_11comp_targetILNS1_3genE5ELNS1_11target_archE942ELNS1_3gpuE9ELNS1_3repE0EEENS1_30default_config_static_selectorELNS0_4arch9wavefront6targetE1EEEvT1_, .Lfunc_end400-_ZN7rocprim17ROCPRIM_400000_NS6detail17trampoline_kernelINS0_14default_configENS1_20scan_config_selectorIN3c104HalfEEEZZNS1_9scan_implILNS1_25lookback_scan_determinismE0ELb0ELb0ES3_PKS6_PS6_S6_ZZZN2at6native31launch_logcumsumexp_cuda_kernelERKNSD_10TensorBaseESH_lENKUlvE_clEvENKUlvE3_clEvEUlS6_S6_E_S6_EEDaPvRmT3_T4_T5_mT6_P12ihipStream_tbENKUlT_T0_E_clISt17integral_constantIbLb1EESX_IbLb0EEEEDaST_SU_EUlST_E_NS1_11comp_targetILNS1_3genE5ELNS1_11target_archE942ELNS1_3gpuE9ELNS1_3repE0EEENS1_30default_config_static_selectorELNS0_4arch9wavefront6targetE1EEEvT1_
                                        ; -- End function
	.section	.AMDGPU.csdata,"",@progbits
; Kernel info:
; codeLenInByte = 0
; NumSgprs: 4
; NumVgprs: 0
; NumAgprs: 0
; TotalNumVgprs: 0
; ScratchSize: 0
; MemoryBound: 0
; FloatMode: 240
; IeeeMode: 1
; LDSByteSize: 0 bytes/workgroup (compile time only)
; SGPRBlocks: 0
; VGPRBlocks: 0
; NumSGPRsForWavesPerEU: 4
; NumVGPRsForWavesPerEU: 1
; AccumOffset: 4
; Occupancy: 8
; WaveLimiterHint : 0
; COMPUTE_PGM_RSRC2:SCRATCH_EN: 0
; COMPUTE_PGM_RSRC2:USER_SGPR: 6
; COMPUTE_PGM_RSRC2:TRAP_HANDLER: 0
; COMPUTE_PGM_RSRC2:TGID_X_EN: 1
; COMPUTE_PGM_RSRC2:TGID_Y_EN: 0
; COMPUTE_PGM_RSRC2:TGID_Z_EN: 0
; COMPUTE_PGM_RSRC2:TIDIG_COMP_CNT: 0
; COMPUTE_PGM_RSRC3_GFX90A:ACCUM_OFFSET: 0
; COMPUTE_PGM_RSRC3_GFX90A:TG_SPLIT: 0
	.text
	.p2align	2                               ; -- Begin function _ZZZN7rocprim17ROCPRIM_400000_NS6detail9scan_implILNS1_25lookback_scan_determinismE0ELb0ELb0ENS0_14default_configEPKN3c104HalfEPS6_S6_ZZZN2at6native31launch_logcumsumexp_cuda_kernelERKNSA_10TensorBaseESE_lENKUlvE_clEvENKUlvE3_clEvEUlS6_S6_E_S6_EEDaPvRmT3_T4_T5_mT6_P12ihipStream_tbENKUlT_T0_E_clISt17integral_constantIbLb1EESU_IbLb0EEEEDaSQ_SR_ENKUlSQ_E_clINS1_13target_configIS4_NS1_20scan_config_selectorIS6_EENS1_11comp_targetILNS1_3genE4ELNS1_11target_archE910ELNS1_3gpuE8ELNS1_3repE0EEELNS0_4arch9wavefront6targetE1EEEEEDaSQ_
	.type	_ZZZN7rocprim17ROCPRIM_400000_NS6detail9scan_implILNS1_25lookback_scan_determinismE0ELb0ELb0ENS0_14default_configEPKN3c104HalfEPS6_S6_ZZZN2at6native31launch_logcumsumexp_cuda_kernelERKNSA_10TensorBaseESE_lENKUlvE_clEvENKUlvE3_clEvEUlS6_S6_E_S6_EEDaPvRmT3_T4_T5_mT6_P12ihipStream_tbENKUlT_T0_E_clISt17integral_constantIbLb1EESU_IbLb0EEEEDaSQ_SR_ENKUlSQ_E_clINS1_13target_configIS4_NS1_20scan_config_selectorIS6_EENS1_11comp_targetILNS1_3genE4ELNS1_11target_archE910ELNS1_3gpuE8ELNS1_3repE0EEELNS0_4arch9wavefront6targetE1EEEEEDaSQ_,@function
_ZZZN7rocprim17ROCPRIM_400000_NS6detail9scan_implILNS1_25lookback_scan_determinismE0ELb0ELb0ENS0_14default_configEPKN3c104HalfEPS6_S6_ZZZN2at6native31launch_logcumsumexp_cuda_kernelERKNSA_10TensorBaseESE_lENKUlvE_clEvENKUlvE3_clEvEUlS6_S6_E_S6_EEDaPvRmT3_T4_T5_mT6_P12ihipStream_tbENKUlT_T0_E_clISt17integral_constantIbLb1EESU_IbLb0EEEEDaSQ_SR_ENKUlSQ_E_clINS1_13target_configIS4_NS1_20scan_config_selectorIS6_EENS1_11comp_targetILNS1_3genE4ELNS1_11target_archE910ELNS1_3gpuE8ELNS1_3repE0EEELNS0_4arch9wavefront6targetE1EEEEEDaSQ_: ; @_ZZZN7rocprim17ROCPRIM_400000_NS6detail9scan_implILNS1_25lookback_scan_determinismE0ELb0ELb0ENS0_14default_configEPKN3c104HalfEPS6_S6_ZZZN2at6native31launch_logcumsumexp_cuda_kernelERKNSA_10TensorBaseESE_lENKUlvE_clEvENKUlvE3_clEvEUlS6_S6_E_S6_EEDaPvRmT3_T4_T5_mT6_P12ihipStream_tbENKUlT_T0_E_clISt17integral_constantIbLb1EESU_IbLb0EEEEDaSQ_SR_ENKUlSQ_E_clINS1_13target_configIS4_NS1_20scan_config_selectorIS6_EENS1_11comp_targetILNS1_3genE4ELNS1_11target_archE910ELNS1_3gpuE8ELNS1_3repE0EEELNS0_4arch9wavefront6targetE1EEEEEDaSQ_
; %bb.0:
	s_waitcnt vmcnt(0) expcnt(0) lgkmcnt(0)
	s_or_saveexec_b64 s[4:5], -1
	buffer_store_dword v40, off, s[0:3], s32 ; 4-byte Folded Spill
	s_mov_b64 exec, s[4:5]
	v_writelane_b32 v40, s30, 0
	v_writelane_b32 v40, s31, 1
	flat_load_dwordx4 v[14:17], v[0:1]
	flat_load_dwordx3 v[24:26], v[0:1] offset:40
	flat_load_dwordx4 v[10:13], v[0:1] offset:16
	flat_load_dwordx4 v[2:5], v[0:1] offset:56
	;; [unrolled: 1-line block ×3, first 2 shown]
	s_movk_i32 s6, 0x600
	s_mov_b32 s5, 0
	s_mul_i32 s4, s12, 0x600
	s_lshl_b64 s[62:63], s[4:5], 1
	v_and_b32_e32 v0, 0x3ff, v31
	v_mov_b32_e32 v1, s63
	v_lshlrev_b32_e32 v38, 1, v0
	s_waitcnt vmcnt(0) lgkmcnt(0)
	v_lshlrev_b64 v[28:29], 1, v[16:17]
	v_add_u32_e32 v16, -1, v26
	v_add_co_u32_e32 v14, vcc, v14, v28
	v_addc_co_u32_e32 v15, vcc, v15, v29, vcc
	v_mul_lo_u32 v17, v16, s6
	v_sub_co_u32_e32 v36, vcc, v12, v17
	v_subbrev_co_u32_e32 v37, vcc, 0, v13, vcc
	v_add_co_u32_e32 v12, vcc, s62, v14
	v_cmp_ne_u32_e64 s[4:5], s12, v16
	v_addc_co_u32_e32 v13, vcc, v15, v1, vcc
	s_and_saveexec_b64 s[6:7], s[4:5]
	s_xor_b64 s[6:7], exec, s[6:7]
	s_cbranch_execz .LBB401_2
; %bb.1:
	v_add_co_u32_e32 v12, vcc, v12, v38
	v_addc_co_u32_e32 v13, vcc, 0, v13, vcc
	flat_load_ushort v1, v[12:13]
	flat_load_ushort v14, v[12:13] offset:128
	flat_load_ushort v15, v[12:13] offset:256
	;; [unrolled: 1-line block ×23, first 2 shown]
                                        ; implicit-def: $vgpr12
	s_waitcnt vmcnt(0) lgkmcnt(0)
	ds_write_b16 v38, v1
	ds_write_b16 v38, v14 offset:128
	ds_write_b16 v38, v15 offset:256
	;; [unrolled: 1-line block ×23, first 2 shown]
	s_waitcnt lgkmcnt(0)
	; wave barrier
.LBB401_2:
	s_andn2_saveexec_b64 s[6:7], s[6:7]
	s_cbranch_execz .LBB401_52
; %bb.3:
	flat_load_ushort v1, v[12:13]
	v_cmp_lt_u32_e32 vcc, v0, v36
	s_waitcnt vmcnt(0) lgkmcnt(0)
	v_mov_b32_e32 v14, v1
	s_and_saveexec_b64 s[8:9], vcc
	s_cbranch_execz .LBB401_5
; %bb.4:
	v_add_co_u32_e32 v14, vcc, v12, v38
	v_addc_co_u32_e32 v15, vcc, 0, v13, vcc
	flat_load_ushort v14, v[14:15]
.LBB401_5:
	s_or_b64 exec, exec, s[8:9]
	v_add_u32_e32 v15, 64, v0
	v_cmp_lt_u32_e32 vcc, v15, v36
	v_mov_b32_e32 v15, v1
	s_and_saveexec_b64 s[8:9], vcc
	s_cbranch_execz .LBB401_7
; %bb.6:
	v_add_co_u32_e32 v16, vcc, v12, v38
	v_addc_co_u32_e32 v17, vcc, 0, v13, vcc
	flat_load_ushort v15, v[16:17] offset:128
.LBB401_7:
	s_or_b64 exec, exec, s[8:9]
	v_add_u32_e32 v16, 0x80, v0
	v_cmp_lt_u32_e32 vcc, v16, v36
	v_mov_b32_e32 v16, v1
	s_and_saveexec_b64 s[8:9], vcc
	s_cbranch_execz .LBB401_9
; %bb.8:
	v_add_co_u32_e32 v16, vcc, v12, v38
	v_addc_co_u32_e32 v17, vcc, 0, v13, vcc
	flat_load_ushort v16, v[16:17] offset:256
.LBB401_9:
	;; [unrolled: 11-line block ×15, first 2 shown]
	s_or_b64 exec, exec, s[8:9]
	v_or_b32_e32 v34, 0x400, v0
	v_cmp_lt_u32_e32 vcc, v34, v36
	v_mov_b32_e32 v34, v1
	s_and_saveexec_b64 s[8:9], vcc
	s_cbranch_execz .LBB401_37
; %bb.36:
	v_add_co_u32_e32 v34, vcc, v12, v38
	v_addc_co_u32_e32 v35, vcc, 0, v13, vcc
	flat_load_ushort v34, v[34:35] offset:2048
.LBB401_37:
	s_or_b64 exec, exec, s[8:9]
	v_add_u32_e32 v35, 0x440, v0
	v_cmp_lt_u32_e32 vcc, v35, v36
	v_mov_b32_e32 v35, v1
	s_and_saveexec_b64 s[8:9], vcc
	s_cbranch_execz .LBB401_39
; %bb.38:
	v_add_co_u32_e32 v48, vcc, v12, v38
	v_addc_co_u32_e32 v49, vcc, 0, v13, vcc
	flat_load_ushort v35, v[48:49] offset:2176
.LBB401_39:
	s_or_b64 exec, exec, s[8:9]
	v_add_u32_e32 v39, 0x480, v0
	v_cmp_lt_u32_e32 vcc, v39, v36
	v_mov_b32_e32 v39, v1
	s_and_saveexec_b64 s[8:9], vcc
	s_cbranch_execz .LBB401_41
; %bb.40:
	v_add_co_u32_e32 v48, vcc, v12, v38
	v_addc_co_u32_e32 v49, vcc, 0, v13, vcc
	flat_load_ushort v39, v[48:49] offset:2304
.LBB401_41:
	s_or_b64 exec, exec, s[8:9]
	v_add_u32_e32 v48, 0x4c0, v0
	v_cmp_lt_u32_e32 vcc, v48, v36
	v_mov_b32_e32 v48, v1
	s_and_saveexec_b64 s[8:9], vcc
	s_cbranch_execz .LBB401_43
; %bb.42:
	v_add_co_u32_e32 v48, vcc, v12, v38
	v_addc_co_u32_e32 v49, vcc, 0, v13, vcc
	flat_load_ushort v48, v[48:49] offset:2432
.LBB401_43:
	s_or_b64 exec, exec, s[8:9]
	v_add_u32_e32 v49, 0x500, v0
	v_cmp_lt_u32_e32 vcc, v49, v36
	v_mov_b32_e32 v49, v1
	s_and_saveexec_b64 s[8:9], vcc
	s_cbranch_execz .LBB401_45
; %bb.44:
	v_add_co_u32_e32 v50, vcc, v12, v38
	v_addc_co_u32_e32 v51, vcc, 0, v13, vcc
	flat_load_ushort v49, v[50:51] offset:2560
.LBB401_45:
	s_or_b64 exec, exec, s[8:9]
	v_add_u32_e32 v50, 0x540, v0
	v_cmp_lt_u32_e32 vcc, v50, v36
	v_mov_b32_e32 v50, v1
	s_and_saveexec_b64 s[8:9], vcc
	s_cbranch_execz .LBB401_47
; %bb.46:
	v_add_co_u32_e32 v50, vcc, v12, v38
	v_addc_co_u32_e32 v51, vcc, 0, v13, vcc
	flat_load_ushort v50, v[50:51] offset:2688
.LBB401_47:
	s_or_b64 exec, exec, s[8:9]
	v_add_u32_e32 v51, 0x580, v0
	v_cmp_lt_u32_e32 vcc, v51, v36
	v_mov_b32_e32 v51, v1
	s_and_saveexec_b64 s[8:9], vcc
	s_cbranch_execz .LBB401_49
; %bb.48:
	v_add_co_u32_e32 v52, vcc, v12, v38
	v_addc_co_u32_e32 v53, vcc, 0, v13, vcc
	flat_load_ushort v51, v[52:53] offset:2816
.LBB401_49:
	s_or_b64 exec, exec, s[8:9]
	v_add_u32_e32 v52, 0x5c0, v0
	v_cmp_lt_u32_e32 vcc, v52, v36
	s_and_saveexec_b64 s[8:9], vcc
	s_cbranch_execz .LBB401_51
; %bb.50:
	v_add_co_u32_e32 v12, vcc, v12, v38
	v_addc_co_u32_e32 v13, vcc, 0, v13, vcc
	flat_load_ushort v1, v[12:13] offset:2944
.LBB401_51:
	s_or_b64 exec, exec, s[8:9]
	s_waitcnt vmcnt(0) lgkmcnt(0)
	ds_write_b16 v38, v14
	ds_write_b16 v38, v15 offset:128
	ds_write_b16 v38, v16 offset:256
	;; [unrolled: 1-line block ×23, first 2 shown]
	s_waitcnt lgkmcnt(0)
	; wave barrier
.LBB401_52:
	s_or_b64 exec, exec, s[6:7]
	v_mul_u32_u24_e32 v39, 24, v0
	v_lshlrev_b32_e32 v1, 1, v39
	s_waitcnt lgkmcnt(0)
	ds_read_b128 v[20:23], v1
	ds_read_b128 v[16:19], v1 offset:16
	ds_read_b128 v[12:15], v1 offset:32
	s_cmp_lg_u32 s12, 0
	s_waitcnt lgkmcnt(0)
	v_cvt_f32_f16_sdwa v48, v20 dst_sel:DWORD dst_unused:UNUSED_PAD src0_sel:WORD_1
	v_cmp_u_f16_sdwa s[6:7], v20, v20 src0_sel:WORD_1 src1_sel:WORD_1
	; wave barrier
	s_cbranch_scc0 .LBB401_253
; %bb.53:
	v_cvt_f32_f16_e32 v87, v20
	v_cmp_u_f16_e64 s[54:55], v20, v20
	s_movk_i32 s10, 0x1f8
	v_min_f32_e32 v26, v87, v48
	v_max_f32_e32 v27, v87, v48
	v_cndmask_b32_e64 v26, v26, v87, s[54:55]
	v_cndmask_b32_e64 v27, v27, v87, s[54:55]
	;; [unrolled: 1-line block ×4, first 2 shown]
	v_cmp_neq_f32_e32 vcc, v32, v31
	v_cmp_class_f32_e64 s[8:9], v32, s10
	s_or_b64 s[14:15], vcc, s[8:9]
	v_mov_b32_e32 v30, v87
	v_mov_b32_e32 v27, v20
	;; [unrolled: 1-line block ×3, first 2 shown]
	s_and_saveexec_b64 s[8:9], s[14:15]
	s_cbranch_execz .LBB401_55
; %bb.54:
	v_sub_f32_e32 v26, v32, v31
	s_mov_b32 s11, 0x3fb8aa3b
	v_mul_f32_e32 v27, 0x3fb8aa3b, v26
	v_fma_f32 v30, v26, s11, -v27
	v_rndne_f32_e32 v32, v27
	v_fmac_f32_e32 v30, 0x32a5705f, v26
	v_sub_f32_e32 v27, v27, v32
	v_add_f32_e32 v27, v27, v30
	v_exp_f32_e32 v27, v27
	v_cvt_i32_f32_e32 v30, v32
	s_mov_b32 s11, 0xc2ce8ed0
	v_cmp_ngt_f32_e32 vcc, s11, v26
	s_mov_b32 s11, 0x42b17218
	v_ldexp_f32 v27, v27, v30
	v_cndmask_b32_e32 v27, 0, v27, vcc
	v_mov_b32_e32 v30, 0x7f800000
	v_cmp_nlt_f32_e32 vcc, s11, v26
	v_cndmask_b32_e32 v49, v30, v27, vcc
	v_add_f32_e32 v30, 1.0, v49
	v_add_f32_e32 v26, -1.0, v30
	v_sub_f32_e32 v27, v26, v30
	v_add_f32_e32 v27, 1.0, v27
	v_sub_f32_e32 v26, v49, v26
	v_add_f32_e32 v32, v26, v27
	v_frexp_mant_f32_e32 v33, v30
	s_mov_b32 s11, 0x3f2aaaab
	v_cvt_f64_f32_e32 v[26:27], v30
	v_frexp_exp_i32_f64_e32 v26, v[26:27]
	v_cmp_gt_f32_e32 vcc, s11, v33
	v_subbrev_co_u32_e32 v52, vcc, 0, v26, vcc
	v_sub_u32_e32 v26, 0, v52
	v_ldexp_f32 v27, v30, v26
	v_add_f32_e32 v30, -1.0, v27
	v_add_f32_e32 v33, 1.0, v27
	v_ldexp_f32 v26, v32, v26
	v_add_f32_e32 v32, 1.0, v30
	v_add_f32_e32 v34, -1.0, v33
	v_sub_f32_e32 v32, v27, v32
	v_sub_f32_e32 v27, v27, v34
	v_add_f32_e32 v32, v26, v32
	v_add_f32_e32 v26, v26, v27
	;; [unrolled: 1-line block ×3, first 2 shown]
	v_rcp_f32_e32 v55, v53
	v_sub_f32_e32 v27, v33, v53
	v_add_f32_e32 v54, v26, v27
	v_add_f32_e32 v27, v30, v32
	v_sub_f32_e32 v26, v30, v27
	v_mul_f32_e32 v64, v27, v55
	v_add_f32_e32 v30, v32, v26
	v_mul_f32_e32 v32, v53, v64
	v_fma_f32 v34, v64, v53, -v32
	v_fmac_f32_e32 v34, v64, v54
	v_add_f32_e32 v26, v32, v34
	v_sub_f32_e32 v33, v27, v26
	v_pk_add_f32 v[50:51], v[26:27], v[32:33] neg_lo:[0,1] neg_hi:[0,1]
	v_mov_b32_e32 v35, v26
	v_pk_add_f32 v[26:27], v[50:51], v[34:35] neg_lo:[0,1] neg_hi:[0,1]
	v_add_f32_e32 v27, v30, v27
	v_add_f32_e32 v26, v26, v27
	;; [unrolled: 1-line block ×3, first 2 shown]
	v_mul_f32_e32 v30, v55, v27
	v_mul_f32_e32 v32, v53, v30
	v_fma_f32 v34, v30, v53, -v32
	v_fmac_f32_e32 v34, v30, v54
	v_sub_f32_e32 v33, v33, v27
	v_add_f32_e32 v53, v26, v33
	v_add_f32_e32 v26, v32, v34
	v_sub_f32_e32 v33, v27, v26
	v_pk_add_f32 v[50:51], v[26:27], v[32:33] neg_lo:[0,1] neg_hi:[0,1]
	v_mov_b32_e32 v35, v26
	v_pk_add_f32 v[26:27], v[50:51], v[34:35] neg_lo:[0,1] neg_hi:[0,1]
	v_add_f32_e32 v27, v53, v27
	v_add_f32_e32 v26, v26, v27
	;; [unrolled: 1-line block ×4, first 2 shown]
	v_sub_f32_e32 v27, v33, v64
	v_mul_f32_e32 v26, v55, v26
	v_sub_f32_e32 v27, v30, v27
	v_add_f32_e32 v26, v27, v26
	v_add_f32_e32 v30, v33, v26
	v_mul_f32_e32 v34, v30, v30
	v_mov_b32_e32 v32, 0x3ecc95a3
	v_fmac_f32_e32 v32, 0x3e9b6dac, v34
	v_mov_b32_e32 v27, 0x3f2aaada
	v_fmac_f32_e32 v27, v34, v32
	v_cvt_f32_i32_e32 v32, v52
	v_sub_f32_e32 v33, v30, v33
	v_sub_f32_e32 v26, v26, v33
	v_ldexp_f32 v50, v26, 1
	v_mul_f32_e32 v33, v30, v34
	v_mov_b32_e32 v26, 0x3f317218
	s_mov_b32 s11, 0x3f317218
	v_pk_mul_f32 v[26:27], v[32:33], v[26:27]
	v_fma_f32 v34, v32, s11, -v26
	v_ldexp_f32 v35, v30, 1
	v_fmac_f32_e32 v34, 0xb102e308, v32
	v_pk_add_f32 v[32:33], v[26:27], v[34:35]
	v_sub_f32_e32 v30, v33, v35
	v_sub_f32_e32 v30, v27, v30
	v_add_f32_e32 v51, v50, v30
	v_mov_b32_e32 v50, v26
	v_pk_add_f32 v[26:27], v[32:33], v[26:27] neg_lo:[0,1] neg_hi:[0,1]
	v_pk_add_f32 v[52:53], v[32:33], v[50:51]
	v_mov_b32_e32 v27, v53
	v_mov_b32_e32 v35, v32
	v_pk_add_f32 v[54:55], v[34:35], v[26:27] neg_lo:[0,1] neg_hi:[0,1]
	v_pk_add_f32 v[26:27], v[34:35], v[26:27]
	v_mov_b32_e32 v30, v27
	v_pk_add_f32 v[34:35], v[30:31], v[32:33] neg_lo:[0,1] neg_hi:[0,1]
	v_mov_b32_e32 v35, v34
	v_pk_add_f32 v[64:65], v[52:53], v[34:35] neg_lo:[0,1] neg_hi:[0,1]
	v_mov_b32_e32 v26, v53
	v_mov_b32_e32 v52, v33
	;; [unrolled: 1-line block ×4, first 2 shown]
	v_pk_add_f32 v[26:27], v[26:27], v[52:53] neg_lo:[0,1] neg_hi:[0,1]
	v_mov_b32_e32 v34, v51
	v_mov_b32_e32 v35, v32
	v_pk_add_f32 v[26:27], v[34:35], v[26:27] neg_lo:[0,1] neg_hi:[0,1]
	v_mov_b32_e32 v64, v54
	v_pk_add_f32 v[32:33], v[64:65], v[26:27]
	v_mov_b32_e32 v34, v33
	v_pk_add_f32 v[34:35], v[32:33], v[34:35]
	v_pk_add_f32 v[50:51], v[30:31], v[34:35]
	v_mov_b32_e32 v33, v50
	v_pk_add_f32 v[52:53], v[32:33], v[54:55] neg_lo:[0,1] neg_hi:[0,1]
	v_mov_b32_e32 v27, v34
	v_sub_f32_e32 v30, v32, v52
	v_pk_add_f32 v[26:27], v[26:27], v[52:53] neg_lo:[0,1] neg_hi:[0,1]
	v_sub_f32_e32 v30, v54, v30
	s_mov_b32 s13, 0x7f800000
	v_add_f32_e32 v26, v26, v30
	s_mov_b32 s11, 0x33800000
	v_add_f32_e32 v26, v26, v27
	v_cmp_eq_f32_e32 vcc, s13, v49
	v_cmp_lt_f32_e64 s[14:15], |v49|, s11
	v_add_f32_e32 v26, v50, v26
	s_or_b64 vcc, vcc, s[14:15]
	v_cndmask_b32_e32 v26, v26, v49, vcc
	v_add_f32_e32 v26, v31, v26
	v_cvt_f16_f32_e32 v27, v26
	v_cvt_f32_f16_e32 v30, v27
	v_mov_b32_e32 v26, v27
.LBB401_55:
	s_or_b64 exec, exec, s[8:9]
	v_cvt_f32_f16_e32 v49, v21
	v_max_f32_e32 v31, v30, v30
	v_cmp_u_f16_e32 vcc, v27, v27
	v_cmp_u_f16_e64 s[8:9], v21, v21
	v_min_f32_e32 v32, v31, v49
	v_max_f32_e32 v31, v31, v49
	v_cndmask_b32_e32 v32, v32, v30, vcc
	v_cndmask_b32_e32 v31, v31, v30, vcc
	v_cndmask_b32_e64 v32, v32, v49, s[8:9]
	v_cndmask_b32_e64 v31, v31, v49, s[8:9]
	v_cmp_neq_f32_e32 vcc, v32, v31
	v_cmp_class_f32_e64 s[10:11], v32, s10
	s_or_b64 s[14:15], vcc, s[10:11]
	s_and_saveexec_b64 s[10:11], s[14:15]
	s_cbranch_execz .LBB401_57
; %bb.56:
	v_sub_f32_e32 v26, v32, v31
	s_mov_b32 s13, 0x3fb8aa3b
	v_mul_f32_e32 v27, 0x3fb8aa3b, v26
	v_fma_f32 v30, v26, s13, -v27
	v_rndne_f32_e32 v32, v27
	v_fmac_f32_e32 v30, 0x32a5705f, v26
	v_sub_f32_e32 v27, v27, v32
	v_add_f32_e32 v27, v27, v30
	v_exp_f32_e32 v27, v27
	v_cvt_i32_f32_e32 v30, v32
	s_mov_b32 s13, 0xc2ce8ed0
	v_cmp_ngt_f32_e32 vcc, s13, v26
	s_mov_b32 s13, 0x42b17218
	v_ldexp_f32 v27, v27, v30
	v_cndmask_b32_e32 v27, 0, v27, vcc
	v_mov_b32_e32 v30, 0x7f800000
	v_cmp_nlt_f32_e32 vcc, s13, v26
	v_cndmask_b32_e32 v66, v30, v27, vcc
	v_add_f32_e32 v30, 1.0, v66
	v_add_f32_e32 v26, -1.0, v30
	v_sub_f32_e32 v27, v26, v30
	v_add_f32_e32 v27, 1.0, v27
	v_sub_f32_e32 v26, v66, v26
	v_add_f32_e32 v32, v26, v27
	v_frexp_mant_f32_e32 v33, v30
	s_mov_b32 s13, 0x3f2aaaab
	v_cvt_f64_f32_e32 v[26:27], v30
	v_frexp_exp_i32_f64_e32 v26, v[26:27]
	v_cmp_gt_f32_e32 vcc, s13, v33
	v_subbrev_co_u32_e32 v52, vcc, 0, v26, vcc
	v_sub_u32_e32 v26, 0, v52
	v_ldexp_f32 v27, v30, v26
	v_add_f32_e32 v30, -1.0, v27
	v_add_f32_e32 v33, 1.0, v27
	v_ldexp_f32 v26, v32, v26
	v_add_f32_e32 v32, 1.0, v30
	v_add_f32_e32 v34, -1.0, v33
	v_sub_f32_e32 v32, v27, v32
	v_sub_f32_e32 v27, v27, v34
	v_add_f32_e32 v32, v26, v32
	v_add_f32_e32 v26, v26, v27
	;; [unrolled: 1-line block ×3, first 2 shown]
	v_rcp_f32_e32 v55, v53
	v_sub_f32_e32 v27, v33, v53
	v_add_f32_e32 v54, v26, v27
	v_add_f32_e32 v27, v30, v32
	v_sub_f32_e32 v26, v30, v27
	v_mul_f32_e32 v64, v27, v55
	v_add_f32_e32 v30, v32, v26
	v_mul_f32_e32 v32, v53, v64
	v_fma_f32 v34, v64, v53, -v32
	v_fmac_f32_e32 v34, v64, v54
	v_add_f32_e32 v26, v32, v34
	v_sub_f32_e32 v33, v27, v26
	v_pk_add_f32 v[50:51], v[26:27], v[32:33] neg_lo:[0,1] neg_hi:[0,1]
	v_mov_b32_e32 v35, v26
	v_pk_add_f32 v[26:27], v[50:51], v[34:35] neg_lo:[0,1] neg_hi:[0,1]
	v_add_f32_e32 v27, v30, v27
	v_add_f32_e32 v26, v26, v27
	;; [unrolled: 1-line block ×3, first 2 shown]
	v_mul_f32_e32 v30, v55, v27
	v_mul_f32_e32 v32, v53, v30
	v_fma_f32 v34, v30, v53, -v32
	v_fmac_f32_e32 v34, v30, v54
	v_sub_f32_e32 v33, v33, v27
	v_add_f32_e32 v53, v26, v33
	v_add_f32_e32 v26, v32, v34
	v_sub_f32_e32 v33, v27, v26
	v_pk_add_f32 v[50:51], v[26:27], v[32:33] neg_lo:[0,1] neg_hi:[0,1]
	v_mov_b32_e32 v35, v26
	v_pk_add_f32 v[26:27], v[50:51], v[34:35] neg_lo:[0,1] neg_hi:[0,1]
	v_add_f32_e32 v27, v53, v27
	v_add_f32_e32 v26, v26, v27
	;; [unrolled: 1-line block ×4, first 2 shown]
	v_sub_f32_e32 v27, v33, v64
	v_mul_f32_e32 v26, v55, v26
	v_sub_f32_e32 v27, v30, v27
	v_add_f32_e32 v26, v27, v26
	v_add_f32_e32 v30, v33, v26
	v_mul_f32_e32 v34, v30, v30
	v_mov_b32_e32 v32, 0x3ecc95a3
	v_fmac_f32_e32 v32, 0x3e9b6dac, v34
	v_mov_b32_e32 v27, 0x3f2aaada
	v_fmac_f32_e32 v27, v34, v32
	v_cvt_f32_i32_e32 v32, v52
	v_sub_f32_e32 v33, v30, v33
	v_sub_f32_e32 v26, v26, v33
	v_ldexp_f32 v50, v26, 1
	v_mul_f32_e32 v33, v30, v34
	v_mov_b32_e32 v26, 0x3f317218
	s_mov_b32 s13, 0x3f317218
	v_pk_mul_f32 v[26:27], v[32:33], v[26:27]
	v_fma_f32 v34, v32, s13, -v26
	v_ldexp_f32 v35, v30, 1
	v_fmac_f32_e32 v34, 0xb102e308, v32
	v_pk_add_f32 v[32:33], v[26:27], v[34:35]
	v_sub_f32_e32 v30, v33, v35
	v_sub_f32_e32 v30, v27, v30
	v_add_f32_e32 v51, v50, v30
	v_mov_b32_e32 v50, v26
	v_pk_add_f32 v[26:27], v[32:33], v[26:27] neg_lo:[0,1] neg_hi:[0,1]
	v_pk_add_f32 v[52:53], v[32:33], v[50:51]
	v_mov_b32_e32 v27, v53
	v_mov_b32_e32 v35, v32
	v_pk_add_f32 v[54:55], v[34:35], v[26:27] neg_lo:[0,1] neg_hi:[0,1]
	v_pk_add_f32 v[26:27], v[34:35], v[26:27]
	v_mov_b32_e32 v30, v27
	v_pk_add_f32 v[34:35], v[30:31], v[32:33] neg_lo:[0,1] neg_hi:[0,1]
	v_mov_b32_e32 v35, v34
	v_pk_add_f32 v[64:65], v[52:53], v[34:35] neg_lo:[0,1] neg_hi:[0,1]
	v_mov_b32_e32 v26, v53
	v_mov_b32_e32 v52, v33
	;; [unrolled: 1-line block ×4, first 2 shown]
	v_pk_add_f32 v[26:27], v[26:27], v[52:53] neg_lo:[0,1] neg_hi:[0,1]
	v_mov_b32_e32 v34, v51
	v_mov_b32_e32 v35, v32
	v_pk_add_f32 v[26:27], v[34:35], v[26:27] neg_lo:[0,1] neg_hi:[0,1]
	v_mov_b32_e32 v64, v54
	v_pk_add_f32 v[32:33], v[64:65], v[26:27]
	v_mov_b32_e32 v34, v33
	v_pk_add_f32 v[34:35], v[32:33], v[34:35]
	v_pk_add_f32 v[50:51], v[30:31], v[34:35]
	v_mov_b32_e32 v33, v50
	v_pk_add_f32 v[52:53], v[32:33], v[54:55] neg_lo:[0,1] neg_hi:[0,1]
	v_mov_b32_e32 v27, v34
	v_sub_f32_e32 v30, v32, v52
	v_pk_add_f32 v[26:27], v[26:27], v[52:53] neg_lo:[0,1] neg_hi:[0,1]
	v_sub_f32_e32 v30, v54, v30
	s_mov_b32 s14, 0x7f800000
	v_add_f32_e32 v26, v26, v30
	s_mov_b32 s13, 0x33800000
	v_add_f32_e32 v26, v26, v27
	v_cmp_eq_f32_e32 vcc, s14, v66
	v_cmp_lt_f32_e64 s[14:15], |v66|, s13
	v_add_f32_e32 v26, v50, v26
	s_or_b64 vcc, vcc, s[14:15]
	v_cndmask_b32_e32 v26, v26, v66, vcc
	v_add_f32_e32 v26, v31, v26
	v_cvt_f16_f32_e32 v27, v26
	v_cvt_f32_f16_e32 v30, v27
	v_mov_b32_e32 v26, v27
.LBB401_57:
	s_or_b64 exec, exec, s[10:11]
	v_cvt_f32_f16_sdwa v50, v21 dst_sel:DWORD dst_unused:UNUSED_PAD src0_sel:WORD_1
	v_max_f32_e32 v31, v30, v30
	v_cmp_u_f16_e32 vcc, v27, v27
	v_cmp_u_f16_sdwa s[10:11], v21, v21 src0_sel:WORD_1 src1_sel:WORD_1
	v_min_f32_e32 v32, v31, v50
	v_max_f32_e32 v31, v31, v50
	v_cndmask_b32_e32 v32, v32, v30, vcc
	v_cndmask_b32_e32 v31, v31, v30, vcc
	v_cndmask_b32_e64 v32, v32, v50, s[10:11]
	v_cndmask_b32_e64 v31, v31, v50, s[10:11]
	s_movk_i32 s13, 0x1f8
	v_cmp_neq_f32_e32 vcc, v32, v31
	v_cmp_class_f32_e64 s[14:15], v32, s13
	s_or_b64 s[16:17], vcc, s[14:15]
	s_and_saveexec_b64 s[14:15], s[16:17]
	s_cbranch_execz .LBB401_59
; %bb.58:
	v_sub_f32_e32 v26, v32, v31
	s_mov_b32 s16, 0x3fb8aa3b
	v_mul_f32_e32 v27, 0x3fb8aa3b, v26
	v_fma_f32 v30, v26, s16, -v27
	v_rndne_f32_e32 v32, v27
	v_fmac_f32_e32 v30, 0x32a5705f, v26
	v_sub_f32_e32 v27, v27, v32
	v_add_f32_e32 v27, v27, v30
	v_exp_f32_e32 v27, v27
	v_cvt_i32_f32_e32 v30, v32
	s_mov_b32 s16, 0xc2ce8ed0
	v_cmp_ngt_f32_e32 vcc, s16, v26
	s_mov_b32 s16, 0x42b17218
	v_ldexp_f32 v27, v27, v30
	v_cndmask_b32_e32 v27, 0, v27, vcc
	v_mov_b32_e32 v30, 0x7f800000
	v_cmp_nlt_f32_e32 vcc, s16, v26
	v_cndmask_b32_e32 v51, v30, v27, vcc
	v_add_f32_e32 v30, 1.0, v51
	v_add_f32_e32 v26, -1.0, v30
	v_sub_f32_e32 v27, v26, v30
	v_add_f32_e32 v27, 1.0, v27
	v_sub_f32_e32 v26, v51, v26
	v_add_f32_e32 v32, v26, v27
	v_frexp_mant_f32_e32 v33, v30
	s_mov_b32 s16, 0x3f2aaaab
	v_cvt_f64_f32_e32 v[26:27], v30
	v_frexp_exp_i32_f64_e32 v26, v[26:27]
	v_cmp_gt_f32_e32 vcc, s16, v33
	v_subbrev_co_u32_e32 v54, vcc, 0, v26, vcc
	v_sub_u32_e32 v26, 0, v54
	v_ldexp_f32 v27, v30, v26
	v_add_f32_e32 v30, -1.0, v27
	v_add_f32_e32 v33, 1.0, v27
	v_ldexp_f32 v26, v32, v26
	v_add_f32_e32 v32, 1.0, v30
	v_add_f32_e32 v34, -1.0, v33
	v_sub_f32_e32 v32, v27, v32
	v_sub_f32_e32 v27, v27, v34
	v_add_f32_e32 v32, v26, v32
	v_add_f32_e32 v26, v26, v27
	;; [unrolled: 1-line block ×3, first 2 shown]
	v_rcp_f32_e32 v65, v55
	v_sub_f32_e32 v27, v33, v55
	v_add_f32_e32 v64, v26, v27
	v_add_f32_e32 v27, v30, v32
	v_sub_f32_e32 v26, v30, v27
	v_mul_f32_e32 v66, v27, v65
	v_add_f32_e32 v30, v32, v26
	v_mul_f32_e32 v32, v55, v66
	v_fma_f32 v34, v66, v55, -v32
	v_fmac_f32_e32 v34, v66, v64
	v_add_f32_e32 v26, v32, v34
	v_sub_f32_e32 v33, v27, v26
	v_pk_add_f32 v[52:53], v[26:27], v[32:33] neg_lo:[0,1] neg_hi:[0,1]
	v_mov_b32_e32 v35, v26
	v_pk_add_f32 v[26:27], v[52:53], v[34:35] neg_lo:[0,1] neg_hi:[0,1]
	v_add_f32_e32 v27, v30, v27
	v_add_f32_e32 v26, v26, v27
	;; [unrolled: 1-line block ×3, first 2 shown]
	v_mul_f32_e32 v30, v65, v27
	v_mul_f32_e32 v32, v55, v30
	v_fma_f32 v34, v30, v55, -v32
	v_fmac_f32_e32 v34, v30, v64
	v_sub_f32_e32 v33, v33, v27
	v_add_f32_e32 v55, v26, v33
	v_add_f32_e32 v26, v32, v34
	v_sub_f32_e32 v33, v27, v26
	v_pk_add_f32 v[52:53], v[26:27], v[32:33] neg_lo:[0,1] neg_hi:[0,1]
	v_mov_b32_e32 v35, v26
	v_pk_add_f32 v[26:27], v[52:53], v[34:35] neg_lo:[0,1] neg_hi:[0,1]
	v_add_f32_e32 v27, v55, v27
	v_add_f32_e32 v26, v26, v27
	v_add_f32_e32 v26, v33, v26
	v_add_f32_e32 v33, v66, v30
	v_sub_f32_e32 v27, v33, v66
	v_mul_f32_e32 v26, v65, v26
	v_sub_f32_e32 v27, v30, v27
	v_add_f32_e32 v26, v27, v26
	v_add_f32_e32 v30, v33, v26
	v_mul_f32_e32 v34, v30, v30
	v_mov_b32_e32 v32, 0x3ecc95a3
	v_fmac_f32_e32 v32, 0x3e9b6dac, v34
	v_mov_b32_e32 v27, 0x3f2aaada
	v_fmac_f32_e32 v27, v34, v32
	v_cvt_f32_i32_e32 v32, v54
	v_sub_f32_e32 v33, v30, v33
	v_sub_f32_e32 v26, v26, v33
	v_ldexp_f32 v52, v26, 1
	v_mul_f32_e32 v33, v30, v34
	v_mov_b32_e32 v26, 0x3f317218
	s_mov_b32 s16, 0x3f317218
	v_pk_mul_f32 v[26:27], v[32:33], v[26:27]
	v_fma_f32 v34, v32, s16, -v26
	v_ldexp_f32 v35, v30, 1
	v_fmac_f32_e32 v34, 0xb102e308, v32
	v_pk_add_f32 v[32:33], v[26:27], v[34:35]
	v_sub_f32_e32 v30, v33, v35
	v_sub_f32_e32 v30, v27, v30
	v_add_f32_e32 v53, v52, v30
	v_mov_b32_e32 v52, v26
	v_pk_add_f32 v[26:27], v[32:33], v[26:27] neg_lo:[0,1] neg_hi:[0,1]
	v_pk_add_f32 v[54:55], v[32:33], v[52:53]
	v_mov_b32_e32 v27, v55
	v_mov_b32_e32 v35, v32
	v_pk_add_f32 v[64:65], v[34:35], v[26:27] neg_lo:[0,1] neg_hi:[0,1]
	v_pk_add_f32 v[26:27], v[34:35], v[26:27]
	v_mov_b32_e32 v30, v27
	v_pk_add_f32 v[34:35], v[30:31], v[32:33] neg_lo:[0,1] neg_hi:[0,1]
	v_mov_b32_e32 v35, v34
	v_pk_add_f32 v[66:67], v[54:55], v[34:35] neg_lo:[0,1] neg_hi:[0,1]
	v_mov_b32_e32 v26, v55
	v_mov_b32_e32 v54, v33
	;; [unrolled: 1-line block ×4, first 2 shown]
	v_pk_add_f32 v[26:27], v[26:27], v[54:55] neg_lo:[0,1] neg_hi:[0,1]
	v_mov_b32_e32 v34, v53
	v_mov_b32_e32 v35, v32
	v_pk_add_f32 v[26:27], v[34:35], v[26:27] neg_lo:[0,1] neg_hi:[0,1]
	v_mov_b32_e32 v66, v64
	v_pk_add_f32 v[32:33], v[66:67], v[26:27]
	v_mov_b32_e32 v34, v33
	v_pk_add_f32 v[34:35], v[32:33], v[34:35]
	v_pk_add_f32 v[52:53], v[30:31], v[34:35]
	v_mov_b32_e32 v33, v52
	v_pk_add_f32 v[54:55], v[32:33], v[64:65] neg_lo:[0,1] neg_hi:[0,1]
	v_mov_b32_e32 v27, v34
	v_sub_f32_e32 v30, v32, v54
	v_pk_add_f32 v[26:27], v[26:27], v[54:55] neg_lo:[0,1] neg_hi:[0,1]
	v_sub_f32_e32 v30, v64, v30
	s_mov_b32 s17, 0x7f800000
	v_add_f32_e32 v26, v26, v30
	s_mov_b32 s16, 0x33800000
	v_add_f32_e32 v26, v26, v27
	v_cmp_eq_f32_e32 vcc, s17, v51
	v_cmp_lt_f32_e64 s[16:17], |v51|, s16
	v_add_f32_e32 v26, v52, v26
	s_or_b64 vcc, vcc, s[16:17]
	v_cndmask_b32_e32 v26, v26, v51, vcc
	v_add_f32_e32 v26, v31, v26
	v_cvt_f16_f32_e32 v27, v26
	v_cvt_f32_f16_e32 v30, v27
	v_mov_b32_e32 v26, v27
.LBB401_59:
	s_or_b64 exec, exec, s[14:15]
	v_cvt_f32_f16_e32 v51, v22
	v_max_f32_e32 v31, v30, v30
	v_cmp_u_f16_e32 vcc, v27, v27
	v_cmp_u_f16_e64 s[58:59], v22, v22
	v_min_f32_e32 v32, v31, v51
	v_max_f32_e32 v31, v31, v51
	v_cndmask_b32_e32 v32, v32, v30, vcc
	v_cndmask_b32_e32 v31, v31, v30, vcc
	v_cndmask_b32_e64 v32, v32, v51, s[58:59]
	v_cndmask_b32_e64 v31, v31, v51, s[58:59]
	v_cmp_neq_f32_e32 vcc, v32, v31
	v_cmp_class_f32_e64 s[14:15], v32, s13
	s_or_b64 s[16:17], vcc, s[14:15]
	s_and_saveexec_b64 s[14:15], s[16:17]
	s_cbranch_execz .LBB401_61
; %bb.60:
	v_sub_f32_e32 v26, v32, v31
	s_mov_b32 s13, 0x3fb8aa3b
	v_mul_f32_e32 v27, 0x3fb8aa3b, v26
	v_fma_f32 v30, v26, s13, -v27
	v_rndne_f32_e32 v32, v27
	v_fmac_f32_e32 v30, 0x32a5705f, v26
	v_sub_f32_e32 v27, v27, v32
	v_add_f32_e32 v27, v27, v30
	v_exp_f32_e32 v27, v27
	v_cvt_i32_f32_e32 v30, v32
	s_mov_b32 s13, 0xc2ce8ed0
	v_cmp_ngt_f32_e32 vcc, s13, v26
	s_mov_b32 s13, 0x42b17218
	v_ldexp_f32 v27, v27, v30
	v_cndmask_b32_e32 v27, 0, v27, vcc
	v_mov_b32_e32 v30, 0x7f800000
	v_cmp_nlt_f32_e32 vcc, s13, v26
	v_cndmask_b32_e32 v68, v30, v27, vcc
	v_add_f32_e32 v30, 1.0, v68
	v_add_f32_e32 v26, -1.0, v30
	v_sub_f32_e32 v27, v26, v30
	v_add_f32_e32 v27, 1.0, v27
	v_sub_f32_e32 v26, v68, v26
	v_add_f32_e32 v32, v26, v27
	v_frexp_mant_f32_e32 v33, v30
	s_mov_b32 s13, 0x3f2aaaab
	v_cvt_f64_f32_e32 v[26:27], v30
	v_frexp_exp_i32_f64_e32 v26, v[26:27]
	v_cmp_gt_f32_e32 vcc, s13, v33
	v_subbrev_co_u32_e32 v54, vcc, 0, v26, vcc
	v_sub_u32_e32 v26, 0, v54
	v_ldexp_f32 v27, v30, v26
	v_add_f32_e32 v30, -1.0, v27
	v_add_f32_e32 v33, 1.0, v27
	v_ldexp_f32 v26, v32, v26
	v_add_f32_e32 v32, 1.0, v30
	v_add_f32_e32 v34, -1.0, v33
	v_sub_f32_e32 v32, v27, v32
	v_sub_f32_e32 v27, v27, v34
	v_add_f32_e32 v32, v26, v32
	v_add_f32_e32 v26, v26, v27
	;; [unrolled: 1-line block ×3, first 2 shown]
	v_rcp_f32_e32 v65, v55
	v_sub_f32_e32 v27, v33, v55
	v_add_f32_e32 v64, v26, v27
	v_add_f32_e32 v27, v30, v32
	v_sub_f32_e32 v26, v30, v27
	v_mul_f32_e32 v66, v27, v65
	v_add_f32_e32 v30, v32, v26
	v_mul_f32_e32 v32, v55, v66
	v_fma_f32 v34, v66, v55, -v32
	v_fmac_f32_e32 v34, v66, v64
	v_add_f32_e32 v26, v32, v34
	v_sub_f32_e32 v33, v27, v26
	v_pk_add_f32 v[52:53], v[26:27], v[32:33] neg_lo:[0,1] neg_hi:[0,1]
	v_mov_b32_e32 v35, v26
	v_pk_add_f32 v[26:27], v[52:53], v[34:35] neg_lo:[0,1] neg_hi:[0,1]
	v_add_f32_e32 v27, v30, v27
	v_add_f32_e32 v26, v26, v27
	;; [unrolled: 1-line block ×3, first 2 shown]
	v_mul_f32_e32 v30, v65, v27
	v_mul_f32_e32 v32, v55, v30
	v_fma_f32 v34, v30, v55, -v32
	v_fmac_f32_e32 v34, v30, v64
	v_sub_f32_e32 v33, v33, v27
	v_add_f32_e32 v55, v26, v33
	v_add_f32_e32 v26, v32, v34
	v_sub_f32_e32 v33, v27, v26
	v_pk_add_f32 v[52:53], v[26:27], v[32:33] neg_lo:[0,1] neg_hi:[0,1]
	v_mov_b32_e32 v35, v26
	v_pk_add_f32 v[26:27], v[52:53], v[34:35] neg_lo:[0,1] neg_hi:[0,1]
	v_add_f32_e32 v27, v55, v27
	v_add_f32_e32 v26, v26, v27
	;; [unrolled: 1-line block ×4, first 2 shown]
	v_sub_f32_e32 v27, v33, v66
	v_mul_f32_e32 v26, v65, v26
	v_sub_f32_e32 v27, v30, v27
	v_add_f32_e32 v26, v27, v26
	v_add_f32_e32 v30, v33, v26
	v_mul_f32_e32 v34, v30, v30
	v_mov_b32_e32 v32, 0x3ecc95a3
	v_fmac_f32_e32 v32, 0x3e9b6dac, v34
	v_mov_b32_e32 v27, 0x3f2aaada
	v_fmac_f32_e32 v27, v34, v32
	v_cvt_f32_i32_e32 v32, v54
	v_sub_f32_e32 v33, v30, v33
	v_sub_f32_e32 v26, v26, v33
	v_ldexp_f32 v52, v26, 1
	v_mul_f32_e32 v33, v30, v34
	v_mov_b32_e32 v26, 0x3f317218
	s_mov_b32 s13, 0x3f317218
	v_pk_mul_f32 v[26:27], v[32:33], v[26:27]
	v_fma_f32 v34, v32, s13, -v26
	v_ldexp_f32 v35, v30, 1
	v_fmac_f32_e32 v34, 0xb102e308, v32
	v_pk_add_f32 v[32:33], v[26:27], v[34:35]
	v_sub_f32_e32 v30, v33, v35
	v_sub_f32_e32 v30, v27, v30
	v_add_f32_e32 v53, v52, v30
	v_mov_b32_e32 v52, v26
	v_pk_add_f32 v[26:27], v[32:33], v[26:27] neg_lo:[0,1] neg_hi:[0,1]
	v_pk_add_f32 v[54:55], v[32:33], v[52:53]
	v_mov_b32_e32 v27, v55
	v_mov_b32_e32 v35, v32
	v_pk_add_f32 v[64:65], v[34:35], v[26:27] neg_lo:[0,1] neg_hi:[0,1]
	v_pk_add_f32 v[26:27], v[34:35], v[26:27]
	v_mov_b32_e32 v30, v27
	v_pk_add_f32 v[34:35], v[30:31], v[32:33] neg_lo:[0,1] neg_hi:[0,1]
	v_mov_b32_e32 v35, v34
	v_pk_add_f32 v[66:67], v[54:55], v[34:35] neg_lo:[0,1] neg_hi:[0,1]
	v_mov_b32_e32 v26, v55
	v_mov_b32_e32 v54, v33
	;; [unrolled: 1-line block ×4, first 2 shown]
	v_pk_add_f32 v[26:27], v[26:27], v[54:55] neg_lo:[0,1] neg_hi:[0,1]
	v_mov_b32_e32 v34, v53
	v_mov_b32_e32 v35, v32
	v_pk_add_f32 v[26:27], v[34:35], v[26:27] neg_lo:[0,1] neg_hi:[0,1]
	v_mov_b32_e32 v66, v64
	v_pk_add_f32 v[32:33], v[66:67], v[26:27]
	v_mov_b32_e32 v34, v33
	v_pk_add_f32 v[34:35], v[32:33], v[34:35]
	v_pk_add_f32 v[52:53], v[30:31], v[34:35]
	v_mov_b32_e32 v33, v52
	v_pk_add_f32 v[54:55], v[32:33], v[64:65] neg_lo:[0,1] neg_hi:[0,1]
	v_mov_b32_e32 v27, v34
	v_sub_f32_e32 v30, v32, v54
	v_pk_add_f32 v[26:27], v[26:27], v[54:55] neg_lo:[0,1] neg_hi:[0,1]
	v_sub_f32_e32 v30, v64, v30
	s_mov_b32 s16, 0x7f800000
	v_add_f32_e32 v26, v26, v30
	s_mov_b32 s13, 0x33800000
	v_add_f32_e32 v26, v26, v27
	v_cmp_eq_f32_e32 vcc, s16, v68
	v_cmp_lt_f32_e64 s[16:17], |v68|, s13
	v_add_f32_e32 v26, v52, v26
	s_or_b64 vcc, vcc, s[16:17]
	v_cndmask_b32_e32 v26, v26, v68, vcc
	v_add_f32_e32 v26, v31, v26
	v_cvt_f16_f32_e32 v27, v26
	v_cvt_f32_f16_e32 v30, v27
	v_mov_b32_e32 v26, v27
.LBB401_61:
	s_or_b64 exec, exec, s[14:15]
	v_cvt_f32_f16_sdwa v52, v22 dst_sel:DWORD dst_unused:UNUSED_PAD src0_sel:WORD_1
	v_max_f32_e32 v31, v30, v30
	v_cmp_u_f16_e32 vcc, v27, v27
	v_cmp_u_f16_sdwa s[14:15], v22, v22 src0_sel:WORD_1 src1_sel:WORD_1
	v_min_f32_e32 v32, v31, v52
	v_max_f32_e32 v31, v31, v52
	v_cndmask_b32_e32 v32, v32, v30, vcc
	v_cndmask_b32_e32 v31, v31, v30, vcc
	v_cndmask_b32_e64 v32, v32, v52, s[14:15]
	v_cndmask_b32_e64 v31, v31, v52, s[14:15]
	s_movk_i32 s13, 0x1f8
	v_cmp_neq_f32_e32 vcc, v32, v31
	v_cmp_class_f32_e64 s[16:17], v32, s13
	s_or_b64 s[18:19], vcc, s[16:17]
	s_and_saveexec_b64 s[16:17], s[18:19]
	s_cbranch_execz .LBB401_63
; %bb.62:
	v_sub_f32_e32 v26, v32, v31
	s_mov_b32 s18, 0x3fb8aa3b
	v_mul_f32_e32 v27, 0x3fb8aa3b, v26
	v_fma_f32 v30, v26, s18, -v27
	v_rndne_f32_e32 v32, v27
	v_fmac_f32_e32 v30, 0x32a5705f, v26
	v_sub_f32_e32 v27, v27, v32
	v_add_f32_e32 v27, v27, v30
	v_exp_f32_e32 v27, v27
	v_cvt_i32_f32_e32 v30, v32
	s_mov_b32 s18, 0xc2ce8ed0
	v_cmp_ngt_f32_e32 vcc, s18, v26
	s_mov_b32 s18, 0x42b17218
	v_ldexp_f32 v27, v27, v30
	v_cndmask_b32_e32 v27, 0, v27, vcc
	v_mov_b32_e32 v30, 0x7f800000
	v_cmp_nlt_f32_e32 vcc, s18, v26
	v_cndmask_b32_e32 v53, v30, v27, vcc
	v_add_f32_e32 v30, 1.0, v53
	v_add_f32_e32 v26, -1.0, v30
	v_sub_f32_e32 v27, v26, v30
	v_add_f32_e32 v27, 1.0, v27
	v_sub_f32_e32 v26, v53, v26
	v_add_f32_e32 v32, v26, v27
	v_frexp_mant_f32_e32 v33, v30
	s_mov_b32 s18, 0x3f2aaaab
	v_cvt_f64_f32_e32 v[26:27], v30
	v_frexp_exp_i32_f64_e32 v26, v[26:27]
	v_cmp_gt_f32_e32 vcc, s18, v33
	v_subbrev_co_u32_e32 v64, vcc, 0, v26, vcc
	v_sub_u32_e32 v26, 0, v64
	v_ldexp_f32 v27, v30, v26
	v_add_f32_e32 v30, -1.0, v27
	v_add_f32_e32 v33, 1.0, v27
	v_ldexp_f32 v26, v32, v26
	v_add_f32_e32 v32, 1.0, v30
	v_add_f32_e32 v34, -1.0, v33
	v_sub_f32_e32 v32, v27, v32
	v_sub_f32_e32 v27, v27, v34
	v_add_f32_e32 v32, v26, v32
	v_add_f32_e32 v26, v26, v27
	;; [unrolled: 1-line block ×3, first 2 shown]
	v_rcp_f32_e32 v67, v65
	v_sub_f32_e32 v27, v33, v65
	v_add_f32_e32 v66, v26, v27
	v_add_f32_e32 v27, v30, v32
	v_sub_f32_e32 v26, v30, v27
	v_mul_f32_e32 v68, v27, v67
	v_add_f32_e32 v30, v32, v26
	v_mul_f32_e32 v32, v65, v68
	v_fma_f32 v34, v68, v65, -v32
	v_fmac_f32_e32 v34, v68, v66
	v_add_f32_e32 v26, v32, v34
	v_sub_f32_e32 v33, v27, v26
	v_pk_add_f32 v[54:55], v[26:27], v[32:33] neg_lo:[0,1] neg_hi:[0,1]
	v_mov_b32_e32 v35, v26
	v_pk_add_f32 v[26:27], v[54:55], v[34:35] neg_lo:[0,1] neg_hi:[0,1]
	v_add_f32_e32 v27, v30, v27
	v_add_f32_e32 v26, v26, v27
	;; [unrolled: 1-line block ×3, first 2 shown]
	v_mul_f32_e32 v30, v67, v27
	v_mul_f32_e32 v32, v65, v30
	v_fma_f32 v34, v30, v65, -v32
	v_fmac_f32_e32 v34, v30, v66
	v_sub_f32_e32 v33, v33, v27
	v_add_f32_e32 v65, v26, v33
	v_add_f32_e32 v26, v32, v34
	v_sub_f32_e32 v33, v27, v26
	v_pk_add_f32 v[54:55], v[26:27], v[32:33] neg_lo:[0,1] neg_hi:[0,1]
	v_mov_b32_e32 v35, v26
	v_pk_add_f32 v[26:27], v[54:55], v[34:35] neg_lo:[0,1] neg_hi:[0,1]
	v_add_f32_e32 v27, v65, v27
	v_add_f32_e32 v26, v26, v27
	;; [unrolled: 1-line block ×4, first 2 shown]
	v_sub_f32_e32 v27, v33, v68
	v_mul_f32_e32 v26, v67, v26
	v_sub_f32_e32 v27, v30, v27
	v_add_f32_e32 v26, v27, v26
	v_add_f32_e32 v30, v33, v26
	v_mul_f32_e32 v34, v30, v30
	v_mov_b32_e32 v32, 0x3ecc95a3
	v_fmac_f32_e32 v32, 0x3e9b6dac, v34
	v_mov_b32_e32 v27, 0x3f2aaada
	v_fmac_f32_e32 v27, v34, v32
	v_cvt_f32_i32_e32 v32, v64
	v_sub_f32_e32 v33, v30, v33
	v_sub_f32_e32 v26, v26, v33
	v_ldexp_f32 v54, v26, 1
	v_mul_f32_e32 v33, v30, v34
	v_mov_b32_e32 v26, 0x3f317218
	s_mov_b32 s18, 0x3f317218
	v_pk_mul_f32 v[26:27], v[32:33], v[26:27]
	v_fma_f32 v34, v32, s18, -v26
	v_ldexp_f32 v35, v30, 1
	v_fmac_f32_e32 v34, 0xb102e308, v32
	v_pk_add_f32 v[32:33], v[26:27], v[34:35]
	v_sub_f32_e32 v30, v33, v35
	v_sub_f32_e32 v30, v27, v30
	v_add_f32_e32 v55, v54, v30
	v_mov_b32_e32 v54, v26
	v_pk_add_f32 v[26:27], v[32:33], v[26:27] neg_lo:[0,1] neg_hi:[0,1]
	v_pk_add_f32 v[64:65], v[32:33], v[54:55]
	v_mov_b32_e32 v27, v65
	v_mov_b32_e32 v35, v32
	v_pk_add_f32 v[66:67], v[34:35], v[26:27] neg_lo:[0,1] neg_hi:[0,1]
	v_pk_add_f32 v[26:27], v[34:35], v[26:27]
	v_mov_b32_e32 v30, v27
	v_pk_add_f32 v[34:35], v[30:31], v[32:33] neg_lo:[0,1] neg_hi:[0,1]
	v_mov_b32_e32 v35, v34
	v_pk_add_f32 v[68:69], v[64:65], v[34:35] neg_lo:[0,1] neg_hi:[0,1]
	v_mov_b32_e32 v26, v65
	v_mov_b32_e32 v64, v33
	;; [unrolled: 1-line block ×4, first 2 shown]
	v_pk_add_f32 v[26:27], v[26:27], v[64:65] neg_lo:[0,1] neg_hi:[0,1]
	v_mov_b32_e32 v34, v55
	v_mov_b32_e32 v35, v32
	v_pk_add_f32 v[26:27], v[34:35], v[26:27] neg_lo:[0,1] neg_hi:[0,1]
	v_mov_b32_e32 v68, v66
	v_pk_add_f32 v[32:33], v[68:69], v[26:27]
	v_mov_b32_e32 v34, v33
	v_pk_add_f32 v[34:35], v[32:33], v[34:35]
	v_pk_add_f32 v[54:55], v[30:31], v[34:35]
	v_mov_b32_e32 v33, v54
	v_pk_add_f32 v[64:65], v[32:33], v[66:67] neg_lo:[0,1] neg_hi:[0,1]
	v_mov_b32_e32 v27, v34
	v_sub_f32_e32 v30, v32, v64
	v_pk_add_f32 v[26:27], v[26:27], v[64:65] neg_lo:[0,1] neg_hi:[0,1]
	v_sub_f32_e32 v30, v66, v30
	s_mov_b32 s19, 0x7f800000
	v_add_f32_e32 v26, v26, v30
	s_mov_b32 s18, 0x33800000
	v_add_f32_e32 v26, v26, v27
	v_cmp_eq_f32_e32 vcc, s19, v53
	v_cmp_lt_f32_e64 s[18:19], |v53|, s18
	v_add_f32_e32 v26, v54, v26
	s_or_b64 vcc, vcc, s[18:19]
	v_cndmask_b32_e32 v26, v26, v53, vcc
	v_add_f32_e32 v26, v31, v26
	v_cvt_f16_f32_e32 v27, v26
	v_cvt_f32_f16_e32 v30, v27
	v_mov_b32_e32 v26, v27
.LBB401_63:
	s_or_b64 exec, exec, s[16:17]
	v_cvt_f32_f16_e32 v53, v23
	v_max_f32_e32 v31, v30, v30
	v_cmp_u_f16_e32 vcc, v27, v27
	v_cmp_u_f16_e64 s[16:17], v23, v23
	v_min_f32_e32 v32, v31, v53
	v_max_f32_e32 v31, v31, v53
	v_cndmask_b32_e32 v32, v32, v30, vcc
	v_cndmask_b32_e32 v31, v31, v30, vcc
	v_cndmask_b32_e64 v32, v32, v53, s[16:17]
	v_cndmask_b32_e64 v31, v31, v53, s[16:17]
	v_cmp_neq_f32_e32 vcc, v32, v31
	v_cmp_class_f32_e64 s[18:19], v32, s13
	s_or_b64 s[20:21], vcc, s[18:19]
	s_and_saveexec_b64 s[18:19], s[20:21]
	s_cbranch_execz .LBB401_65
; %bb.64:
	v_sub_f32_e32 v26, v32, v31
	s_mov_b32 s13, 0x3fb8aa3b
	v_mul_f32_e32 v27, 0x3fb8aa3b, v26
	v_fma_f32 v30, v26, s13, -v27
	v_rndne_f32_e32 v32, v27
	v_fmac_f32_e32 v30, 0x32a5705f, v26
	v_sub_f32_e32 v27, v27, v32
	v_add_f32_e32 v27, v27, v30
	v_exp_f32_e32 v27, v27
	v_cvt_i32_f32_e32 v30, v32
	s_mov_b32 s13, 0xc2ce8ed0
	v_cmp_ngt_f32_e32 vcc, s13, v26
	s_mov_b32 s13, 0x42b17218
	v_ldexp_f32 v27, v27, v30
	v_cndmask_b32_e32 v27, 0, v27, vcc
	v_mov_b32_e32 v30, 0x7f800000
	v_cmp_nlt_f32_e32 vcc, s13, v26
	v_cndmask_b32_e32 v70, v30, v27, vcc
	v_add_f32_e32 v30, 1.0, v70
	v_add_f32_e32 v26, -1.0, v30
	v_sub_f32_e32 v27, v26, v30
	v_add_f32_e32 v27, 1.0, v27
	v_sub_f32_e32 v26, v70, v26
	v_add_f32_e32 v32, v26, v27
	v_frexp_mant_f32_e32 v33, v30
	s_mov_b32 s13, 0x3f2aaaab
	v_cvt_f64_f32_e32 v[26:27], v30
	v_frexp_exp_i32_f64_e32 v26, v[26:27]
	v_cmp_gt_f32_e32 vcc, s13, v33
	v_subbrev_co_u32_e32 v64, vcc, 0, v26, vcc
	v_sub_u32_e32 v26, 0, v64
	v_ldexp_f32 v27, v30, v26
	v_add_f32_e32 v30, -1.0, v27
	v_add_f32_e32 v33, 1.0, v27
	v_ldexp_f32 v26, v32, v26
	v_add_f32_e32 v32, 1.0, v30
	v_add_f32_e32 v34, -1.0, v33
	v_sub_f32_e32 v32, v27, v32
	v_sub_f32_e32 v27, v27, v34
	v_add_f32_e32 v32, v26, v32
	v_add_f32_e32 v26, v26, v27
	;; [unrolled: 1-line block ×3, first 2 shown]
	v_rcp_f32_e32 v67, v65
	v_sub_f32_e32 v27, v33, v65
	v_add_f32_e32 v66, v26, v27
	v_add_f32_e32 v27, v30, v32
	v_sub_f32_e32 v26, v30, v27
	v_mul_f32_e32 v68, v27, v67
	v_add_f32_e32 v30, v32, v26
	v_mul_f32_e32 v32, v65, v68
	v_fma_f32 v34, v68, v65, -v32
	v_fmac_f32_e32 v34, v68, v66
	v_add_f32_e32 v26, v32, v34
	v_sub_f32_e32 v33, v27, v26
	v_pk_add_f32 v[54:55], v[26:27], v[32:33] neg_lo:[0,1] neg_hi:[0,1]
	v_mov_b32_e32 v35, v26
	v_pk_add_f32 v[26:27], v[54:55], v[34:35] neg_lo:[0,1] neg_hi:[0,1]
	v_add_f32_e32 v27, v30, v27
	v_add_f32_e32 v26, v26, v27
	;; [unrolled: 1-line block ×3, first 2 shown]
	v_mul_f32_e32 v30, v67, v27
	v_mul_f32_e32 v32, v65, v30
	v_fma_f32 v34, v30, v65, -v32
	v_fmac_f32_e32 v34, v30, v66
	v_sub_f32_e32 v33, v33, v27
	v_add_f32_e32 v65, v26, v33
	v_add_f32_e32 v26, v32, v34
	v_sub_f32_e32 v33, v27, v26
	v_pk_add_f32 v[54:55], v[26:27], v[32:33] neg_lo:[0,1] neg_hi:[0,1]
	v_mov_b32_e32 v35, v26
	v_pk_add_f32 v[26:27], v[54:55], v[34:35] neg_lo:[0,1] neg_hi:[0,1]
	v_add_f32_e32 v27, v65, v27
	v_add_f32_e32 v26, v26, v27
	;; [unrolled: 1-line block ×4, first 2 shown]
	v_sub_f32_e32 v27, v33, v68
	v_mul_f32_e32 v26, v67, v26
	v_sub_f32_e32 v27, v30, v27
	v_add_f32_e32 v26, v27, v26
	v_add_f32_e32 v30, v33, v26
	v_mul_f32_e32 v34, v30, v30
	v_mov_b32_e32 v32, 0x3ecc95a3
	v_fmac_f32_e32 v32, 0x3e9b6dac, v34
	v_mov_b32_e32 v27, 0x3f2aaada
	v_fmac_f32_e32 v27, v34, v32
	v_cvt_f32_i32_e32 v32, v64
	v_sub_f32_e32 v33, v30, v33
	v_sub_f32_e32 v26, v26, v33
	v_ldexp_f32 v54, v26, 1
	v_mul_f32_e32 v33, v30, v34
	v_mov_b32_e32 v26, 0x3f317218
	s_mov_b32 s13, 0x3f317218
	v_pk_mul_f32 v[26:27], v[32:33], v[26:27]
	v_fma_f32 v34, v32, s13, -v26
	v_ldexp_f32 v35, v30, 1
	v_fmac_f32_e32 v34, 0xb102e308, v32
	v_pk_add_f32 v[32:33], v[26:27], v[34:35]
	v_sub_f32_e32 v30, v33, v35
	v_sub_f32_e32 v30, v27, v30
	v_add_f32_e32 v55, v54, v30
	v_mov_b32_e32 v54, v26
	v_pk_add_f32 v[26:27], v[32:33], v[26:27] neg_lo:[0,1] neg_hi:[0,1]
	v_pk_add_f32 v[64:65], v[32:33], v[54:55]
	v_mov_b32_e32 v27, v65
	v_mov_b32_e32 v35, v32
	v_pk_add_f32 v[66:67], v[34:35], v[26:27] neg_lo:[0,1] neg_hi:[0,1]
	v_pk_add_f32 v[26:27], v[34:35], v[26:27]
	v_mov_b32_e32 v30, v27
	v_pk_add_f32 v[34:35], v[30:31], v[32:33] neg_lo:[0,1] neg_hi:[0,1]
	v_mov_b32_e32 v35, v34
	v_pk_add_f32 v[68:69], v[64:65], v[34:35] neg_lo:[0,1] neg_hi:[0,1]
	v_mov_b32_e32 v26, v65
	v_mov_b32_e32 v64, v33
	;; [unrolled: 1-line block ×4, first 2 shown]
	v_pk_add_f32 v[26:27], v[26:27], v[64:65] neg_lo:[0,1] neg_hi:[0,1]
	v_mov_b32_e32 v34, v55
	v_mov_b32_e32 v35, v32
	v_pk_add_f32 v[26:27], v[34:35], v[26:27] neg_lo:[0,1] neg_hi:[0,1]
	v_mov_b32_e32 v68, v66
	v_pk_add_f32 v[32:33], v[68:69], v[26:27]
	v_mov_b32_e32 v34, v33
	v_pk_add_f32 v[34:35], v[32:33], v[34:35]
	v_pk_add_f32 v[54:55], v[30:31], v[34:35]
	v_mov_b32_e32 v33, v54
	v_pk_add_f32 v[64:65], v[32:33], v[66:67] neg_lo:[0,1] neg_hi:[0,1]
	v_mov_b32_e32 v27, v34
	v_sub_f32_e32 v30, v32, v64
	v_pk_add_f32 v[26:27], v[26:27], v[64:65] neg_lo:[0,1] neg_hi:[0,1]
	v_sub_f32_e32 v30, v66, v30
	s_mov_b32 s20, 0x7f800000
	v_add_f32_e32 v26, v26, v30
	s_mov_b32 s13, 0x33800000
	v_add_f32_e32 v26, v26, v27
	v_cmp_eq_f32_e32 vcc, s20, v70
	v_cmp_lt_f32_e64 s[20:21], |v70|, s13
	v_add_f32_e32 v26, v54, v26
	s_or_b64 vcc, vcc, s[20:21]
	v_cndmask_b32_e32 v26, v26, v70, vcc
	v_add_f32_e32 v26, v31, v26
	v_cvt_f16_f32_e32 v27, v26
	v_cvt_f32_f16_e32 v30, v27
	v_mov_b32_e32 v26, v27
.LBB401_65:
	s_or_b64 exec, exec, s[18:19]
	v_cvt_f32_f16_sdwa v54, v23 dst_sel:DWORD dst_unused:UNUSED_PAD src0_sel:WORD_1
	v_max_f32_e32 v31, v30, v30
	v_cmp_u_f16_e32 vcc, v27, v27
	v_cmp_u_f16_sdwa s[18:19], v23, v23 src0_sel:WORD_1 src1_sel:WORD_1
	v_min_f32_e32 v32, v31, v54
	v_max_f32_e32 v31, v31, v54
	v_cndmask_b32_e32 v32, v32, v30, vcc
	v_cndmask_b32_e32 v31, v31, v30, vcc
	v_cndmask_b32_e64 v32, v32, v54, s[18:19]
	v_cndmask_b32_e64 v31, v31, v54, s[18:19]
	s_movk_i32 s13, 0x1f8
	v_cmp_neq_f32_e32 vcc, v32, v31
	v_cmp_class_f32_e64 s[20:21], v32, s13
	s_or_b64 s[22:23], vcc, s[20:21]
	s_and_saveexec_b64 s[20:21], s[22:23]
	s_cbranch_execz .LBB401_67
; %bb.66:
	v_sub_f32_e32 v26, v32, v31
	s_mov_b32 s22, 0x3fb8aa3b
	v_mul_f32_e32 v27, 0x3fb8aa3b, v26
	v_fma_f32 v30, v26, s22, -v27
	v_rndne_f32_e32 v32, v27
	v_fmac_f32_e32 v30, 0x32a5705f, v26
	v_sub_f32_e32 v27, v27, v32
	v_add_f32_e32 v27, v27, v30
	v_exp_f32_e32 v27, v27
	v_cvt_i32_f32_e32 v30, v32
	s_mov_b32 s22, 0xc2ce8ed0
	v_cmp_ngt_f32_e32 vcc, s22, v26
	s_mov_b32 s22, 0x42b17218
	v_ldexp_f32 v27, v27, v30
	v_cndmask_b32_e32 v27, 0, v27, vcc
	v_mov_b32_e32 v30, 0x7f800000
	v_cmp_nlt_f32_e32 vcc, s22, v26
	v_cndmask_b32_e32 v55, v30, v27, vcc
	v_add_f32_e32 v30, 1.0, v55
	v_add_f32_e32 v26, -1.0, v30
	v_sub_f32_e32 v27, v26, v30
	v_add_f32_e32 v27, 1.0, v27
	v_sub_f32_e32 v26, v55, v26
	v_add_f32_e32 v32, v26, v27
	v_frexp_mant_f32_e32 v33, v30
	s_mov_b32 s22, 0x3f2aaaab
	v_cvt_f64_f32_e32 v[26:27], v30
	v_frexp_exp_i32_f64_e32 v26, v[26:27]
	v_cmp_gt_f32_e32 vcc, s22, v33
	v_subbrev_co_u32_e32 v66, vcc, 0, v26, vcc
	v_sub_u32_e32 v26, 0, v66
	v_ldexp_f32 v27, v30, v26
	v_add_f32_e32 v30, -1.0, v27
	v_add_f32_e32 v33, 1.0, v27
	v_ldexp_f32 v26, v32, v26
	v_add_f32_e32 v32, 1.0, v30
	v_add_f32_e32 v34, -1.0, v33
	v_sub_f32_e32 v32, v27, v32
	v_sub_f32_e32 v27, v27, v34
	v_add_f32_e32 v32, v26, v32
	v_add_f32_e32 v26, v26, v27
	;; [unrolled: 1-line block ×3, first 2 shown]
	v_rcp_f32_e32 v69, v67
	v_sub_f32_e32 v27, v33, v67
	v_add_f32_e32 v68, v26, v27
	v_add_f32_e32 v27, v30, v32
	v_sub_f32_e32 v26, v30, v27
	v_mul_f32_e32 v70, v27, v69
	v_add_f32_e32 v30, v32, v26
	v_mul_f32_e32 v32, v67, v70
	v_fma_f32 v34, v70, v67, -v32
	v_fmac_f32_e32 v34, v70, v68
	v_add_f32_e32 v26, v32, v34
	v_sub_f32_e32 v33, v27, v26
	v_pk_add_f32 v[64:65], v[26:27], v[32:33] neg_lo:[0,1] neg_hi:[0,1]
	v_mov_b32_e32 v35, v26
	v_pk_add_f32 v[26:27], v[64:65], v[34:35] neg_lo:[0,1] neg_hi:[0,1]
	v_add_f32_e32 v27, v30, v27
	v_add_f32_e32 v26, v26, v27
	;; [unrolled: 1-line block ×3, first 2 shown]
	v_mul_f32_e32 v30, v69, v27
	v_mul_f32_e32 v32, v67, v30
	v_fma_f32 v34, v30, v67, -v32
	v_fmac_f32_e32 v34, v30, v68
	v_sub_f32_e32 v33, v33, v27
	v_add_f32_e32 v67, v26, v33
	v_add_f32_e32 v26, v32, v34
	v_sub_f32_e32 v33, v27, v26
	v_pk_add_f32 v[64:65], v[26:27], v[32:33] neg_lo:[0,1] neg_hi:[0,1]
	v_mov_b32_e32 v35, v26
	v_pk_add_f32 v[26:27], v[64:65], v[34:35] neg_lo:[0,1] neg_hi:[0,1]
	v_add_f32_e32 v27, v67, v27
	v_add_f32_e32 v26, v26, v27
	;; [unrolled: 1-line block ×4, first 2 shown]
	v_sub_f32_e32 v27, v33, v70
	v_mul_f32_e32 v26, v69, v26
	v_sub_f32_e32 v27, v30, v27
	v_add_f32_e32 v26, v27, v26
	v_add_f32_e32 v30, v33, v26
	v_mul_f32_e32 v34, v30, v30
	v_mov_b32_e32 v32, 0x3ecc95a3
	v_fmac_f32_e32 v32, 0x3e9b6dac, v34
	v_mov_b32_e32 v27, 0x3f2aaada
	v_fmac_f32_e32 v27, v34, v32
	v_cvt_f32_i32_e32 v32, v66
	v_sub_f32_e32 v33, v30, v33
	v_sub_f32_e32 v26, v26, v33
	v_ldexp_f32 v64, v26, 1
	v_mul_f32_e32 v33, v30, v34
	v_mov_b32_e32 v26, 0x3f317218
	s_mov_b32 s22, 0x3f317218
	v_pk_mul_f32 v[26:27], v[32:33], v[26:27]
	v_fma_f32 v34, v32, s22, -v26
	v_ldexp_f32 v35, v30, 1
	v_fmac_f32_e32 v34, 0xb102e308, v32
	v_pk_add_f32 v[32:33], v[26:27], v[34:35]
	v_sub_f32_e32 v30, v33, v35
	v_sub_f32_e32 v30, v27, v30
	v_add_f32_e32 v65, v64, v30
	v_mov_b32_e32 v64, v26
	v_pk_add_f32 v[26:27], v[32:33], v[26:27] neg_lo:[0,1] neg_hi:[0,1]
	v_pk_add_f32 v[66:67], v[32:33], v[64:65]
	v_mov_b32_e32 v27, v67
	v_mov_b32_e32 v35, v32
	v_pk_add_f32 v[68:69], v[34:35], v[26:27] neg_lo:[0,1] neg_hi:[0,1]
	v_pk_add_f32 v[26:27], v[34:35], v[26:27]
	v_mov_b32_e32 v30, v27
	v_pk_add_f32 v[34:35], v[30:31], v[32:33] neg_lo:[0,1] neg_hi:[0,1]
	v_mov_b32_e32 v35, v34
	v_pk_add_f32 v[70:71], v[66:67], v[34:35] neg_lo:[0,1] neg_hi:[0,1]
	v_mov_b32_e32 v26, v67
	v_mov_b32_e32 v66, v33
	;; [unrolled: 1-line block ×4, first 2 shown]
	v_pk_add_f32 v[26:27], v[26:27], v[66:67] neg_lo:[0,1] neg_hi:[0,1]
	v_mov_b32_e32 v34, v65
	v_mov_b32_e32 v35, v32
	v_pk_add_f32 v[26:27], v[34:35], v[26:27] neg_lo:[0,1] neg_hi:[0,1]
	v_mov_b32_e32 v70, v68
	v_pk_add_f32 v[32:33], v[70:71], v[26:27]
	v_mov_b32_e32 v34, v33
	v_pk_add_f32 v[34:35], v[32:33], v[34:35]
	v_pk_add_f32 v[64:65], v[30:31], v[34:35]
	v_mov_b32_e32 v33, v64
	v_pk_add_f32 v[66:67], v[32:33], v[68:69] neg_lo:[0,1] neg_hi:[0,1]
	v_mov_b32_e32 v27, v34
	v_sub_f32_e32 v30, v32, v66
	v_pk_add_f32 v[26:27], v[26:27], v[66:67] neg_lo:[0,1] neg_hi:[0,1]
	v_sub_f32_e32 v30, v68, v30
	s_mov_b32 s23, 0x7f800000
	v_add_f32_e32 v26, v26, v30
	s_mov_b32 s22, 0x33800000
	v_add_f32_e32 v26, v26, v27
	v_cmp_eq_f32_e32 vcc, s23, v55
	v_cmp_lt_f32_e64 s[22:23], |v55|, s22
	v_add_f32_e32 v26, v64, v26
	s_or_b64 vcc, vcc, s[22:23]
	v_cndmask_b32_e32 v26, v26, v55, vcc
	v_add_f32_e32 v26, v31, v26
	v_cvt_f16_f32_e32 v27, v26
	v_cvt_f32_f16_e32 v30, v27
	v_mov_b32_e32 v26, v27
.LBB401_67:
	s_or_b64 exec, exec, s[20:21]
	v_cvt_f32_f16_e32 v55, v16
	v_max_f32_e32 v31, v30, v30
	v_cmp_u_f16_e32 vcc, v27, v27
	v_cmp_u_f16_e64 s[20:21], v16, v16
	v_min_f32_e32 v32, v31, v55
	v_max_f32_e32 v31, v31, v55
	v_cndmask_b32_e32 v32, v32, v30, vcc
	v_cndmask_b32_e32 v31, v31, v30, vcc
	v_cndmask_b32_e64 v32, v32, v55, s[20:21]
	v_cndmask_b32_e64 v31, v31, v55, s[20:21]
	v_cmp_neq_f32_e32 vcc, v32, v31
	v_cmp_class_f32_e64 s[22:23], v32, s13
	s_or_b64 s[24:25], vcc, s[22:23]
	s_and_saveexec_b64 s[22:23], s[24:25]
	s_cbranch_execz .LBB401_69
; %bb.68:
	v_sub_f32_e32 v26, v32, v31
	s_mov_b32 s13, 0x3fb8aa3b
	v_mul_f32_e32 v27, 0x3fb8aa3b, v26
	v_fma_f32 v30, v26, s13, -v27
	v_rndne_f32_e32 v32, v27
	v_fmac_f32_e32 v30, 0x32a5705f, v26
	v_sub_f32_e32 v27, v27, v32
	v_add_f32_e32 v27, v27, v30
	v_exp_f32_e32 v27, v27
	v_cvt_i32_f32_e32 v30, v32
	s_mov_b32 s13, 0xc2ce8ed0
	v_cmp_ngt_f32_e32 vcc, s13, v26
	s_mov_b32 s13, 0x42b17218
	v_ldexp_f32 v27, v27, v30
	v_cndmask_b32_e32 v27, 0, v27, vcc
	v_mov_b32_e32 v30, 0x7f800000
	v_cmp_nlt_f32_e32 vcc, s13, v26
	v_cndmask_b32_e32 v80, v30, v27, vcc
	v_add_f32_e32 v30, 1.0, v80
	v_add_f32_e32 v26, -1.0, v30
	v_sub_f32_e32 v27, v26, v30
	v_add_f32_e32 v27, 1.0, v27
	v_sub_f32_e32 v26, v80, v26
	v_add_f32_e32 v32, v26, v27
	v_frexp_mant_f32_e32 v33, v30
	s_mov_b32 s13, 0x3f2aaaab
	v_cvt_f64_f32_e32 v[26:27], v30
	v_frexp_exp_i32_f64_e32 v26, v[26:27]
	v_cmp_gt_f32_e32 vcc, s13, v33
	v_subbrev_co_u32_e32 v66, vcc, 0, v26, vcc
	v_sub_u32_e32 v26, 0, v66
	v_ldexp_f32 v27, v30, v26
	v_add_f32_e32 v30, -1.0, v27
	v_add_f32_e32 v33, 1.0, v27
	v_ldexp_f32 v26, v32, v26
	v_add_f32_e32 v32, 1.0, v30
	v_add_f32_e32 v34, -1.0, v33
	v_sub_f32_e32 v32, v27, v32
	v_sub_f32_e32 v27, v27, v34
	v_add_f32_e32 v32, v26, v32
	v_add_f32_e32 v26, v26, v27
	;; [unrolled: 1-line block ×3, first 2 shown]
	v_rcp_f32_e32 v69, v67
	v_sub_f32_e32 v27, v33, v67
	v_add_f32_e32 v68, v26, v27
	v_add_f32_e32 v27, v30, v32
	v_sub_f32_e32 v26, v30, v27
	v_mul_f32_e32 v70, v27, v69
	v_add_f32_e32 v30, v32, v26
	v_mul_f32_e32 v32, v67, v70
	v_fma_f32 v34, v70, v67, -v32
	v_fmac_f32_e32 v34, v70, v68
	v_add_f32_e32 v26, v32, v34
	v_sub_f32_e32 v33, v27, v26
	v_pk_add_f32 v[64:65], v[26:27], v[32:33] neg_lo:[0,1] neg_hi:[0,1]
	v_mov_b32_e32 v35, v26
	v_pk_add_f32 v[26:27], v[64:65], v[34:35] neg_lo:[0,1] neg_hi:[0,1]
	v_add_f32_e32 v27, v30, v27
	v_add_f32_e32 v26, v26, v27
	;; [unrolled: 1-line block ×3, first 2 shown]
	v_mul_f32_e32 v30, v69, v27
	v_mul_f32_e32 v32, v67, v30
	v_fma_f32 v34, v30, v67, -v32
	v_fmac_f32_e32 v34, v30, v68
	v_sub_f32_e32 v33, v33, v27
	v_add_f32_e32 v67, v26, v33
	v_add_f32_e32 v26, v32, v34
	v_sub_f32_e32 v33, v27, v26
	v_pk_add_f32 v[64:65], v[26:27], v[32:33] neg_lo:[0,1] neg_hi:[0,1]
	v_mov_b32_e32 v35, v26
	v_pk_add_f32 v[26:27], v[64:65], v[34:35] neg_lo:[0,1] neg_hi:[0,1]
	v_add_f32_e32 v27, v67, v27
	v_add_f32_e32 v26, v26, v27
	;; [unrolled: 1-line block ×4, first 2 shown]
	v_sub_f32_e32 v27, v33, v70
	v_mul_f32_e32 v26, v69, v26
	v_sub_f32_e32 v27, v30, v27
	v_add_f32_e32 v26, v27, v26
	v_add_f32_e32 v30, v33, v26
	v_mul_f32_e32 v34, v30, v30
	v_mov_b32_e32 v32, 0x3ecc95a3
	v_fmac_f32_e32 v32, 0x3e9b6dac, v34
	v_mov_b32_e32 v27, 0x3f2aaada
	v_fmac_f32_e32 v27, v34, v32
	v_cvt_f32_i32_e32 v32, v66
	v_sub_f32_e32 v33, v30, v33
	v_sub_f32_e32 v26, v26, v33
	v_ldexp_f32 v64, v26, 1
	v_mul_f32_e32 v33, v30, v34
	v_mov_b32_e32 v26, 0x3f317218
	s_mov_b32 s13, 0x3f317218
	v_pk_mul_f32 v[26:27], v[32:33], v[26:27]
	v_fma_f32 v34, v32, s13, -v26
	v_ldexp_f32 v35, v30, 1
	v_fmac_f32_e32 v34, 0xb102e308, v32
	v_pk_add_f32 v[32:33], v[26:27], v[34:35]
	v_sub_f32_e32 v30, v33, v35
	v_sub_f32_e32 v30, v27, v30
	v_add_f32_e32 v65, v64, v30
	v_mov_b32_e32 v64, v26
	v_pk_add_f32 v[26:27], v[32:33], v[26:27] neg_lo:[0,1] neg_hi:[0,1]
	v_pk_add_f32 v[66:67], v[32:33], v[64:65]
	v_mov_b32_e32 v27, v67
	v_mov_b32_e32 v35, v32
	v_pk_add_f32 v[68:69], v[34:35], v[26:27] neg_lo:[0,1] neg_hi:[0,1]
	v_pk_add_f32 v[26:27], v[34:35], v[26:27]
	v_mov_b32_e32 v30, v27
	v_pk_add_f32 v[34:35], v[30:31], v[32:33] neg_lo:[0,1] neg_hi:[0,1]
	v_mov_b32_e32 v35, v34
	v_pk_add_f32 v[70:71], v[66:67], v[34:35] neg_lo:[0,1] neg_hi:[0,1]
	v_mov_b32_e32 v26, v67
	v_mov_b32_e32 v66, v33
	;; [unrolled: 1-line block ×4, first 2 shown]
	v_pk_add_f32 v[26:27], v[26:27], v[66:67] neg_lo:[0,1] neg_hi:[0,1]
	v_mov_b32_e32 v34, v65
	v_mov_b32_e32 v35, v32
	v_pk_add_f32 v[26:27], v[34:35], v[26:27] neg_lo:[0,1] neg_hi:[0,1]
	v_mov_b32_e32 v70, v68
	v_pk_add_f32 v[32:33], v[70:71], v[26:27]
	v_mov_b32_e32 v34, v33
	v_pk_add_f32 v[34:35], v[32:33], v[34:35]
	v_pk_add_f32 v[64:65], v[30:31], v[34:35]
	v_mov_b32_e32 v33, v64
	v_pk_add_f32 v[66:67], v[32:33], v[68:69] neg_lo:[0,1] neg_hi:[0,1]
	v_mov_b32_e32 v27, v34
	v_sub_f32_e32 v30, v32, v66
	v_pk_add_f32 v[26:27], v[26:27], v[66:67] neg_lo:[0,1] neg_hi:[0,1]
	v_sub_f32_e32 v30, v68, v30
	s_mov_b32 s24, 0x7f800000
	v_add_f32_e32 v26, v26, v30
	s_mov_b32 s13, 0x33800000
	v_add_f32_e32 v26, v26, v27
	v_cmp_eq_f32_e32 vcc, s24, v80
	v_cmp_lt_f32_e64 s[24:25], |v80|, s13
	v_add_f32_e32 v26, v64, v26
	s_or_b64 vcc, vcc, s[24:25]
	v_cndmask_b32_e32 v26, v26, v80, vcc
	v_add_f32_e32 v26, v31, v26
	v_cvt_f16_f32_e32 v27, v26
	v_cvt_f32_f16_e32 v30, v27
	v_mov_b32_e32 v26, v27
.LBB401_69:
	s_or_b64 exec, exec, s[22:23]
	v_cvt_f32_f16_sdwa v64, v16 dst_sel:DWORD dst_unused:UNUSED_PAD src0_sel:WORD_1
	v_max_f32_e32 v31, v30, v30
	v_cmp_u_f16_e32 vcc, v27, v27
	v_cmp_u_f16_sdwa s[22:23], v16, v16 src0_sel:WORD_1 src1_sel:WORD_1
	v_min_f32_e32 v32, v31, v64
	v_max_f32_e32 v31, v31, v64
	v_cndmask_b32_e32 v32, v32, v30, vcc
	v_cndmask_b32_e32 v31, v31, v30, vcc
	v_cndmask_b32_e64 v32, v32, v64, s[22:23]
	v_cndmask_b32_e64 v31, v31, v64, s[22:23]
	s_movk_i32 s13, 0x1f8
	v_cmp_neq_f32_e32 vcc, v32, v31
	v_cmp_class_f32_e64 s[24:25], v32, s13
	s_or_b64 s[26:27], vcc, s[24:25]
	s_and_saveexec_b64 s[24:25], s[26:27]
	s_cbranch_execz .LBB401_71
; %bb.70:
	v_sub_f32_e32 v26, v32, v31
	s_mov_b32 s26, 0x3fb8aa3b
	v_mul_f32_e32 v27, 0x3fb8aa3b, v26
	v_fma_f32 v30, v26, s26, -v27
	v_rndne_f32_e32 v32, v27
	v_fmac_f32_e32 v30, 0x32a5705f, v26
	v_sub_f32_e32 v27, v27, v32
	v_add_f32_e32 v27, v27, v30
	v_exp_f32_e32 v27, v27
	v_cvt_i32_f32_e32 v30, v32
	s_mov_b32 s26, 0xc2ce8ed0
	v_cmp_ngt_f32_e32 vcc, s26, v26
	s_mov_b32 s26, 0x42b17218
	v_ldexp_f32 v27, v27, v30
	v_cndmask_b32_e32 v27, 0, v27, vcc
	v_mov_b32_e32 v30, 0x7f800000
	v_cmp_nlt_f32_e32 vcc, s26, v26
	v_cndmask_b32_e32 v65, v30, v27, vcc
	v_add_f32_e32 v30, 1.0, v65
	v_add_f32_e32 v26, -1.0, v30
	v_sub_f32_e32 v27, v26, v30
	v_add_f32_e32 v27, 1.0, v27
	v_sub_f32_e32 v26, v65, v26
	v_add_f32_e32 v32, v26, v27
	v_frexp_mant_f32_e32 v33, v30
	s_mov_b32 s26, 0x3f2aaaab
	v_cvt_f64_f32_e32 v[26:27], v30
	v_frexp_exp_i32_f64_e32 v26, v[26:27]
	v_cmp_gt_f32_e32 vcc, s26, v33
	v_subbrev_co_u32_e32 v68, vcc, 0, v26, vcc
	v_sub_u32_e32 v26, 0, v68
	v_ldexp_f32 v27, v30, v26
	v_add_f32_e32 v30, -1.0, v27
	v_add_f32_e32 v33, 1.0, v27
	v_ldexp_f32 v26, v32, v26
	v_add_f32_e32 v32, 1.0, v30
	v_add_f32_e32 v34, -1.0, v33
	v_sub_f32_e32 v32, v27, v32
	v_sub_f32_e32 v27, v27, v34
	v_add_f32_e32 v32, v26, v32
	v_add_f32_e32 v26, v26, v27
	;; [unrolled: 1-line block ×3, first 2 shown]
	v_rcp_f32_e32 v71, v69
	v_sub_f32_e32 v27, v33, v69
	v_add_f32_e32 v70, v26, v27
	v_add_f32_e32 v27, v30, v32
	v_sub_f32_e32 v26, v30, v27
	v_mul_f32_e32 v80, v27, v71
	v_add_f32_e32 v30, v32, v26
	v_mul_f32_e32 v32, v69, v80
	v_fma_f32 v34, v80, v69, -v32
	v_fmac_f32_e32 v34, v80, v70
	v_add_f32_e32 v26, v32, v34
	v_sub_f32_e32 v33, v27, v26
	v_pk_add_f32 v[66:67], v[26:27], v[32:33] neg_lo:[0,1] neg_hi:[0,1]
	v_mov_b32_e32 v35, v26
	v_pk_add_f32 v[26:27], v[66:67], v[34:35] neg_lo:[0,1] neg_hi:[0,1]
	v_add_f32_e32 v27, v30, v27
	v_add_f32_e32 v26, v26, v27
	;; [unrolled: 1-line block ×3, first 2 shown]
	v_mul_f32_e32 v30, v71, v27
	v_mul_f32_e32 v32, v69, v30
	v_fma_f32 v34, v30, v69, -v32
	v_fmac_f32_e32 v34, v30, v70
	v_sub_f32_e32 v33, v33, v27
	v_add_f32_e32 v69, v26, v33
	v_add_f32_e32 v26, v32, v34
	v_sub_f32_e32 v33, v27, v26
	v_pk_add_f32 v[66:67], v[26:27], v[32:33] neg_lo:[0,1] neg_hi:[0,1]
	v_mov_b32_e32 v35, v26
	v_pk_add_f32 v[26:27], v[66:67], v[34:35] neg_lo:[0,1] neg_hi:[0,1]
	v_add_f32_e32 v27, v69, v27
	v_add_f32_e32 v26, v26, v27
	;; [unrolled: 1-line block ×4, first 2 shown]
	v_sub_f32_e32 v27, v33, v80
	v_mul_f32_e32 v26, v71, v26
	v_sub_f32_e32 v27, v30, v27
	v_add_f32_e32 v26, v27, v26
	v_add_f32_e32 v30, v33, v26
	v_mul_f32_e32 v34, v30, v30
	v_mov_b32_e32 v32, 0x3ecc95a3
	v_fmac_f32_e32 v32, 0x3e9b6dac, v34
	v_mov_b32_e32 v27, 0x3f2aaada
	v_fmac_f32_e32 v27, v34, v32
	v_cvt_f32_i32_e32 v32, v68
	v_sub_f32_e32 v33, v30, v33
	v_sub_f32_e32 v26, v26, v33
	v_ldexp_f32 v66, v26, 1
	v_mul_f32_e32 v33, v30, v34
	v_mov_b32_e32 v26, 0x3f317218
	s_mov_b32 s26, 0x3f317218
	v_pk_mul_f32 v[26:27], v[32:33], v[26:27]
	v_fma_f32 v34, v32, s26, -v26
	v_ldexp_f32 v35, v30, 1
	v_fmac_f32_e32 v34, 0xb102e308, v32
	v_pk_add_f32 v[32:33], v[26:27], v[34:35]
	v_sub_f32_e32 v30, v33, v35
	v_sub_f32_e32 v30, v27, v30
	v_add_f32_e32 v67, v66, v30
	v_mov_b32_e32 v66, v26
	v_pk_add_f32 v[26:27], v[32:33], v[26:27] neg_lo:[0,1] neg_hi:[0,1]
	v_pk_add_f32 v[68:69], v[32:33], v[66:67]
	v_mov_b32_e32 v27, v69
	v_mov_b32_e32 v35, v32
	v_pk_add_f32 v[70:71], v[34:35], v[26:27] neg_lo:[0,1] neg_hi:[0,1]
	v_pk_add_f32 v[26:27], v[34:35], v[26:27]
	v_mov_b32_e32 v30, v27
	v_pk_add_f32 v[34:35], v[30:31], v[32:33] neg_lo:[0,1] neg_hi:[0,1]
	v_mov_b32_e32 v35, v34
	v_pk_add_f32 v[80:81], v[68:69], v[34:35] neg_lo:[0,1] neg_hi:[0,1]
	v_mov_b32_e32 v26, v69
	v_mov_b32_e32 v68, v33
	;; [unrolled: 1-line block ×4, first 2 shown]
	v_pk_add_f32 v[26:27], v[26:27], v[68:69] neg_lo:[0,1] neg_hi:[0,1]
	v_mov_b32_e32 v34, v67
	v_mov_b32_e32 v35, v32
	v_pk_add_f32 v[26:27], v[34:35], v[26:27] neg_lo:[0,1] neg_hi:[0,1]
	v_mov_b32_e32 v80, v70
	v_pk_add_f32 v[32:33], v[80:81], v[26:27]
	v_mov_b32_e32 v34, v33
	v_pk_add_f32 v[34:35], v[32:33], v[34:35]
	v_pk_add_f32 v[66:67], v[30:31], v[34:35]
	v_mov_b32_e32 v33, v66
	v_pk_add_f32 v[68:69], v[32:33], v[70:71] neg_lo:[0,1] neg_hi:[0,1]
	v_mov_b32_e32 v27, v34
	v_sub_f32_e32 v30, v32, v68
	v_pk_add_f32 v[26:27], v[26:27], v[68:69] neg_lo:[0,1] neg_hi:[0,1]
	v_sub_f32_e32 v30, v70, v30
	s_mov_b32 s27, 0x7f800000
	v_add_f32_e32 v26, v26, v30
	s_mov_b32 s26, 0x33800000
	v_add_f32_e32 v26, v26, v27
	v_cmp_eq_f32_e32 vcc, s27, v65
	v_cmp_lt_f32_e64 s[26:27], |v65|, s26
	v_add_f32_e32 v26, v66, v26
	s_or_b64 vcc, vcc, s[26:27]
	v_cndmask_b32_e32 v26, v26, v65, vcc
	v_add_f32_e32 v26, v31, v26
	v_cvt_f16_f32_e32 v27, v26
	v_cvt_f32_f16_e32 v30, v27
	v_mov_b32_e32 v26, v27
.LBB401_71:
	s_or_b64 exec, exec, s[24:25]
	v_cvt_f32_f16_e32 v65, v17
	v_max_f32_e32 v31, v30, v30
	v_cmp_u_f16_e32 vcc, v27, v27
	v_cmp_u_f16_e64 s[24:25], v17, v17
	v_min_f32_e32 v32, v31, v65
	v_max_f32_e32 v31, v31, v65
	v_cndmask_b32_e32 v32, v32, v30, vcc
	v_cndmask_b32_e32 v31, v31, v30, vcc
	v_cndmask_b32_e64 v32, v32, v65, s[24:25]
	v_cndmask_b32_e64 v31, v31, v65, s[24:25]
	v_cmp_neq_f32_e32 vcc, v32, v31
	v_cmp_class_f32_e64 s[26:27], v32, s13
	s_or_b64 s[28:29], vcc, s[26:27]
	s_and_saveexec_b64 s[26:27], s[28:29]
	s_cbranch_execz .LBB401_73
; %bb.72:
	v_sub_f32_e32 v26, v32, v31
	s_mov_b32 s13, 0x3fb8aa3b
	v_mul_f32_e32 v27, 0x3fb8aa3b, v26
	v_fma_f32 v30, v26, s13, -v27
	v_rndne_f32_e32 v32, v27
	v_fmac_f32_e32 v30, 0x32a5705f, v26
	v_sub_f32_e32 v27, v27, v32
	v_add_f32_e32 v27, v27, v30
	v_exp_f32_e32 v27, v27
	v_cvt_i32_f32_e32 v30, v32
	s_mov_b32 s13, 0xc2ce8ed0
	v_cmp_ngt_f32_e32 vcc, s13, v26
	s_mov_b32 s13, 0x42b17218
	v_ldexp_f32 v27, v27, v30
	v_cndmask_b32_e32 v27, 0, v27, vcc
	v_mov_b32_e32 v30, 0x7f800000
	v_cmp_nlt_f32_e32 vcc, s13, v26
	v_cndmask_b32_e32 v82, v30, v27, vcc
	v_add_f32_e32 v30, 1.0, v82
	v_add_f32_e32 v26, -1.0, v30
	v_sub_f32_e32 v27, v26, v30
	v_add_f32_e32 v27, 1.0, v27
	v_sub_f32_e32 v26, v82, v26
	v_add_f32_e32 v32, v26, v27
	v_frexp_mant_f32_e32 v33, v30
	s_mov_b32 s13, 0x3f2aaaab
	v_cvt_f64_f32_e32 v[26:27], v30
	v_frexp_exp_i32_f64_e32 v26, v[26:27]
	v_cmp_gt_f32_e32 vcc, s13, v33
	v_subbrev_co_u32_e32 v68, vcc, 0, v26, vcc
	v_sub_u32_e32 v26, 0, v68
	v_ldexp_f32 v27, v30, v26
	v_add_f32_e32 v30, -1.0, v27
	v_add_f32_e32 v33, 1.0, v27
	v_ldexp_f32 v26, v32, v26
	v_add_f32_e32 v32, 1.0, v30
	v_add_f32_e32 v34, -1.0, v33
	v_sub_f32_e32 v32, v27, v32
	v_sub_f32_e32 v27, v27, v34
	v_add_f32_e32 v32, v26, v32
	v_add_f32_e32 v26, v26, v27
	;; [unrolled: 1-line block ×3, first 2 shown]
	v_rcp_f32_e32 v71, v69
	v_sub_f32_e32 v27, v33, v69
	v_add_f32_e32 v70, v26, v27
	v_add_f32_e32 v27, v30, v32
	v_sub_f32_e32 v26, v30, v27
	v_mul_f32_e32 v80, v27, v71
	v_add_f32_e32 v30, v32, v26
	v_mul_f32_e32 v32, v69, v80
	v_fma_f32 v34, v80, v69, -v32
	v_fmac_f32_e32 v34, v80, v70
	v_add_f32_e32 v26, v32, v34
	v_sub_f32_e32 v33, v27, v26
	v_pk_add_f32 v[66:67], v[26:27], v[32:33] neg_lo:[0,1] neg_hi:[0,1]
	v_mov_b32_e32 v35, v26
	v_pk_add_f32 v[26:27], v[66:67], v[34:35] neg_lo:[0,1] neg_hi:[0,1]
	v_add_f32_e32 v27, v30, v27
	v_add_f32_e32 v26, v26, v27
	;; [unrolled: 1-line block ×3, first 2 shown]
	v_mul_f32_e32 v30, v71, v27
	v_mul_f32_e32 v32, v69, v30
	v_fma_f32 v34, v30, v69, -v32
	v_fmac_f32_e32 v34, v30, v70
	v_sub_f32_e32 v33, v33, v27
	v_add_f32_e32 v69, v26, v33
	v_add_f32_e32 v26, v32, v34
	v_sub_f32_e32 v33, v27, v26
	v_pk_add_f32 v[66:67], v[26:27], v[32:33] neg_lo:[0,1] neg_hi:[0,1]
	v_mov_b32_e32 v35, v26
	v_pk_add_f32 v[26:27], v[66:67], v[34:35] neg_lo:[0,1] neg_hi:[0,1]
	v_add_f32_e32 v27, v69, v27
	v_add_f32_e32 v26, v26, v27
	v_add_f32_e32 v26, v33, v26
	v_add_f32_e32 v33, v80, v30
	v_sub_f32_e32 v27, v33, v80
	v_mul_f32_e32 v26, v71, v26
	v_sub_f32_e32 v27, v30, v27
	v_add_f32_e32 v26, v27, v26
	v_add_f32_e32 v30, v33, v26
	v_mul_f32_e32 v34, v30, v30
	v_mov_b32_e32 v32, 0x3ecc95a3
	v_fmac_f32_e32 v32, 0x3e9b6dac, v34
	v_mov_b32_e32 v27, 0x3f2aaada
	v_fmac_f32_e32 v27, v34, v32
	v_cvt_f32_i32_e32 v32, v68
	v_sub_f32_e32 v33, v30, v33
	v_sub_f32_e32 v26, v26, v33
	v_ldexp_f32 v66, v26, 1
	v_mul_f32_e32 v33, v30, v34
	v_mov_b32_e32 v26, 0x3f317218
	s_mov_b32 s13, 0x3f317218
	v_pk_mul_f32 v[26:27], v[32:33], v[26:27]
	v_fma_f32 v34, v32, s13, -v26
	v_ldexp_f32 v35, v30, 1
	v_fmac_f32_e32 v34, 0xb102e308, v32
	v_pk_add_f32 v[32:33], v[26:27], v[34:35]
	v_sub_f32_e32 v30, v33, v35
	v_sub_f32_e32 v30, v27, v30
	v_add_f32_e32 v67, v66, v30
	v_mov_b32_e32 v66, v26
	v_pk_add_f32 v[26:27], v[32:33], v[26:27] neg_lo:[0,1] neg_hi:[0,1]
	v_pk_add_f32 v[68:69], v[32:33], v[66:67]
	v_mov_b32_e32 v27, v69
	v_mov_b32_e32 v35, v32
	v_pk_add_f32 v[70:71], v[34:35], v[26:27] neg_lo:[0,1] neg_hi:[0,1]
	v_pk_add_f32 v[26:27], v[34:35], v[26:27]
	v_mov_b32_e32 v30, v27
	v_pk_add_f32 v[34:35], v[30:31], v[32:33] neg_lo:[0,1] neg_hi:[0,1]
	v_mov_b32_e32 v35, v34
	v_pk_add_f32 v[80:81], v[68:69], v[34:35] neg_lo:[0,1] neg_hi:[0,1]
	v_mov_b32_e32 v26, v69
	v_mov_b32_e32 v68, v33
	;; [unrolled: 1-line block ×4, first 2 shown]
	v_pk_add_f32 v[26:27], v[26:27], v[68:69] neg_lo:[0,1] neg_hi:[0,1]
	v_mov_b32_e32 v34, v67
	v_mov_b32_e32 v35, v32
	v_pk_add_f32 v[26:27], v[34:35], v[26:27] neg_lo:[0,1] neg_hi:[0,1]
	v_mov_b32_e32 v80, v70
	v_pk_add_f32 v[32:33], v[80:81], v[26:27]
	v_mov_b32_e32 v34, v33
	v_pk_add_f32 v[34:35], v[32:33], v[34:35]
	v_pk_add_f32 v[66:67], v[30:31], v[34:35]
	v_mov_b32_e32 v33, v66
	v_pk_add_f32 v[68:69], v[32:33], v[70:71] neg_lo:[0,1] neg_hi:[0,1]
	v_mov_b32_e32 v27, v34
	v_sub_f32_e32 v30, v32, v68
	v_pk_add_f32 v[26:27], v[26:27], v[68:69] neg_lo:[0,1] neg_hi:[0,1]
	v_sub_f32_e32 v30, v70, v30
	s_mov_b32 s28, 0x7f800000
	v_add_f32_e32 v26, v26, v30
	s_mov_b32 s13, 0x33800000
	v_add_f32_e32 v26, v26, v27
	v_cmp_eq_f32_e32 vcc, s28, v82
	v_cmp_lt_f32_e64 s[28:29], |v82|, s13
	v_add_f32_e32 v26, v66, v26
	s_or_b64 vcc, vcc, s[28:29]
	v_cndmask_b32_e32 v26, v26, v82, vcc
	v_add_f32_e32 v26, v31, v26
	v_cvt_f16_f32_e32 v27, v26
	v_cvt_f32_f16_e32 v30, v27
	v_mov_b32_e32 v26, v27
.LBB401_73:
	s_or_b64 exec, exec, s[26:27]
	v_cvt_f32_f16_sdwa v66, v17 dst_sel:DWORD dst_unused:UNUSED_PAD src0_sel:WORD_1
	v_max_f32_e32 v31, v30, v30
	v_cmp_u_f16_e32 vcc, v27, v27
	v_cmp_u_f16_sdwa s[26:27], v17, v17 src0_sel:WORD_1 src1_sel:WORD_1
	v_min_f32_e32 v32, v31, v66
	v_max_f32_e32 v31, v31, v66
	v_cndmask_b32_e32 v32, v32, v30, vcc
	v_cndmask_b32_e32 v31, v31, v30, vcc
	v_cndmask_b32_e64 v32, v32, v66, s[26:27]
	v_cndmask_b32_e64 v31, v31, v66, s[26:27]
	s_movk_i32 s13, 0x1f8
	v_cmp_neq_f32_e32 vcc, v32, v31
	v_cmp_class_f32_e64 s[28:29], v32, s13
	s_or_b64 vcc, vcc, s[28:29]
	s_and_saveexec_b64 s[28:29], vcc
	s_cbranch_execz .LBB401_75
; %bb.74:
	v_sub_f32_e32 v26, v32, v31
	s_mov_b32 s30, 0x3fb8aa3b
	v_mul_f32_e32 v27, 0x3fb8aa3b, v26
	v_fma_f32 v30, v26, s30, -v27
	v_rndne_f32_e32 v32, v27
	v_fmac_f32_e32 v30, 0x32a5705f, v26
	v_sub_f32_e32 v27, v27, v32
	v_add_f32_e32 v27, v27, v30
	v_exp_f32_e32 v27, v27
	v_cvt_i32_f32_e32 v30, v32
	s_mov_b32 s30, 0xc2ce8ed0
	v_cmp_ngt_f32_e32 vcc, s30, v26
	s_mov_b32 s30, 0x42b17218
	v_ldexp_f32 v27, v27, v30
	v_cndmask_b32_e32 v27, 0, v27, vcc
	v_mov_b32_e32 v30, 0x7f800000
	v_cmp_nlt_f32_e32 vcc, s30, v26
	v_cndmask_b32_e32 v67, v30, v27, vcc
	v_add_f32_e32 v30, 1.0, v67
	v_add_f32_e32 v26, -1.0, v30
	v_sub_f32_e32 v27, v26, v30
	v_add_f32_e32 v27, 1.0, v27
	v_sub_f32_e32 v26, v67, v26
	v_add_f32_e32 v32, v26, v27
	v_frexp_mant_f32_e32 v33, v30
	s_mov_b32 s30, 0x3f2aaaab
	v_cvt_f64_f32_e32 v[26:27], v30
	v_frexp_exp_i32_f64_e32 v26, v[26:27]
	v_cmp_gt_f32_e32 vcc, s30, v33
	v_subbrev_co_u32_e32 v70, vcc, 0, v26, vcc
	v_sub_u32_e32 v26, 0, v70
	v_ldexp_f32 v27, v30, v26
	v_add_f32_e32 v30, -1.0, v27
	v_add_f32_e32 v33, 1.0, v27
	v_ldexp_f32 v26, v32, v26
	v_add_f32_e32 v32, 1.0, v30
	v_add_f32_e32 v34, -1.0, v33
	v_sub_f32_e32 v32, v27, v32
	v_sub_f32_e32 v27, v27, v34
	v_add_f32_e32 v32, v26, v32
	v_add_f32_e32 v26, v26, v27
	;; [unrolled: 1-line block ×3, first 2 shown]
	v_rcp_f32_e32 v81, v71
	v_sub_f32_e32 v27, v33, v71
	v_add_f32_e32 v80, v26, v27
	v_add_f32_e32 v27, v30, v32
	v_sub_f32_e32 v26, v30, v27
	v_mul_f32_e32 v82, v27, v81
	v_add_f32_e32 v30, v32, v26
	v_mul_f32_e32 v32, v71, v82
	v_fma_f32 v34, v82, v71, -v32
	v_fmac_f32_e32 v34, v82, v80
	v_add_f32_e32 v26, v32, v34
	v_sub_f32_e32 v33, v27, v26
	v_pk_add_f32 v[68:69], v[26:27], v[32:33] neg_lo:[0,1] neg_hi:[0,1]
	v_mov_b32_e32 v35, v26
	v_pk_add_f32 v[26:27], v[68:69], v[34:35] neg_lo:[0,1] neg_hi:[0,1]
	v_add_f32_e32 v27, v30, v27
	v_add_f32_e32 v26, v26, v27
	;; [unrolled: 1-line block ×3, first 2 shown]
	v_mul_f32_e32 v30, v81, v27
	v_mul_f32_e32 v32, v71, v30
	v_fma_f32 v34, v30, v71, -v32
	v_fmac_f32_e32 v34, v30, v80
	v_sub_f32_e32 v33, v33, v27
	v_add_f32_e32 v71, v26, v33
	v_add_f32_e32 v26, v32, v34
	v_sub_f32_e32 v33, v27, v26
	v_pk_add_f32 v[68:69], v[26:27], v[32:33] neg_lo:[0,1] neg_hi:[0,1]
	v_mov_b32_e32 v35, v26
	v_pk_add_f32 v[26:27], v[68:69], v[34:35] neg_lo:[0,1] neg_hi:[0,1]
	v_add_f32_e32 v27, v71, v27
	v_add_f32_e32 v26, v26, v27
	;; [unrolled: 1-line block ×4, first 2 shown]
	v_sub_f32_e32 v27, v33, v82
	v_mul_f32_e32 v26, v81, v26
	v_sub_f32_e32 v27, v30, v27
	v_add_f32_e32 v26, v27, v26
	v_add_f32_e32 v30, v33, v26
	v_mul_f32_e32 v34, v30, v30
	v_mov_b32_e32 v32, 0x3ecc95a3
	v_fmac_f32_e32 v32, 0x3e9b6dac, v34
	v_mov_b32_e32 v27, 0x3f2aaada
	v_fmac_f32_e32 v27, v34, v32
	v_cvt_f32_i32_e32 v32, v70
	v_sub_f32_e32 v33, v30, v33
	v_sub_f32_e32 v26, v26, v33
	v_ldexp_f32 v68, v26, 1
	v_mul_f32_e32 v33, v30, v34
	v_mov_b32_e32 v26, 0x3f317218
	s_mov_b32 s30, 0x3f317218
	v_pk_mul_f32 v[26:27], v[32:33], v[26:27]
	v_fma_f32 v34, v32, s30, -v26
	v_ldexp_f32 v35, v30, 1
	v_fmac_f32_e32 v34, 0xb102e308, v32
	v_pk_add_f32 v[32:33], v[26:27], v[34:35]
	v_sub_f32_e32 v30, v33, v35
	v_sub_f32_e32 v30, v27, v30
	v_add_f32_e32 v69, v68, v30
	v_mov_b32_e32 v68, v26
	v_pk_add_f32 v[26:27], v[32:33], v[26:27] neg_lo:[0,1] neg_hi:[0,1]
	v_pk_add_f32 v[70:71], v[32:33], v[68:69]
	v_mov_b32_e32 v27, v71
	v_mov_b32_e32 v35, v32
	v_pk_add_f32 v[80:81], v[34:35], v[26:27] neg_lo:[0,1] neg_hi:[0,1]
	v_pk_add_f32 v[26:27], v[34:35], v[26:27]
	v_mov_b32_e32 v30, v27
	v_pk_add_f32 v[34:35], v[30:31], v[32:33] neg_lo:[0,1] neg_hi:[0,1]
	v_mov_b32_e32 v35, v34
	v_pk_add_f32 v[82:83], v[70:71], v[34:35] neg_lo:[0,1] neg_hi:[0,1]
	v_mov_b32_e32 v26, v71
	v_mov_b32_e32 v70, v33
	;; [unrolled: 1-line block ×4, first 2 shown]
	v_pk_add_f32 v[26:27], v[26:27], v[70:71] neg_lo:[0,1] neg_hi:[0,1]
	v_mov_b32_e32 v34, v69
	v_mov_b32_e32 v35, v32
	v_pk_add_f32 v[26:27], v[34:35], v[26:27] neg_lo:[0,1] neg_hi:[0,1]
	v_mov_b32_e32 v82, v80
	v_pk_add_f32 v[32:33], v[82:83], v[26:27]
	v_mov_b32_e32 v34, v33
	v_pk_add_f32 v[34:35], v[32:33], v[34:35]
	v_pk_add_f32 v[68:69], v[30:31], v[34:35]
	v_mov_b32_e32 v33, v68
	v_pk_add_f32 v[70:71], v[32:33], v[80:81] neg_lo:[0,1] neg_hi:[0,1]
	v_mov_b32_e32 v27, v34
	v_sub_f32_e32 v30, v32, v70
	v_pk_add_f32 v[26:27], v[26:27], v[70:71] neg_lo:[0,1] neg_hi:[0,1]
	v_sub_f32_e32 v30, v80, v30
	s_mov_b32 s31, 0x7f800000
	v_add_f32_e32 v26, v26, v30
	s_mov_b32 s30, 0x33800000
	v_add_f32_e32 v26, v26, v27
	v_cmp_eq_f32_e32 vcc, s31, v67
	v_cmp_lt_f32_e64 s[30:31], |v67|, s30
	v_add_f32_e32 v26, v68, v26
	s_or_b64 vcc, vcc, s[30:31]
	v_cndmask_b32_e32 v26, v26, v67, vcc
	v_add_f32_e32 v26, v31, v26
	v_cvt_f16_f32_e32 v27, v26
	v_cvt_f32_f16_e32 v30, v27
	v_mov_b32_e32 v26, v27
.LBB401_75:
	s_or_b64 exec, exec, s[28:29]
	v_cvt_f32_f16_e32 v67, v18
	v_max_f32_e32 v31, v30, v30
	v_cmp_u_f16_e32 vcc, v27, v27
	v_cmp_u_f16_e64 s[28:29], v18, v18
	v_min_f32_e32 v32, v31, v67
	v_max_f32_e32 v31, v31, v67
	v_cndmask_b32_e32 v32, v32, v30, vcc
	v_cndmask_b32_e32 v31, v31, v30, vcc
	v_cndmask_b32_e64 v32, v32, v67, s[28:29]
	v_cndmask_b32_e64 v31, v31, v67, s[28:29]
	v_cmp_neq_f32_e32 vcc, v32, v31
	v_cmp_class_f32_e64 s[30:31], v32, s13
	s_or_b64 vcc, vcc, s[30:31]
	s_and_saveexec_b64 s[30:31], vcc
	s_cbranch_execz .LBB401_77
; %bb.76:
	v_sub_f32_e32 v26, v32, v31
	s_mov_b32 s13, 0x3fb8aa3b
	v_mul_f32_e32 v27, 0x3fb8aa3b, v26
	v_fma_f32 v30, v26, s13, -v27
	v_rndne_f32_e32 v32, v27
	v_fmac_f32_e32 v30, 0x32a5705f, v26
	v_sub_f32_e32 v27, v27, v32
	v_add_f32_e32 v27, v27, v30
	v_exp_f32_e32 v27, v27
	v_cvt_i32_f32_e32 v30, v32
	s_mov_b32 s13, 0xc2ce8ed0
	v_cmp_ngt_f32_e32 vcc, s13, v26
	s_mov_b32 s13, 0x42b17218
	v_ldexp_f32 v27, v27, v30
	v_cndmask_b32_e32 v27, 0, v27, vcc
	v_mov_b32_e32 v30, 0x7f800000
	v_cmp_nlt_f32_e32 vcc, s13, v26
	v_cndmask_b32_e32 v84, v30, v27, vcc
	v_add_f32_e32 v30, 1.0, v84
	v_add_f32_e32 v26, -1.0, v30
	v_sub_f32_e32 v27, v26, v30
	v_add_f32_e32 v27, 1.0, v27
	v_sub_f32_e32 v26, v84, v26
	v_add_f32_e32 v32, v26, v27
	v_frexp_mant_f32_e32 v33, v30
	s_mov_b32 s13, 0x3f2aaaab
	v_cvt_f64_f32_e32 v[26:27], v30
	v_frexp_exp_i32_f64_e32 v26, v[26:27]
	v_cmp_gt_f32_e32 vcc, s13, v33
	v_subbrev_co_u32_e32 v70, vcc, 0, v26, vcc
	v_sub_u32_e32 v26, 0, v70
	v_ldexp_f32 v27, v30, v26
	v_add_f32_e32 v30, -1.0, v27
	v_add_f32_e32 v33, 1.0, v27
	v_ldexp_f32 v26, v32, v26
	v_add_f32_e32 v32, 1.0, v30
	v_add_f32_e32 v34, -1.0, v33
	v_sub_f32_e32 v32, v27, v32
	v_sub_f32_e32 v27, v27, v34
	v_add_f32_e32 v32, v26, v32
	v_add_f32_e32 v26, v26, v27
	;; [unrolled: 1-line block ×3, first 2 shown]
	v_rcp_f32_e32 v81, v71
	v_sub_f32_e32 v27, v33, v71
	v_add_f32_e32 v80, v26, v27
	v_add_f32_e32 v27, v30, v32
	v_sub_f32_e32 v26, v30, v27
	v_mul_f32_e32 v82, v27, v81
	v_add_f32_e32 v30, v32, v26
	v_mul_f32_e32 v32, v71, v82
	v_fma_f32 v34, v82, v71, -v32
	v_fmac_f32_e32 v34, v82, v80
	v_add_f32_e32 v26, v32, v34
	v_sub_f32_e32 v33, v27, v26
	v_pk_add_f32 v[68:69], v[26:27], v[32:33] neg_lo:[0,1] neg_hi:[0,1]
	v_mov_b32_e32 v35, v26
	v_pk_add_f32 v[26:27], v[68:69], v[34:35] neg_lo:[0,1] neg_hi:[0,1]
	v_add_f32_e32 v27, v30, v27
	v_add_f32_e32 v26, v26, v27
	;; [unrolled: 1-line block ×3, first 2 shown]
	v_mul_f32_e32 v30, v81, v27
	v_mul_f32_e32 v32, v71, v30
	v_fma_f32 v34, v30, v71, -v32
	v_fmac_f32_e32 v34, v30, v80
	v_sub_f32_e32 v33, v33, v27
	v_add_f32_e32 v71, v26, v33
	v_add_f32_e32 v26, v32, v34
	v_sub_f32_e32 v33, v27, v26
	v_pk_add_f32 v[68:69], v[26:27], v[32:33] neg_lo:[0,1] neg_hi:[0,1]
	v_mov_b32_e32 v35, v26
	v_pk_add_f32 v[26:27], v[68:69], v[34:35] neg_lo:[0,1] neg_hi:[0,1]
	v_add_f32_e32 v27, v71, v27
	v_add_f32_e32 v26, v26, v27
	;; [unrolled: 1-line block ×4, first 2 shown]
	v_sub_f32_e32 v27, v33, v82
	v_mul_f32_e32 v26, v81, v26
	v_sub_f32_e32 v27, v30, v27
	v_add_f32_e32 v26, v27, v26
	v_add_f32_e32 v30, v33, v26
	v_mul_f32_e32 v34, v30, v30
	v_mov_b32_e32 v32, 0x3ecc95a3
	v_fmac_f32_e32 v32, 0x3e9b6dac, v34
	v_mov_b32_e32 v27, 0x3f2aaada
	v_fmac_f32_e32 v27, v34, v32
	v_cvt_f32_i32_e32 v32, v70
	v_sub_f32_e32 v33, v30, v33
	v_sub_f32_e32 v26, v26, v33
	v_ldexp_f32 v68, v26, 1
	v_mul_f32_e32 v33, v30, v34
	v_mov_b32_e32 v26, 0x3f317218
	s_mov_b32 s13, 0x3f317218
	v_pk_mul_f32 v[26:27], v[32:33], v[26:27]
	v_fma_f32 v34, v32, s13, -v26
	v_ldexp_f32 v35, v30, 1
	v_fmac_f32_e32 v34, 0xb102e308, v32
	v_pk_add_f32 v[32:33], v[26:27], v[34:35]
	v_sub_f32_e32 v30, v33, v35
	v_sub_f32_e32 v30, v27, v30
	v_add_f32_e32 v69, v68, v30
	v_mov_b32_e32 v68, v26
	v_pk_add_f32 v[26:27], v[32:33], v[26:27] neg_lo:[0,1] neg_hi:[0,1]
	v_pk_add_f32 v[70:71], v[32:33], v[68:69]
	v_mov_b32_e32 v27, v71
	v_mov_b32_e32 v35, v32
	v_pk_add_f32 v[80:81], v[34:35], v[26:27] neg_lo:[0,1] neg_hi:[0,1]
	v_pk_add_f32 v[26:27], v[34:35], v[26:27]
	v_mov_b32_e32 v30, v27
	v_pk_add_f32 v[34:35], v[30:31], v[32:33] neg_lo:[0,1] neg_hi:[0,1]
	v_mov_b32_e32 v35, v34
	v_pk_add_f32 v[82:83], v[70:71], v[34:35] neg_lo:[0,1] neg_hi:[0,1]
	v_mov_b32_e32 v26, v71
	v_mov_b32_e32 v70, v33
	;; [unrolled: 1-line block ×4, first 2 shown]
	v_pk_add_f32 v[26:27], v[26:27], v[70:71] neg_lo:[0,1] neg_hi:[0,1]
	v_mov_b32_e32 v34, v69
	v_mov_b32_e32 v35, v32
	v_pk_add_f32 v[26:27], v[34:35], v[26:27] neg_lo:[0,1] neg_hi:[0,1]
	v_mov_b32_e32 v82, v80
	v_pk_add_f32 v[32:33], v[82:83], v[26:27]
	v_mov_b32_e32 v34, v33
	v_pk_add_f32 v[34:35], v[32:33], v[34:35]
	v_pk_add_f32 v[68:69], v[30:31], v[34:35]
	v_mov_b32_e32 v33, v68
	v_pk_add_f32 v[70:71], v[32:33], v[80:81] neg_lo:[0,1] neg_hi:[0,1]
	v_mov_b32_e32 v27, v34
	v_sub_f32_e32 v30, v32, v70
	v_pk_add_f32 v[26:27], v[26:27], v[70:71] neg_lo:[0,1] neg_hi:[0,1]
	v_sub_f32_e32 v30, v80, v30
	s_mov_b32 s34, 0x7f800000
	v_add_f32_e32 v26, v26, v30
	s_mov_b32 s13, 0x33800000
	v_add_f32_e32 v26, v26, v27
	v_cmp_eq_f32_e32 vcc, s34, v84
	v_cmp_lt_f32_e64 s[34:35], |v84|, s13
	v_add_f32_e32 v26, v68, v26
	s_or_b64 vcc, vcc, s[34:35]
	v_cndmask_b32_e32 v26, v26, v84, vcc
	v_add_f32_e32 v26, v31, v26
	v_cvt_f16_f32_e32 v27, v26
	v_cvt_f32_f16_e32 v30, v27
	v_mov_b32_e32 v26, v27
.LBB401_77:
	s_or_b64 exec, exec, s[30:31]
	v_cvt_f32_f16_sdwa v68, v18 dst_sel:DWORD dst_unused:UNUSED_PAD src0_sel:WORD_1
	v_max_f32_e32 v31, v30, v30
	v_cmp_u_f16_e32 vcc, v27, v27
	v_cmp_u_f16_sdwa s[30:31], v18, v18 src0_sel:WORD_1 src1_sel:WORD_1
	v_min_f32_e32 v32, v31, v68
	v_max_f32_e32 v31, v31, v68
	v_cndmask_b32_e32 v32, v32, v30, vcc
	v_cndmask_b32_e32 v31, v31, v30, vcc
	v_cndmask_b32_e64 v32, v32, v68, s[30:31]
	v_cndmask_b32_e64 v31, v31, v68, s[30:31]
	s_movk_i32 s13, 0x1f8
	v_cmp_neq_f32_e32 vcc, v32, v31
	v_cmp_class_f32_e64 s[34:35], v32, s13
	s_or_b64 vcc, vcc, s[34:35]
	s_and_saveexec_b64 s[34:35], vcc
	s_cbranch_execz .LBB401_79
; %bb.78:
	v_sub_f32_e32 v26, v32, v31
	s_mov_b32 s36, 0x3fb8aa3b
	v_mul_f32_e32 v27, 0x3fb8aa3b, v26
	v_fma_f32 v30, v26, s36, -v27
	v_rndne_f32_e32 v32, v27
	v_fmac_f32_e32 v30, 0x32a5705f, v26
	v_sub_f32_e32 v27, v27, v32
	v_add_f32_e32 v27, v27, v30
	v_exp_f32_e32 v27, v27
	v_cvt_i32_f32_e32 v30, v32
	s_mov_b32 s36, 0xc2ce8ed0
	v_cmp_ngt_f32_e32 vcc, s36, v26
	s_mov_b32 s36, 0x42b17218
	v_ldexp_f32 v27, v27, v30
	v_cndmask_b32_e32 v27, 0, v27, vcc
	v_mov_b32_e32 v30, 0x7f800000
	v_cmp_nlt_f32_e32 vcc, s36, v26
	v_cndmask_b32_e32 v69, v30, v27, vcc
	v_add_f32_e32 v30, 1.0, v69
	v_add_f32_e32 v26, -1.0, v30
	v_sub_f32_e32 v27, v26, v30
	v_add_f32_e32 v27, 1.0, v27
	v_sub_f32_e32 v26, v69, v26
	v_add_f32_e32 v32, v26, v27
	v_frexp_mant_f32_e32 v33, v30
	s_mov_b32 s36, 0x3f2aaaab
	v_cvt_f64_f32_e32 v[26:27], v30
	v_frexp_exp_i32_f64_e32 v26, v[26:27]
	v_cmp_gt_f32_e32 vcc, s36, v33
	v_subbrev_co_u32_e32 v80, vcc, 0, v26, vcc
	v_sub_u32_e32 v26, 0, v80
	v_ldexp_f32 v27, v30, v26
	v_add_f32_e32 v30, -1.0, v27
	v_add_f32_e32 v33, 1.0, v27
	v_ldexp_f32 v26, v32, v26
	v_add_f32_e32 v32, 1.0, v30
	v_add_f32_e32 v34, -1.0, v33
	v_sub_f32_e32 v32, v27, v32
	v_sub_f32_e32 v27, v27, v34
	v_add_f32_e32 v32, v26, v32
	v_add_f32_e32 v26, v26, v27
	;; [unrolled: 1-line block ×3, first 2 shown]
	v_rcp_f32_e32 v83, v81
	v_sub_f32_e32 v27, v33, v81
	v_add_f32_e32 v82, v26, v27
	v_add_f32_e32 v27, v30, v32
	v_sub_f32_e32 v26, v30, v27
	v_mul_f32_e32 v84, v27, v83
	v_add_f32_e32 v30, v32, v26
	v_mul_f32_e32 v32, v81, v84
	v_fma_f32 v34, v84, v81, -v32
	v_fmac_f32_e32 v34, v84, v82
	v_add_f32_e32 v26, v32, v34
	v_sub_f32_e32 v33, v27, v26
	v_pk_add_f32 v[70:71], v[26:27], v[32:33] neg_lo:[0,1] neg_hi:[0,1]
	v_mov_b32_e32 v35, v26
	v_pk_add_f32 v[26:27], v[70:71], v[34:35] neg_lo:[0,1] neg_hi:[0,1]
	v_add_f32_e32 v27, v30, v27
	v_add_f32_e32 v26, v26, v27
	;; [unrolled: 1-line block ×3, first 2 shown]
	v_mul_f32_e32 v30, v83, v27
	v_mul_f32_e32 v32, v81, v30
	v_fma_f32 v34, v30, v81, -v32
	v_fmac_f32_e32 v34, v30, v82
	v_sub_f32_e32 v33, v33, v27
	v_add_f32_e32 v81, v26, v33
	v_add_f32_e32 v26, v32, v34
	v_sub_f32_e32 v33, v27, v26
	v_pk_add_f32 v[70:71], v[26:27], v[32:33] neg_lo:[0,1] neg_hi:[0,1]
	v_mov_b32_e32 v35, v26
	v_pk_add_f32 v[26:27], v[70:71], v[34:35] neg_lo:[0,1] neg_hi:[0,1]
	v_add_f32_e32 v27, v81, v27
	v_add_f32_e32 v26, v26, v27
	;; [unrolled: 1-line block ×4, first 2 shown]
	v_sub_f32_e32 v27, v33, v84
	v_mul_f32_e32 v26, v83, v26
	v_sub_f32_e32 v27, v30, v27
	v_add_f32_e32 v26, v27, v26
	v_add_f32_e32 v30, v33, v26
	v_mul_f32_e32 v34, v30, v30
	v_mov_b32_e32 v32, 0x3ecc95a3
	v_fmac_f32_e32 v32, 0x3e9b6dac, v34
	v_mov_b32_e32 v27, 0x3f2aaada
	v_fmac_f32_e32 v27, v34, v32
	v_cvt_f32_i32_e32 v32, v80
	v_sub_f32_e32 v33, v30, v33
	v_sub_f32_e32 v26, v26, v33
	v_ldexp_f32 v70, v26, 1
	v_mul_f32_e32 v33, v30, v34
	v_mov_b32_e32 v26, 0x3f317218
	s_mov_b32 s36, 0x3f317218
	v_pk_mul_f32 v[26:27], v[32:33], v[26:27]
	v_fma_f32 v34, v32, s36, -v26
	v_ldexp_f32 v35, v30, 1
	v_fmac_f32_e32 v34, 0xb102e308, v32
	v_pk_add_f32 v[32:33], v[26:27], v[34:35]
	v_sub_f32_e32 v30, v33, v35
	v_sub_f32_e32 v30, v27, v30
	v_add_f32_e32 v71, v70, v30
	v_mov_b32_e32 v70, v26
	v_pk_add_f32 v[26:27], v[32:33], v[26:27] neg_lo:[0,1] neg_hi:[0,1]
	v_pk_add_f32 v[80:81], v[32:33], v[70:71]
	v_mov_b32_e32 v27, v81
	v_mov_b32_e32 v35, v32
	v_pk_add_f32 v[82:83], v[34:35], v[26:27] neg_lo:[0,1] neg_hi:[0,1]
	v_pk_add_f32 v[26:27], v[34:35], v[26:27]
	v_mov_b32_e32 v30, v27
	v_pk_add_f32 v[34:35], v[30:31], v[32:33] neg_lo:[0,1] neg_hi:[0,1]
	v_mov_b32_e32 v35, v34
	v_pk_add_f32 v[84:85], v[80:81], v[34:35] neg_lo:[0,1] neg_hi:[0,1]
	v_mov_b32_e32 v26, v81
	v_mov_b32_e32 v80, v33
	;; [unrolled: 1-line block ×4, first 2 shown]
	v_pk_add_f32 v[26:27], v[26:27], v[80:81] neg_lo:[0,1] neg_hi:[0,1]
	v_mov_b32_e32 v34, v71
	v_mov_b32_e32 v35, v32
	v_pk_add_f32 v[26:27], v[34:35], v[26:27] neg_lo:[0,1] neg_hi:[0,1]
	v_mov_b32_e32 v84, v82
	v_pk_add_f32 v[32:33], v[84:85], v[26:27]
	v_mov_b32_e32 v34, v33
	v_pk_add_f32 v[34:35], v[32:33], v[34:35]
	v_pk_add_f32 v[70:71], v[30:31], v[34:35]
	v_mov_b32_e32 v33, v70
	v_pk_add_f32 v[80:81], v[32:33], v[82:83] neg_lo:[0,1] neg_hi:[0,1]
	v_mov_b32_e32 v27, v34
	v_sub_f32_e32 v30, v32, v80
	v_pk_add_f32 v[26:27], v[26:27], v[80:81] neg_lo:[0,1] neg_hi:[0,1]
	v_sub_f32_e32 v30, v82, v30
	s_mov_b32 s37, 0x7f800000
	v_add_f32_e32 v26, v26, v30
	s_mov_b32 s36, 0x33800000
	v_add_f32_e32 v26, v26, v27
	v_cmp_eq_f32_e32 vcc, s37, v69
	v_cmp_lt_f32_e64 s[36:37], |v69|, s36
	v_add_f32_e32 v26, v70, v26
	s_or_b64 vcc, vcc, s[36:37]
	v_cndmask_b32_e32 v26, v26, v69, vcc
	v_add_f32_e32 v26, v31, v26
	v_cvt_f16_f32_e32 v27, v26
	v_cvt_f32_f16_e32 v30, v27
	v_mov_b32_e32 v26, v27
.LBB401_79:
	s_or_b64 exec, exec, s[34:35]
	v_cvt_f32_f16_e32 v69, v19
	v_max_f32_e32 v31, v30, v30
	v_cmp_u_f16_e32 vcc, v27, v27
	v_cmp_u_f16_e64 s[34:35], v19, v19
	v_min_f32_e32 v32, v31, v69
	v_max_f32_e32 v31, v31, v69
	v_cndmask_b32_e32 v32, v32, v30, vcc
	v_cndmask_b32_e32 v31, v31, v30, vcc
	v_cndmask_b32_e64 v32, v32, v69, s[34:35]
	v_cndmask_b32_e64 v31, v31, v69, s[34:35]
	v_cmp_neq_f32_e32 vcc, v32, v31
	v_cmp_class_f32_e64 s[36:37], v32, s13
	s_or_b64 vcc, vcc, s[36:37]
	s_and_saveexec_b64 s[36:37], vcc
	s_cbranch_execz .LBB401_81
; %bb.80:
	v_sub_f32_e32 v26, v32, v31
	s_mov_b32 s13, 0x3fb8aa3b
	v_mul_f32_e32 v27, 0x3fb8aa3b, v26
	v_fma_f32 v30, v26, s13, -v27
	v_rndne_f32_e32 v32, v27
	v_fmac_f32_e32 v30, 0x32a5705f, v26
	v_sub_f32_e32 v27, v27, v32
	v_add_f32_e32 v27, v27, v30
	v_exp_f32_e32 v27, v27
	v_cvt_i32_f32_e32 v30, v32
	s_mov_b32 s13, 0xc2ce8ed0
	v_cmp_ngt_f32_e32 vcc, s13, v26
	s_mov_b32 s13, 0x42b17218
	v_ldexp_f32 v27, v27, v30
	v_cndmask_b32_e32 v27, 0, v27, vcc
	v_mov_b32_e32 v30, 0x7f800000
	v_cmp_nlt_f32_e32 vcc, s13, v26
	v_cndmask_b32_e32 v86, v30, v27, vcc
	v_add_f32_e32 v30, 1.0, v86
	v_add_f32_e32 v26, -1.0, v30
	v_sub_f32_e32 v27, v26, v30
	v_add_f32_e32 v27, 1.0, v27
	v_sub_f32_e32 v26, v86, v26
	v_add_f32_e32 v32, v26, v27
	v_frexp_mant_f32_e32 v33, v30
	s_mov_b32 s13, 0x3f2aaaab
	v_cvt_f64_f32_e32 v[26:27], v30
	v_frexp_exp_i32_f64_e32 v26, v[26:27]
	v_cmp_gt_f32_e32 vcc, s13, v33
	v_subbrev_co_u32_e32 v80, vcc, 0, v26, vcc
	v_sub_u32_e32 v26, 0, v80
	v_ldexp_f32 v27, v30, v26
	v_add_f32_e32 v30, -1.0, v27
	v_add_f32_e32 v33, 1.0, v27
	v_ldexp_f32 v26, v32, v26
	v_add_f32_e32 v32, 1.0, v30
	v_add_f32_e32 v34, -1.0, v33
	v_sub_f32_e32 v32, v27, v32
	v_sub_f32_e32 v27, v27, v34
	v_add_f32_e32 v32, v26, v32
	v_add_f32_e32 v26, v26, v27
	;; [unrolled: 1-line block ×3, first 2 shown]
	v_rcp_f32_e32 v83, v81
	v_sub_f32_e32 v27, v33, v81
	v_add_f32_e32 v82, v26, v27
	v_add_f32_e32 v27, v30, v32
	v_sub_f32_e32 v26, v30, v27
	v_mul_f32_e32 v84, v27, v83
	v_add_f32_e32 v30, v32, v26
	v_mul_f32_e32 v32, v81, v84
	v_fma_f32 v34, v84, v81, -v32
	v_fmac_f32_e32 v34, v84, v82
	v_add_f32_e32 v26, v32, v34
	v_sub_f32_e32 v33, v27, v26
	v_pk_add_f32 v[70:71], v[26:27], v[32:33] neg_lo:[0,1] neg_hi:[0,1]
	v_mov_b32_e32 v35, v26
	v_pk_add_f32 v[26:27], v[70:71], v[34:35] neg_lo:[0,1] neg_hi:[0,1]
	v_add_f32_e32 v27, v30, v27
	v_add_f32_e32 v26, v26, v27
	;; [unrolled: 1-line block ×3, first 2 shown]
	v_mul_f32_e32 v30, v83, v27
	v_mul_f32_e32 v32, v81, v30
	v_fma_f32 v34, v30, v81, -v32
	v_fmac_f32_e32 v34, v30, v82
	v_sub_f32_e32 v33, v33, v27
	v_add_f32_e32 v81, v26, v33
	v_add_f32_e32 v26, v32, v34
	v_sub_f32_e32 v33, v27, v26
	v_pk_add_f32 v[70:71], v[26:27], v[32:33] neg_lo:[0,1] neg_hi:[0,1]
	v_mov_b32_e32 v35, v26
	v_pk_add_f32 v[26:27], v[70:71], v[34:35] neg_lo:[0,1] neg_hi:[0,1]
	v_add_f32_e32 v27, v81, v27
	v_add_f32_e32 v26, v26, v27
	;; [unrolled: 1-line block ×4, first 2 shown]
	v_sub_f32_e32 v27, v33, v84
	v_mul_f32_e32 v26, v83, v26
	v_sub_f32_e32 v27, v30, v27
	v_add_f32_e32 v26, v27, v26
	v_add_f32_e32 v30, v33, v26
	v_mul_f32_e32 v34, v30, v30
	v_mov_b32_e32 v32, 0x3ecc95a3
	v_fmac_f32_e32 v32, 0x3e9b6dac, v34
	v_mov_b32_e32 v27, 0x3f2aaada
	v_fmac_f32_e32 v27, v34, v32
	v_cvt_f32_i32_e32 v32, v80
	v_sub_f32_e32 v33, v30, v33
	v_sub_f32_e32 v26, v26, v33
	v_ldexp_f32 v70, v26, 1
	v_mul_f32_e32 v33, v30, v34
	v_mov_b32_e32 v26, 0x3f317218
	s_mov_b32 s13, 0x3f317218
	v_pk_mul_f32 v[26:27], v[32:33], v[26:27]
	v_fma_f32 v34, v32, s13, -v26
	v_ldexp_f32 v35, v30, 1
	v_fmac_f32_e32 v34, 0xb102e308, v32
	v_pk_add_f32 v[32:33], v[26:27], v[34:35]
	v_sub_f32_e32 v30, v33, v35
	v_sub_f32_e32 v30, v27, v30
	v_add_f32_e32 v71, v70, v30
	v_mov_b32_e32 v70, v26
	v_pk_add_f32 v[26:27], v[32:33], v[26:27] neg_lo:[0,1] neg_hi:[0,1]
	v_pk_add_f32 v[80:81], v[32:33], v[70:71]
	v_mov_b32_e32 v27, v81
	v_mov_b32_e32 v35, v32
	v_pk_add_f32 v[82:83], v[34:35], v[26:27] neg_lo:[0,1] neg_hi:[0,1]
	v_pk_add_f32 v[26:27], v[34:35], v[26:27]
	v_mov_b32_e32 v30, v27
	v_pk_add_f32 v[34:35], v[30:31], v[32:33] neg_lo:[0,1] neg_hi:[0,1]
	v_mov_b32_e32 v35, v34
	v_pk_add_f32 v[84:85], v[80:81], v[34:35] neg_lo:[0,1] neg_hi:[0,1]
	v_mov_b32_e32 v26, v81
	v_mov_b32_e32 v80, v33
	v_mov_b32_e32 v81, v34
	v_mov_b32_e32 v83, v27
	v_pk_add_f32 v[26:27], v[26:27], v[80:81] neg_lo:[0,1] neg_hi:[0,1]
	v_mov_b32_e32 v34, v71
	v_mov_b32_e32 v35, v32
	v_pk_add_f32 v[26:27], v[34:35], v[26:27] neg_lo:[0,1] neg_hi:[0,1]
	v_mov_b32_e32 v84, v82
	v_pk_add_f32 v[32:33], v[84:85], v[26:27]
	v_mov_b32_e32 v34, v33
	v_pk_add_f32 v[34:35], v[32:33], v[34:35]
	v_pk_add_f32 v[70:71], v[30:31], v[34:35]
	v_mov_b32_e32 v33, v70
	v_pk_add_f32 v[80:81], v[32:33], v[82:83] neg_lo:[0,1] neg_hi:[0,1]
	v_mov_b32_e32 v27, v34
	v_sub_f32_e32 v30, v32, v80
	v_pk_add_f32 v[26:27], v[26:27], v[80:81] neg_lo:[0,1] neg_hi:[0,1]
	v_sub_f32_e32 v30, v82, v30
	s_mov_b32 s38, 0x7f800000
	v_add_f32_e32 v26, v26, v30
	s_mov_b32 s13, 0x33800000
	v_add_f32_e32 v26, v26, v27
	v_cmp_eq_f32_e32 vcc, s38, v86
	v_cmp_lt_f32_e64 s[38:39], |v86|, s13
	v_add_f32_e32 v26, v70, v26
	s_or_b64 vcc, vcc, s[38:39]
	v_cndmask_b32_e32 v26, v26, v86, vcc
	v_add_f32_e32 v26, v31, v26
	v_cvt_f16_f32_e32 v27, v26
	v_cvt_f32_f16_e32 v30, v27
	v_mov_b32_e32 v26, v27
.LBB401_81:
	s_or_b64 exec, exec, s[36:37]
	v_cvt_f32_f16_sdwa v70, v19 dst_sel:DWORD dst_unused:UNUSED_PAD src0_sel:WORD_1
	v_max_f32_e32 v31, v30, v30
	v_cmp_u_f16_e32 vcc, v27, v27
	v_cmp_u_f16_sdwa s[36:37], v19, v19 src0_sel:WORD_1 src1_sel:WORD_1
	v_min_f32_e32 v32, v31, v70
	v_max_f32_e32 v31, v31, v70
	v_cndmask_b32_e32 v32, v32, v30, vcc
	v_cndmask_b32_e32 v31, v31, v30, vcc
	v_cndmask_b32_e64 v32, v32, v70, s[36:37]
	v_cndmask_b32_e64 v31, v31, v70, s[36:37]
	s_movk_i32 s13, 0x1f8
	v_cmp_neq_f32_e32 vcc, v32, v31
	v_cmp_class_f32_e64 s[38:39], v32, s13
	s_or_b64 vcc, vcc, s[38:39]
	s_and_saveexec_b64 s[38:39], vcc
	s_cbranch_execz .LBB401_83
; %bb.82:
	v_sub_f32_e32 v26, v32, v31
	s_mov_b32 s40, 0x3fb8aa3b
	v_mul_f32_e32 v27, 0x3fb8aa3b, v26
	v_fma_f32 v30, v26, s40, -v27
	v_rndne_f32_e32 v32, v27
	v_fmac_f32_e32 v30, 0x32a5705f, v26
	v_sub_f32_e32 v27, v27, v32
	v_add_f32_e32 v27, v27, v30
	v_exp_f32_e32 v27, v27
	v_cvt_i32_f32_e32 v30, v32
	s_mov_b32 s40, 0xc2ce8ed0
	v_cmp_ngt_f32_e32 vcc, s40, v26
	s_mov_b32 s40, 0x42b17218
	v_ldexp_f32 v27, v27, v30
	v_cndmask_b32_e32 v27, 0, v27, vcc
	v_mov_b32_e32 v30, 0x7f800000
	v_cmp_nlt_f32_e32 vcc, s40, v26
	v_cndmask_b32_e32 v71, v30, v27, vcc
	v_add_f32_e32 v30, 1.0, v71
	v_add_f32_e32 v26, -1.0, v30
	v_sub_f32_e32 v27, v26, v30
	v_add_f32_e32 v27, 1.0, v27
	v_sub_f32_e32 v26, v71, v26
	v_add_f32_e32 v32, v26, v27
	v_frexp_mant_f32_e32 v33, v30
	s_mov_b32 s40, 0x3f2aaaab
	v_cvt_f64_f32_e32 v[26:27], v30
	v_frexp_exp_i32_f64_e32 v26, v[26:27]
	v_cmp_gt_f32_e32 vcc, s40, v33
	v_subbrev_co_u32_e32 v82, vcc, 0, v26, vcc
	v_sub_u32_e32 v26, 0, v82
	v_ldexp_f32 v27, v30, v26
	v_add_f32_e32 v30, -1.0, v27
	v_add_f32_e32 v33, 1.0, v27
	v_ldexp_f32 v26, v32, v26
	v_add_f32_e32 v32, 1.0, v30
	v_add_f32_e32 v34, -1.0, v33
	v_sub_f32_e32 v32, v27, v32
	v_sub_f32_e32 v27, v27, v34
	v_add_f32_e32 v32, v26, v32
	v_add_f32_e32 v26, v26, v27
	;; [unrolled: 1-line block ×3, first 2 shown]
	v_rcp_f32_e32 v85, v83
	v_sub_f32_e32 v27, v33, v83
	v_add_f32_e32 v84, v26, v27
	v_add_f32_e32 v27, v30, v32
	v_sub_f32_e32 v26, v30, v27
	v_mul_f32_e32 v86, v27, v85
	v_add_f32_e32 v30, v32, v26
	v_mul_f32_e32 v32, v83, v86
	v_fma_f32 v34, v86, v83, -v32
	v_fmac_f32_e32 v34, v86, v84
	v_add_f32_e32 v26, v32, v34
	v_sub_f32_e32 v33, v27, v26
	v_pk_add_f32 v[80:81], v[26:27], v[32:33] neg_lo:[0,1] neg_hi:[0,1]
	v_mov_b32_e32 v35, v26
	v_pk_add_f32 v[26:27], v[80:81], v[34:35] neg_lo:[0,1] neg_hi:[0,1]
	v_add_f32_e32 v27, v30, v27
	v_add_f32_e32 v26, v26, v27
	;; [unrolled: 1-line block ×3, first 2 shown]
	v_mul_f32_e32 v30, v85, v27
	v_mul_f32_e32 v32, v83, v30
	v_fma_f32 v34, v30, v83, -v32
	v_fmac_f32_e32 v34, v30, v84
	v_sub_f32_e32 v33, v33, v27
	v_add_f32_e32 v83, v26, v33
	v_add_f32_e32 v26, v32, v34
	v_sub_f32_e32 v33, v27, v26
	v_pk_add_f32 v[80:81], v[26:27], v[32:33] neg_lo:[0,1] neg_hi:[0,1]
	v_mov_b32_e32 v35, v26
	v_pk_add_f32 v[26:27], v[80:81], v[34:35] neg_lo:[0,1] neg_hi:[0,1]
	v_add_f32_e32 v27, v83, v27
	v_add_f32_e32 v26, v26, v27
	;; [unrolled: 1-line block ×4, first 2 shown]
	v_sub_f32_e32 v27, v33, v86
	v_mul_f32_e32 v26, v85, v26
	v_sub_f32_e32 v27, v30, v27
	v_add_f32_e32 v26, v27, v26
	v_add_f32_e32 v30, v33, v26
	v_mul_f32_e32 v34, v30, v30
	v_mov_b32_e32 v32, 0x3ecc95a3
	v_fmac_f32_e32 v32, 0x3e9b6dac, v34
	v_mov_b32_e32 v27, 0x3f2aaada
	v_fmac_f32_e32 v27, v34, v32
	v_cvt_f32_i32_e32 v32, v82
	v_sub_f32_e32 v33, v30, v33
	v_sub_f32_e32 v26, v26, v33
	v_ldexp_f32 v80, v26, 1
	v_mul_f32_e32 v33, v30, v34
	v_mov_b32_e32 v26, 0x3f317218
	s_mov_b32 s40, 0x3f317218
	v_pk_mul_f32 v[26:27], v[32:33], v[26:27]
	v_fma_f32 v34, v32, s40, -v26
	v_ldexp_f32 v35, v30, 1
	v_fmac_f32_e32 v34, 0xb102e308, v32
	v_pk_add_f32 v[32:33], v[26:27], v[34:35]
	v_sub_f32_e32 v30, v33, v35
	v_sub_f32_e32 v30, v27, v30
	v_add_f32_e32 v81, v80, v30
	v_mov_b32_e32 v80, v26
	v_pk_add_f32 v[26:27], v[32:33], v[26:27] neg_lo:[0,1] neg_hi:[0,1]
	v_pk_add_f32 v[82:83], v[32:33], v[80:81]
	v_mov_b32_e32 v27, v83
	v_mov_b32_e32 v35, v32
	v_pk_add_f32 v[84:85], v[34:35], v[26:27] neg_lo:[0,1] neg_hi:[0,1]
	v_pk_add_f32 v[26:27], v[34:35], v[26:27]
	v_mov_b32_e32 v30, v27
	v_pk_add_f32 v[34:35], v[30:31], v[32:33] neg_lo:[0,1] neg_hi:[0,1]
	v_mov_b32_e32 v35, v34
	v_pk_add_f32 v[96:97], v[82:83], v[34:35] neg_lo:[0,1] neg_hi:[0,1]
	v_mov_b32_e32 v26, v83
	v_mov_b32_e32 v82, v33
	;; [unrolled: 1-line block ×4, first 2 shown]
	v_pk_add_f32 v[26:27], v[26:27], v[82:83] neg_lo:[0,1] neg_hi:[0,1]
	v_mov_b32_e32 v34, v81
	v_mov_b32_e32 v35, v32
	v_pk_add_f32 v[26:27], v[34:35], v[26:27] neg_lo:[0,1] neg_hi:[0,1]
	v_mov_b32_e32 v96, v84
	v_pk_add_f32 v[32:33], v[96:97], v[26:27]
	v_mov_b32_e32 v34, v33
	v_pk_add_f32 v[34:35], v[32:33], v[34:35]
	v_pk_add_f32 v[80:81], v[30:31], v[34:35]
	v_mov_b32_e32 v33, v80
	v_pk_add_f32 v[82:83], v[32:33], v[84:85] neg_lo:[0,1] neg_hi:[0,1]
	v_mov_b32_e32 v27, v34
	v_sub_f32_e32 v30, v32, v82
	v_pk_add_f32 v[26:27], v[26:27], v[82:83] neg_lo:[0,1] neg_hi:[0,1]
	v_sub_f32_e32 v30, v84, v30
	s_mov_b32 s41, 0x7f800000
	v_add_f32_e32 v26, v26, v30
	s_mov_b32 s40, 0x33800000
	v_add_f32_e32 v26, v26, v27
	v_cmp_eq_f32_e32 vcc, s41, v71
	v_cmp_lt_f32_e64 s[40:41], |v71|, s40
	v_add_f32_e32 v26, v80, v26
	s_or_b64 vcc, vcc, s[40:41]
	v_cndmask_b32_e32 v26, v26, v71, vcc
	v_add_f32_e32 v26, v31, v26
	v_cvt_f16_f32_e32 v27, v26
	v_cvt_f32_f16_e32 v30, v27
	v_mov_b32_e32 v26, v27
.LBB401_83:
	s_or_b64 exec, exec, s[38:39]
	v_cvt_f32_f16_e32 v71, v12
	v_max_f32_e32 v31, v30, v30
	v_cmp_u_f16_e32 vcc, v27, v27
	v_cmp_u_f16_e64 s[38:39], v12, v12
	v_min_f32_e32 v32, v31, v71
	v_max_f32_e32 v31, v31, v71
	v_cndmask_b32_e32 v32, v32, v30, vcc
	v_cndmask_b32_e32 v31, v31, v30, vcc
	v_cndmask_b32_e64 v32, v32, v71, s[38:39]
	v_cndmask_b32_e64 v31, v31, v71, s[38:39]
	v_cmp_neq_f32_e32 vcc, v32, v31
	v_cmp_class_f32_e64 s[40:41], v32, s13
	s_or_b64 vcc, vcc, s[40:41]
	s_and_saveexec_b64 s[40:41], vcc
	s_cbranch_execz .LBB401_85
; %bb.84:
	v_sub_f32_e32 v26, v32, v31
	s_mov_b32 s13, 0x3fb8aa3b
	v_mul_f32_e32 v27, 0x3fb8aa3b, v26
	v_fma_f32 v30, v26, s13, -v27
	v_rndne_f32_e32 v32, v27
	v_fmac_f32_e32 v30, 0x32a5705f, v26
	v_sub_f32_e32 v27, v27, v32
	v_add_f32_e32 v27, v27, v30
	v_exp_f32_e32 v27, v27
	v_cvt_i32_f32_e32 v30, v32
	s_mov_b32 s13, 0xc2ce8ed0
	v_cmp_ngt_f32_e32 vcc, s13, v26
	s_mov_b32 s13, 0x42b17218
	v_ldexp_f32 v27, v27, v30
	v_cndmask_b32_e32 v27, 0, v27, vcc
	v_mov_b32_e32 v30, 0x7f800000
	v_cmp_nlt_f32_e32 vcc, s13, v26
	v_cndmask_b32_e32 v86, v30, v27, vcc
	v_add_f32_e32 v30, 1.0, v86
	v_add_f32_e32 v26, -1.0, v30
	v_sub_f32_e32 v27, v26, v30
	v_add_f32_e32 v27, 1.0, v27
	v_sub_f32_e32 v26, v86, v26
	v_add_f32_e32 v32, v26, v27
	v_frexp_mant_f32_e32 v33, v30
	s_mov_b32 s13, 0x3f2aaaab
	v_cvt_f64_f32_e32 v[26:27], v30
	v_frexp_exp_i32_f64_e32 v26, v[26:27]
	v_cmp_gt_f32_e32 vcc, s13, v33
	v_subbrev_co_u32_e32 v82, vcc, 0, v26, vcc
	v_sub_u32_e32 v26, 0, v82
	v_ldexp_f32 v27, v30, v26
	v_add_f32_e32 v30, -1.0, v27
	v_add_f32_e32 v33, 1.0, v27
	v_ldexp_f32 v26, v32, v26
	v_add_f32_e32 v32, 1.0, v30
	v_add_f32_e32 v34, -1.0, v33
	v_sub_f32_e32 v32, v27, v32
	v_sub_f32_e32 v27, v27, v34
	v_add_f32_e32 v32, v26, v32
	v_add_f32_e32 v26, v26, v27
	;; [unrolled: 1-line block ×3, first 2 shown]
	v_rcp_f32_e32 v85, v83
	v_sub_f32_e32 v27, v33, v83
	v_add_f32_e32 v84, v26, v27
	v_add_f32_e32 v27, v30, v32
	v_sub_f32_e32 v26, v30, v27
	v_mul_f32_e32 v96, v27, v85
	v_add_f32_e32 v30, v32, v26
	v_mul_f32_e32 v32, v83, v96
	v_fma_f32 v34, v96, v83, -v32
	v_fmac_f32_e32 v34, v96, v84
	v_add_f32_e32 v26, v32, v34
	v_sub_f32_e32 v33, v27, v26
	v_pk_add_f32 v[80:81], v[26:27], v[32:33] neg_lo:[0,1] neg_hi:[0,1]
	v_mov_b32_e32 v35, v26
	v_pk_add_f32 v[26:27], v[80:81], v[34:35] neg_lo:[0,1] neg_hi:[0,1]
	v_add_f32_e32 v27, v30, v27
	v_add_f32_e32 v26, v26, v27
	;; [unrolled: 1-line block ×3, first 2 shown]
	v_mul_f32_e32 v30, v85, v27
	v_mul_f32_e32 v32, v83, v30
	v_fma_f32 v34, v30, v83, -v32
	v_fmac_f32_e32 v34, v30, v84
	v_sub_f32_e32 v33, v33, v27
	v_add_f32_e32 v83, v26, v33
	v_add_f32_e32 v26, v32, v34
	v_sub_f32_e32 v33, v27, v26
	v_pk_add_f32 v[80:81], v[26:27], v[32:33] neg_lo:[0,1] neg_hi:[0,1]
	v_mov_b32_e32 v35, v26
	v_pk_add_f32 v[26:27], v[80:81], v[34:35] neg_lo:[0,1] neg_hi:[0,1]
	v_add_f32_e32 v27, v83, v27
	v_add_f32_e32 v26, v26, v27
	;; [unrolled: 1-line block ×4, first 2 shown]
	v_sub_f32_e32 v27, v33, v96
	v_mul_f32_e32 v26, v85, v26
	v_sub_f32_e32 v27, v30, v27
	v_add_f32_e32 v26, v27, v26
	v_add_f32_e32 v30, v33, v26
	v_mul_f32_e32 v34, v30, v30
	v_mov_b32_e32 v32, 0x3ecc95a3
	v_fmac_f32_e32 v32, 0x3e9b6dac, v34
	v_mov_b32_e32 v27, 0x3f2aaada
	v_fmac_f32_e32 v27, v34, v32
	v_cvt_f32_i32_e32 v32, v82
	v_sub_f32_e32 v33, v30, v33
	v_sub_f32_e32 v26, v26, v33
	v_ldexp_f32 v80, v26, 1
	v_mul_f32_e32 v33, v30, v34
	v_mov_b32_e32 v26, 0x3f317218
	s_mov_b32 s13, 0x3f317218
	v_pk_mul_f32 v[26:27], v[32:33], v[26:27]
	v_fma_f32 v34, v32, s13, -v26
	v_ldexp_f32 v35, v30, 1
	v_fmac_f32_e32 v34, 0xb102e308, v32
	v_pk_add_f32 v[32:33], v[26:27], v[34:35]
	v_sub_f32_e32 v30, v33, v35
	v_sub_f32_e32 v30, v27, v30
	v_add_f32_e32 v81, v80, v30
	v_mov_b32_e32 v80, v26
	v_pk_add_f32 v[26:27], v[32:33], v[26:27] neg_lo:[0,1] neg_hi:[0,1]
	v_pk_add_f32 v[82:83], v[32:33], v[80:81]
	v_mov_b32_e32 v27, v83
	v_mov_b32_e32 v35, v32
	v_pk_add_f32 v[84:85], v[34:35], v[26:27] neg_lo:[0,1] neg_hi:[0,1]
	v_pk_add_f32 v[26:27], v[34:35], v[26:27]
	v_mov_b32_e32 v30, v27
	v_pk_add_f32 v[34:35], v[30:31], v[32:33] neg_lo:[0,1] neg_hi:[0,1]
	v_mov_b32_e32 v35, v34
	v_pk_add_f32 v[96:97], v[82:83], v[34:35] neg_lo:[0,1] neg_hi:[0,1]
	v_mov_b32_e32 v26, v83
	v_mov_b32_e32 v82, v33
	;; [unrolled: 1-line block ×4, first 2 shown]
	v_pk_add_f32 v[26:27], v[26:27], v[82:83] neg_lo:[0,1] neg_hi:[0,1]
	v_mov_b32_e32 v34, v81
	v_mov_b32_e32 v35, v32
	v_pk_add_f32 v[26:27], v[34:35], v[26:27] neg_lo:[0,1] neg_hi:[0,1]
	v_mov_b32_e32 v96, v84
	v_pk_add_f32 v[32:33], v[96:97], v[26:27]
	v_mov_b32_e32 v34, v33
	v_pk_add_f32 v[34:35], v[32:33], v[34:35]
	v_pk_add_f32 v[80:81], v[30:31], v[34:35]
	v_mov_b32_e32 v33, v80
	v_pk_add_f32 v[82:83], v[32:33], v[84:85] neg_lo:[0,1] neg_hi:[0,1]
	v_mov_b32_e32 v27, v34
	v_sub_f32_e32 v30, v32, v82
	v_pk_add_f32 v[26:27], v[26:27], v[82:83] neg_lo:[0,1] neg_hi:[0,1]
	v_sub_f32_e32 v30, v84, v30
	s_mov_b32 s42, 0x7f800000
	v_add_f32_e32 v26, v26, v30
	s_mov_b32 s13, 0x33800000
	v_add_f32_e32 v26, v26, v27
	v_cmp_eq_f32_e32 vcc, s42, v86
	v_cmp_lt_f32_e64 s[42:43], |v86|, s13
	v_add_f32_e32 v26, v80, v26
	s_or_b64 vcc, vcc, s[42:43]
	v_cndmask_b32_e32 v26, v26, v86, vcc
	v_add_f32_e32 v26, v31, v26
	v_cvt_f16_f32_e32 v27, v26
	v_cvt_f32_f16_e32 v30, v27
	v_mov_b32_e32 v26, v27
.LBB401_85:
	s_or_b64 exec, exec, s[40:41]
	v_cvt_f32_f16_sdwa v80, v12 dst_sel:DWORD dst_unused:UNUSED_PAD src0_sel:WORD_1
	v_max_f32_e32 v31, v30, v30
	v_cmp_u_f16_e32 vcc, v27, v27
	v_cmp_u_f16_sdwa s[40:41], v12, v12 src0_sel:WORD_1 src1_sel:WORD_1
	v_min_f32_e32 v32, v31, v80
	v_max_f32_e32 v31, v31, v80
	v_cndmask_b32_e32 v32, v32, v30, vcc
	v_cndmask_b32_e32 v31, v31, v30, vcc
	v_cndmask_b32_e64 v32, v32, v80, s[40:41]
	v_cndmask_b32_e64 v31, v31, v80, s[40:41]
	s_movk_i32 s13, 0x1f8
	v_cmp_neq_f32_e32 vcc, v32, v31
	v_cmp_class_f32_e64 s[42:43], v32, s13
	s_or_b64 vcc, vcc, s[42:43]
	s_and_saveexec_b64 s[42:43], vcc
	s_cbranch_execz .LBB401_87
; %bb.86:
	v_sub_f32_e32 v26, v32, v31
	s_mov_b32 s44, 0x3fb8aa3b
	v_mul_f32_e32 v27, 0x3fb8aa3b, v26
	v_fma_f32 v30, v26, s44, -v27
	v_rndne_f32_e32 v32, v27
	v_fmac_f32_e32 v30, 0x32a5705f, v26
	v_sub_f32_e32 v27, v27, v32
	v_add_f32_e32 v27, v27, v30
	v_exp_f32_e32 v27, v27
	v_cvt_i32_f32_e32 v30, v32
	s_mov_b32 s44, 0xc2ce8ed0
	v_cmp_ngt_f32_e32 vcc, s44, v26
	s_mov_b32 s44, 0x42b17218
	v_ldexp_f32 v27, v27, v30
	v_cndmask_b32_e32 v27, 0, v27, vcc
	v_mov_b32_e32 v30, 0x7f800000
	v_cmp_nlt_f32_e32 vcc, s44, v26
	v_cndmask_b32_e32 v81, v30, v27, vcc
	v_add_f32_e32 v30, 1.0, v81
	v_add_f32_e32 v26, -1.0, v30
	v_sub_f32_e32 v27, v26, v30
	v_add_f32_e32 v27, 1.0, v27
	v_sub_f32_e32 v26, v81, v26
	v_add_f32_e32 v32, v26, v27
	v_frexp_mant_f32_e32 v33, v30
	s_mov_b32 s44, 0x3f2aaaab
	v_cvt_f64_f32_e32 v[26:27], v30
	v_frexp_exp_i32_f64_e32 v26, v[26:27]
	v_cmp_gt_f32_e32 vcc, s44, v33
	v_subbrev_co_u32_e32 v84, vcc, 0, v26, vcc
	v_sub_u32_e32 v26, 0, v84
	v_ldexp_f32 v27, v30, v26
	v_add_f32_e32 v30, -1.0, v27
	v_add_f32_e32 v33, 1.0, v27
	v_ldexp_f32 v26, v32, v26
	v_add_f32_e32 v32, 1.0, v30
	v_add_f32_e32 v34, -1.0, v33
	v_sub_f32_e32 v32, v27, v32
	v_sub_f32_e32 v27, v27, v34
	v_add_f32_e32 v32, v26, v32
	v_add_f32_e32 v26, v26, v27
	;; [unrolled: 1-line block ×3, first 2 shown]
	v_rcp_f32_e32 v96, v85
	v_sub_f32_e32 v27, v33, v85
	v_add_f32_e32 v86, v26, v27
	v_add_f32_e32 v27, v30, v32
	v_sub_f32_e32 v26, v30, v27
	v_mul_f32_e32 v97, v27, v96
	v_add_f32_e32 v30, v32, v26
	v_mul_f32_e32 v32, v85, v97
	v_fma_f32 v34, v97, v85, -v32
	v_fmac_f32_e32 v34, v97, v86
	v_add_f32_e32 v26, v32, v34
	v_sub_f32_e32 v33, v27, v26
	v_pk_add_f32 v[82:83], v[26:27], v[32:33] neg_lo:[0,1] neg_hi:[0,1]
	v_mov_b32_e32 v35, v26
	v_pk_add_f32 v[26:27], v[82:83], v[34:35] neg_lo:[0,1] neg_hi:[0,1]
	v_add_f32_e32 v27, v30, v27
	v_add_f32_e32 v26, v26, v27
	;; [unrolled: 1-line block ×3, first 2 shown]
	v_mul_f32_e32 v30, v96, v27
	v_mul_f32_e32 v32, v85, v30
	v_fma_f32 v34, v30, v85, -v32
	v_fmac_f32_e32 v34, v30, v86
	v_sub_f32_e32 v33, v33, v27
	v_add_f32_e32 v85, v26, v33
	v_add_f32_e32 v26, v32, v34
	v_sub_f32_e32 v33, v27, v26
	v_pk_add_f32 v[82:83], v[26:27], v[32:33] neg_lo:[0,1] neg_hi:[0,1]
	v_mov_b32_e32 v35, v26
	v_pk_add_f32 v[26:27], v[82:83], v[34:35] neg_lo:[0,1] neg_hi:[0,1]
	v_add_f32_e32 v27, v85, v27
	v_add_f32_e32 v26, v26, v27
	;; [unrolled: 1-line block ×4, first 2 shown]
	v_sub_f32_e32 v27, v33, v97
	v_mul_f32_e32 v26, v96, v26
	v_sub_f32_e32 v27, v30, v27
	v_add_f32_e32 v26, v27, v26
	v_add_f32_e32 v30, v33, v26
	v_mul_f32_e32 v34, v30, v30
	v_mov_b32_e32 v32, 0x3ecc95a3
	v_fmac_f32_e32 v32, 0x3e9b6dac, v34
	v_mov_b32_e32 v27, 0x3f2aaada
	v_fmac_f32_e32 v27, v34, v32
	v_cvt_f32_i32_e32 v32, v84
	v_sub_f32_e32 v33, v30, v33
	v_sub_f32_e32 v26, v26, v33
	v_ldexp_f32 v82, v26, 1
	v_mul_f32_e32 v33, v30, v34
	v_mov_b32_e32 v26, 0x3f317218
	s_mov_b32 s44, 0x3f317218
	v_pk_mul_f32 v[26:27], v[32:33], v[26:27]
	v_fma_f32 v34, v32, s44, -v26
	v_ldexp_f32 v35, v30, 1
	v_fmac_f32_e32 v34, 0xb102e308, v32
	v_pk_add_f32 v[32:33], v[26:27], v[34:35]
	v_sub_f32_e32 v30, v33, v35
	v_sub_f32_e32 v30, v27, v30
	v_add_f32_e32 v83, v82, v30
	v_mov_b32_e32 v82, v26
	v_pk_add_f32 v[26:27], v[32:33], v[26:27] neg_lo:[0,1] neg_hi:[0,1]
	v_pk_add_f32 v[84:85], v[32:33], v[82:83]
	v_mov_b32_e32 v27, v85
	v_mov_b32_e32 v35, v32
	v_pk_add_f32 v[96:97], v[34:35], v[26:27] neg_lo:[0,1] neg_hi:[0,1]
	v_pk_add_f32 v[26:27], v[34:35], v[26:27]
	v_mov_b32_e32 v30, v27
	v_pk_add_f32 v[34:35], v[30:31], v[32:33] neg_lo:[0,1] neg_hi:[0,1]
	v_mov_b32_e32 v35, v34
	v_pk_add_f32 v[98:99], v[84:85], v[34:35] neg_lo:[0,1] neg_hi:[0,1]
	v_mov_b32_e32 v26, v85
	v_mov_b32_e32 v84, v33
	;; [unrolled: 1-line block ×4, first 2 shown]
	v_pk_add_f32 v[26:27], v[26:27], v[84:85] neg_lo:[0,1] neg_hi:[0,1]
	v_mov_b32_e32 v34, v83
	v_mov_b32_e32 v35, v32
	v_pk_add_f32 v[26:27], v[34:35], v[26:27] neg_lo:[0,1] neg_hi:[0,1]
	v_mov_b32_e32 v98, v96
	v_pk_add_f32 v[32:33], v[98:99], v[26:27]
	v_mov_b32_e32 v34, v33
	v_pk_add_f32 v[34:35], v[32:33], v[34:35]
	v_pk_add_f32 v[82:83], v[30:31], v[34:35]
	v_mov_b32_e32 v33, v82
	v_pk_add_f32 v[84:85], v[32:33], v[96:97] neg_lo:[0,1] neg_hi:[0,1]
	v_mov_b32_e32 v27, v34
	v_sub_f32_e32 v30, v32, v84
	v_pk_add_f32 v[26:27], v[26:27], v[84:85] neg_lo:[0,1] neg_hi:[0,1]
	v_sub_f32_e32 v30, v96, v30
	s_mov_b32 s45, 0x7f800000
	v_add_f32_e32 v26, v26, v30
	s_mov_b32 s44, 0x33800000
	v_add_f32_e32 v26, v26, v27
	v_cmp_eq_f32_e32 vcc, s45, v81
	v_cmp_lt_f32_e64 s[44:45], |v81|, s44
	v_add_f32_e32 v26, v82, v26
	s_or_b64 vcc, vcc, s[44:45]
	v_cndmask_b32_e32 v26, v26, v81, vcc
	v_add_f32_e32 v26, v31, v26
	v_cvt_f16_f32_e32 v27, v26
	v_cvt_f32_f16_e32 v30, v27
	v_mov_b32_e32 v26, v27
.LBB401_87:
	s_or_b64 exec, exec, s[42:43]
	v_cvt_f32_f16_e32 v81, v13
	v_max_f32_e32 v31, v30, v30
	v_cmp_u_f16_e32 vcc, v27, v27
	v_cmp_u_f16_e64 s[42:43], v13, v13
	v_min_f32_e32 v32, v31, v81
	v_max_f32_e32 v31, v31, v81
	v_cndmask_b32_e32 v32, v32, v30, vcc
	v_cndmask_b32_e32 v31, v31, v30, vcc
	v_cndmask_b32_e64 v32, v32, v81, s[42:43]
	v_cndmask_b32_e64 v31, v31, v81, s[42:43]
	v_cmp_neq_f32_e32 vcc, v32, v31
	v_cmp_class_f32_e64 s[44:45], v32, s13
	s_or_b64 vcc, vcc, s[44:45]
	s_and_saveexec_b64 s[44:45], vcc
	s_cbranch_execz .LBB401_89
; %bb.88:
	v_sub_f32_e32 v26, v32, v31
	s_mov_b32 s13, 0x3fb8aa3b
	v_mul_f32_e32 v27, 0x3fb8aa3b, v26
	v_fma_f32 v30, v26, s13, -v27
	v_rndne_f32_e32 v32, v27
	v_fmac_f32_e32 v30, 0x32a5705f, v26
	v_sub_f32_e32 v27, v27, v32
	v_add_f32_e32 v27, v27, v30
	v_exp_f32_e32 v27, v27
	v_cvt_i32_f32_e32 v30, v32
	s_mov_b32 s13, 0xc2ce8ed0
	v_cmp_ngt_f32_e32 vcc, s13, v26
	s_mov_b32 s13, 0x42b17218
	v_ldexp_f32 v27, v27, v30
	v_cndmask_b32_e32 v27, 0, v27, vcc
	v_mov_b32_e32 v30, 0x7f800000
	v_cmp_nlt_f32_e32 vcc, s13, v26
	v_cndmask_b32_e32 v86, v30, v27, vcc
	v_add_f32_e32 v30, 1.0, v86
	v_add_f32_e32 v26, -1.0, v30
	v_sub_f32_e32 v27, v26, v30
	v_add_f32_e32 v27, 1.0, v27
	v_sub_f32_e32 v26, v86, v26
	v_add_f32_e32 v32, v26, v27
	v_frexp_mant_f32_e32 v33, v30
	s_mov_b32 s13, 0x3f2aaaab
	v_cvt_f64_f32_e32 v[26:27], v30
	v_frexp_exp_i32_f64_e32 v26, v[26:27]
	v_cmp_gt_f32_e32 vcc, s13, v33
	v_subbrev_co_u32_e32 v84, vcc, 0, v26, vcc
	v_sub_u32_e32 v26, 0, v84
	v_ldexp_f32 v27, v30, v26
	v_add_f32_e32 v30, -1.0, v27
	v_add_f32_e32 v33, 1.0, v27
	v_ldexp_f32 v26, v32, v26
	v_add_f32_e32 v32, 1.0, v30
	v_add_f32_e32 v34, -1.0, v33
	v_sub_f32_e32 v32, v27, v32
	v_sub_f32_e32 v27, v27, v34
	v_add_f32_e32 v32, v26, v32
	v_add_f32_e32 v26, v26, v27
	;; [unrolled: 1-line block ×3, first 2 shown]
	v_rcp_f32_e32 v97, v85
	v_sub_f32_e32 v27, v33, v85
	v_add_f32_e32 v96, v26, v27
	v_add_f32_e32 v27, v30, v32
	v_sub_f32_e32 v26, v30, v27
	v_mul_f32_e32 v98, v27, v97
	v_add_f32_e32 v30, v32, v26
	v_mul_f32_e32 v32, v85, v98
	v_fma_f32 v34, v98, v85, -v32
	v_fmac_f32_e32 v34, v98, v96
	v_add_f32_e32 v26, v32, v34
	v_sub_f32_e32 v33, v27, v26
	v_pk_add_f32 v[82:83], v[26:27], v[32:33] neg_lo:[0,1] neg_hi:[0,1]
	v_mov_b32_e32 v35, v26
	v_pk_add_f32 v[26:27], v[82:83], v[34:35] neg_lo:[0,1] neg_hi:[0,1]
	v_add_f32_e32 v27, v30, v27
	v_add_f32_e32 v26, v26, v27
	;; [unrolled: 1-line block ×3, first 2 shown]
	v_mul_f32_e32 v30, v97, v27
	v_mul_f32_e32 v32, v85, v30
	v_fma_f32 v34, v30, v85, -v32
	v_fmac_f32_e32 v34, v30, v96
	v_sub_f32_e32 v33, v33, v27
	v_add_f32_e32 v85, v26, v33
	v_add_f32_e32 v26, v32, v34
	v_sub_f32_e32 v33, v27, v26
	v_pk_add_f32 v[82:83], v[26:27], v[32:33] neg_lo:[0,1] neg_hi:[0,1]
	v_mov_b32_e32 v35, v26
	v_pk_add_f32 v[26:27], v[82:83], v[34:35] neg_lo:[0,1] neg_hi:[0,1]
	v_add_f32_e32 v27, v85, v27
	v_add_f32_e32 v26, v26, v27
	;; [unrolled: 1-line block ×4, first 2 shown]
	v_sub_f32_e32 v27, v33, v98
	v_mul_f32_e32 v26, v97, v26
	v_sub_f32_e32 v27, v30, v27
	v_add_f32_e32 v26, v27, v26
	v_add_f32_e32 v30, v33, v26
	v_mul_f32_e32 v34, v30, v30
	v_mov_b32_e32 v32, 0x3ecc95a3
	v_fmac_f32_e32 v32, 0x3e9b6dac, v34
	v_mov_b32_e32 v27, 0x3f2aaada
	v_fmac_f32_e32 v27, v34, v32
	v_cvt_f32_i32_e32 v32, v84
	v_sub_f32_e32 v33, v30, v33
	v_sub_f32_e32 v26, v26, v33
	v_ldexp_f32 v82, v26, 1
	v_mul_f32_e32 v33, v30, v34
	v_mov_b32_e32 v26, 0x3f317218
	s_mov_b32 s13, 0x3f317218
	v_pk_mul_f32 v[26:27], v[32:33], v[26:27]
	v_fma_f32 v34, v32, s13, -v26
	v_ldexp_f32 v35, v30, 1
	v_fmac_f32_e32 v34, 0xb102e308, v32
	v_pk_add_f32 v[32:33], v[26:27], v[34:35]
	v_sub_f32_e32 v30, v33, v35
	v_sub_f32_e32 v30, v27, v30
	v_add_f32_e32 v83, v82, v30
	v_mov_b32_e32 v82, v26
	v_pk_add_f32 v[26:27], v[32:33], v[26:27] neg_lo:[0,1] neg_hi:[0,1]
	v_pk_add_f32 v[84:85], v[32:33], v[82:83]
	v_mov_b32_e32 v27, v85
	v_mov_b32_e32 v35, v32
	v_pk_add_f32 v[96:97], v[34:35], v[26:27] neg_lo:[0,1] neg_hi:[0,1]
	v_pk_add_f32 v[26:27], v[34:35], v[26:27]
	v_mov_b32_e32 v30, v27
	v_pk_add_f32 v[34:35], v[30:31], v[32:33] neg_lo:[0,1] neg_hi:[0,1]
	v_mov_b32_e32 v35, v34
	v_pk_add_f32 v[98:99], v[84:85], v[34:35] neg_lo:[0,1] neg_hi:[0,1]
	v_mov_b32_e32 v26, v85
	v_mov_b32_e32 v84, v33
	;; [unrolled: 1-line block ×4, first 2 shown]
	v_pk_add_f32 v[26:27], v[26:27], v[84:85] neg_lo:[0,1] neg_hi:[0,1]
	v_mov_b32_e32 v34, v83
	v_mov_b32_e32 v35, v32
	v_pk_add_f32 v[26:27], v[34:35], v[26:27] neg_lo:[0,1] neg_hi:[0,1]
	v_mov_b32_e32 v98, v96
	v_pk_add_f32 v[32:33], v[98:99], v[26:27]
	v_mov_b32_e32 v34, v33
	v_pk_add_f32 v[34:35], v[32:33], v[34:35]
	v_pk_add_f32 v[82:83], v[30:31], v[34:35]
	v_mov_b32_e32 v33, v82
	v_pk_add_f32 v[84:85], v[32:33], v[96:97] neg_lo:[0,1] neg_hi:[0,1]
	v_mov_b32_e32 v27, v34
	v_sub_f32_e32 v30, v32, v84
	v_pk_add_f32 v[26:27], v[26:27], v[84:85] neg_lo:[0,1] neg_hi:[0,1]
	v_sub_f32_e32 v30, v96, v30
	s_mov_b32 s46, 0x7f800000
	v_add_f32_e32 v26, v26, v30
	s_mov_b32 s13, 0x33800000
	v_add_f32_e32 v26, v26, v27
	v_cmp_eq_f32_e32 vcc, s46, v86
	v_cmp_lt_f32_e64 s[46:47], |v86|, s13
	v_add_f32_e32 v26, v82, v26
	s_or_b64 vcc, vcc, s[46:47]
	v_cndmask_b32_e32 v26, v26, v86, vcc
	v_add_f32_e32 v26, v31, v26
	v_cvt_f16_f32_e32 v27, v26
	v_cvt_f32_f16_e32 v30, v27
	v_mov_b32_e32 v26, v27
.LBB401_89:
	s_or_b64 exec, exec, s[44:45]
	v_cvt_f32_f16_sdwa v82, v13 dst_sel:DWORD dst_unused:UNUSED_PAD src0_sel:WORD_1
	v_max_f32_e32 v31, v30, v30
	v_cmp_u_f16_e32 vcc, v27, v27
	v_cmp_u_f16_sdwa s[44:45], v13, v13 src0_sel:WORD_1 src1_sel:WORD_1
	v_min_f32_e32 v32, v31, v82
	v_max_f32_e32 v31, v31, v82
	v_cndmask_b32_e32 v32, v32, v30, vcc
	v_cndmask_b32_e32 v31, v31, v30, vcc
	v_cndmask_b32_e64 v32, v32, v82, s[44:45]
	v_cndmask_b32_e64 v31, v31, v82, s[44:45]
	s_movk_i32 s13, 0x1f8
	v_cmp_neq_f32_e32 vcc, v32, v31
	v_cmp_class_f32_e64 s[46:47], v32, s13
	s_or_b64 vcc, vcc, s[46:47]
	s_and_saveexec_b64 s[46:47], vcc
	s_cbranch_execz .LBB401_91
; %bb.90:
	v_sub_f32_e32 v26, v32, v31
	s_mov_b32 s48, 0x3fb8aa3b
	v_mul_f32_e32 v27, 0x3fb8aa3b, v26
	v_fma_f32 v30, v26, s48, -v27
	v_rndne_f32_e32 v32, v27
	v_fmac_f32_e32 v30, 0x32a5705f, v26
	v_sub_f32_e32 v27, v27, v32
	v_add_f32_e32 v27, v27, v30
	v_exp_f32_e32 v27, v27
	v_cvt_i32_f32_e32 v30, v32
	s_mov_b32 s48, 0xc2ce8ed0
	v_cmp_ngt_f32_e32 vcc, s48, v26
	s_mov_b32 s48, 0x42b17218
	v_ldexp_f32 v27, v27, v30
	v_cndmask_b32_e32 v27, 0, v27, vcc
	v_mov_b32_e32 v30, 0x7f800000
	v_cmp_nlt_f32_e32 vcc, s48, v26
	v_cndmask_b32_e32 v83, v30, v27, vcc
	v_add_f32_e32 v30, 1.0, v83
	v_add_f32_e32 v26, -1.0, v30
	v_sub_f32_e32 v27, v26, v30
	v_add_f32_e32 v27, 1.0, v27
	v_sub_f32_e32 v26, v83, v26
	v_add_f32_e32 v32, v26, v27
	v_frexp_mant_f32_e32 v33, v30
	s_mov_b32 s48, 0x3f2aaaab
	v_cvt_f64_f32_e32 v[26:27], v30
	v_frexp_exp_i32_f64_e32 v26, v[26:27]
	v_cmp_gt_f32_e32 vcc, s48, v33
	v_subbrev_co_u32_e32 v86, vcc, 0, v26, vcc
	v_sub_u32_e32 v26, 0, v86
	v_ldexp_f32 v27, v30, v26
	v_add_f32_e32 v30, -1.0, v27
	v_add_f32_e32 v33, 1.0, v27
	v_ldexp_f32 v26, v32, v26
	v_add_f32_e32 v32, 1.0, v30
	v_add_f32_e32 v34, -1.0, v33
	v_sub_f32_e32 v32, v27, v32
	v_sub_f32_e32 v27, v27, v34
	v_add_f32_e32 v32, v26, v32
	v_add_f32_e32 v26, v26, v27
	;; [unrolled: 1-line block ×3, first 2 shown]
	v_rcp_f32_e32 v98, v96
	v_sub_f32_e32 v27, v33, v96
	v_add_f32_e32 v97, v26, v27
	v_add_f32_e32 v27, v30, v32
	v_sub_f32_e32 v26, v30, v27
	v_mul_f32_e32 v99, v27, v98
	v_add_f32_e32 v30, v32, v26
	v_mul_f32_e32 v32, v96, v99
	v_fma_f32 v34, v99, v96, -v32
	v_fmac_f32_e32 v34, v99, v97
	v_add_f32_e32 v26, v32, v34
	v_sub_f32_e32 v33, v27, v26
	v_pk_add_f32 v[84:85], v[26:27], v[32:33] neg_lo:[0,1] neg_hi:[0,1]
	v_mov_b32_e32 v35, v26
	v_pk_add_f32 v[26:27], v[84:85], v[34:35] neg_lo:[0,1] neg_hi:[0,1]
	v_add_f32_e32 v27, v30, v27
	v_add_f32_e32 v26, v26, v27
	;; [unrolled: 1-line block ×3, first 2 shown]
	v_mul_f32_e32 v30, v98, v27
	v_mul_f32_e32 v32, v96, v30
	v_fma_f32 v34, v30, v96, -v32
	v_fmac_f32_e32 v34, v30, v97
	v_sub_f32_e32 v33, v33, v27
	v_add_f32_e32 v96, v26, v33
	v_add_f32_e32 v26, v32, v34
	v_sub_f32_e32 v33, v27, v26
	v_pk_add_f32 v[84:85], v[26:27], v[32:33] neg_lo:[0,1] neg_hi:[0,1]
	v_mov_b32_e32 v35, v26
	v_pk_add_f32 v[26:27], v[84:85], v[34:35] neg_lo:[0,1] neg_hi:[0,1]
	v_add_f32_e32 v27, v96, v27
	v_add_f32_e32 v26, v26, v27
	;; [unrolled: 1-line block ×4, first 2 shown]
	v_sub_f32_e32 v27, v33, v99
	v_mul_f32_e32 v26, v98, v26
	v_sub_f32_e32 v27, v30, v27
	v_add_f32_e32 v26, v27, v26
	v_add_f32_e32 v30, v33, v26
	v_mul_f32_e32 v34, v30, v30
	v_mov_b32_e32 v32, 0x3ecc95a3
	v_fmac_f32_e32 v32, 0x3e9b6dac, v34
	v_mov_b32_e32 v27, 0x3f2aaada
	v_fmac_f32_e32 v27, v34, v32
	v_cvt_f32_i32_e32 v32, v86
	v_sub_f32_e32 v33, v30, v33
	v_sub_f32_e32 v26, v26, v33
	v_ldexp_f32 v84, v26, 1
	v_mul_f32_e32 v33, v30, v34
	v_mov_b32_e32 v26, 0x3f317218
	s_mov_b32 s48, 0x3f317218
	v_pk_mul_f32 v[26:27], v[32:33], v[26:27]
	v_fma_f32 v34, v32, s48, -v26
	v_ldexp_f32 v35, v30, 1
	v_fmac_f32_e32 v34, 0xb102e308, v32
	v_pk_add_f32 v[32:33], v[26:27], v[34:35]
	v_sub_f32_e32 v30, v33, v35
	v_sub_f32_e32 v30, v27, v30
	v_add_f32_e32 v85, v84, v30
	v_mov_b32_e32 v84, v26
	v_pk_add_f32 v[26:27], v[32:33], v[26:27] neg_lo:[0,1] neg_hi:[0,1]
	v_pk_add_f32 v[96:97], v[32:33], v[84:85]
	v_mov_b32_e32 v27, v97
	v_mov_b32_e32 v35, v32
	v_pk_add_f32 v[98:99], v[34:35], v[26:27] neg_lo:[0,1] neg_hi:[0,1]
	v_pk_add_f32 v[26:27], v[34:35], v[26:27]
	v_mov_b32_e32 v30, v27
	v_pk_add_f32 v[34:35], v[30:31], v[32:33] neg_lo:[0,1] neg_hi:[0,1]
	v_mov_b32_e32 v35, v34
	v_pk_add_f32 v[100:101], v[96:97], v[34:35] neg_lo:[0,1] neg_hi:[0,1]
	v_mov_b32_e32 v26, v97
	v_mov_b32_e32 v96, v33
	;; [unrolled: 1-line block ×4, first 2 shown]
	v_pk_add_f32 v[26:27], v[26:27], v[96:97] neg_lo:[0,1] neg_hi:[0,1]
	v_mov_b32_e32 v34, v85
	v_mov_b32_e32 v35, v32
	v_pk_add_f32 v[26:27], v[34:35], v[26:27] neg_lo:[0,1] neg_hi:[0,1]
	v_mov_b32_e32 v100, v98
	v_pk_add_f32 v[32:33], v[100:101], v[26:27]
	v_mov_b32_e32 v34, v33
	v_pk_add_f32 v[34:35], v[32:33], v[34:35]
	v_pk_add_f32 v[84:85], v[30:31], v[34:35]
	v_mov_b32_e32 v33, v84
	v_pk_add_f32 v[96:97], v[32:33], v[98:99] neg_lo:[0,1] neg_hi:[0,1]
	v_mov_b32_e32 v27, v34
	v_sub_f32_e32 v30, v32, v96
	v_pk_add_f32 v[26:27], v[26:27], v[96:97] neg_lo:[0,1] neg_hi:[0,1]
	v_sub_f32_e32 v30, v98, v30
	s_mov_b32 s49, 0x7f800000
	v_add_f32_e32 v26, v26, v30
	s_mov_b32 s48, 0x33800000
	v_add_f32_e32 v26, v26, v27
	v_cmp_eq_f32_e32 vcc, s49, v83
	v_cmp_lt_f32_e64 s[48:49], |v83|, s48
	v_add_f32_e32 v26, v84, v26
	s_or_b64 vcc, vcc, s[48:49]
	v_cndmask_b32_e32 v26, v26, v83, vcc
	v_add_f32_e32 v26, v31, v26
	v_cvt_f16_f32_e32 v27, v26
	v_cvt_f32_f16_e32 v30, v27
	v_mov_b32_e32 v26, v27
.LBB401_91:
	s_or_b64 exec, exec, s[46:47]
	v_cvt_f32_f16_e32 v83, v14
	v_max_f32_e32 v31, v30, v30
	v_cmp_u_f16_e32 vcc, v27, v27
	v_cmp_u_f16_e64 s[46:47], v14, v14
	v_min_f32_e32 v32, v31, v83
	v_max_f32_e32 v31, v31, v83
	v_cndmask_b32_e32 v32, v32, v30, vcc
	v_cndmask_b32_e32 v31, v31, v30, vcc
	v_cndmask_b32_e64 v32, v32, v83, s[46:47]
	v_cndmask_b32_e64 v31, v31, v83, s[46:47]
	v_cmp_neq_f32_e32 vcc, v32, v31
	v_cmp_class_f32_e64 s[48:49], v32, s13
	s_or_b64 vcc, vcc, s[48:49]
	s_and_saveexec_b64 s[48:49], vcc
	s_cbranch_execz .LBB401_93
; %bb.92:
	v_sub_f32_e32 v26, v32, v31
	s_mov_b32 s13, 0x3fb8aa3b
	v_mul_f32_e32 v27, 0x3fb8aa3b, v26
	v_fma_f32 v30, v26, s13, -v27
	v_rndne_f32_e32 v32, v27
	v_fmac_f32_e32 v30, 0x32a5705f, v26
	v_sub_f32_e32 v27, v27, v32
	v_add_f32_e32 v27, v27, v30
	v_exp_f32_e32 v27, v27
	v_cvt_i32_f32_e32 v30, v32
	s_mov_b32 s13, 0xc2ce8ed0
	v_cmp_ngt_f32_e32 vcc, s13, v26
	s_mov_b32 s13, 0x42b17218
	v_ldexp_f32 v27, v27, v30
	v_cndmask_b32_e32 v27, 0, v27, vcc
	v_mov_b32_e32 v30, 0x7f800000
	v_cmp_nlt_f32_e32 vcc, s13, v26
	v_cndmask_b32_e32 v86, v30, v27, vcc
	v_add_f32_e32 v30, 1.0, v86
	v_add_f32_e32 v26, -1.0, v30
	v_sub_f32_e32 v27, v26, v30
	v_add_f32_e32 v27, 1.0, v27
	v_sub_f32_e32 v26, v86, v26
	v_add_f32_e32 v32, v26, v27
	v_frexp_mant_f32_e32 v33, v30
	s_mov_b32 s13, 0x3f2aaaab
	v_cvt_f64_f32_e32 v[26:27], v30
	v_frexp_exp_i32_f64_e32 v26, v[26:27]
	v_cmp_gt_f32_e32 vcc, s13, v33
	v_subbrev_co_u32_e32 v96, vcc, 0, v26, vcc
	v_sub_u32_e32 v26, 0, v96
	v_ldexp_f32 v27, v30, v26
	v_add_f32_e32 v30, -1.0, v27
	v_add_f32_e32 v33, 1.0, v27
	v_ldexp_f32 v26, v32, v26
	v_add_f32_e32 v32, 1.0, v30
	v_add_f32_e32 v34, -1.0, v33
	v_sub_f32_e32 v32, v27, v32
	v_sub_f32_e32 v27, v27, v34
	v_add_f32_e32 v32, v26, v32
	v_add_f32_e32 v26, v26, v27
	v_add_f32_e32 v97, v33, v26
	v_rcp_f32_e32 v99, v97
	v_sub_f32_e32 v27, v33, v97
	v_add_f32_e32 v98, v26, v27
	v_add_f32_e32 v27, v30, v32
	v_sub_f32_e32 v26, v30, v27
	v_mul_f32_e32 v100, v27, v99
	v_add_f32_e32 v30, v32, v26
	v_mul_f32_e32 v32, v97, v100
	v_fma_f32 v34, v100, v97, -v32
	v_fmac_f32_e32 v34, v100, v98
	v_add_f32_e32 v26, v32, v34
	v_sub_f32_e32 v33, v27, v26
	v_pk_add_f32 v[84:85], v[26:27], v[32:33] neg_lo:[0,1] neg_hi:[0,1]
	v_mov_b32_e32 v35, v26
	v_pk_add_f32 v[26:27], v[84:85], v[34:35] neg_lo:[0,1] neg_hi:[0,1]
	v_add_f32_e32 v27, v30, v27
	v_add_f32_e32 v26, v26, v27
	;; [unrolled: 1-line block ×3, first 2 shown]
	v_mul_f32_e32 v30, v99, v27
	v_mul_f32_e32 v32, v97, v30
	v_fma_f32 v34, v30, v97, -v32
	v_fmac_f32_e32 v34, v30, v98
	v_sub_f32_e32 v33, v33, v27
	v_add_f32_e32 v97, v26, v33
	v_add_f32_e32 v26, v32, v34
	v_sub_f32_e32 v33, v27, v26
	v_pk_add_f32 v[84:85], v[26:27], v[32:33] neg_lo:[0,1] neg_hi:[0,1]
	v_mov_b32_e32 v35, v26
	v_pk_add_f32 v[26:27], v[84:85], v[34:35] neg_lo:[0,1] neg_hi:[0,1]
	v_add_f32_e32 v27, v97, v27
	v_add_f32_e32 v26, v26, v27
	;; [unrolled: 1-line block ×4, first 2 shown]
	v_sub_f32_e32 v27, v33, v100
	v_mul_f32_e32 v26, v99, v26
	v_sub_f32_e32 v27, v30, v27
	v_add_f32_e32 v26, v27, v26
	v_add_f32_e32 v30, v33, v26
	v_mul_f32_e32 v34, v30, v30
	v_mov_b32_e32 v32, 0x3ecc95a3
	v_fmac_f32_e32 v32, 0x3e9b6dac, v34
	v_mov_b32_e32 v27, 0x3f2aaada
	v_fmac_f32_e32 v27, v34, v32
	v_cvt_f32_i32_e32 v32, v96
	v_sub_f32_e32 v33, v30, v33
	v_sub_f32_e32 v26, v26, v33
	v_ldexp_f32 v84, v26, 1
	v_mul_f32_e32 v33, v30, v34
	v_mov_b32_e32 v26, 0x3f317218
	s_mov_b32 s13, 0x3f317218
	v_pk_mul_f32 v[26:27], v[32:33], v[26:27]
	v_fma_f32 v34, v32, s13, -v26
	v_ldexp_f32 v35, v30, 1
	v_fmac_f32_e32 v34, 0xb102e308, v32
	v_pk_add_f32 v[32:33], v[26:27], v[34:35]
	v_sub_f32_e32 v30, v33, v35
	v_sub_f32_e32 v30, v27, v30
	v_add_f32_e32 v85, v84, v30
	v_mov_b32_e32 v84, v26
	v_pk_add_f32 v[26:27], v[32:33], v[26:27] neg_lo:[0,1] neg_hi:[0,1]
	v_pk_add_f32 v[96:97], v[32:33], v[84:85]
	v_mov_b32_e32 v27, v97
	v_mov_b32_e32 v35, v32
	v_pk_add_f32 v[98:99], v[34:35], v[26:27] neg_lo:[0,1] neg_hi:[0,1]
	v_pk_add_f32 v[26:27], v[34:35], v[26:27]
	v_mov_b32_e32 v30, v27
	v_pk_add_f32 v[34:35], v[30:31], v[32:33] neg_lo:[0,1] neg_hi:[0,1]
	v_mov_b32_e32 v35, v34
	v_pk_add_f32 v[100:101], v[96:97], v[34:35] neg_lo:[0,1] neg_hi:[0,1]
	v_mov_b32_e32 v26, v97
	v_mov_b32_e32 v96, v33
	;; [unrolled: 1-line block ×4, first 2 shown]
	v_pk_add_f32 v[26:27], v[26:27], v[96:97] neg_lo:[0,1] neg_hi:[0,1]
	v_mov_b32_e32 v34, v85
	v_mov_b32_e32 v35, v32
	v_pk_add_f32 v[26:27], v[34:35], v[26:27] neg_lo:[0,1] neg_hi:[0,1]
	v_mov_b32_e32 v100, v98
	v_pk_add_f32 v[32:33], v[100:101], v[26:27]
	v_mov_b32_e32 v34, v33
	v_pk_add_f32 v[34:35], v[32:33], v[34:35]
	v_pk_add_f32 v[84:85], v[30:31], v[34:35]
	v_mov_b32_e32 v33, v84
	v_pk_add_f32 v[96:97], v[32:33], v[98:99] neg_lo:[0,1] neg_hi:[0,1]
	v_mov_b32_e32 v27, v34
	v_sub_f32_e32 v30, v32, v96
	v_pk_add_f32 v[26:27], v[26:27], v[96:97] neg_lo:[0,1] neg_hi:[0,1]
	v_sub_f32_e32 v30, v98, v30
	s_mov_b32 s50, 0x7f800000
	v_add_f32_e32 v26, v26, v30
	s_mov_b32 s13, 0x33800000
	v_add_f32_e32 v26, v26, v27
	v_cmp_eq_f32_e32 vcc, s50, v86
	v_cmp_lt_f32_e64 s[50:51], |v86|, s13
	v_add_f32_e32 v26, v84, v26
	s_or_b64 vcc, vcc, s[50:51]
	v_cndmask_b32_e32 v26, v26, v86, vcc
	v_add_f32_e32 v26, v31, v26
	v_cvt_f16_f32_e32 v27, v26
	v_cvt_f32_f16_e32 v30, v27
	v_mov_b32_e32 v26, v27
.LBB401_93:
	s_or_b64 exec, exec, s[48:49]
	v_cvt_f32_f16_sdwa v84, v14 dst_sel:DWORD dst_unused:UNUSED_PAD src0_sel:WORD_1
	v_max_f32_e32 v31, v30, v30
	v_cmp_u_f16_e32 vcc, v27, v27
	v_cmp_u_f16_sdwa s[48:49], v14, v14 src0_sel:WORD_1 src1_sel:WORD_1
	v_min_f32_e32 v32, v31, v84
	v_max_f32_e32 v31, v31, v84
	v_cndmask_b32_e32 v32, v32, v30, vcc
	v_cndmask_b32_e32 v31, v31, v30, vcc
	v_cndmask_b32_e64 v32, v32, v84, s[48:49]
	v_cndmask_b32_e64 v31, v31, v84, s[48:49]
	s_movk_i32 s13, 0x1f8
	v_cmp_neq_f32_e32 vcc, v32, v31
	v_cmp_class_f32_e64 s[50:51], v32, s13
	s_or_b64 vcc, vcc, s[50:51]
	s_and_saveexec_b64 s[50:51], vcc
	s_cbranch_execz .LBB401_95
; %bb.94:
	v_sub_f32_e32 v26, v32, v31
	s_mov_b32 s52, 0x3fb8aa3b
	v_mul_f32_e32 v27, 0x3fb8aa3b, v26
	v_fma_f32 v30, v26, s52, -v27
	v_rndne_f32_e32 v32, v27
	v_fmac_f32_e32 v30, 0x32a5705f, v26
	v_sub_f32_e32 v27, v27, v32
	v_add_f32_e32 v27, v27, v30
	v_exp_f32_e32 v27, v27
	v_cvt_i32_f32_e32 v30, v32
	s_mov_b32 s52, 0xc2ce8ed0
	v_cmp_ngt_f32_e32 vcc, s52, v26
	s_mov_b32 s52, 0x42b17218
	v_ldexp_f32 v27, v27, v30
	v_cndmask_b32_e32 v27, 0, v27, vcc
	v_mov_b32_e32 v30, 0x7f800000
	v_cmp_nlt_f32_e32 vcc, s52, v26
	v_cndmask_b32_e32 v85, v30, v27, vcc
	v_add_f32_e32 v30, 1.0, v85
	v_add_f32_e32 v26, -1.0, v30
	v_sub_f32_e32 v27, v26, v30
	v_add_f32_e32 v27, 1.0, v27
	v_sub_f32_e32 v26, v85, v26
	v_add_f32_e32 v32, v26, v27
	v_frexp_mant_f32_e32 v33, v30
	s_mov_b32 s52, 0x3f2aaaab
	v_cvt_f64_f32_e32 v[26:27], v30
	v_frexp_exp_i32_f64_e32 v26, v[26:27]
	v_cmp_gt_f32_e32 vcc, s52, v33
	v_subbrev_co_u32_e32 v86, vcc, 0, v26, vcc
	v_sub_u32_e32 v26, 0, v86
	v_ldexp_f32 v27, v30, v26
	v_add_f32_e32 v30, -1.0, v27
	v_add_f32_e32 v33, 1.0, v27
	v_ldexp_f32 v26, v32, v26
	v_add_f32_e32 v32, 1.0, v30
	v_add_f32_e32 v34, -1.0, v33
	v_sub_f32_e32 v32, v27, v32
	v_sub_f32_e32 v27, v27, v34
	v_add_f32_e32 v32, v26, v32
	v_add_f32_e32 v26, v26, v27
	;; [unrolled: 1-line block ×3, first 2 shown]
	v_rcp_f32_e32 v100, v98
	v_sub_f32_e32 v27, v33, v98
	v_add_f32_e32 v99, v26, v27
	v_add_f32_e32 v27, v30, v32
	v_sub_f32_e32 v26, v30, v27
	v_mul_f32_e32 v101, v27, v100
	v_add_f32_e32 v30, v32, v26
	v_mul_f32_e32 v32, v98, v101
	v_fma_f32 v34, v101, v98, -v32
	v_fmac_f32_e32 v34, v101, v99
	v_add_f32_e32 v26, v32, v34
	v_sub_f32_e32 v33, v27, v26
	v_pk_add_f32 v[96:97], v[26:27], v[32:33] neg_lo:[0,1] neg_hi:[0,1]
	v_mov_b32_e32 v35, v26
	v_pk_add_f32 v[26:27], v[96:97], v[34:35] neg_lo:[0,1] neg_hi:[0,1]
	v_add_f32_e32 v27, v30, v27
	v_add_f32_e32 v26, v26, v27
	v_add_f32_e32 v27, v33, v26
	v_mul_f32_e32 v30, v100, v27
	v_mul_f32_e32 v32, v98, v30
	v_fma_f32 v34, v30, v98, -v32
	v_fmac_f32_e32 v34, v30, v99
	v_sub_f32_e32 v33, v33, v27
	v_add_f32_e32 v98, v26, v33
	v_add_f32_e32 v26, v32, v34
	v_sub_f32_e32 v33, v27, v26
	v_pk_add_f32 v[96:97], v[26:27], v[32:33] neg_lo:[0,1] neg_hi:[0,1]
	v_mov_b32_e32 v35, v26
	v_pk_add_f32 v[26:27], v[96:97], v[34:35] neg_lo:[0,1] neg_hi:[0,1]
	v_add_f32_e32 v27, v98, v27
	v_add_f32_e32 v26, v26, v27
	;; [unrolled: 1-line block ×4, first 2 shown]
	v_sub_f32_e32 v27, v33, v101
	v_mul_f32_e32 v26, v100, v26
	v_sub_f32_e32 v27, v30, v27
	v_add_f32_e32 v26, v27, v26
	v_add_f32_e32 v30, v33, v26
	v_mul_f32_e32 v34, v30, v30
	v_mov_b32_e32 v32, 0x3ecc95a3
	v_fmac_f32_e32 v32, 0x3e9b6dac, v34
	v_mov_b32_e32 v27, 0x3f2aaada
	v_fmac_f32_e32 v27, v34, v32
	v_cvt_f32_i32_e32 v32, v86
	v_sub_f32_e32 v33, v30, v33
	v_sub_f32_e32 v26, v26, v33
	v_ldexp_f32 v86, v26, 1
	v_mul_f32_e32 v33, v30, v34
	v_mov_b32_e32 v26, 0x3f317218
	s_mov_b32 s52, 0x3f317218
	v_pk_mul_f32 v[26:27], v[32:33], v[26:27]
	v_fma_f32 v34, v32, s52, -v26
	v_ldexp_f32 v35, v30, 1
	v_fmac_f32_e32 v34, 0xb102e308, v32
	v_pk_add_f32 v[32:33], v[26:27], v[34:35]
	v_sub_f32_e32 v30, v33, v35
	v_sub_f32_e32 v30, v27, v30
	v_add_f32_e32 v97, v86, v30
	v_mov_b32_e32 v96, v26
	v_pk_add_f32 v[26:27], v[32:33], v[26:27] neg_lo:[0,1] neg_hi:[0,1]
	v_pk_add_f32 v[98:99], v[32:33], v[96:97]
	v_mov_b32_e32 v27, v99
	v_mov_b32_e32 v35, v32
	v_pk_add_f32 v[100:101], v[34:35], v[26:27] neg_lo:[0,1] neg_hi:[0,1]
	v_pk_add_f32 v[26:27], v[34:35], v[26:27]
	v_mov_b32_e32 v30, v27
	v_pk_add_f32 v[34:35], v[30:31], v[32:33] neg_lo:[0,1] neg_hi:[0,1]
	v_mov_b32_e32 v35, v34
	v_pk_add_f32 v[102:103], v[98:99], v[34:35] neg_lo:[0,1] neg_hi:[0,1]
	v_mov_b32_e32 v26, v99
	v_mov_b32_e32 v98, v33
	;; [unrolled: 1-line block ×4, first 2 shown]
	v_pk_add_f32 v[26:27], v[26:27], v[98:99] neg_lo:[0,1] neg_hi:[0,1]
	v_mov_b32_e32 v34, v97
	v_mov_b32_e32 v35, v32
	v_pk_add_f32 v[26:27], v[34:35], v[26:27] neg_lo:[0,1] neg_hi:[0,1]
	v_mov_b32_e32 v102, v100
	v_pk_add_f32 v[32:33], v[102:103], v[26:27]
	v_mov_b32_e32 v34, v33
	v_pk_add_f32 v[34:35], v[32:33], v[34:35]
	v_pk_add_f32 v[96:97], v[30:31], v[34:35]
	v_mov_b32_e32 v33, v96
	v_pk_add_f32 v[98:99], v[32:33], v[100:101] neg_lo:[0,1] neg_hi:[0,1]
	v_mov_b32_e32 v27, v34
	v_sub_f32_e32 v30, v32, v98
	v_pk_add_f32 v[26:27], v[26:27], v[98:99] neg_lo:[0,1] neg_hi:[0,1]
	v_sub_f32_e32 v30, v100, v30
	s_mov_b32 s53, 0x7f800000
	v_add_f32_e32 v26, v26, v30
	s_mov_b32 s52, 0x33800000
	v_add_f32_e32 v26, v26, v27
	v_cmp_eq_f32_e32 vcc, s53, v85
	v_cmp_lt_f32_e64 s[52:53], |v85|, s52
	v_add_f32_e32 v26, v96, v26
	s_or_b64 vcc, vcc, s[52:53]
	v_cndmask_b32_e32 v26, v26, v85, vcc
	v_add_f32_e32 v26, v31, v26
	v_cvt_f16_f32_e32 v27, v26
	v_cvt_f32_f16_e32 v30, v27
	v_mov_b32_e32 v26, v27
.LBB401_95:
	s_or_b64 exec, exec, s[50:51]
	v_cvt_f32_f16_e32 v85, v15
	v_max_f32_e32 v31, v30, v30
	v_cmp_u_f16_e32 vcc, v27, v27
	v_cmp_u_f16_e64 s[50:51], v15, v15
	v_min_f32_e32 v32, v31, v85
	v_max_f32_e32 v31, v31, v85
	v_cndmask_b32_e32 v32, v32, v30, vcc
	v_cndmask_b32_e32 v31, v31, v30, vcc
	v_cndmask_b32_e64 v32, v32, v85, s[50:51]
	v_cndmask_b32_e64 v31, v31, v85, s[50:51]
	v_cmp_neq_f32_e32 vcc, v32, v31
	v_cmp_class_f32_e64 s[52:53], v32, s13
	s_or_b64 vcc, vcc, s[52:53]
	s_and_saveexec_b64 s[52:53], vcc
	s_cbranch_execz .LBB401_97
; %bb.96:
	v_sub_f32_e32 v26, v32, v31
	s_mov_b32 s13, 0x3fb8aa3b
	v_mul_f32_e32 v27, 0x3fb8aa3b, v26
	v_fma_f32 v30, v26, s13, -v27
	v_rndne_f32_e32 v32, v27
	v_fmac_f32_e32 v30, 0x32a5705f, v26
	v_sub_f32_e32 v27, v27, v32
	v_add_f32_e32 v27, v27, v30
	v_exp_f32_e32 v27, v27
	v_cvt_i32_f32_e32 v30, v32
	s_mov_b32 s13, 0xc2ce8ed0
	v_cmp_ngt_f32_e32 vcc, s13, v26
	s_mov_b32 s13, 0x42b17218
	v_ldexp_f32 v27, v27, v30
	v_cndmask_b32_e32 v27, 0, v27, vcc
	v_mov_b32_e32 v30, 0x7f800000
	v_cmp_nlt_f32_e32 vcc, s13, v26
	v_cndmask_b32_e32 v86, v30, v27, vcc
	v_add_f32_e32 v30, 1.0, v86
	v_add_f32_e32 v26, -1.0, v30
	v_sub_f32_e32 v27, v26, v30
	v_add_f32_e32 v27, 1.0, v27
	v_sub_f32_e32 v26, v86, v26
	v_add_f32_e32 v32, v26, v27
	v_frexp_mant_f32_e32 v33, v30
	s_mov_b32 s13, 0x3f2aaaab
	v_cvt_f64_f32_e32 v[26:27], v30
	v_frexp_exp_i32_f64_e32 v26, v[26:27]
	v_cmp_gt_f32_e32 vcc, s13, v33
	v_subbrev_co_u32_e32 v98, vcc, 0, v26, vcc
	v_sub_u32_e32 v26, 0, v98
	v_ldexp_f32 v27, v30, v26
	v_add_f32_e32 v30, -1.0, v27
	v_add_f32_e32 v33, 1.0, v27
	v_ldexp_f32 v26, v32, v26
	v_add_f32_e32 v32, 1.0, v30
	v_add_f32_e32 v34, -1.0, v33
	v_sub_f32_e32 v32, v27, v32
	v_sub_f32_e32 v27, v27, v34
	v_add_f32_e32 v32, v26, v32
	v_add_f32_e32 v26, v26, v27
	;; [unrolled: 1-line block ×3, first 2 shown]
	v_rcp_f32_e32 v101, v99
	v_sub_f32_e32 v27, v33, v99
	v_add_f32_e32 v100, v26, v27
	v_add_f32_e32 v27, v30, v32
	v_sub_f32_e32 v26, v30, v27
	v_mul_f32_e32 v102, v27, v101
	v_add_f32_e32 v30, v32, v26
	v_mul_f32_e32 v32, v99, v102
	v_fma_f32 v34, v102, v99, -v32
	v_fmac_f32_e32 v34, v102, v100
	v_add_f32_e32 v26, v32, v34
	v_sub_f32_e32 v33, v27, v26
	v_pk_add_f32 v[96:97], v[26:27], v[32:33] neg_lo:[0,1] neg_hi:[0,1]
	v_mov_b32_e32 v35, v26
	v_pk_add_f32 v[26:27], v[96:97], v[34:35] neg_lo:[0,1] neg_hi:[0,1]
	v_add_f32_e32 v27, v30, v27
	v_add_f32_e32 v26, v26, v27
	;; [unrolled: 1-line block ×3, first 2 shown]
	v_mul_f32_e32 v30, v101, v27
	v_mul_f32_e32 v32, v99, v30
	v_fma_f32 v34, v30, v99, -v32
	v_fmac_f32_e32 v34, v30, v100
	v_sub_f32_e32 v33, v33, v27
	v_add_f32_e32 v99, v26, v33
	v_add_f32_e32 v26, v32, v34
	v_sub_f32_e32 v33, v27, v26
	v_pk_add_f32 v[96:97], v[26:27], v[32:33] neg_lo:[0,1] neg_hi:[0,1]
	v_mov_b32_e32 v35, v26
	v_pk_add_f32 v[26:27], v[96:97], v[34:35] neg_lo:[0,1] neg_hi:[0,1]
	v_add_f32_e32 v27, v99, v27
	v_add_f32_e32 v26, v26, v27
	;; [unrolled: 1-line block ×4, first 2 shown]
	v_sub_f32_e32 v27, v33, v102
	v_mul_f32_e32 v26, v101, v26
	v_sub_f32_e32 v27, v30, v27
	v_add_f32_e32 v26, v27, v26
	v_add_f32_e32 v30, v33, v26
	v_mul_f32_e32 v34, v30, v30
	v_mov_b32_e32 v32, 0x3ecc95a3
	v_fmac_f32_e32 v32, 0x3e9b6dac, v34
	v_mov_b32_e32 v27, 0x3f2aaada
	v_fmac_f32_e32 v27, v34, v32
	v_cvt_f32_i32_e32 v32, v98
	v_sub_f32_e32 v33, v30, v33
	v_sub_f32_e32 v26, v26, v33
	v_ldexp_f32 v96, v26, 1
	v_mul_f32_e32 v33, v30, v34
	v_mov_b32_e32 v26, 0x3f317218
	s_mov_b32 s13, 0x3f317218
	v_pk_mul_f32 v[26:27], v[32:33], v[26:27]
	v_fma_f32 v34, v32, s13, -v26
	v_ldexp_f32 v35, v30, 1
	v_fmac_f32_e32 v34, 0xb102e308, v32
	v_pk_add_f32 v[32:33], v[26:27], v[34:35]
	v_sub_f32_e32 v30, v33, v35
	v_sub_f32_e32 v30, v27, v30
	v_add_f32_e32 v97, v96, v30
	v_mov_b32_e32 v96, v26
	v_pk_add_f32 v[26:27], v[32:33], v[26:27] neg_lo:[0,1] neg_hi:[0,1]
	v_pk_add_f32 v[98:99], v[32:33], v[96:97]
	v_mov_b32_e32 v27, v99
	v_mov_b32_e32 v35, v32
	v_pk_add_f32 v[100:101], v[34:35], v[26:27] neg_lo:[0,1] neg_hi:[0,1]
	v_pk_add_f32 v[26:27], v[34:35], v[26:27]
	v_mov_b32_e32 v30, v27
	v_pk_add_f32 v[34:35], v[30:31], v[32:33] neg_lo:[0,1] neg_hi:[0,1]
	v_mov_b32_e32 v35, v34
	v_pk_add_f32 v[102:103], v[98:99], v[34:35] neg_lo:[0,1] neg_hi:[0,1]
	v_mov_b32_e32 v26, v99
	v_mov_b32_e32 v98, v33
	;; [unrolled: 1-line block ×4, first 2 shown]
	v_pk_add_f32 v[26:27], v[26:27], v[98:99] neg_lo:[0,1] neg_hi:[0,1]
	v_mov_b32_e32 v34, v97
	v_mov_b32_e32 v35, v32
	v_pk_add_f32 v[26:27], v[34:35], v[26:27] neg_lo:[0,1] neg_hi:[0,1]
	v_mov_b32_e32 v102, v100
	v_pk_add_f32 v[32:33], v[102:103], v[26:27]
	v_mov_b32_e32 v34, v33
	v_pk_add_f32 v[34:35], v[32:33], v[34:35]
	v_pk_add_f32 v[96:97], v[30:31], v[34:35]
	v_mov_b32_e32 v33, v96
	v_pk_add_f32 v[98:99], v[32:33], v[100:101] neg_lo:[0,1] neg_hi:[0,1]
	v_mov_b32_e32 v27, v34
	v_sub_f32_e32 v30, v32, v98
	v_pk_add_f32 v[26:27], v[26:27], v[98:99] neg_lo:[0,1] neg_hi:[0,1]
	v_sub_f32_e32 v30, v100, v30
	s_mov_b32 s56, 0x7f800000
	v_add_f32_e32 v26, v26, v30
	s_mov_b32 s13, 0x33800000
	v_add_f32_e32 v26, v26, v27
	v_cmp_eq_f32_e32 vcc, s56, v86
	v_cmp_lt_f32_e64 s[56:57], |v86|, s13
	v_add_f32_e32 v26, v96, v26
	s_or_b64 vcc, vcc, s[56:57]
	v_cndmask_b32_e32 v26, v26, v86, vcc
	v_add_f32_e32 v26, v31, v26
	v_cvt_f16_f32_e32 v27, v26
	v_cvt_f32_f16_e32 v30, v27
	v_mov_b32_e32 v26, v27
.LBB401_97:
	s_or_b64 exec, exec, s[52:53]
	v_cvt_f32_f16_sdwa v86, v15 dst_sel:DWORD dst_unused:UNUSED_PAD src0_sel:WORD_1
	v_max_f32_e32 v32, v30, v30
	v_cmp_u_f16_e32 vcc, v27, v27
	v_cmp_u_f16_sdwa s[52:53], v15, v15 src0_sel:WORD_1 src1_sel:WORD_1
	v_min_f32_e32 v31, v32, v86
	v_cndmask_b32_e32 v27, v31, v30, vcc
	v_cndmask_b32_e64 v31, v27, v86, s[52:53]
	v_max_f32_e32 v27, v32, v86
	v_cndmask_b32_e32 v27, v27, v30, vcc
	v_cndmask_b32_e64 v27, v27, v86, s[52:53]
	s_movk_i32 s13, 0x1f8
	v_cmp_neq_f32_e32 vcc, v31, v27
	v_cmp_class_f32_e64 s[56:57], v31, s13
	s_or_b64 vcc, vcc, s[56:57]
	s_and_saveexec_b64 s[56:57], vcc
	s_cbranch_execz .LBB401_99
; %bb.98:
	v_sub_f32_e32 v26, v31, v27
	s_mov_b32 s13, 0x3fb8aa3b
	v_mul_f32_e32 v30, 0x3fb8aa3b, v26
	v_fma_f32 v31, v26, s13, -v30
	v_rndne_f32_e32 v32, v30
	v_fmac_f32_e32 v31, 0x32a5705f, v26
	v_sub_f32_e32 v30, v30, v32
	v_add_f32_e32 v30, v30, v31
	v_exp_f32_e32 v30, v30
	v_cvt_i32_f32_e32 v31, v32
	s_mov_b32 s13, 0xc2ce8ed0
	v_cmp_ngt_f32_e32 vcc, s13, v26
	s_mov_b32 s13, 0x42b17218
	v_ldexp_f32 v30, v30, v31
	v_cndmask_b32_e32 v30, 0, v30, vcc
	v_mov_b32_e32 v31, 0x7f800000
	v_cmp_nlt_f32_e32 vcc, s13, v26
	v_cndmask_b32_e32 v112, v31, v30, vcc
	v_add_f32_e32 v26, 1.0, v112
	v_add_f32_e32 v30, -1.0, v26
	v_sub_f32_e32 v31, v30, v26
	v_add_f32_e32 v31, 1.0, v31
	v_sub_f32_e32 v30, v112, v30
	v_add_f32_e32 v32, v30, v31
	v_frexp_mant_f32_e32 v33, v26
	s_mov_b32 s13, 0x3f2aaaab
	v_cvt_f64_f32_e32 v[30:31], v26
	v_frexp_exp_i32_f64_e32 v30, v[30:31]
	v_cmp_gt_f32_e32 vcc, s13, v33
	v_subbrev_co_u32_e32 v98, vcc, 0, v30, vcc
	v_sub_u32_e32 v30, 0, v98
	v_ldexp_f32 v26, v26, v30
	v_ldexp_f32 v30, v32, v30
	v_add_f32_e32 v32, -1.0, v26
	v_add_f32_e32 v31, 1.0, v32
	v_sub_f32_e32 v31, v26, v31
	v_add_f32_e32 v33, v30, v31
	v_add_f32_e32 v31, 1.0, v26
	v_add_f32_e32 v34, -1.0, v31
	v_sub_f32_e32 v26, v26, v34
	v_add_f32_e32 v26, v30, v26
	v_add_f32_e32 v99, v31, v26
	v_rcp_f32_e32 v100, v99
	v_sub_f32_e32 v30, v31, v99
	v_add_f32_e32 v31, v32, v33
	v_add_f32_e32 v26, v26, v30
	v_mul_f32_e32 v102, v31, v100
	v_sub_f32_e32 v30, v32, v31
	v_mul_f32_e32 v32, v99, v102
	v_fma_f32 v34, v102, v99, -v32
	v_fmac_f32_e32 v34, v102, v26
	v_add_f32_e32 v101, v33, v30
	v_add_f32_e32 v30, v32, v34
	v_sub_f32_e32 v33, v31, v30
	v_pk_add_f32 v[96:97], v[30:31], v[32:33] neg_lo:[0,1] neg_hi:[0,1]
	v_mov_b32_e32 v35, v30
	v_pk_add_f32 v[30:31], v[96:97], v[34:35] neg_lo:[0,1] neg_hi:[0,1]
	v_add_f32_e32 v31, v101, v31
	v_add_f32_e32 v30, v30, v31
	;; [unrolled: 1-line block ×3, first 2 shown]
	v_mul_f32_e32 v101, v100, v31
	v_mul_f32_e32 v32, v99, v101
	v_fma_f32 v34, v101, v99, -v32
	v_fmac_f32_e32 v34, v101, v26
	v_sub_f32_e32 v26, v33, v31
	v_add_f32_e32 v26, v30, v26
	v_add_f32_e32 v30, v32, v34
	v_sub_f32_e32 v33, v31, v30
	v_pk_add_f32 v[96:97], v[30:31], v[32:33] neg_lo:[0,1] neg_hi:[0,1]
	v_mov_b32_e32 v35, v30
	v_pk_add_f32 v[30:31], v[96:97], v[34:35] neg_lo:[0,1] neg_hi:[0,1]
	v_add_f32_e32 v26, v26, v31
	v_add_f32_e32 v26, v30, v26
	;; [unrolled: 1-line block ×4, first 2 shown]
	v_sub_f32_e32 v31, v30, v102
	v_mul_f32_e32 v26, v100, v26
	v_sub_f32_e32 v31, v101, v31
	v_add_f32_e32 v26, v31, v26
	v_add_f32_e32 v33, v30, v26
	v_mul_f32_e32 v34, v33, v33
	v_mov_b32_e32 v32, 0x3ecc95a3
	v_fmac_f32_e32 v32, 0x3e9b6dac, v34
	v_mov_b32_e32 v31, 0x3f2aaada
	v_fmac_f32_e32 v31, v34, v32
	v_cvt_f32_i32_e32 v32, v98
	v_sub_f32_e32 v30, v33, v30
	v_sub_f32_e32 v26, v26, v30
	v_ldexp_f32 v35, v33, 1
	v_mul_f32_e32 v33, v33, v34
	v_mov_b32_e32 v30, 0x3f317218
	s_mov_b32 s13, 0x3f317218
	v_pk_mul_f32 v[30:31], v[32:33], v[30:31]
	v_fma_f32 v34, v32, s13, -v30
	v_fmac_f32_e32 v34, 0xb102e308, v32
	v_pk_add_f32 v[32:33], v[30:31], v[34:35]
	v_sub_f32_e32 v35, v33, v35
	v_ldexp_f32 v26, v26, 1
	v_sub_f32_e32 v35, v31, v35
	v_add_f32_e32 v97, v26, v35
	v_mov_b32_e32 v96, v30
	v_pk_add_f32 v[30:31], v[32:33], v[30:31] neg_lo:[0,1] neg_hi:[0,1]
	v_pk_add_f32 v[98:99], v[32:33], v[96:97]
	v_mov_b32_e32 v31, v99
	v_mov_b32_e32 v35, v32
	v_pk_add_f32 v[100:101], v[34:35], v[30:31] neg_lo:[0,1] neg_hi:[0,1]
	v_pk_add_f32 v[30:31], v[34:35], v[30:31]
	v_mov_b32_e32 v26, v31
	v_pk_add_f32 v[34:35], v[26:27], v[32:33] neg_lo:[0,1] neg_hi:[0,1]
	v_mov_b32_e32 v35, v34
	v_pk_add_f32 v[102:103], v[98:99], v[34:35] neg_lo:[0,1] neg_hi:[0,1]
	v_mov_b32_e32 v30, v99
	v_mov_b32_e32 v98, v33
	;; [unrolled: 1-line block ×4, first 2 shown]
	v_pk_add_f32 v[30:31], v[30:31], v[98:99] neg_lo:[0,1] neg_hi:[0,1]
	v_mov_b32_e32 v34, v97
	v_mov_b32_e32 v35, v32
	v_pk_add_f32 v[30:31], v[34:35], v[30:31] neg_lo:[0,1] neg_hi:[0,1]
	v_mov_b32_e32 v102, v100
	v_pk_add_f32 v[32:33], v[102:103], v[30:31]
	v_mov_b32_e32 v34, v33
	v_pk_add_f32 v[34:35], v[32:33], v[34:35]
	v_pk_add_f32 v[96:97], v[26:27], v[34:35]
	v_mov_b32_e32 v33, v96
	v_pk_add_f32 v[98:99], v[32:33], v[100:101] neg_lo:[0,1] neg_hi:[0,1]
	v_mov_b32_e32 v31, v34
	v_sub_f32_e32 v26, v32, v98
	v_pk_add_f32 v[30:31], v[30:31], v[98:99] neg_lo:[0,1] neg_hi:[0,1]
	v_sub_f32_e32 v26, v100, v26
	s_mov_b32 s60, 0x7f800000
	v_add_f32_e32 v26, v30, v26
	s_mov_b32 s13, 0x33800000
	v_add_f32_e32 v26, v26, v31
	v_cmp_eq_f32_e32 vcc, s60, v112
	v_cmp_lt_f32_e64 s[60:61], |v112|, s13
	v_add_f32_e32 v26, v96, v26
	s_or_b64 vcc, vcc, s[60:61]
	v_cndmask_b32_e32 v26, v26, v112, vcc
	v_add_f32_e32 v26, v27, v26
	v_cvt_f16_f32_e32 v26, v26
.LBB401_99:
	s_or_b64 exec, exec, s[56:57]
	v_mbcnt_lo_u32_b32 v27, -1, 0
	v_mbcnt_hi_u32_b32 v27, -1, v27
	v_and_b32_e32 v30, 15, v27
	v_and_b32_e32 v31, 0xffff, v26
	v_cmp_ne_u32_e32 vcc, 0, v30
	s_nop 0
	v_mov_b32_dpp v32, v31 row_shr:1 row_mask:0xf bank_mask:0xf
	s_and_saveexec_b64 s[60:61], vcc
	s_cbranch_execz .LBB401_103
; %bb.100:
	v_cvt_f32_f16_e32 v33, v32
	v_cvt_f32_f16_e32 v34, v26
	v_cmp_u_f16_e32 vcc, v32, v32
	v_cmp_u_f16_e64 s[56:57], v26, v26
	s_movk_i32 s13, 0x1f8
	v_min_f32_e32 v31, v33, v34
	v_max_f32_e32 v26, v33, v34
	v_cndmask_b32_e32 v31, v31, v33, vcc
	v_cndmask_b32_e32 v26, v26, v33, vcc
	v_cndmask_b32_e64 v31, v31, v34, s[56:57]
	v_cndmask_b32_e64 v26, v26, v34, s[56:57]
	v_cmp_neq_f32_e32 vcc, v31, v26
	v_cmp_class_f32_e64 s[56:57], v31, s13
	s_or_b64 vcc, vcc, s[56:57]
	s_and_saveexec_b64 s[56:57], vcc
	s_cbranch_execz .LBB401_102
; %bb.101:
	v_sub_f32_e32 v31, v31, v26
	s_mov_b32 s13, 0x3fb8aa3b
	v_mul_f32_e32 v32, 0x3fb8aa3b, v31
	v_fma_f32 v33, v31, s13, -v32
	v_rndne_f32_e32 v34, v32
	v_fmac_f32_e32 v33, 0x32a5705f, v31
	v_sub_f32_e32 v32, v32, v34
	v_add_f32_e32 v32, v32, v33
	v_exp_f32_e32 v32, v32
	v_cvt_i32_f32_e32 v33, v34
	s_mov_b32 s13, 0xc2ce8ed0
	v_cmp_ngt_f32_e32 vcc, s13, v31
	s_mov_b32 s13, 0x42b17218
	v_ldexp_f32 v32, v32, v33
	v_cndmask_b32_e32 v32, 0, v32, vcc
	v_mov_b32_e32 v33, 0x7f800000
	v_cmp_nlt_f32_e32 vcc, s13, v31
	v_cndmask_b32_e32 v116, v33, v32, vcc
	v_add_f32_e32 v31, 1.0, v116
	v_add_f32_e32 v32, -1.0, v31
	v_sub_f32_e32 v33, v32, v31
	v_add_f32_e32 v33, 1.0, v33
	v_sub_f32_e32 v32, v116, v32
	v_add_f32_e32 v34, v32, v33
	v_frexp_mant_f32_e32 v35, v31
	s_mov_b32 s13, 0x3f2aaaab
	v_cvt_f64_f32_e32 v[32:33], v31
	v_frexp_exp_i32_f64_e32 v32, v[32:33]
	v_cmp_gt_f32_e32 vcc, s13, v35
	v_subbrev_co_u32_e32 v100, vcc, 0, v32, vcc
	v_sub_u32_e32 v32, 0, v100
	v_ldexp_f32 v31, v31, v32
	v_ldexp_f32 v32, v34, v32
	v_add_f32_e32 v34, -1.0, v31
	v_add_f32_e32 v33, 1.0, v34
	v_sub_f32_e32 v33, v31, v33
	v_add_f32_e32 v35, v32, v33
	v_add_f32_e32 v33, 1.0, v31
	v_add_f32_e32 v96, -1.0, v33
	v_sub_f32_e32 v31, v31, v96
	v_add_f32_e32 v31, v32, v31
	v_add_f32_e32 v101, v33, v31
	v_rcp_f32_e32 v102, v101
	v_sub_f32_e32 v32, v33, v101
	v_add_f32_e32 v33, v34, v35
	v_add_f32_e32 v31, v31, v32
	v_mul_f32_e32 v112, v33, v102
	v_sub_f32_e32 v32, v34, v33
	v_mul_f32_e32 v34, v101, v112
	v_fma_f32 v96, v112, v101, -v34
	v_fmac_f32_e32 v96, v112, v31
	v_add_f32_e32 v103, v35, v32
	v_add_f32_e32 v32, v34, v96
	v_sub_f32_e32 v35, v33, v32
	v_pk_add_f32 v[98:99], v[32:33], v[34:35] neg_lo:[0,1] neg_hi:[0,1]
	v_mov_b32_e32 v97, v32
	v_pk_add_f32 v[32:33], v[98:99], v[96:97] neg_lo:[0,1] neg_hi:[0,1]
	v_add_f32_e32 v33, v103, v33
	v_add_f32_e32 v32, v32, v33
	;; [unrolled: 1-line block ×3, first 2 shown]
	v_mul_f32_e32 v103, v102, v33
	v_mul_f32_e32 v34, v101, v103
	v_fma_f32 v96, v103, v101, -v34
	v_fmac_f32_e32 v96, v103, v31
	v_sub_f32_e32 v31, v35, v33
	v_add_f32_e32 v31, v32, v31
	v_add_f32_e32 v32, v34, v96
	v_sub_f32_e32 v35, v33, v32
	v_pk_add_f32 v[98:99], v[32:33], v[34:35] neg_lo:[0,1] neg_hi:[0,1]
	v_mov_b32_e32 v97, v32
	v_pk_add_f32 v[32:33], v[98:99], v[96:97] neg_lo:[0,1] neg_hi:[0,1]
	v_add_f32_e32 v31, v31, v33
	v_add_f32_e32 v31, v32, v31
	;; [unrolled: 1-line block ×4, first 2 shown]
	v_sub_f32_e32 v33, v32, v112
	v_mul_f32_e32 v31, v102, v31
	v_sub_f32_e32 v33, v103, v33
	v_add_f32_e32 v31, v33, v31
	v_add_f32_e32 v35, v32, v31
	v_mul_f32_e32 v96, v35, v35
	v_mov_b32_e32 v34, 0x3ecc95a3
	v_fmac_f32_e32 v34, 0x3e9b6dac, v96
	v_mov_b32_e32 v33, 0x3f2aaada
	v_fmac_f32_e32 v33, v96, v34
	v_cvt_f32_i32_e32 v34, v100
	v_sub_f32_e32 v32, v35, v32
	v_sub_f32_e32 v31, v31, v32
	v_ldexp_f32 v97, v35, 1
	v_mul_f32_e32 v35, v35, v96
	v_mov_b32_e32 v32, 0x3f317218
	s_mov_b32 s13, 0x3f317218
	v_pk_mul_f32 v[32:33], v[34:35], v[32:33]
	v_fma_f32 v96, v34, s13, -v32
	v_fmac_f32_e32 v96, 0xb102e308, v34
	v_pk_add_f32 v[34:35], v[32:33], v[96:97]
	v_sub_f32_e32 v97, v35, v97
	v_ldexp_f32 v31, v31, 1
	v_sub_f32_e32 v97, v33, v97
	v_add_f32_e32 v99, v31, v97
	v_mov_b32_e32 v98, v32
	v_pk_add_f32 v[32:33], v[34:35], v[32:33] neg_lo:[0,1] neg_hi:[0,1]
	v_pk_add_f32 v[100:101], v[34:35], v[98:99]
	v_mov_b32_e32 v33, v101
	v_mov_b32_e32 v97, v34
	v_pk_add_f32 v[102:103], v[96:97], v[32:33] neg_lo:[0,1] neg_hi:[0,1]
	v_pk_add_f32 v[32:33], v[96:97], v[32:33]
	v_mov_b32_e32 v96, v33
	v_pk_add_f32 v[112:113], v[96:97], v[34:35] neg_lo:[0,1] neg_hi:[0,1]
	v_mov_b32_e32 v31, v112
	v_pk_add_f32 v[114:115], v[100:101], v[30:31] neg_lo:[0,1] neg_hi:[0,1]
	v_mov_b32_e32 v32, v101
	v_mov_b32_e32 v100, v35
	;; [unrolled: 1-line block ×4, first 2 shown]
	v_pk_add_f32 v[32:33], v[32:33], v[100:101] neg_lo:[0,1] neg_hi:[0,1]
	v_mov_b32_e32 v98, v99
	v_mov_b32_e32 v99, v34
	v_pk_add_f32 v[32:33], v[98:99], v[32:33] neg_lo:[0,1] neg_hi:[0,1]
	v_mov_b32_e32 v114, v102
	v_pk_add_f32 v[34:35], v[114:115], v[32:33]
	v_mov_b32_e32 v98, v35
	v_pk_add_f32 v[98:99], v[34:35], v[98:99]
	v_pk_add_f32 v[96:97], v[96:97], v[98:99]
	v_mov_b32_e32 v35, v96
	v_pk_add_f32 v[100:101], v[34:35], v[102:103] neg_lo:[0,1] neg_hi:[0,1]
	v_mov_b32_e32 v33, v98
	v_sub_f32_e32 v31, v34, v100
	v_pk_add_f32 v[32:33], v[32:33], v[100:101] neg_lo:[0,1] neg_hi:[0,1]
	v_sub_f32_e32 v31, v102, v31
	s_mov_b32 s64, 0x7f800000
	v_add_f32_e32 v31, v32, v31
	s_mov_b32 s13, 0x33800000
	v_add_f32_e32 v31, v31, v33
	v_cmp_eq_f32_e32 vcc, s64, v116
	v_cmp_lt_f32_e64 s[64:65], |v116|, s13
	v_add_f32_e32 v31, v96, v31
	s_or_b64 vcc, vcc, s[64:65]
	v_cndmask_b32_e32 v31, v31, v116, vcc
	v_add_f32_e32 v26, v26, v31
	v_cvt_f16_f32_e32 v32, v26
.LBB401_102:
	s_or_b64 exec, exec, s[56:57]
	v_and_b32_e32 v31, 0xffff, v32
	v_mov_b32_e32 v26, v32
.LBB401_103:
	s_or_b64 exec, exec, s[60:61]
	v_mov_b32_dpp v32, v31 row_shr:2 row_mask:0xf bank_mask:0xf
	v_cmp_lt_u32_e32 vcc, 1, v30
	s_and_saveexec_b64 s[60:61], vcc
	s_cbranch_execz .LBB401_107
; %bb.104:
	v_cvt_f32_f16_e32 v33, v32
	v_cvt_f32_f16_e32 v34, v26
	v_cmp_u_f16_e32 vcc, v32, v32
	v_cmp_u_f16_e64 s[56:57], v26, v26
	s_movk_i32 s13, 0x1f8
	v_min_f32_e32 v31, v33, v34
	v_max_f32_e32 v26, v33, v34
	v_cndmask_b32_e32 v31, v31, v33, vcc
	v_cndmask_b32_e32 v26, v26, v33, vcc
	v_cndmask_b32_e64 v31, v31, v34, s[56:57]
	v_cndmask_b32_e64 v26, v26, v34, s[56:57]
	v_cmp_neq_f32_e32 vcc, v31, v26
	v_cmp_class_f32_e64 s[56:57], v31, s13
	s_or_b64 vcc, vcc, s[56:57]
	s_and_saveexec_b64 s[56:57], vcc
	s_cbranch_execz .LBB401_106
; %bb.105:
	v_sub_f32_e32 v31, v31, v26
	s_mov_b32 s13, 0x3fb8aa3b
	v_mul_f32_e32 v32, 0x3fb8aa3b, v31
	v_fma_f32 v33, v31, s13, -v32
	v_rndne_f32_e32 v34, v32
	v_fmac_f32_e32 v33, 0x32a5705f, v31
	v_sub_f32_e32 v32, v32, v34
	v_add_f32_e32 v32, v32, v33
	v_exp_f32_e32 v32, v32
	v_cvt_i32_f32_e32 v33, v34
	s_mov_b32 s13, 0xc2ce8ed0
	v_cmp_ngt_f32_e32 vcc, s13, v31
	s_mov_b32 s13, 0x42b17218
	v_ldexp_f32 v32, v32, v33
	v_cndmask_b32_e32 v32, 0, v32, vcc
	v_mov_b32_e32 v33, 0x7f800000
	v_cmp_nlt_f32_e32 vcc, s13, v31
	v_cndmask_b32_e32 v116, v33, v32, vcc
	v_add_f32_e32 v31, 1.0, v116
	v_add_f32_e32 v32, -1.0, v31
	v_sub_f32_e32 v33, v32, v31
	v_add_f32_e32 v33, 1.0, v33
	v_sub_f32_e32 v32, v116, v32
	v_add_f32_e32 v34, v32, v33
	v_frexp_mant_f32_e32 v35, v31
	s_mov_b32 s13, 0x3f2aaaab
	v_cvt_f64_f32_e32 v[32:33], v31
	v_frexp_exp_i32_f64_e32 v32, v[32:33]
	v_cmp_gt_f32_e32 vcc, s13, v35
	v_subbrev_co_u32_e32 v100, vcc, 0, v32, vcc
	v_sub_u32_e32 v32, 0, v100
	v_ldexp_f32 v31, v31, v32
	v_ldexp_f32 v32, v34, v32
	v_add_f32_e32 v34, -1.0, v31
	v_add_f32_e32 v33, 1.0, v34
	v_sub_f32_e32 v33, v31, v33
	v_add_f32_e32 v35, v32, v33
	v_add_f32_e32 v33, 1.0, v31
	v_add_f32_e32 v96, -1.0, v33
	v_sub_f32_e32 v31, v31, v96
	v_add_f32_e32 v31, v32, v31
	v_add_f32_e32 v101, v33, v31
	v_rcp_f32_e32 v102, v101
	v_sub_f32_e32 v32, v33, v101
	v_add_f32_e32 v33, v34, v35
	v_add_f32_e32 v31, v31, v32
	v_mul_f32_e32 v112, v33, v102
	v_sub_f32_e32 v32, v34, v33
	v_mul_f32_e32 v34, v101, v112
	v_fma_f32 v96, v112, v101, -v34
	v_fmac_f32_e32 v96, v112, v31
	v_add_f32_e32 v103, v35, v32
	v_add_f32_e32 v32, v34, v96
	v_sub_f32_e32 v35, v33, v32
	v_pk_add_f32 v[98:99], v[32:33], v[34:35] neg_lo:[0,1] neg_hi:[0,1]
	v_mov_b32_e32 v97, v32
	v_pk_add_f32 v[32:33], v[98:99], v[96:97] neg_lo:[0,1] neg_hi:[0,1]
	v_add_f32_e32 v33, v103, v33
	v_add_f32_e32 v32, v32, v33
	;; [unrolled: 1-line block ×3, first 2 shown]
	v_mul_f32_e32 v103, v102, v33
	v_mul_f32_e32 v34, v101, v103
	v_fma_f32 v96, v103, v101, -v34
	v_fmac_f32_e32 v96, v103, v31
	v_sub_f32_e32 v31, v35, v33
	v_add_f32_e32 v31, v32, v31
	v_add_f32_e32 v32, v34, v96
	v_sub_f32_e32 v35, v33, v32
	v_pk_add_f32 v[98:99], v[32:33], v[34:35] neg_lo:[0,1] neg_hi:[0,1]
	v_mov_b32_e32 v97, v32
	v_pk_add_f32 v[32:33], v[98:99], v[96:97] neg_lo:[0,1] neg_hi:[0,1]
	v_add_f32_e32 v31, v31, v33
	v_add_f32_e32 v31, v32, v31
	;; [unrolled: 1-line block ×4, first 2 shown]
	v_sub_f32_e32 v33, v32, v112
	v_mul_f32_e32 v31, v102, v31
	v_sub_f32_e32 v33, v103, v33
	v_add_f32_e32 v31, v33, v31
	v_add_f32_e32 v35, v32, v31
	v_mul_f32_e32 v96, v35, v35
	v_mov_b32_e32 v34, 0x3ecc95a3
	v_fmac_f32_e32 v34, 0x3e9b6dac, v96
	v_mov_b32_e32 v33, 0x3f2aaada
	v_fmac_f32_e32 v33, v96, v34
	v_cvt_f32_i32_e32 v34, v100
	v_sub_f32_e32 v32, v35, v32
	v_sub_f32_e32 v31, v31, v32
	v_ldexp_f32 v97, v35, 1
	v_mul_f32_e32 v35, v35, v96
	v_mov_b32_e32 v32, 0x3f317218
	s_mov_b32 s13, 0x3f317218
	v_pk_mul_f32 v[32:33], v[34:35], v[32:33]
	v_fma_f32 v96, v34, s13, -v32
	v_fmac_f32_e32 v96, 0xb102e308, v34
	v_pk_add_f32 v[34:35], v[32:33], v[96:97]
	v_sub_f32_e32 v97, v35, v97
	v_ldexp_f32 v31, v31, 1
	v_sub_f32_e32 v97, v33, v97
	v_add_f32_e32 v99, v31, v97
	v_mov_b32_e32 v98, v32
	v_pk_add_f32 v[32:33], v[34:35], v[32:33] neg_lo:[0,1] neg_hi:[0,1]
	v_pk_add_f32 v[100:101], v[34:35], v[98:99]
	v_mov_b32_e32 v33, v101
	v_mov_b32_e32 v97, v34
	v_pk_add_f32 v[102:103], v[96:97], v[32:33] neg_lo:[0,1] neg_hi:[0,1]
	v_pk_add_f32 v[32:33], v[96:97], v[32:33]
	v_mov_b32_e32 v96, v33
	v_pk_add_f32 v[112:113], v[96:97], v[34:35] neg_lo:[0,1] neg_hi:[0,1]
	v_mov_b32_e32 v31, v112
	v_pk_add_f32 v[114:115], v[100:101], v[30:31] neg_lo:[0,1] neg_hi:[0,1]
	v_mov_b32_e32 v32, v101
	v_mov_b32_e32 v100, v35
	;; [unrolled: 1-line block ×4, first 2 shown]
	v_pk_add_f32 v[32:33], v[32:33], v[100:101] neg_lo:[0,1] neg_hi:[0,1]
	v_mov_b32_e32 v98, v99
	v_mov_b32_e32 v99, v34
	v_pk_add_f32 v[32:33], v[98:99], v[32:33] neg_lo:[0,1] neg_hi:[0,1]
	v_mov_b32_e32 v114, v102
	v_pk_add_f32 v[34:35], v[114:115], v[32:33]
	v_mov_b32_e32 v98, v35
	v_pk_add_f32 v[98:99], v[34:35], v[98:99]
	v_pk_add_f32 v[96:97], v[96:97], v[98:99]
	v_mov_b32_e32 v35, v96
	v_pk_add_f32 v[100:101], v[34:35], v[102:103] neg_lo:[0,1] neg_hi:[0,1]
	v_mov_b32_e32 v33, v98
	v_sub_f32_e32 v31, v34, v100
	v_pk_add_f32 v[32:33], v[32:33], v[100:101] neg_lo:[0,1] neg_hi:[0,1]
	v_sub_f32_e32 v31, v102, v31
	s_mov_b32 s64, 0x7f800000
	v_add_f32_e32 v31, v32, v31
	s_mov_b32 s13, 0x33800000
	v_add_f32_e32 v31, v31, v33
	v_cmp_eq_f32_e32 vcc, s64, v116
	v_cmp_lt_f32_e64 s[64:65], |v116|, s13
	v_add_f32_e32 v31, v96, v31
	s_or_b64 vcc, vcc, s[64:65]
	v_cndmask_b32_e32 v31, v31, v116, vcc
	v_add_f32_e32 v26, v26, v31
	v_cvt_f16_f32_e32 v32, v26
.LBB401_106:
	s_or_b64 exec, exec, s[56:57]
	v_and_b32_e32 v31, 0xffff, v32
	v_mov_b32_e32 v26, v32
.LBB401_107:
	s_or_b64 exec, exec, s[60:61]
	v_mov_b32_dpp v32, v31 row_shr:4 row_mask:0xf bank_mask:0xf
	v_cmp_lt_u32_e32 vcc, 3, v30
	s_and_saveexec_b64 s[60:61], vcc
	s_cbranch_execz .LBB401_111
; %bb.108:
	v_cvt_f32_f16_e32 v33, v32
	v_cvt_f32_f16_e32 v34, v26
	v_cmp_u_f16_e32 vcc, v32, v32
	v_cmp_u_f16_e64 s[56:57], v26, v26
	s_movk_i32 s13, 0x1f8
	v_min_f32_e32 v31, v33, v34
	v_max_f32_e32 v26, v33, v34
	v_cndmask_b32_e32 v31, v31, v33, vcc
	v_cndmask_b32_e32 v26, v26, v33, vcc
	v_cndmask_b32_e64 v31, v31, v34, s[56:57]
	v_cndmask_b32_e64 v26, v26, v34, s[56:57]
	v_cmp_neq_f32_e32 vcc, v31, v26
	v_cmp_class_f32_e64 s[56:57], v31, s13
	s_or_b64 vcc, vcc, s[56:57]
	s_and_saveexec_b64 s[56:57], vcc
	s_cbranch_execz .LBB401_110
; %bb.109:
	v_sub_f32_e32 v31, v31, v26
	s_mov_b32 s13, 0x3fb8aa3b
	v_mul_f32_e32 v32, 0x3fb8aa3b, v31
	v_fma_f32 v33, v31, s13, -v32
	v_rndne_f32_e32 v34, v32
	v_fmac_f32_e32 v33, 0x32a5705f, v31
	v_sub_f32_e32 v32, v32, v34
	v_add_f32_e32 v32, v32, v33
	v_exp_f32_e32 v32, v32
	v_cvt_i32_f32_e32 v33, v34
	s_mov_b32 s13, 0xc2ce8ed0
	v_cmp_ngt_f32_e32 vcc, s13, v31
	s_mov_b32 s13, 0x42b17218
	v_ldexp_f32 v32, v32, v33
	v_cndmask_b32_e32 v32, 0, v32, vcc
	v_mov_b32_e32 v33, 0x7f800000
	v_cmp_nlt_f32_e32 vcc, s13, v31
	v_cndmask_b32_e32 v116, v33, v32, vcc
	v_add_f32_e32 v31, 1.0, v116
	v_add_f32_e32 v32, -1.0, v31
	v_sub_f32_e32 v33, v32, v31
	v_add_f32_e32 v33, 1.0, v33
	v_sub_f32_e32 v32, v116, v32
	v_add_f32_e32 v34, v32, v33
	v_frexp_mant_f32_e32 v35, v31
	s_mov_b32 s13, 0x3f2aaaab
	v_cvt_f64_f32_e32 v[32:33], v31
	v_frexp_exp_i32_f64_e32 v32, v[32:33]
	v_cmp_gt_f32_e32 vcc, s13, v35
	v_subbrev_co_u32_e32 v100, vcc, 0, v32, vcc
	v_sub_u32_e32 v32, 0, v100
	v_ldexp_f32 v31, v31, v32
	v_ldexp_f32 v32, v34, v32
	v_add_f32_e32 v34, -1.0, v31
	v_add_f32_e32 v33, 1.0, v34
	v_sub_f32_e32 v33, v31, v33
	v_add_f32_e32 v35, v32, v33
	v_add_f32_e32 v33, 1.0, v31
	v_add_f32_e32 v96, -1.0, v33
	v_sub_f32_e32 v31, v31, v96
	v_add_f32_e32 v31, v32, v31
	v_add_f32_e32 v101, v33, v31
	v_rcp_f32_e32 v102, v101
	v_sub_f32_e32 v32, v33, v101
	v_add_f32_e32 v33, v34, v35
	v_add_f32_e32 v31, v31, v32
	v_mul_f32_e32 v112, v33, v102
	v_sub_f32_e32 v32, v34, v33
	v_mul_f32_e32 v34, v101, v112
	v_fma_f32 v96, v112, v101, -v34
	v_fmac_f32_e32 v96, v112, v31
	v_add_f32_e32 v103, v35, v32
	v_add_f32_e32 v32, v34, v96
	v_sub_f32_e32 v35, v33, v32
	v_pk_add_f32 v[98:99], v[32:33], v[34:35] neg_lo:[0,1] neg_hi:[0,1]
	v_mov_b32_e32 v97, v32
	v_pk_add_f32 v[32:33], v[98:99], v[96:97] neg_lo:[0,1] neg_hi:[0,1]
	v_add_f32_e32 v33, v103, v33
	v_add_f32_e32 v32, v32, v33
	;; [unrolled: 1-line block ×3, first 2 shown]
	v_mul_f32_e32 v103, v102, v33
	v_mul_f32_e32 v34, v101, v103
	v_fma_f32 v96, v103, v101, -v34
	v_fmac_f32_e32 v96, v103, v31
	v_sub_f32_e32 v31, v35, v33
	v_add_f32_e32 v31, v32, v31
	v_add_f32_e32 v32, v34, v96
	v_sub_f32_e32 v35, v33, v32
	v_pk_add_f32 v[98:99], v[32:33], v[34:35] neg_lo:[0,1] neg_hi:[0,1]
	v_mov_b32_e32 v97, v32
	v_pk_add_f32 v[32:33], v[98:99], v[96:97] neg_lo:[0,1] neg_hi:[0,1]
	v_add_f32_e32 v31, v31, v33
	v_add_f32_e32 v31, v32, v31
	v_add_f32_e32 v32, v112, v103
	v_add_f32_e32 v31, v35, v31
	v_sub_f32_e32 v33, v32, v112
	v_mul_f32_e32 v31, v102, v31
	v_sub_f32_e32 v33, v103, v33
	v_add_f32_e32 v31, v33, v31
	v_add_f32_e32 v35, v32, v31
	v_mul_f32_e32 v96, v35, v35
	v_mov_b32_e32 v34, 0x3ecc95a3
	v_fmac_f32_e32 v34, 0x3e9b6dac, v96
	v_mov_b32_e32 v33, 0x3f2aaada
	v_fmac_f32_e32 v33, v96, v34
	v_cvt_f32_i32_e32 v34, v100
	v_sub_f32_e32 v32, v35, v32
	v_sub_f32_e32 v31, v31, v32
	v_ldexp_f32 v97, v35, 1
	v_mul_f32_e32 v35, v35, v96
	v_mov_b32_e32 v32, 0x3f317218
	s_mov_b32 s13, 0x3f317218
	v_pk_mul_f32 v[32:33], v[34:35], v[32:33]
	v_fma_f32 v96, v34, s13, -v32
	v_fmac_f32_e32 v96, 0xb102e308, v34
	v_pk_add_f32 v[34:35], v[32:33], v[96:97]
	v_sub_f32_e32 v97, v35, v97
	v_ldexp_f32 v31, v31, 1
	v_sub_f32_e32 v97, v33, v97
	v_add_f32_e32 v99, v31, v97
	v_mov_b32_e32 v98, v32
	v_pk_add_f32 v[32:33], v[34:35], v[32:33] neg_lo:[0,1] neg_hi:[0,1]
	v_pk_add_f32 v[100:101], v[34:35], v[98:99]
	v_mov_b32_e32 v33, v101
	v_mov_b32_e32 v97, v34
	v_pk_add_f32 v[102:103], v[96:97], v[32:33] neg_lo:[0,1] neg_hi:[0,1]
	v_pk_add_f32 v[32:33], v[96:97], v[32:33]
	v_mov_b32_e32 v96, v33
	v_pk_add_f32 v[112:113], v[96:97], v[34:35] neg_lo:[0,1] neg_hi:[0,1]
	v_mov_b32_e32 v31, v112
	v_pk_add_f32 v[114:115], v[100:101], v[30:31] neg_lo:[0,1] neg_hi:[0,1]
	v_mov_b32_e32 v32, v101
	v_mov_b32_e32 v100, v35
	;; [unrolled: 1-line block ×4, first 2 shown]
	v_pk_add_f32 v[32:33], v[32:33], v[100:101] neg_lo:[0,1] neg_hi:[0,1]
	v_mov_b32_e32 v98, v99
	v_mov_b32_e32 v99, v34
	v_pk_add_f32 v[32:33], v[98:99], v[32:33] neg_lo:[0,1] neg_hi:[0,1]
	v_mov_b32_e32 v114, v102
	v_pk_add_f32 v[34:35], v[114:115], v[32:33]
	v_mov_b32_e32 v98, v35
	v_pk_add_f32 v[98:99], v[34:35], v[98:99]
	v_pk_add_f32 v[96:97], v[96:97], v[98:99]
	v_mov_b32_e32 v35, v96
	v_pk_add_f32 v[100:101], v[34:35], v[102:103] neg_lo:[0,1] neg_hi:[0,1]
	v_mov_b32_e32 v33, v98
	v_sub_f32_e32 v31, v34, v100
	v_pk_add_f32 v[32:33], v[32:33], v[100:101] neg_lo:[0,1] neg_hi:[0,1]
	v_sub_f32_e32 v31, v102, v31
	s_mov_b32 s64, 0x7f800000
	v_add_f32_e32 v31, v32, v31
	s_mov_b32 s13, 0x33800000
	v_add_f32_e32 v31, v31, v33
	v_cmp_eq_f32_e32 vcc, s64, v116
	v_cmp_lt_f32_e64 s[64:65], |v116|, s13
	v_add_f32_e32 v31, v96, v31
	s_or_b64 vcc, vcc, s[64:65]
	v_cndmask_b32_e32 v31, v31, v116, vcc
	v_add_f32_e32 v26, v26, v31
	v_cvt_f16_f32_e32 v32, v26
.LBB401_110:
	s_or_b64 exec, exec, s[56:57]
	v_and_b32_e32 v31, 0xffff, v32
	v_mov_b32_e32 v26, v32
.LBB401_111:
	s_or_b64 exec, exec, s[60:61]
	v_mov_b32_dpp v32, v31 row_shr:8 row_mask:0xf bank_mask:0xf
	v_cmp_lt_u32_e32 vcc, 7, v30
	s_and_saveexec_b64 s[60:61], vcc
	s_cbranch_execz .LBB401_115
; %bb.112:
	v_cvt_f32_f16_e32 v31, v32
	v_cvt_f32_f16_e32 v33, v26
	v_cmp_u_f16_e32 vcc, v32, v32
	v_cmp_u_f16_e64 s[56:57], v26, v26
	s_movk_i32 s13, 0x1f8
	v_min_f32_e32 v30, v31, v33
	v_max_f32_e32 v26, v31, v33
	v_cndmask_b32_e32 v30, v30, v31, vcc
	v_cndmask_b32_e32 v26, v26, v31, vcc
	v_cndmask_b32_e64 v30, v30, v33, s[56:57]
	v_cndmask_b32_e64 v26, v26, v33, s[56:57]
	v_cmp_neq_f32_e32 vcc, v30, v26
	v_cmp_class_f32_e64 s[56:57], v30, s13
	s_or_b64 vcc, vcc, s[56:57]
	s_and_saveexec_b64 s[56:57], vcc
	s_cbranch_execz .LBB401_114
; %bb.113:
	v_sub_f32_e32 v30, v30, v26
	s_mov_b32 s13, 0x3fb8aa3b
	v_mul_f32_e32 v31, 0x3fb8aa3b, v30
	v_fma_f32 v32, v30, s13, -v31
	v_rndne_f32_e32 v33, v31
	v_fmac_f32_e32 v32, 0x32a5705f, v30
	v_sub_f32_e32 v31, v31, v33
	v_add_f32_e32 v31, v31, v32
	v_exp_f32_e32 v31, v31
	v_cvt_i32_f32_e32 v32, v33
	s_mov_b32 s13, 0xc2ce8ed0
	v_cmp_ngt_f32_e32 vcc, s13, v30
	s_mov_b32 s13, 0x42b17218
	v_ldexp_f32 v31, v31, v32
	v_cndmask_b32_e32 v31, 0, v31, vcc
	v_mov_b32_e32 v32, 0x7f800000
	v_cmp_nlt_f32_e32 vcc, s13, v30
	v_cndmask_b32_e32 v114, v32, v31, vcc
	v_add_f32_e32 v32, 1.0, v114
	v_add_f32_e32 v30, -1.0, v32
	v_sub_f32_e32 v31, v30, v32
	v_add_f32_e32 v31, 1.0, v31
	v_sub_f32_e32 v30, v114, v30
	v_add_f32_e32 v33, v30, v31
	v_frexp_mant_f32_e32 v34, v32
	s_mov_b32 s13, 0x3f2aaaab
	v_cvt_f64_f32_e32 v[30:31], v32
	v_frexp_exp_i32_f64_e32 v30, v[30:31]
	v_cmp_gt_f32_e32 vcc, s13, v34
	v_subbrev_co_u32_e32 v98, vcc, 0, v30, vcc
	v_sub_u32_e32 v30, 0, v98
	v_ldexp_f32 v31, v32, v30
	v_add_f32_e32 v32, -1.0, v31
	v_add_f32_e32 v34, 1.0, v31
	v_ldexp_f32 v30, v33, v30
	v_add_f32_e32 v33, 1.0, v32
	v_add_f32_e32 v35, -1.0, v34
	v_sub_f32_e32 v33, v31, v33
	v_sub_f32_e32 v31, v31, v35
	v_add_f32_e32 v33, v30, v33
	v_add_f32_e32 v30, v30, v31
	;; [unrolled: 1-line block ×3, first 2 shown]
	v_rcp_f32_e32 v101, v99
	v_sub_f32_e32 v31, v34, v99
	v_add_f32_e32 v100, v30, v31
	v_add_f32_e32 v31, v32, v33
	v_mul_f32_e32 v103, v31, v101
	v_sub_f32_e32 v30, v32, v31
	v_mul_f32_e32 v32, v99, v103
	v_fma_f32 v34, v103, v99, -v32
	v_fmac_f32_e32 v34, v103, v100
	v_add_f32_e32 v102, v33, v30
	v_add_f32_e32 v30, v32, v34
	v_sub_f32_e32 v33, v31, v30
	v_pk_add_f32 v[96:97], v[30:31], v[32:33] neg_lo:[0,1] neg_hi:[0,1]
	v_mov_b32_e32 v35, v30
	v_pk_add_f32 v[30:31], v[96:97], v[34:35] neg_lo:[0,1] neg_hi:[0,1]
	v_add_f32_e32 v31, v102, v31
	v_add_f32_e32 v30, v30, v31
	;; [unrolled: 1-line block ×3, first 2 shown]
	v_mul_f32_e32 v102, v101, v31
	v_mul_f32_e32 v32, v99, v102
	v_fma_f32 v34, v102, v99, -v32
	v_fmac_f32_e32 v34, v102, v100
	v_sub_f32_e32 v33, v33, v31
	v_add_f32_e32 v99, v30, v33
	v_add_f32_e32 v30, v32, v34
	v_sub_f32_e32 v33, v31, v30
	v_pk_add_f32 v[96:97], v[30:31], v[32:33] neg_lo:[0,1] neg_hi:[0,1]
	v_mov_b32_e32 v35, v30
	v_pk_add_f32 v[30:31], v[96:97], v[34:35] neg_lo:[0,1] neg_hi:[0,1]
	v_add_f32_e32 v31, v99, v31
	v_add_f32_e32 v30, v30, v31
	v_add_f32_e32 v30, v33, v30
	v_add_f32_e32 v33, v103, v102
	v_sub_f32_e32 v31, v33, v103
	v_mul_f32_e32 v30, v101, v30
	v_sub_f32_e32 v31, v102, v31
	v_add_f32_e32 v30, v31, v30
	v_add_f32_e32 v34, v33, v30
	v_mul_f32_e32 v96, v34, v34
	v_mov_b32_e32 v32, 0x3ecc95a3
	v_fmac_f32_e32 v32, 0x3e9b6dac, v96
	v_mov_b32_e32 v31, 0x3f2aaada
	v_fmac_f32_e32 v31, v96, v32
	v_cvt_f32_i32_e32 v32, v98
	v_sub_f32_e32 v33, v34, v33
	v_sub_f32_e32 v30, v30, v33
	v_ldexp_f32 v97, v30, 1
	v_mul_f32_e32 v33, v34, v96
	v_mov_b32_e32 v30, 0x3f317218
	s_mov_b32 s13, 0x3f317218
	v_pk_mul_f32 v[30:31], v[32:33], v[30:31]
	v_ldexp_f32 v35, v34, 1
	v_fma_f32 v34, v32, s13, -v30
	v_fmac_f32_e32 v34, 0xb102e308, v32
	v_pk_add_f32 v[32:33], v[30:31], v[34:35]
	v_sub_f32_e32 v35, v33, v35
	v_sub_f32_e32 v35, v31, v35
	v_add_f32_e32 v97, v97, v35
	v_mov_b32_e32 v96, v30
	v_pk_add_f32 v[30:31], v[32:33], v[30:31] neg_lo:[0,1] neg_hi:[0,1]
	v_pk_add_f32 v[98:99], v[32:33], v[96:97]
	v_mov_b32_e32 v31, v99
	v_mov_b32_e32 v35, v32
	v_pk_add_f32 v[100:101], v[34:35], v[30:31] neg_lo:[0,1] neg_hi:[0,1]
	v_pk_add_f32 v[30:31], v[34:35], v[30:31]
	v_mov_b32_e32 v34, v31
	v_pk_add_f32 v[102:103], v[34:35], v[32:33] neg_lo:[0,1] neg_hi:[0,1]
	v_mov_b32_e32 v35, v102
	v_pk_add_f32 v[112:113], v[98:99], v[34:35] neg_lo:[0,1] neg_hi:[0,1]
	v_mov_b32_e32 v30, v99
	v_mov_b32_e32 v98, v33
	;; [unrolled: 1-line block ×4, first 2 shown]
	v_pk_add_f32 v[30:31], v[30:31], v[98:99] neg_lo:[0,1] neg_hi:[0,1]
	v_mov_b32_e32 v96, v97
	v_mov_b32_e32 v97, v32
	v_pk_add_f32 v[30:31], v[96:97], v[30:31] neg_lo:[0,1] neg_hi:[0,1]
	v_mov_b32_e32 v112, v100
	v_pk_add_f32 v[32:33], v[112:113], v[30:31]
	v_mov_b32_e32 v96, v33
	v_pk_add_f32 v[96:97], v[32:33], v[96:97]
	v_pk_add_f32 v[34:35], v[34:35], v[96:97]
	v_mov_b32_e32 v33, v34
	v_pk_add_f32 v[98:99], v[32:33], v[100:101] neg_lo:[0,1] neg_hi:[0,1]
	v_mov_b32_e32 v31, v96
	v_sub_f32_e32 v32, v32, v98
	v_pk_add_f32 v[30:31], v[30:31], v[98:99] neg_lo:[0,1] neg_hi:[0,1]
	v_sub_f32_e32 v32, v100, v32
	s_mov_b32 s64, 0x7f800000
	v_add_f32_e32 v30, v30, v32
	s_mov_b32 s13, 0x33800000
	v_add_f32_e32 v30, v30, v31
	v_cmp_eq_f32_e32 vcc, s64, v114
	v_cmp_lt_f32_e64 s[64:65], |v114|, s13
	v_add_f32_e32 v30, v34, v30
	s_or_b64 vcc, vcc, s[64:65]
	v_cndmask_b32_e32 v30, v30, v114, vcc
	v_add_f32_e32 v26, v26, v30
	v_cvt_f16_f32_e32 v32, v26
.LBB401_114:
	s_or_b64 exec, exec, s[56:57]
	v_and_b32_e32 v31, 0xffff, v32
	v_mov_b32_e32 v26, v32
.LBB401_115:
	s_or_b64 exec, exec, s[60:61]
	v_and_b32_e32 v32, 16, v27
	v_mov_b32_dpp v30, v31 row_bcast:15 row_mask:0xf bank_mask:0xf
	v_cmp_ne_u32_e32 vcc, 0, v32
	s_and_saveexec_b64 s[60:61], vcc
	s_cbranch_execz .LBB401_119
; %bb.116:
	v_cvt_f32_f16_e32 v32, v30
	v_cvt_f32_f16_e32 v33, v26
	v_cmp_u_f16_e32 vcc, v30, v30
	v_cmp_u_f16_e64 s[56:57], v26, v26
	s_movk_i32 s13, 0x1f8
	v_min_f32_e32 v31, v32, v33
	v_max_f32_e32 v26, v32, v33
	v_cndmask_b32_e32 v31, v31, v32, vcc
	v_cndmask_b32_e32 v26, v26, v32, vcc
	v_cndmask_b32_e64 v31, v31, v33, s[56:57]
	v_cndmask_b32_e64 v26, v26, v33, s[56:57]
	v_cmp_neq_f32_e32 vcc, v31, v26
	v_cmp_class_f32_e64 s[56:57], v31, s13
	s_or_b64 vcc, vcc, s[56:57]
	s_and_saveexec_b64 s[56:57], vcc
	s_cbranch_execz .LBB401_118
; %bb.117:
	v_sub_f32_e32 v30, v31, v26
	s_mov_b32 s13, 0x3fb8aa3b
	v_mul_f32_e32 v31, 0x3fb8aa3b, v30
	v_fma_f32 v32, v30, s13, -v31
	v_rndne_f32_e32 v33, v31
	v_fmac_f32_e32 v32, 0x32a5705f, v30
	v_sub_f32_e32 v31, v31, v33
	v_add_f32_e32 v31, v31, v32
	v_exp_f32_e32 v31, v31
	v_cvt_i32_f32_e32 v32, v33
	s_mov_b32 s13, 0xc2ce8ed0
	v_cmp_ngt_f32_e32 vcc, s13, v30
	s_mov_b32 s13, 0x42b17218
	v_ldexp_f32 v31, v31, v32
	v_cndmask_b32_e32 v31, 0, v31, vcc
	v_mov_b32_e32 v32, 0x7f800000
	v_cmp_nlt_f32_e32 vcc, s13, v30
	v_cndmask_b32_e32 v114, v32, v31, vcc
	v_add_f32_e32 v32, 1.0, v114
	v_add_f32_e32 v30, -1.0, v32
	v_sub_f32_e32 v31, v30, v32
	v_add_f32_e32 v31, 1.0, v31
	v_sub_f32_e32 v30, v114, v30
	v_add_f32_e32 v33, v30, v31
	v_frexp_mant_f32_e32 v34, v32
	s_mov_b32 s13, 0x3f2aaaab
	v_cvt_f64_f32_e32 v[30:31], v32
	v_frexp_exp_i32_f64_e32 v30, v[30:31]
	v_cmp_gt_f32_e32 vcc, s13, v34
	v_subbrev_co_u32_e32 v98, vcc, 0, v30, vcc
	v_sub_u32_e32 v30, 0, v98
	v_ldexp_f32 v31, v32, v30
	v_add_f32_e32 v32, -1.0, v31
	v_add_f32_e32 v34, 1.0, v31
	v_ldexp_f32 v30, v33, v30
	v_add_f32_e32 v33, 1.0, v32
	v_add_f32_e32 v35, -1.0, v34
	v_sub_f32_e32 v33, v31, v33
	v_sub_f32_e32 v31, v31, v35
	v_add_f32_e32 v33, v30, v33
	v_add_f32_e32 v30, v30, v31
	;; [unrolled: 1-line block ×3, first 2 shown]
	v_rcp_f32_e32 v101, v99
	v_sub_f32_e32 v31, v34, v99
	v_add_f32_e32 v100, v30, v31
	v_add_f32_e32 v31, v32, v33
	v_mul_f32_e32 v103, v31, v101
	v_sub_f32_e32 v30, v32, v31
	v_mul_f32_e32 v32, v99, v103
	v_fma_f32 v34, v103, v99, -v32
	v_fmac_f32_e32 v34, v103, v100
	v_add_f32_e32 v102, v33, v30
	v_add_f32_e32 v30, v32, v34
	v_sub_f32_e32 v33, v31, v30
	v_pk_add_f32 v[96:97], v[30:31], v[32:33] neg_lo:[0,1] neg_hi:[0,1]
	v_mov_b32_e32 v35, v30
	v_pk_add_f32 v[30:31], v[96:97], v[34:35] neg_lo:[0,1] neg_hi:[0,1]
	v_add_f32_e32 v31, v102, v31
	v_add_f32_e32 v30, v30, v31
	;; [unrolled: 1-line block ×3, first 2 shown]
	v_mul_f32_e32 v102, v101, v31
	v_mul_f32_e32 v32, v99, v102
	v_fma_f32 v34, v102, v99, -v32
	v_fmac_f32_e32 v34, v102, v100
	v_sub_f32_e32 v33, v33, v31
	v_add_f32_e32 v99, v30, v33
	v_add_f32_e32 v30, v32, v34
	v_sub_f32_e32 v33, v31, v30
	v_pk_add_f32 v[96:97], v[30:31], v[32:33] neg_lo:[0,1] neg_hi:[0,1]
	v_mov_b32_e32 v35, v30
	v_pk_add_f32 v[30:31], v[96:97], v[34:35] neg_lo:[0,1] neg_hi:[0,1]
	v_add_f32_e32 v31, v99, v31
	v_add_f32_e32 v30, v30, v31
	;; [unrolled: 1-line block ×4, first 2 shown]
	v_sub_f32_e32 v31, v33, v103
	v_mul_f32_e32 v30, v101, v30
	v_sub_f32_e32 v31, v102, v31
	v_add_f32_e32 v30, v31, v30
	v_add_f32_e32 v34, v33, v30
	v_mul_f32_e32 v96, v34, v34
	v_mov_b32_e32 v32, 0x3ecc95a3
	v_fmac_f32_e32 v32, 0x3e9b6dac, v96
	v_mov_b32_e32 v31, 0x3f2aaada
	v_fmac_f32_e32 v31, v96, v32
	v_cvt_f32_i32_e32 v32, v98
	v_sub_f32_e32 v33, v34, v33
	v_sub_f32_e32 v30, v30, v33
	v_ldexp_f32 v97, v30, 1
	v_mul_f32_e32 v33, v34, v96
	v_mov_b32_e32 v30, 0x3f317218
	s_mov_b32 s13, 0x3f317218
	v_pk_mul_f32 v[30:31], v[32:33], v[30:31]
	v_ldexp_f32 v35, v34, 1
	v_fma_f32 v34, v32, s13, -v30
	v_fmac_f32_e32 v34, 0xb102e308, v32
	v_pk_add_f32 v[32:33], v[30:31], v[34:35]
	v_sub_f32_e32 v35, v33, v35
	v_sub_f32_e32 v35, v31, v35
	v_add_f32_e32 v97, v97, v35
	v_mov_b32_e32 v96, v30
	v_pk_add_f32 v[30:31], v[32:33], v[30:31] neg_lo:[0,1] neg_hi:[0,1]
	v_pk_add_f32 v[98:99], v[32:33], v[96:97]
	v_mov_b32_e32 v31, v99
	v_mov_b32_e32 v35, v32
	v_pk_add_f32 v[100:101], v[34:35], v[30:31] neg_lo:[0,1] neg_hi:[0,1]
	v_pk_add_f32 v[30:31], v[34:35], v[30:31]
	v_mov_b32_e32 v34, v31
	v_pk_add_f32 v[102:103], v[34:35], v[32:33] neg_lo:[0,1] neg_hi:[0,1]
	v_mov_b32_e32 v35, v102
	v_pk_add_f32 v[112:113], v[98:99], v[34:35] neg_lo:[0,1] neg_hi:[0,1]
	v_mov_b32_e32 v30, v99
	v_mov_b32_e32 v98, v33
	;; [unrolled: 1-line block ×4, first 2 shown]
	v_pk_add_f32 v[30:31], v[30:31], v[98:99] neg_lo:[0,1] neg_hi:[0,1]
	v_mov_b32_e32 v96, v97
	v_mov_b32_e32 v97, v32
	v_pk_add_f32 v[30:31], v[96:97], v[30:31] neg_lo:[0,1] neg_hi:[0,1]
	v_mov_b32_e32 v112, v100
	v_pk_add_f32 v[32:33], v[112:113], v[30:31]
	v_mov_b32_e32 v96, v33
	v_pk_add_f32 v[96:97], v[32:33], v[96:97]
	v_pk_add_f32 v[34:35], v[34:35], v[96:97]
	v_mov_b32_e32 v33, v34
	v_pk_add_f32 v[98:99], v[32:33], v[100:101] neg_lo:[0,1] neg_hi:[0,1]
	v_mov_b32_e32 v31, v96
	v_sub_f32_e32 v32, v32, v98
	v_pk_add_f32 v[30:31], v[30:31], v[98:99] neg_lo:[0,1] neg_hi:[0,1]
	v_sub_f32_e32 v32, v100, v32
	s_mov_b32 s64, 0x7f800000
	v_add_f32_e32 v30, v30, v32
	s_mov_b32 s13, 0x33800000
	v_add_f32_e32 v30, v30, v31
	v_cmp_eq_f32_e32 vcc, s64, v114
	v_cmp_lt_f32_e64 s[64:65], |v114|, s13
	v_add_f32_e32 v30, v34, v30
	s_or_b64 vcc, vcc, s[64:65]
	v_cndmask_b32_e32 v30, v30, v114, vcc
	v_add_f32_e32 v26, v26, v30
	v_cvt_f16_f32_e32 v30, v26
.LBB401_118:
	s_or_b64 exec, exec, s[56:57]
	v_and_b32_e32 v31, 0xffff, v30
	v_mov_b32_e32 v26, v30
.LBB401_119:
	s_or_b64 exec, exec, s[60:61]
	v_mov_b32_dpp v30, v31 row_bcast:31 row_mask:0xf bank_mask:0xf
	v_cmp_lt_u32_e32 vcc, 31, v27
	s_and_saveexec_b64 s[60:61], vcc
	s_cbranch_execz .LBB401_123
; %bb.120:
	v_cvt_f32_f16_e32 v32, v30
	v_cvt_f32_f16_e32 v33, v26
	v_cmp_u_f16_e32 vcc, v30, v30
	v_cmp_u_f16_e64 s[56:57], v26, v26
	s_movk_i32 s13, 0x1f8
	v_min_f32_e32 v31, v32, v33
	v_max_f32_e32 v26, v32, v33
	v_cndmask_b32_e32 v31, v31, v32, vcc
	v_cndmask_b32_e32 v26, v26, v32, vcc
	v_cndmask_b32_e64 v31, v31, v33, s[56:57]
	v_cndmask_b32_e64 v26, v26, v33, s[56:57]
	v_cmp_neq_f32_e32 vcc, v31, v26
	v_cmp_class_f32_e64 s[56:57], v31, s13
	s_or_b64 vcc, vcc, s[56:57]
	s_and_saveexec_b64 s[56:57], vcc
	s_cbranch_execz .LBB401_122
; %bb.121:
	v_sub_f32_e32 v30, v31, v26
	s_mov_b32 s13, 0x3fb8aa3b
	v_mul_f32_e32 v31, 0x3fb8aa3b, v30
	v_fma_f32 v32, v30, s13, -v31
	v_rndne_f32_e32 v33, v31
	v_fmac_f32_e32 v32, 0x32a5705f, v30
	v_sub_f32_e32 v31, v31, v33
	v_add_f32_e32 v31, v31, v32
	v_exp_f32_e32 v31, v31
	v_cvt_i32_f32_e32 v32, v33
	s_mov_b32 s13, 0xc2ce8ed0
	v_cmp_ngt_f32_e32 vcc, s13, v30
	s_mov_b32 s13, 0x42b17218
	v_ldexp_f32 v31, v31, v32
	v_cndmask_b32_e32 v31, 0, v31, vcc
	v_mov_b32_e32 v32, 0x7f800000
	v_cmp_nlt_f32_e32 vcc, s13, v30
	v_cndmask_b32_e32 v114, v32, v31, vcc
	v_add_f32_e32 v32, 1.0, v114
	v_add_f32_e32 v30, -1.0, v32
	v_sub_f32_e32 v31, v30, v32
	v_add_f32_e32 v31, 1.0, v31
	v_sub_f32_e32 v30, v114, v30
	v_add_f32_e32 v33, v30, v31
	v_frexp_mant_f32_e32 v34, v32
	s_mov_b32 s13, 0x3f2aaaab
	v_cvt_f64_f32_e32 v[30:31], v32
	v_frexp_exp_i32_f64_e32 v30, v[30:31]
	v_cmp_gt_f32_e32 vcc, s13, v34
	v_subbrev_co_u32_e32 v98, vcc, 0, v30, vcc
	v_sub_u32_e32 v30, 0, v98
	v_ldexp_f32 v31, v32, v30
	v_add_f32_e32 v32, -1.0, v31
	v_add_f32_e32 v34, 1.0, v31
	v_ldexp_f32 v30, v33, v30
	v_add_f32_e32 v33, 1.0, v32
	v_add_f32_e32 v35, -1.0, v34
	v_sub_f32_e32 v33, v31, v33
	v_sub_f32_e32 v31, v31, v35
	v_add_f32_e32 v33, v30, v33
	v_add_f32_e32 v30, v30, v31
	;; [unrolled: 1-line block ×3, first 2 shown]
	v_rcp_f32_e32 v101, v99
	v_sub_f32_e32 v31, v34, v99
	v_add_f32_e32 v100, v30, v31
	v_add_f32_e32 v31, v32, v33
	v_mul_f32_e32 v103, v31, v101
	v_sub_f32_e32 v30, v32, v31
	v_mul_f32_e32 v32, v99, v103
	v_fma_f32 v34, v103, v99, -v32
	v_fmac_f32_e32 v34, v103, v100
	v_add_f32_e32 v102, v33, v30
	v_add_f32_e32 v30, v32, v34
	v_sub_f32_e32 v33, v31, v30
	v_pk_add_f32 v[96:97], v[30:31], v[32:33] neg_lo:[0,1] neg_hi:[0,1]
	v_mov_b32_e32 v35, v30
	v_pk_add_f32 v[30:31], v[96:97], v[34:35] neg_lo:[0,1] neg_hi:[0,1]
	v_add_f32_e32 v31, v102, v31
	v_add_f32_e32 v30, v30, v31
	;; [unrolled: 1-line block ×3, first 2 shown]
	v_mul_f32_e32 v102, v101, v31
	v_mul_f32_e32 v32, v99, v102
	v_fma_f32 v34, v102, v99, -v32
	v_fmac_f32_e32 v34, v102, v100
	v_sub_f32_e32 v33, v33, v31
	v_add_f32_e32 v99, v30, v33
	v_add_f32_e32 v30, v32, v34
	v_sub_f32_e32 v33, v31, v30
	v_pk_add_f32 v[96:97], v[30:31], v[32:33] neg_lo:[0,1] neg_hi:[0,1]
	v_mov_b32_e32 v35, v30
	v_pk_add_f32 v[30:31], v[96:97], v[34:35] neg_lo:[0,1] neg_hi:[0,1]
	v_add_f32_e32 v31, v99, v31
	v_add_f32_e32 v30, v30, v31
	;; [unrolled: 1-line block ×4, first 2 shown]
	v_sub_f32_e32 v31, v33, v103
	v_mul_f32_e32 v30, v101, v30
	v_sub_f32_e32 v31, v102, v31
	v_add_f32_e32 v30, v31, v30
	v_add_f32_e32 v34, v33, v30
	v_mul_f32_e32 v96, v34, v34
	v_mov_b32_e32 v32, 0x3ecc95a3
	v_fmac_f32_e32 v32, 0x3e9b6dac, v96
	v_mov_b32_e32 v31, 0x3f2aaada
	v_fmac_f32_e32 v31, v96, v32
	v_cvt_f32_i32_e32 v32, v98
	v_sub_f32_e32 v33, v34, v33
	v_sub_f32_e32 v30, v30, v33
	v_ldexp_f32 v97, v30, 1
	v_mul_f32_e32 v33, v34, v96
	v_mov_b32_e32 v30, 0x3f317218
	s_mov_b32 s13, 0x3f317218
	v_pk_mul_f32 v[30:31], v[32:33], v[30:31]
	v_ldexp_f32 v35, v34, 1
	v_fma_f32 v34, v32, s13, -v30
	v_fmac_f32_e32 v34, 0xb102e308, v32
	v_pk_add_f32 v[32:33], v[30:31], v[34:35]
	v_sub_f32_e32 v35, v33, v35
	v_sub_f32_e32 v35, v31, v35
	v_add_f32_e32 v97, v97, v35
	v_mov_b32_e32 v96, v30
	v_pk_add_f32 v[30:31], v[32:33], v[30:31] neg_lo:[0,1] neg_hi:[0,1]
	v_pk_add_f32 v[98:99], v[32:33], v[96:97]
	v_mov_b32_e32 v31, v99
	v_mov_b32_e32 v35, v32
	v_pk_add_f32 v[100:101], v[34:35], v[30:31] neg_lo:[0,1] neg_hi:[0,1]
	v_pk_add_f32 v[30:31], v[34:35], v[30:31]
	v_mov_b32_e32 v34, v31
	v_pk_add_f32 v[102:103], v[34:35], v[32:33] neg_lo:[0,1] neg_hi:[0,1]
	v_mov_b32_e32 v35, v102
	v_pk_add_f32 v[112:113], v[98:99], v[34:35] neg_lo:[0,1] neg_hi:[0,1]
	v_mov_b32_e32 v30, v99
	v_mov_b32_e32 v98, v33
	;; [unrolled: 1-line block ×4, first 2 shown]
	v_pk_add_f32 v[30:31], v[30:31], v[98:99] neg_lo:[0,1] neg_hi:[0,1]
	v_mov_b32_e32 v96, v97
	v_mov_b32_e32 v97, v32
	v_pk_add_f32 v[30:31], v[96:97], v[30:31] neg_lo:[0,1] neg_hi:[0,1]
	v_mov_b32_e32 v112, v100
	v_pk_add_f32 v[32:33], v[112:113], v[30:31]
	v_mov_b32_e32 v96, v33
	v_pk_add_f32 v[96:97], v[32:33], v[96:97]
	v_pk_add_f32 v[34:35], v[34:35], v[96:97]
	v_mov_b32_e32 v33, v34
	v_pk_add_f32 v[98:99], v[32:33], v[100:101] neg_lo:[0,1] neg_hi:[0,1]
	v_mov_b32_e32 v31, v96
	v_sub_f32_e32 v32, v32, v98
	v_pk_add_f32 v[30:31], v[30:31], v[98:99] neg_lo:[0,1] neg_hi:[0,1]
	v_sub_f32_e32 v32, v100, v32
	s_mov_b32 s64, 0x7f800000
	v_add_f32_e32 v30, v30, v32
	s_mov_b32 s13, 0x33800000
	v_add_f32_e32 v30, v30, v31
	v_cmp_eq_f32_e32 vcc, s64, v114
	v_cmp_lt_f32_e64 s[64:65], |v114|, s13
	v_add_f32_e32 v30, v34, v30
	s_or_b64 vcc, vcc, s[64:65]
	v_cndmask_b32_e32 v30, v30, v114, vcc
	v_add_f32_e32 v26, v26, v30
	v_cvt_f16_f32_e32 v30, v26
.LBB401_122:
	s_or_b64 exec, exec, s[56:57]
	v_mov_b32_e32 v26, v30
.LBB401_123:
	s_or_b64 exec, exec, s[60:61]
	v_cmp_eq_u32_e32 vcc, 63, v0
	s_and_saveexec_b64 s[56:57], vcc
	s_cbranch_execz .LBB401_125
; %bb.124:
	v_mov_b32_e32 v30, 0
	ds_write_b16 v30, v26
.LBB401_125:
	s_or_b64 exec, exec, s[56:57]
	v_add_u32_e32 v30, -1, v27
	v_and_b32_e32 v31, 64, v27
	v_cmp_lt_i32_e32 vcc, v30, v31
	v_cndmask_b32_e32 v30, v30, v27, vcc
	v_and_b32_e32 v26, 0xffff, v26
	v_lshlrev_b32_e32 v30, 2, v30
	ds_bpermute_b32 v96, v30, v26
	v_cmp_gt_u32_e32 vcc, 64, v0
	s_waitcnt lgkmcnt(0)
	; wave barrier
	s_waitcnt lgkmcnt(0)
	s_and_saveexec_b64 s[64:65], vcc
	s_cbranch_execz .LBB401_200
; %bb.126:
	v_mov_b32_e32 v33, 0
	ds_read_u16 v97, v33
	s_mov_b32 vcc_hi, 0
	v_cmp_eq_u32_e64 s[56:57], 0, v27
	s_and_saveexec_b64 s[60:61], s[56:57]
	s_cbranch_execz .LBB401_128
; %bb.127:
	s_add_i32 vcc_lo, s12, 64
	s_lshl_b64 vcc, vcc, 2
	v_mov_b32_e32 v26, vcc_hi
	v_add_co_u32_e32 v30, vcc, vcc_lo, v24
	v_addc_co_u32_e32 v31, vcc, v25, v26, vcc
	s_waitcnt lgkmcnt(0)
	v_or_b32_e32 v26, 0x10000, v97
	flat_store_dword v[30:31], v26
.LBB401_128:
	s_or_b64 exec, exec, s[60:61]
	v_xad_u32 v26, v27, -1, s12
	v_add_u32_e32 v32, 64, v26
	v_lshlrev_b64 v[30:31], 2, v[32:33]
	v_add_co_u32_e32 v30, vcc, v24, v30
	v_addc_co_u32_e32 v31, vcc, v25, v31, vcc
	flat_load_dword v131, v[30:31] glc
	s_waitcnt vmcnt(0) lgkmcnt(0)
	v_lshrrev_b32_e32 v100, 16, v131
	v_cmp_eq_u16_sdwa s[60:61], v100, v33 src0_sel:BYTE_0 src1_sel:DWORD
	s_and_saveexec_b64 vcc, s[60:61]
	s_cbranch_execz .LBB401_134
; %bb.129:
	s_mov_b32 s13, 1
	s_mov_b64 s[60:61], 0
	v_mov_b32_e32 v32, 0
.LBB401_130:                            ; =>This Loop Header: Depth=1
                                        ;     Child Loop BB401_131 Depth 2
	s_max_u32 s66, s13, 1
.LBB401_131:                            ;   Parent Loop BB401_130 Depth=1
                                        ; =>  This Inner Loop Header: Depth=2
	s_add_i32 s66, s66, -1
	s_cmp_eq_u32 s66, 0
	s_sleep 1
	s_cbranch_scc0 .LBB401_131
; %bb.132:                              ;   in Loop: Header=BB401_130 Depth=1
	flat_load_dword v131, v[30:31] glc
	s_cmp_lt_u32 s13, 32
	s_cselect_b64 s[66:67], -1, 0
	s_cmp_lg_u64 s[66:67], 0
	s_addc_u32 s13, s13, 0
	s_waitcnt vmcnt(0) lgkmcnt(0)
	v_lshrrev_b32_e32 v100, 16, v131
	v_cmp_ne_u16_sdwa s[66:67], v100, v32 src0_sel:BYTE_0 src1_sel:DWORD
	s_or_b64 s[60:61], s[66:67], s[60:61]
	s_andn2_b64 exec, exec, s[60:61]
	s_cbranch_execnz .LBB401_130
; %bb.133:
	s_or_b64 exec, exec, s[60:61]
.LBB401_134:
	s_or_b64 exec, exec, vcc
	v_mov_b32_e32 v30, 2
	v_cmp_eq_u16_sdwa vcc, v100, v30 src0_sel:BYTE_0 src1_sel:DWORD
	v_lshlrev_b64 v[30:31], v27, -1
	v_and_b32_e32 v98, 63, v27
	v_and_b32_e32 v32, vcc_hi, v31
	v_and_b32_e32 v35, vcc_lo, v30
	v_cmp_ne_u32_e32 vcc, 63, v98
	v_addc_co_u32_e32 v34, vcc, 0, v27, vcc
	v_and_b32_e32 v33, 0xffff, v131
	v_lshlrev_b32_e32 v99, 2, v34
	v_or_b32_e32 v32, 0x80000000, v32
	ds_bpermute_b32 v34, v99, v33
	v_ffbl_b32_e32 v32, v32
	v_add_u32_e32 v32, 32, v32
	v_ffbl_b32_e32 v35, v35
	v_min_u32_e32 v32, v35, v32
	v_cmp_lt_u32_e32 vcc, v98, v32
	s_and_saveexec_b64 s[66:67], vcc
	s_cbranch_execz .LBB401_138
; %bb.135:
	s_waitcnt lgkmcnt(0)
	v_cvt_f32_f16_e32 v33, v34
	v_cvt_f32_f16_e32 v101, v131
	v_cmp_u_f16_e32 vcc, v34, v34
	v_cmp_u_f16_e64 s[60:61], v131, v131
	s_movk_i32 s13, 0x1f8
	v_min_f32_e32 v35, v33, v101
	v_max_f32_e32 v102, v33, v101
	v_cndmask_b32_e32 v35, v35, v33, vcc
	v_cndmask_b32_e32 v33, v102, v33, vcc
	v_cndmask_b32_e64 v35, v35, v101, s[60:61]
	v_cndmask_b32_e64 v33, v33, v101, s[60:61]
	v_cmp_neq_f32_e32 vcc, v35, v33
	v_cmp_class_f32_e64 s[60:61], v35, s13
	s_or_b64 vcc, vcc, s[60:61]
	s_and_saveexec_b64 s[60:61], vcc
	s_cbranch_execz .LBB401_137
; %bb.136:
	v_sub_f32_e32 v34, v35, v33
	s_mov_b32 s13, 0x3fb8aa3b
	v_mul_f32_e32 v35, 0x3fb8aa3b, v34
	v_fma_f32 v101, v34, s13, -v35
	v_rndne_f32_e32 v102, v35
	v_fmac_f32_e32 v101, 0x32a5705f, v34
	v_sub_f32_e32 v35, v35, v102
	v_add_f32_e32 v35, v35, v101
	v_exp_f32_e32 v35, v35
	v_cvt_i32_f32_e32 v101, v102
	s_mov_b32 s13, 0xc2ce8ed0
	v_cmp_ngt_f32_e32 vcc, s13, v34
	s_mov_b32 s13, 0x42b17218
	v_ldexp_f32 v35, v35, v101
	v_cndmask_b32_e32 v35, 0, v35, vcc
	v_mov_b32_e32 v101, 0x7f800000
	v_cmp_nlt_f32_e32 vcc, s13, v34
	v_cndmask_b32_e32 v132, v101, v35, vcc
	v_add_f32_e32 v101, 1.0, v132
	v_add_f32_e32 v34, -1.0, v101
	v_sub_f32_e32 v35, v34, v101
	v_add_f32_e32 v35, 1.0, v35
	v_sub_f32_e32 v34, v132, v34
	v_add_f32_e32 v102, v34, v35
	v_frexp_mant_f32_e32 v103, v101
	s_mov_b32 s13, 0x3f2aaaab
	v_cvt_f64_f32_e32 v[34:35], v101
	v_frexp_exp_i32_f64_e32 v34, v[34:35]
	v_cmp_gt_f32_e32 vcc, s13, v103
	v_subbrev_co_u32_e32 v116, vcc, 0, v34, vcc
	v_sub_u32_e32 v34, 0, v116
	v_ldexp_f32 v35, v101, v34
	v_add_f32_e32 v101, -1.0, v35
	v_add_f32_e32 v103, 1.0, v35
	v_ldexp_f32 v34, v102, v34
	v_add_f32_e32 v102, 1.0, v101
	v_add_f32_e32 v112, -1.0, v103
	v_sub_f32_e32 v102, v35, v102
	v_sub_f32_e32 v35, v35, v112
	v_add_f32_e32 v102, v34, v102
	v_add_f32_e32 v34, v34, v35
	;; [unrolled: 1-line block ×3, first 2 shown]
	v_rcp_f32_e32 v119, v117
	v_sub_f32_e32 v35, v103, v117
	v_add_f32_e32 v118, v34, v35
	v_add_f32_e32 v35, v101, v102
	v_sub_f32_e32 v34, v101, v35
	v_mul_f32_e32 v128, v35, v119
	v_add_f32_e32 v101, v102, v34
	v_mul_f32_e32 v102, v117, v128
	v_fma_f32 v112, v128, v117, -v102
	v_fmac_f32_e32 v112, v128, v118
	v_add_f32_e32 v34, v102, v112
	v_sub_f32_e32 v103, v35, v34
	v_pk_add_f32 v[114:115], v[34:35], v[102:103] neg_lo:[0,1] neg_hi:[0,1]
	v_mov_b32_e32 v113, v34
	v_pk_add_f32 v[34:35], v[114:115], v[112:113] neg_lo:[0,1] neg_hi:[0,1]
	v_add_f32_e32 v35, v101, v35
	v_add_f32_e32 v34, v34, v35
	v_add_f32_e32 v35, v103, v34
	v_mul_f32_e32 v101, v119, v35
	v_mul_f32_e32 v102, v117, v101
	v_fma_f32 v112, v101, v117, -v102
	v_fmac_f32_e32 v112, v101, v118
	v_sub_f32_e32 v103, v103, v35
	v_add_f32_e32 v117, v34, v103
	v_add_f32_e32 v34, v102, v112
	v_sub_f32_e32 v103, v35, v34
	v_pk_add_f32 v[114:115], v[34:35], v[102:103] neg_lo:[0,1] neg_hi:[0,1]
	v_mov_b32_e32 v113, v34
	v_pk_add_f32 v[34:35], v[114:115], v[112:113] neg_lo:[0,1] neg_hi:[0,1]
	v_add_f32_e32 v35, v117, v35
	v_add_f32_e32 v34, v34, v35
	;; [unrolled: 1-line block ×4, first 2 shown]
	v_sub_f32_e32 v35, v103, v128
	v_mul_f32_e32 v34, v119, v34
	v_sub_f32_e32 v35, v101, v35
	v_add_f32_e32 v34, v35, v34
	v_add_f32_e32 v101, v103, v34
	v_mul_f32_e32 v112, v101, v101
	v_mov_b32_e32 v102, 0x3ecc95a3
	v_fmac_f32_e32 v102, 0x3e9b6dac, v112
	v_mov_b32_e32 v35, 0x3f2aaada
	v_fmac_f32_e32 v35, v112, v102
	v_cvt_f32_i32_e32 v102, v116
	v_sub_f32_e32 v103, v101, v103
	v_sub_f32_e32 v34, v34, v103
	v_ldexp_f32 v114, v34, 1
	v_mul_f32_e32 v103, v101, v112
	v_mov_b32_e32 v34, 0x3f317218
	s_mov_b32 s13, 0x3f317218
	v_pk_mul_f32 v[34:35], v[102:103], v[34:35]
	v_fma_f32 v112, v102, s13, -v34
	v_ldexp_f32 v113, v101, 1
	v_fmac_f32_e32 v112, 0xb102e308, v102
	v_pk_add_f32 v[102:103], v[34:35], v[112:113]
	v_sub_f32_e32 v101, v103, v113
	v_sub_f32_e32 v101, v35, v101
	v_add_f32_e32 v115, v114, v101
	v_mov_b32_e32 v114, v34
	v_pk_add_f32 v[34:35], v[102:103], v[34:35] neg_lo:[0,1] neg_hi:[0,1]
	v_pk_add_f32 v[116:117], v[102:103], v[114:115]
	v_mov_b32_e32 v35, v117
	v_mov_b32_e32 v113, v102
	v_pk_add_f32 v[118:119], v[112:113], v[34:35] neg_lo:[0,1] neg_hi:[0,1]
	v_pk_add_f32 v[34:35], v[112:113], v[34:35]
	v_mov_b32_e32 v112, v35
	v_pk_add_f32 v[128:129], v[112:113], v[102:103] neg_lo:[0,1] neg_hi:[0,1]
	v_mov_b32_e32 v101, v128
	v_pk_add_f32 v[130:131], v[116:117], v[100:101] neg_lo:[0,1] neg_hi:[0,1]
	v_mov_b32_e32 v34, v117
	v_mov_b32_e32 v116, v103
	v_mov_b32_e32 v117, v128
	v_mov_b32_e32 v119, v35
	v_pk_add_f32 v[34:35], v[34:35], v[116:117] neg_lo:[0,1] neg_hi:[0,1]
	v_mov_b32_e32 v114, v115
	v_mov_b32_e32 v115, v102
	v_pk_add_f32 v[34:35], v[114:115], v[34:35] neg_lo:[0,1] neg_hi:[0,1]
	v_mov_b32_e32 v130, v118
	v_pk_add_f32 v[102:103], v[130:131], v[34:35]
	v_mov_b32_e32 v114, v103
	v_pk_add_f32 v[114:115], v[102:103], v[114:115]
	v_pk_add_f32 v[112:113], v[112:113], v[114:115]
	v_mov_b32_e32 v103, v112
	v_pk_add_f32 v[116:117], v[102:103], v[118:119] neg_lo:[0,1] neg_hi:[0,1]
	v_mov_b32_e32 v35, v114
	v_sub_f32_e32 v101, v102, v116
	v_pk_add_f32 v[34:35], v[34:35], v[116:117] neg_lo:[0,1] neg_hi:[0,1]
	v_sub_f32_e32 v101, v118, v101
	s_mov_b32 s68, 0x7f800000
	v_add_f32_e32 v34, v34, v101
	s_mov_b32 s13, 0x33800000
	v_add_f32_e32 v34, v34, v35
	v_cmp_eq_f32_e32 vcc, s68, v132
	v_cmp_lt_f32_e64 s[68:69], |v132|, s13
	v_add_f32_e32 v34, v112, v34
	s_or_b64 vcc, vcc, s[68:69]
	v_cndmask_b32_e32 v34, v34, v132, vcc
	v_add_f32_e32 v33, v33, v34
	v_cvt_f16_f32_e32 v34, v33
.LBB401_137:
	s_or_b64 exec, exec, s[60:61]
	v_and_b32_e32 v33, 0xffff, v34
	v_mov_b32_e32 v131, v34
.LBB401_138:
	s_or_b64 exec, exec, s[66:67]
	v_cmp_gt_u32_e32 vcc, 62, v98
	s_waitcnt lgkmcnt(0)
	v_cndmask_b32_e64 v34, 0, 1, vcc
	v_lshlrev_b32_e32 v34, 1, v34
	v_add_lshl_u32 v101, v34, v27, 2
	ds_bpermute_b32 v34, v101, v33
	v_add_u32_e32 v102, 2, v98
	v_cmp_le_u32_e32 vcc, v102, v32
	s_and_saveexec_b64 s[66:67], vcc
	s_cbranch_execz .LBB401_142
; %bb.139:
	s_waitcnt lgkmcnt(0)
	v_cvt_f32_f16_e32 v33, v34
	v_cvt_f32_f16_e32 v103, v131
	v_cmp_u_f16_e32 vcc, v34, v34
	v_cmp_u_f16_e64 s[60:61], v131, v131
	s_movk_i32 s13, 0x1f8
	v_min_f32_e32 v35, v33, v103
	v_max_f32_e32 v112, v33, v103
	v_cndmask_b32_e32 v35, v35, v33, vcc
	v_cndmask_b32_e32 v33, v112, v33, vcc
	v_cndmask_b32_e64 v35, v35, v103, s[60:61]
	v_cndmask_b32_e64 v33, v33, v103, s[60:61]
	v_cmp_neq_f32_e32 vcc, v35, v33
	v_cmp_class_f32_e64 s[60:61], v35, s13
	s_or_b64 vcc, vcc, s[60:61]
	s_and_saveexec_b64 s[60:61], vcc
	s_cbranch_execz .LBB401_141
; %bb.140:
	v_sub_f32_e32 v34, v35, v33
	s_mov_b32 s13, 0x3fb8aa3b
	v_mul_f32_e32 v35, 0x3fb8aa3b, v34
	v_fma_f32 v103, v34, s13, -v35
	v_rndne_f32_e32 v112, v35
	v_fmac_f32_e32 v103, 0x32a5705f, v34
	v_sub_f32_e32 v35, v35, v112
	v_add_f32_e32 v35, v35, v103
	v_exp_f32_e32 v35, v35
	v_cvt_i32_f32_e32 v103, v112
	s_mov_b32 s13, 0xc2ce8ed0
	v_cmp_ngt_f32_e32 vcc, s13, v34
	s_mov_b32 s13, 0x42b17218
	v_ldexp_f32 v35, v35, v103
	v_cndmask_b32_e32 v35, 0, v35, vcc
	v_mov_b32_e32 v103, 0x7f800000
	v_cmp_nlt_f32_e32 vcc, s13, v34
	v_cndmask_b32_e32 v134, v103, v35, vcc
	v_add_f32_e32 v103, 1.0, v134
	v_add_f32_e32 v34, -1.0, v103
	v_sub_f32_e32 v35, v34, v103
	v_add_f32_e32 v35, 1.0, v35
	v_sub_f32_e32 v34, v134, v34
	v_add_f32_e32 v112, v34, v35
	v_frexp_mant_f32_e32 v113, v103
	s_mov_b32 s13, 0x3f2aaaab
	v_cvt_f64_f32_e32 v[34:35], v103
	v_frexp_exp_i32_f64_e32 v34, v[34:35]
	v_cmp_gt_f32_e32 vcc, s13, v113
	v_subbrev_co_u32_e32 v118, vcc, 0, v34, vcc
	v_sub_u32_e32 v34, 0, v118
	v_ldexp_f32 v35, v103, v34
	v_add_f32_e32 v103, -1.0, v35
	v_add_f32_e32 v113, 1.0, v35
	v_ldexp_f32 v34, v112, v34
	v_add_f32_e32 v112, 1.0, v103
	v_add_f32_e32 v114, -1.0, v113
	v_sub_f32_e32 v112, v35, v112
	v_sub_f32_e32 v35, v35, v114
	v_add_f32_e32 v112, v34, v112
	v_add_f32_e32 v34, v34, v35
	;; [unrolled: 1-line block ×3, first 2 shown]
	v_rcp_f32_e32 v129, v119
	v_sub_f32_e32 v35, v113, v119
	v_add_f32_e32 v128, v34, v35
	v_add_f32_e32 v35, v103, v112
	v_sub_f32_e32 v34, v103, v35
	v_mul_f32_e32 v130, v35, v129
	v_add_f32_e32 v103, v112, v34
	v_mul_f32_e32 v112, v119, v130
	v_fma_f32 v114, v130, v119, -v112
	v_fmac_f32_e32 v114, v130, v128
	v_add_f32_e32 v34, v112, v114
	v_sub_f32_e32 v113, v35, v34
	v_pk_add_f32 v[116:117], v[34:35], v[112:113] neg_lo:[0,1] neg_hi:[0,1]
	v_mov_b32_e32 v115, v34
	v_pk_add_f32 v[34:35], v[116:117], v[114:115] neg_lo:[0,1] neg_hi:[0,1]
	v_add_f32_e32 v35, v103, v35
	v_add_f32_e32 v34, v34, v35
	;; [unrolled: 1-line block ×3, first 2 shown]
	v_mul_f32_e32 v103, v129, v35
	v_mul_f32_e32 v112, v119, v103
	v_fma_f32 v114, v103, v119, -v112
	v_fmac_f32_e32 v114, v103, v128
	v_sub_f32_e32 v113, v113, v35
	v_add_f32_e32 v119, v34, v113
	v_add_f32_e32 v34, v112, v114
	v_sub_f32_e32 v113, v35, v34
	v_pk_add_f32 v[116:117], v[34:35], v[112:113] neg_lo:[0,1] neg_hi:[0,1]
	v_mov_b32_e32 v115, v34
	v_pk_add_f32 v[34:35], v[116:117], v[114:115] neg_lo:[0,1] neg_hi:[0,1]
	v_add_f32_e32 v35, v119, v35
	v_add_f32_e32 v34, v34, v35
	;; [unrolled: 1-line block ×4, first 2 shown]
	v_sub_f32_e32 v35, v113, v130
	v_mul_f32_e32 v34, v129, v34
	v_sub_f32_e32 v35, v103, v35
	v_add_f32_e32 v34, v35, v34
	v_add_f32_e32 v103, v113, v34
	v_mul_f32_e32 v114, v103, v103
	v_mov_b32_e32 v112, 0x3ecc95a3
	v_fmac_f32_e32 v112, 0x3e9b6dac, v114
	v_mov_b32_e32 v35, 0x3f2aaada
	v_fmac_f32_e32 v35, v114, v112
	v_cvt_f32_i32_e32 v112, v118
	v_sub_f32_e32 v113, v103, v113
	v_sub_f32_e32 v34, v34, v113
	v_ldexp_f32 v116, v34, 1
	v_mul_f32_e32 v113, v103, v114
	v_mov_b32_e32 v34, 0x3f317218
	s_mov_b32 s13, 0x3f317218
	v_pk_mul_f32 v[34:35], v[112:113], v[34:35]
	v_fma_f32 v114, v112, s13, -v34
	v_ldexp_f32 v115, v103, 1
	v_fmac_f32_e32 v114, 0xb102e308, v112
	v_pk_add_f32 v[112:113], v[34:35], v[114:115]
	v_sub_f32_e32 v103, v113, v115
	v_sub_f32_e32 v103, v35, v103
	v_add_f32_e32 v117, v116, v103
	v_mov_b32_e32 v116, v34
	v_pk_add_f32 v[34:35], v[112:113], v[34:35] neg_lo:[0,1] neg_hi:[0,1]
	v_pk_add_f32 v[118:119], v[112:113], v[116:117]
	v_mov_b32_e32 v35, v119
	v_mov_b32_e32 v115, v112
	v_pk_add_f32 v[128:129], v[114:115], v[34:35] neg_lo:[0,1] neg_hi:[0,1]
	v_pk_add_f32 v[34:35], v[114:115], v[34:35]
	v_mov_b32_e32 v114, v35
	v_pk_add_f32 v[130:131], v[114:115], v[112:113] neg_lo:[0,1] neg_hi:[0,1]
	v_mov_b32_e32 v103, v130
	v_pk_add_f32 v[132:133], v[118:119], v[102:103] neg_lo:[0,1] neg_hi:[0,1]
	v_mov_b32_e32 v34, v119
	v_mov_b32_e32 v118, v113
	;; [unrolled: 1-line block ×4, first 2 shown]
	v_pk_add_f32 v[34:35], v[34:35], v[118:119] neg_lo:[0,1] neg_hi:[0,1]
	v_mov_b32_e32 v116, v117
	v_mov_b32_e32 v117, v112
	v_pk_add_f32 v[34:35], v[116:117], v[34:35] neg_lo:[0,1] neg_hi:[0,1]
	v_mov_b32_e32 v132, v128
	v_pk_add_f32 v[112:113], v[132:133], v[34:35]
	v_mov_b32_e32 v116, v113
	v_pk_add_f32 v[116:117], v[112:113], v[116:117]
	v_pk_add_f32 v[114:115], v[114:115], v[116:117]
	v_mov_b32_e32 v113, v114
	v_pk_add_f32 v[118:119], v[112:113], v[128:129] neg_lo:[0,1] neg_hi:[0,1]
	v_mov_b32_e32 v35, v116
	v_sub_f32_e32 v103, v112, v118
	v_pk_add_f32 v[34:35], v[34:35], v[118:119] neg_lo:[0,1] neg_hi:[0,1]
	v_sub_f32_e32 v103, v128, v103
	s_mov_b32 s68, 0x7f800000
	v_add_f32_e32 v34, v34, v103
	s_mov_b32 s13, 0x33800000
	v_add_f32_e32 v34, v34, v35
	v_cmp_eq_f32_e32 vcc, s68, v134
	v_cmp_lt_f32_e64 s[68:69], |v134|, s13
	v_add_f32_e32 v34, v114, v34
	s_or_b64 vcc, vcc, s[68:69]
	v_cndmask_b32_e32 v34, v34, v134, vcc
	v_add_f32_e32 v33, v33, v34
	v_cvt_f16_f32_e32 v34, v33
.LBB401_141:
	s_or_b64 exec, exec, s[60:61]
	v_and_b32_e32 v33, 0xffff, v34
	v_mov_b32_e32 v131, v34
.LBB401_142:
	s_or_b64 exec, exec, s[66:67]
	v_cmp_gt_u32_e32 vcc, 60, v98
	s_waitcnt lgkmcnt(0)
	v_cndmask_b32_e64 v34, 0, 1, vcc
	v_lshlrev_b32_e32 v34, 2, v34
	v_add_lshl_u32 v103, v34, v27, 2
	ds_bpermute_b32 v34, v103, v33
	v_add_u32_e32 v112, 4, v98
	v_cmp_le_u32_e32 vcc, v112, v32
	s_and_saveexec_b64 s[66:67], vcc
	s_cbranch_execz .LBB401_146
; %bb.143:
	s_waitcnt lgkmcnt(0)
	v_cvt_f32_f16_e32 v33, v34
	v_cvt_f32_f16_e32 v113, v131
	v_cmp_u_f16_e32 vcc, v34, v34
	v_cmp_u_f16_e64 s[60:61], v131, v131
	s_movk_i32 s13, 0x1f8
	v_min_f32_e32 v35, v33, v113
	v_max_f32_e32 v114, v33, v113
	v_cndmask_b32_e32 v35, v35, v33, vcc
	v_cndmask_b32_e32 v33, v114, v33, vcc
	v_cndmask_b32_e64 v35, v35, v113, s[60:61]
	v_cndmask_b32_e64 v33, v33, v113, s[60:61]
	v_cmp_neq_f32_e32 vcc, v35, v33
	v_cmp_class_f32_e64 s[60:61], v35, s13
	s_or_b64 vcc, vcc, s[60:61]
	s_and_saveexec_b64 s[60:61], vcc
	s_cbranch_execz .LBB401_145
; %bb.144:
	v_sub_f32_e32 v34, v35, v33
	s_mov_b32 s13, 0x3fb8aa3b
	v_mul_f32_e32 v35, 0x3fb8aa3b, v34
	v_fma_f32 v113, v34, s13, -v35
	v_rndne_f32_e32 v114, v35
	v_fmac_f32_e32 v113, 0x32a5705f, v34
	v_sub_f32_e32 v35, v35, v114
	v_add_f32_e32 v35, v35, v113
	v_exp_f32_e32 v35, v35
	v_cvt_i32_f32_e32 v113, v114
	s_mov_b32 s13, 0xc2ce8ed0
	v_cmp_ngt_f32_e32 vcc, s13, v34
	s_mov_b32 s13, 0x42b17218
	v_ldexp_f32 v35, v35, v113
	v_cndmask_b32_e32 v35, 0, v35, vcc
	v_mov_b32_e32 v113, 0x7f800000
	v_cmp_nlt_f32_e32 vcc, s13, v34
	v_cndmask_b32_e32 v144, v113, v35, vcc
	v_add_f32_e32 v113, 1.0, v144
	v_add_f32_e32 v34, -1.0, v113
	v_sub_f32_e32 v35, v34, v113
	v_add_f32_e32 v35, 1.0, v35
	v_sub_f32_e32 v34, v144, v34
	v_add_f32_e32 v114, v34, v35
	v_frexp_mant_f32_e32 v115, v113
	s_mov_b32 s13, 0x3f2aaaab
	v_cvt_f64_f32_e32 v[34:35], v113
	v_frexp_exp_i32_f64_e32 v34, v[34:35]
	v_cmp_gt_f32_e32 vcc, s13, v115
	v_subbrev_co_u32_e32 v128, vcc, 0, v34, vcc
	v_sub_u32_e32 v34, 0, v128
	v_ldexp_f32 v35, v113, v34
	v_add_f32_e32 v113, -1.0, v35
	v_add_f32_e32 v115, 1.0, v35
	v_ldexp_f32 v34, v114, v34
	v_add_f32_e32 v114, 1.0, v113
	v_add_f32_e32 v116, -1.0, v115
	v_sub_f32_e32 v114, v35, v114
	v_sub_f32_e32 v35, v35, v116
	v_add_f32_e32 v114, v34, v114
	v_add_f32_e32 v34, v34, v35
	;; [unrolled: 1-line block ×3, first 2 shown]
	v_rcp_f32_e32 v131, v129
	v_sub_f32_e32 v35, v115, v129
	v_add_f32_e32 v130, v34, v35
	v_add_f32_e32 v35, v113, v114
	v_sub_f32_e32 v34, v113, v35
	v_mul_f32_e32 v132, v35, v131
	v_add_f32_e32 v113, v114, v34
	v_mul_f32_e32 v114, v129, v132
	v_fma_f32 v116, v132, v129, -v114
	v_fmac_f32_e32 v116, v132, v130
	v_add_f32_e32 v34, v114, v116
	v_sub_f32_e32 v115, v35, v34
	v_pk_add_f32 v[118:119], v[34:35], v[114:115] neg_lo:[0,1] neg_hi:[0,1]
	v_mov_b32_e32 v117, v34
	v_pk_add_f32 v[34:35], v[118:119], v[116:117] neg_lo:[0,1] neg_hi:[0,1]
	v_add_f32_e32 v35, v113, v35
	v_add_f32_e32 v34, v34, v35
	;; [unrolled: 1-line block ×3, first 2 shown]
	v_mul_f32_e32 v113, v131, v35
	v_mul_f32_e32 v114, v129, v113
	v_fma_f32 v116, v113, v129, -v114
	v_fmac_f32_e32 v116, v113, v130
	v_sub_f32_e32 v115, v115, v35
	v_add_f32_e32 v129, v34, v115
	v_add_f32_e32 v34, v114, v116
	v_sub_f32_e32 v115, v35, v34
	v_pk_add_f32 v[118:119], v[34:35], v[114:115] neg_lo:[0,1] neg_hi:[0,1]
	v_mov_b32_e32 v117, v34
	v_pk_add_f32 v[34:35], v[118:119], v[116:117] neg_lo:[0,1] neg_hi:[0,1]
	v_add_f32_e32 v35, v129, v35
	v_add_f32_e32 v34, v34, v35
	;; [unrolled: 1-line block ×4, first 2 shown]
	v_sub_f32_e32 v35, v115, v132
	v_mul_f32_e32 v34, v131, v34
	v_sub_f32_e32 v35, v113, v35
	v_add_f32_e32 v34, v35, v34
	v_add_f32_e32 v113, v115, v34
	v_mul_f32_e32 v116, v113, v113
	v_mov_b32_e32 v114, 0x3ecc95a3
	v_fmac_f32_e32 v114, 0x3e9b6dac, v116
	v_mov_b32_e32 v35, 0x3f2aaada
	v_fmac_f32_e32 v35, v116, v114
	v_cvt_f32_i32_e32 v114, v128
	v_sub_f32_e32 v115, v113, v115
	v_sub_f32_e32 v34, v34, v115
	v_ldexp_f32 v118, v34, 1
	v_mul_f32_e32 v115, v113, v116
	v_mov_b32_e32 v34, 0x3f317218
	s_mov_b32 s13, 0x3f317218
	v_pk_mul_f32 v[34:35], v[114:115], v[34:35]
	v_fma_f32 v116, v114, s13, -v34
	v_ldexp_f32 v117, v113, 1
	v_fmac_f32_e32 v116, 0xb102e308, v114
	v_pk_add_f32 v[114:115], v[34:35], v[116:117]
	v_sub_f32_e32 v113, v115, v117
	v_sub_f32_e32 v113, v35, v113
	v_add_f32_e32 v119, v118, v113
	v_mov_b32_e32 v118, v34
	v_pk_add_f32 v[34:35], v[114:115], v[34:35] neg_lo:[0,1] neg_hi:[0,1]
	v_pk_add_f32 v[128:129], v[114:115], v[118:119]
	v_mov_b32_e32 v35, v129
	v_mov_b32_e32 v117, v114
	v_pk_add_f32 v[130:131], v[116:117], v[34:35] neg_lo:[0,1] neg_hi:[0,1]
	v_pk_add_f32 v[34:35], v[116:117], v[34:35]
	v_mov_b32_e32 v116, v35
	v_pk_add_f32 v[132:133], v[116:117], v[114:115] neg_lo:[0,1] neg_hi:[0,1]
	v_mov_b32_e32 v113, v132
	v_pk_add_f32 v[134:135], v[128:129], v[112:113] neg_lo:[0,1] neg_hi:[0,1]
	v_mov_b32_e32 v34, v129
	v_mov_b32_e32 v128, v115
	;; [unrolled: 1-line block ×4, first 2 shown]
	v_pk_add_f32 v[34:35], v[34:35], v[128:129] neg_lo:[0,1] neg_hi:[0,1]
	v_mov_b32_e32 v118, v119
	v_mov_b32_e32 v119, v114
	v_pk_add_f32 v[34:35], v[118:119], v[34:35] neg_lo:[0,1] neg_hi:[0,1]
	v_mov_b32_e32 v134, v130
	v_pk_add_f32 v[114:115], v[134:135], v[34:35]
	v_mov_b32_e32 v118, v115
	v_pk_add_f32 v[118:119], v[114:115], v[118:119]
	v_pk_add_f32 v[116:117], v[116:117], v[118:119]
	v_mov_b32_e32 v115, v116
	v_pk_add_f32 v[128:129], v[114:115], v[130:131] neg_lo:[0,1] neg_hi:[0,1]
	v_mov_b32_e32 v35, v118
	v_sub_f32_e32 v113, v114, v128
	v_pk_add_f32 v[34:35], v[34:35], v[128:129] neg_lo:[0,1] neg_hi:[0,1]
	v_sub_f32_e32 v113, v130, v113
	s_mov_b32 s68, 0x7f800000
	v_add_f32_e32 v34, v34, v113
	s_mov_b32 s13, 0x33800000
	v_add_f32_e32 v34, v34, v35
	v_cmp_eq_f32_e32 vcc, s68, v144
	v_cmp_lt_f32_e64 s[68:69], |v144|, s13
	v_add_f32_e32 v34, v116, v34
	s_or_b64 vcc, vcc, s[68:69]
	v_cndmask_b32_e32 v34, v34, v144, vcc
	v_add_f32_e32 v33, v33, v34
	v_cvt_f16_f32_e32 v34, v33
.LBB401_145:
	s_or_b64 exec, exec, s[60:61]
	v_and_b32_e32 v33, 0xffff, v34
	v_mov_b32_e32 v131, v34
.LBB401_146:
	s_or_b64 exec, exec, s[66:67]
	v_cmp_gt_u32_e32 vcc, 56, v98
	s_waitcnt lgkmcnt(0)
	v_cndmask_b32_e64 v34, 0, 1, vcc
	v_lshlrev_b32_e32 v34, 3, v34
	v_add_lshl_u32 v113, v34, v27, 2
	ds_bpermute_b32 v34, v113, v33
	v_add_u32_e32 v114, 8, v98
	v_cmp_le_u32_e32 vcc, v114, v32
	s_and_saveexec_b64 s[66:67], vcc
	s_cbranch_execz .LBB401_150
; %bb.147:
	s_waitcnt lgkmcnt(0)
	v_cvt_f32_f16_e32 v33, v34
	v_cvt_f32_f16_e32 v115, v131
	v_cmp_u_f16_e32 vcc, v34, v34
	v_cmp_u_f16_e64 s[60:61], v131, v131
	s_movk_i32 s13, 0x1f8
	v_min_f32_e32 v35, v33, v115
	v_max_f32_e32 v116, v33, v115
	v_cndmask_b32_e32 v35, v35, v33, vcc
	v_cndmask_b32_e32 v33, v116, v33, vcc
	v_cndmask_b32_e64 v35, v35, v115, s[60:61]
	v_cndmask_b32_e64 v33, v33, v115, s[60:61]
	v_cmp_neq_f32_e32 vcc, v35, v33
	v_cmp_class_f32_e64 s[60:61], v35, s13
	s_or_b64 vcc, vcc, s[60:61]
	s_and_saveexec_b64 s[60:61], vcc
	s_cbranch_execz .LBB401_149
; %bb.148:
	v_sub_f32_e32 v34, v35, v33
	s_mov_b32 s13, 0x3fb8aa3b
	v_mul_f32_e32 v35, 0x3fb8aa3b, v34
	v_fma_f32 v115, v34, s13, -v35
	v_rndne_f32_e32 v116, v35
	v_fmac_f32_e32 v115, 0x32a5705f, v34
	v_sub_f32_e32 v35, v35, v116
	v_add_f32_e32 v35, v35, v115
	v_exp_f32_e32 v35, v35
	v_cvt_i32_f32_e32 v115, v116
	s_mov_b32 s13, 0xc2ce8ed0
	v_cmp_ngt_f32_e32 vcc, s13, v34
	s_mov_b32 s13, 0x42b17218
	v_ldexp_f32 v35, v35, v115
	v_cndmask_b32_e32 v35, 0, v35, vcc
	v_mov_b32_e32 v115, 0x7f800000
	v_cmp_nlt_f32_e32 vcc, s13, v34
	v_cndmask_b32_e32 v146, v115, v35, vcc
	v_add_f32_e32 v115, 1.0, v146
	v_add_f32_e32 v34, -1.0, v115
	v_sub_f32_e32 v35, v34, v115
	v_add_f32_e32 v35, 1.0, v35
	v_sub_f32_e32 v34, v146, v34
	v_add_f32_e32 v116, v34, v35
	v_frexp_mant_f32_e32 v117, v115
	s_mov_b32 s13, 0x3f2aaaab
	v_cvt_f64_f32_e32 v[34:35], v115
	v_frexp_exp_i32_f64_e32 v34, v[34:35]
	v_cmp_gt_f32_e32 vcc, s13, v117
	v_subbrev_co_u32_e32 v130, vcc, 0, v34, vcc
	v_sub_u32_e32 v34, 0, v130
	v_ldexp_f32 v35, v115, v34
	v_add_f32_e32 v115, -1.0, v35
	v_add_f32_e32 v117, 1.0, v35
	v_ldexp_f32 v34, v116, v34
	v_add_f32_e32 v116, 1.0, v115
	v_add_f32_e32 v118, -1.0, v117
	v_sub_f32_e32 v116, v35, v116
	v_sub_f32_e32 v35, v35, v118
	v_add_f32_e32 v116, v34, v116
	v_add_f32_e32 v34, v34, v35
	;; [unrolled: 1-line block ×3, first 2 shown]
	v_rcp_f32_e32 v133, v131
	v_sub_f32_e32 v35, v117, v131
	v_add_f32_e32 v132, v34, v35
	v_add_f32_e32 v35, v115, v116
	v_sub_f32_e32 v34, v115, v35
	v_mul_f32_e32 v134, v35, v133
	v_add_f32_e32 v115, v116, v34
	v_mul_f32_e32 v116, v131, v134
	v_fma_f32 v118, v134, v131, -v116
	v_fmac_f32_e32 v118, v134, v132
	v_add_f32_e32 v34, v116, v118
	v_sub_f32_e32 v117, v35, v34
	v_pk_add_f32 v[128:129], v[34:35], v[116:117] neg_lo:[0,1] neg_hi:[0,1]
	v_mov_b32_e32 v119, v34
	v_pk_add_f32 v[34:35], v[128:129], v[118:119] neg_lo:[0,1] neg_hi:[0,1]
	v_add_f32_e32 v35, v115, v35
	v_add_f32_e32 v34, v34, v35
	;; [unrolled: 1-line block ×3, first 2 shown]
	v_mul_f32_e32 v115, v133, v35
	v_mul_f32_e32 v116, v131, v115
	v_fma_f32 v118, v115, v131, -v116
	v_fmac_f32_e32 v118, v115, v132
	v_sub_f32_e32 v117, v117, v35
	v_add_f32_e32 v131, v34, v117
	v_add_f32_e32 v34, v116, v118
	v_sub_f32_e32 v117, v35, v34
	v_pk_add_f32 v[128:129], v[34:35], v[116:117] neg_lo:[0,1] neg_hi:[0,1]
	v_mov_b32_e32 v119, v34
	v_pk_add_f32 v[34:35], v[128:129], v[118:119] neg_lo:[0,1] neg_hi:[0,1]
	v_add_f32_e32 v35, v131, v35
	v_add_f32_e32 v34, v34, v35
	v_add_f32_e32 v34, v117, v34
	v_add_f32_e32 v117, v134, v115
	v_sub_f32_e32 v35, v117, v134
	v_mul_f32_e32 v34, v133, v34
	v_sub_f32_e32 v35, v115, v35
	v_add_f32_e32 v34, v35, v34
	v_add_f32_e32 v115, v117, v34
	v_mul_f32_e32 v118, v115, v115
	v_mov_b32_e32 v116, 0x3ecc95a3
	v_fmac_f32_e32 v116, 0x3e9b6dac, v118
	v_mov_b32_e32 v35, 0x3f2aaada
	v_fmac_f32_e32 v35, v118, v116
	v_cvt_f32_i32_e32 v116, v130
	v_sub_f32_e32 v117, v115, v117
	v_sub_f32_e32 v34, v34, v117
	v_ldexp_f32 v128, v34, 1
	v_mul_f32_e32 v117, v115, v118
	v_mov_b32_e32 v34, 0x3f317218
	s_mov_b32 s13, 0x3f317218
	v_pk_mul_f32 v[34:35], v[116:117], v[34:35]
	v_fma_f32 v118, v116, s13, -v34
	v_ldexp_f32 v119, v115, 1
	v_fmac_f32_e32 v118, 0xb102e308, v116
	v_pk_add_f32 v[116:117], v[34:35], v[118:119]
	v_sub_f32_e32 v115, v117, v119
	v_sub_f32_e32 v115, v35, v115
	v_add_f32_e32 v129, v128, v115
	v_mov_b32_e32 v128, v34
	v_pk_add_f32 v[34:35], v[116:117], v[34:35] neg_lo:[0,1] neg_hi:[0,1]
	v_pk_add_f32 v[130:131], v[116:117], v[128:129]
	v_mov_b32_e32 v35, v131
	v_mov_b32_e32 v119, v116
	v_pk_add_f32 v[132:133], v[118:119], v[34:35] neg_lo:[0,1] neg_hi:[0,1]
	v_pk_add_f32 v[34:35], v[118:119], v[34:35]
	v_mov_b32_e32 v118, v35
	v_pk_add_f32 v[134:135], v[118:119], v[116:117] neg_lo:[0,1] neg_hi:[0,1]
	v_mov_b32_e32 v115, v134
	v_pk_add_f32 v[144:145], v[130:131], v[114:115] neg_lo:[0,1] neg_hi:[0,1]
	v_mov_b32_e32 v34, v131
	v_mov_b32_e32 v130, v117
	v_mov_b32_e32 v131, v134
	v_mov_b32_e32 v133, v35
	v_pk_add_f32 v[34:35], v[34:35], v[130:131] neg_lo:[0,1] neg_hi:[0,1]
	v_mov_b32_e32 v128, v129
	v_mov_b32_e32 v129, v116
	v_pk_add_f32 v[34:35], v[128:129], v[34:35] neg_lo:[0,1] neg_hi:[0,1]
	v_mov_b32_e32 v144, v132
	v_pk_add_f32 v[116:117], v[144:145], v[34:35]
	v_mov_b32_e32 v128, v117
	v_pk_add_f32 v[128:129], v[116:117], v[128:129]
	v_pk_add_f32 v[118:119], v[118:119], v[128:129]
	v_mov_b32_e32 v117, v118
	v_pk_add_f32 v[130:131], v[116:117], v[132:133] neg_lo:[0,1] neg_hi:[0,1]
	v_mov_b32_e32 v35, v128
	v_sub_f32_e32 v115, v116, v130
	v_pk_add_f32 v[34:35], v[34:35], v[130:131] neg_lo:[0,1] neg_hi:[0,1]
	v_sub_f32_e32 v115, v132, v115
	s_mov_b32 s68, 0x7f800000
	v_add_f32_e32 v34, v34, v115
	s_mov_b32 s13, 0x33800000
	v_add_f32_e32 v34, v34, v35
	v_cmp_eq_f32_e32 vcc, s68, v146
	v_cmp_lt_f32_e64 s[68:69], |v146|, s13
	v_add_f32_e32 v34, v118, v34
	s_or_b64 vcc, vcc, s[68:69]
	v_cndmask_b32_e32 v34, v34, v146, vcc
	v_add_f32_e32 v33, v33, v34
	v_cvt_f16_f32_e32 v34, v33
.LBB401_149:
	s_or_b64 exec, exec, s[60:61]
	v_and_b32_e32 v33, 0xffff, v34
	v_mov_b32_e32 v131, v34
.LBB401_150:
	s_or_b64 exec, exec, s[66:67]
	v_cmp_gt_u32_e32 vcc, 48, v98
	s_waitcnt lgkmcnt(0)
	v_cndmask_b32_e64 v34, 0, 1, vcc
	v_lshlrev_b32_e32 v34, 4, v34
	v_add_lshl_u32 v115, v34, v27, 2
	ds_bpermute_b32 v34, v115, v33
	v_add_u32_e32 v116, 16, v98
	v_cmp_le_u32_e32 vcc, v116, v32
	s_and_saveexec_b64 s[66:67], vcc
	s_cbranch_execz .LBB401_154
; %bb.151:
	s_waitcnt lgkmcnt(0)
	v_cvt_f32_f16_e32 v33, v34
	v_cvt_f32_f16_e32 v117, v131
	v_cmp_u_f16_e32 vcc, v34, v34
	v_cmp_u_f16_e64 s[60:61], v131, v131
	s_movk_i32 s13, 0x1f8
	v_min_f32_e32 v35, v33, v117
	v_max_f32_e32 v118, v33, v117
	v_cndmask_b32_e32 v35, v35, v33, vcc
	v_cndmask_b32_e32 v33, v118, v33, vcc
	v_cndmask_b32_e64 v35, v35, v117, s[60:61]
	v_cndmask_b32_e64 v33, v33, v117, s[60:61]
	v_cmp_neq_f32_e32 vcc, v35, v33
	v_cmp_class_f32_e64 s[60:61], v35, s13
	s_or_b64 vcc, vcc, s[60:61]
	s_and_saveexec_b64 s[60:61], vcc
	s_cbranch_execz .LBB401_153
; %bb.152:
	v_sub_f32_e32 v34, v35, v33
	s_mov_b32 s13, 0x3fb8aa3b
	v_mul_f32_e32 v35, 0x3fb8aa3b, v34
	v_fma_f32 v117, v34, s13, -v35
	v_rndne_f32_e32 v118, v35
	v_fmac_f32_e32 v117, 0x32a5705f, v34
	v_sub_f32_e32 v35, v35, v118
	v_add_f32_e32 v35, v35, v117
	v_exp_f32_e32 v35, v35
	v_cvt_i32_f32_e32 v117, v118
	s_mov_b32 s13, 0xc2ce8ed0
	v_cmp_ngt_f32_e32 vcc, s13, v34
	s_mov_b32 s13, 0x42b17218
	v_ldexp_f32 v35, v35, v117
	v_cndmask_b32_e32 v35, 0, v35, vcc
	v_mov_b32_e32 v117, 0x7f800000
	v_cmp_nlt_f32_e32 vcc, s13, v34
	v_cndmask_b32_e32 v148, v117, v35, vcc
	v_add_f32_e32 v117, 1.0, v148
	v_add_f32_e32 v34, -1.0, v117
	v_sub_f32_e32 v35, v34, v117
	v_add_f32_e32 v35, 1.0, v35
	v_sub_f32_e32 v34, v148, v34
	v_add_f32_e32 v118, v34, v35
	v_frexp_mant_f32_e32 v119, v117
	s_mov_b32 s13, 0x3f2aaaab
	v_cvt_f64_f32_e32 v[34:35], v117
	v_frexp_exp_i32_f64_e32 v34, v[34:35]
	v_cmp_gt_f32_e32 vcc, s13, v119
	v_subbrev_co_u32_e32 v132, vcc, 0, v34, vcc
	v_sub_u32_e32 v34, 0, v132
	v_ldexp_f32 v35, v117, v34
	v_add_f32_e32 v117, -1.0, v35
	v_add_f32_e32 v119, 1.0, v35
	v_ldexp_f32 v34, v118, v34
	v_add_f32_e32 v118, 1.0, v117
	v_add_f32_e32 v128, -1.0, v119
	v_sub_f32_e32 v118, v35, v118
	v_sub_f32_e32 v35, v35, v128
	v_add_f32_e32 v118, v34, v118
	v_add_f32_e32 v34, v34, v35
	;; [unrolled: 1-line block ×3, first 2 shown]
	v_rcp_f32_e32 v135, v133
	v_sub_f32_e32 v35, v119, v133
	v_add_f32_e32 v134, v34, v35
	v_add_f32_e32 v35, v117, v118
	v_sub_f32_e32 v34, v117, v35
	v_mul_f32_e32 v144, v35, v135
	v_add_f32_e32 v117, v118, v34
	v_mul_f32_e32 v118, v133, v144
	v_fma_f32 v128, v144, v133, -v118
	v_fmac_f32_e32 v128, v144, v134
	v_add_f32_e32 v34, v118, v128
	v_sub_f32_e32 v119, v35, v34
	v_pk_add_f32 v[130:131], v[34:35], v[118:119] neg_lo:[0,1] neg_hi:[0,1]
	v_mov_b32_e32 v129, v34
	v_pk_add_f32 v[34:35], v[130:131], v[128:129] neg_lo:[0,1] neg_hi:[0,1]
	v_add_f32_e32 v35, v117, v35
	v_add_f32_e32 v34, v34, v35
	;; [unrolled: 1-line block ×3, first 2 shown]
	v_mul_f32_e32 v117, v135, v35
	v_mul_f32_e32 v118, v133, v117
	v_fma_f32 v128, v117, v133, -v118
	v_fmac_f32_e32 v128, v117, v134
	v_sub_f32_e32 v119, v119, v35
	v_add_f32_e32 v133, v34, v119
	v_add_f32_e32 v34, v118, v128
	v_sub_f32_e32 v119, v35, v34
	v_pk_add_f32 v[130:131], v[34:35], v[118:119] neg_lo:[0,1] neg_hi:[0,1]
	v_mov_b32_e32 v129, v34
	v_pk_add_f32 v[34:35], v[130:131], v[128:129] neg_lo:[0,1] neg_hi:[0,1]
	v_add_f32_e32 v35, v133, v35
	v_add_f32_e32 v34, v34, v35
	;; [unrolled: 1-line block ×4, first 2 shown]
	v_sub_f32_e32 v35, v119, v144
	v_mul_f32_e32 v34, v135, v34
	v_sub_f32_e32 v35, v117, v35
	v_add_f32_e32 v34, v35, v34
	v_add_f32_e32 v117, v119, v34
	v_mul_f32_e32 v128, v117, v117
	v_mov_b32_e32 v118, 0x3ecc95a3
	v_fmac_f32_e32 v118, 0x3e9b6dac, v128
	v_mov_b32_e32 v35, 0x3f2aaada
	v_fmac_f32_e32 v35, v128, v118
	v_cvt_f32_i32_e32 v118, v132
	v_sub_f32_e32 v119, v117, v119
	v_sub_f32_e32 v34, v34, v119
	v_ldexp_f32 v130, v34, 1
	v_mul_f32_e32 v119, v117, v128
	v_mov_b32_e32 v34, 0x3f317218
	s_mov_b32 s13, 0x3f317218
	v_pk_mul_f32 v[34:35], v[118:119], v[34:35]
	v_fma_f32 v128, v118, s13, -v34
	v_ldexp_f32 v129, v117, 1
	v_fmac_f32_e32 v128, 0xb102e308, v118
	v_pk_add_f32 v[118:119], v[34:35], v[128:129]
	v_sub_f32_e32 v117, v119, v129
	v_sub_f32_e32 v117, v35, v117
	v_add_f32_e32 v131, v130, v117
	v_mov_b32_e32 v130, v34
	v_pk_add_f32 v[34:35], v[118:119], v[34:35] neg_lo:[0,1] neg_hi:[0,1]
	v_pk_add_f32 v[132:133], v[118:119], v[130:131]
	v_mov_b32_e32 v35, v133
	v_mov_b32_e32 v129, v118
	v_pk_add_f32 v[134:135], v[128:129], v[34:35] neg_lo:[0,1] neg_hi:[0,1]
	v_pk_add_f32 v[34:35], v[128:129], v[34:35]
	v_mov_b32_e32 v128, v35
	v_pk_add_f32 v[144:145], v[128:129], v[118:119] neg_lo:[0,1] neg_hi:[0,1]
	v_mov_b32_e32 v117, v144
	v_pk_add_f32 v[146:147], v[132:133], v[116:117] neg_lo:[0,1] neg_hi:[0,1]
	v_mov_b32_e32 v34, v133
	v_mov_b32_e32 v132, v119
	;; [unrolled: 1-line block ×4, first 2 shown]
	v_pk_add_f32 v[34:35], v[34:35], v[132:133] neg_lo:[0,1] neg_hi:[0,1]
	v_mov_b32_e32 v130, v131
	v_mov_b32_e32 v131, v118
	v_pk_add_f32 v[34:35], v[130:131], v[34:35] neg_lo:[0,1] neg_hi:[0,1]
	v_mov_b32_e32 v146, v134
	v_pk_add_f32 v[118:119], v[146:147], v[34:35]
	v_mov_b32_e32 v130, v119
	v_pk_add_f32 v[130:131], v[118:119], v[130:131]
	v_pk_add_f32 v[128:129], v[128:129], v[130:131]
	v_mov_b32_e32 v119, v128
	v_pk_add_f32 v[132:133], v[118:119], v[134:135] neg_lo:[0,1] neg_hi:[0,1]
	v_mov_b32_e32 v35, v130
	v_sub_f32_e32 v117, v118, v132
	v_pk_add_f32 v[34:35], v[34:35], v[132:133] neg_lo:[0,1] neg_hi:[0,1]
	v_sub_f32_e32 v117, v134, v117
	s_mov_b32 s68, 0x7f800000
	v_add_f32_e32 v34, v34, v117
	s_mov_b32 s13, 0x33800000
	v_add_f32_e32 v34, v34, v35
	v_cmp_eq_f32_e32 vcc, s68, v148
	v_cmp_lt_f32_e64 s[68:69], |v148|, s13
	v_add_f32_e32 v34, v128, v34
	s_or_b64 vcc, vcc, s[68:69]
	v_cndmask_b32_e32 v34, v34, v148, vcc
	v_add_f32_e32 v33, v33, v34
	v_cvt_f16_f32_e32 v34, v33
.LBB401_153:
	s_or_b64 exec, exec, s[60:61]
	v_and_b32_e32 v33, 0xffff, v34
	v_mov_b32_e32 v131, v34
.LBB401_154:
	s_or_b64 exec, exec, s[66:67]
	v_cmp_gt_u32_e32 vcc, 32, v98
	s_waitcnt lgkmcnt(0)
	v_cndmask_b32_e64 v34, 0, 1, vcc
	v_lshlrev_b32_e32 v34, 5, v34
	v_add_lshl_u32 v117, v34, v27, 2
	ds_bpermute_b32 v33, v117, v33
	v_add_u32_e32 v118, 32, v98
	v_cmp_le_u32_e32 vcc, v118, v32
	s_and_saveexec_b64 s[66:67], vcc
	s_cbranch_execz .LBB401_158
; %bb.155:
	s_waitcnt lgkmcnt(0)
	v_cvt_f32_f16_e32 v27, v33
	v_cvt_f32_f16_e32 v34, v131
	v_cmp_u_f16_e32 vcc, v33, v33
	v_cmp_u_f16_e64 s[60:61], v131, v131
	s_movk_i32 s13, 0x1f8
	v_min_f32_e32 v32, v27, v34
	v_max_f32_e32 v35, v27, v34
	v_cndmask_b32_e32 v32, v32, v27, vcc
	v_cndmask_b32_e32 v27, v35, v27, vcc
	v_cndmask_b32_e64 v32, v32, v34, s[60:61]
	v_cndmask_b32_e64 v27, v27, v34, s[60:61]
	v_cmp_neq_f32_e32 vcc, v32, v27
	v_cmp_class_f32_e64 s[60:61], v32, s13
	s_or_b64 vcc, vcc, s[60:61]
	s_and_saveexec_b64 s[60:61], vcc
	s_cbranch_execz .LBB401_157
; %bb.156:
	v_sub_f32_e32 v32, v32, v27
	s_mov_b32 s13, 0x3fb8aa3b
	v_mul_f32_e32 v33, 0x3fb8aa3b, v32
	v_fma_f32 v34, v32, s13, -v33
	v_rndne_f32_e32 v35, v33
	v_fmac_f32_e32 v34, 0x32a5705f, v32
	v_sub_f32_e32 v33, v33, v35
	v_add_f32_e32 v33, v33, v34
	v_exp_f32_e32 v33, v33
	v_cvt_i32_f32_e32 v34, v35
	s_mov_b32 s13, 0xc2ce8ed0
	v_cmp_ngt_f32_e32 vcc, s13, v32
	s_mov_b32 s13, 0x42b17218
	v_ldexp_f32 v33, v33, v34
	v_cndmask_b32_e32 v33, 0, v33, vcc
	v_mov_b32_e32 v34, 0x7f800000
	v_cmp_nlt_f32_e32 vcc, s13, v32
	v_cndmask_b32_e32 v148, v34, v33, vcc
	v_add_f32_e32 v34, 1.0, v148
	v_add_f32_e32 v32, -1.0, v34
	v_sub_f32_e32 v33, v32, v34
	v_add_f32_e32 v33, 1.0, v33
	v_sub_f32_e32 v32, v148, v32
	v_add_f32_e32 v35, v32, v33
	v_frexp_mant_f32_e32 v119, v34
	s_mov_b32 s13, 0x3f2aaaab
	v_cvt_f64_f32_e32 v[32:33], v34
	v_frexp_exp_i32_f64_e32 v32, v[32:33]
	v_cmp_gt_f32_e32 vcc, s13, v119
	v_subbrev_co_u32_e32 v119, vcc, 0, v32, vcc
	v_sub_u32_e32 v32, 0, v119
	v_ldexp_f32 v33, v34, v32
	v_add_f32_e32 v34, -1.0, v33
	v_add_f32_e32 v128, 1.0, v33
	v_ldexp_f32 v32, v35, v32
	v_add_f32_e32 v35, 1.0, v34
	v_add_f32_e32 v129, -1.0, v128
	v_sub_f32_e32 v35, v33, v35
	v_sub_f32_e32 v33, v33, v129
	v_add_f32_e32 v35, v32, v35
	v_add_f32_e32 v32, v32, v33
	;; [unrolled: 1-line block ×3, first 2 shown]
	v_rcp_f32_e32 v134, v132
	v_sub_f32_e32 v33, v128, v132
	v_add_f32_e32 v133, v32, v33
	v_add_f32_e32 v33, v34, v35
	v_mul_f32_e32 v144, v33, v134
	v_sub_f32_e32 v32, v34, v33
	v_mul_f32_e32 v34, v132, v144
	v_fma_f32 v128, v144, v132, -v34
	v_fmac_f32_e32 v128, v144, v133
	v_add_f32_e32 v135, v35, v32
	v_add_f32_e32 v32, v34, v128
	v_sub_f32_e32 v35, v33, v32
	v_pk_add_f32 v[130:131], v[32:33], v[34:35] neg_lo:[0,1] neg_hi:[0,1]
	v_mov_b32_e32 v129, v32
	v_pk_add_f32 v[32:33], v[130:131], v[128:129] neg_lo:[0,1] neg_hi:[0,1]
	v_add_f32_e32 v33, v135, v33
	v_add_f32_e32 v32, v32, v33
	;; [unrolled: 1-line block ×3, first 2 shown]
	v_mul_f32_e32 v135, v134, v33
	v_mul_f32_e32 v34, v132, v135
	v_fma_f32 v128, v135, v132, -v34
	v_fmac_f32_e32 v128, v135, v133
	v_sub_f32_e32 v35, v35, v33
	v_add_f32_e32 v132, v32, v35
	v_add_f32_e32 v32, v34, v128
	v_sub_f32_e32 v35, v33, v32
	v_pk_add_f32 v[130:131], v[32:33], v[34:35] neg_lo:[0,1] neg_hi:[0,1]
	v_mov_b32_e32 v129, v32
	v_pk_add_f32 v[32:33], v[130:131], v[128:129] neg_lo:[0,1] neg_hi:[0,1]
	v_add_f32_e32 v33, v132, v33
	v_add_f32_e32 v32, v32, v33
	v_add_f32_e32 v32, v35, v32
	v_add_f32_e32 v35, v144, v135
	v_sub_f32_e32 v33, v35, v144
	v_mul_f32_e32 v32, v134, v32
	v_sub_f32_e32 v33, v135, v33
	v_add_f32_e32 v32, v33, v32
	v_add_f32_e32 v128, v35, v32
	v_mul_f32_e32 v130, v128, v128
	v_mov_b32_e32 v34, 0x3ecc95a3
	v_fmac_f32_e32 v34, 0x3e9b6dac, v130
	v_mov_b32_e32 v33, 0x3f2aaada
	v_fmac_f32_e32 v33, v130, v34
	v_cvt_f32_i32_e32 v34, v119
	v_sub_f32_e32 v35, v128, v35
	v_sub_f32_e32 v32, v32, v35
	v_ldexp_f32 v119, v32, 1
	v_mul_f32_e32 v35, v128, v130
	v_mov_b32_e32 v32, 0x3f317218
	s_mov_b32 s13, 0x3f317218
	v_pk_mul_f32 v[32:33], v[34:35], v[32:33]
	v_ldexp_f32 v129, v128, 1
	v_fma_f32 v128, v34, s13, -v32
	v_fmac_f32_e32 v128, 0xb102e308, v34
	v_pk_add_f32 v[34:35], v[32:33], v[128:129]
	v_sub_f32_e32 v129, v35, v129
	v_sub_f32_e32 v129, v33, v129
	v_add_f32_e32 v131, v119, v129
	v_mov_b32_e32 v130, v32
	v_pk_add_f32 v[32:33], v[34:35], v[32:33] neg_lo:[0,1] neg_hi:[0,1]
	v_pk_add_f32 v[132:133], v[34:35], v[130:131]
	v_mov_b32_e32 v33, v133
	v_mov_b32_e32 v129, v34
	v_pk_add_f32 v[134:135], v[128:129], v[32:33] neg_lo:[0,1] neg_hi:[0,1]
	v_pk_add_f32 v[32:33], v[128:129], v[32:33]
	v_mov_b32_e32 v128, v33
	v_pk_add_f32 v[144:145], v[128:129], v[34:35] neg_lo:[0,1] neg_hi:[0,1]
	v_mov_b32_e32 v119, v144
	v_pk_add_f32 v[146:147], v[132:133], v[118:119] neg_lo:[0,1] neg_hi:[0,1]
	v_mov_b32_e32 v32, v133
	v_mov_b32_e32 v132, v35
	;; [unrolled: 1-line block ×4, first 2 shown]
	v_pk_add_f32 v[32:33], v[32:33], v[132:133] neg_lo:[0,1] neg_hi:[0,1]
	v_mov_b32_e32 v130, v131
	v_mov_b32_e32 v131, v34
	v_pk_add_f32 v[32:33], v[130:131], v[32:33] neg_lo:[0,1] neg_hi:[0,1]
	v_mov_b32_e32 v146, v134
	v_pk_add_f32 v[34:35], v[146:147], v[32:33]
	v_mov_b32_e32 v130, v35
	v_pk_add_f32 v[130:131], v[34:35], v[130:131]
	v_pk_add_f32 v[128:129], v[128:129], v[130:131]
	v_mov_b32_e32 v35, v128
	v_pk_add_f32 v[132:133], v[34:35], v[134:135] neg_lo:[0,1] neg_hi:[0,1]
	v_mov_b32_e32 v33, v130
	v_sub_f32_e32 v34, v34, v132
	v_pk_add_f32 v[32:33], v[32:33], v[132:133] neg_lo:[0,1] neg_hi:[0,1]
	v_sub_f32_e32 v34, v134, v34
	s_mov_b32 s68, 0x7f800000
	v_add_f32_e32 v32, v32, v34
	s_mov_b32 s13, 0x33800000
	v_add_f32_e32 v32, v32, v33
	v_cmp_eq_f32_e32 vcc, s68, v148
	v_cmp_lt_f32_e64 s[68:69], |v148|, s13
	v_add_f32_e32 v32, v128, v32
	s_or_b64 vcc, vcc, s[68:69]
	v_cndmask_b32_e32 v32, v32, v148, vcc
	v_add_f32_e32 v27, v27, v32
	v_cvt_f16_f32_e32 v33, v27
.LBB401_157:
	s_or_b64 exec, exec, s[60:61]
	v_mov_b32_e32 v131, v33
.LBB401_158:
	s_or_b64 exec, exec, s[66:67]
	v_mov_b32_e32 v27, 0
	s_movk_i32 s13, 0x1f8
	s_mov_b32 s68, 0x3fb8aa3b
	s_mov_b32 s69, 0xc2ce8ed0
	;; [unrolled: 1-line block ×5, first 2 shown]
	v_mov_b32_e32 v128, 0x3f2aaada
	s_mov_b32 s73, 0x3f317218
	s_mov_b32 s74, 0x33800000
	v_mov_b32_e32 v129, 2
	v_mov_b32_e32 v130, 0x7f800000
	;; [unrolled: 1-line block ×3, first 2 shown]
	s_branch .LBB401_160
.LBB401_159:                            ;   in Loop: Header=BB401_160 Depth=1
	s_or_b64 exec, exec, s[60:61]
	v_subrev_u32_e32 v26, 64, v26
.LBB401_160:                            ; =>This Loop Header: Depth=1
                                        ;     Child Loop BB401_163 Depth 2
                                        ;       Child Loop BB401_164 Depth 3
	v_cmp_ne_u16_sdwa vcc, v100, v129 src0_sel:BYTE_0 src1_sel:DWORD
	s_waitcnt lgkmcnt(0)
	v_cndmask_b32_e64 v33, 0, 1, vcc
	;;#ASMSTART
	;;#ASMEND
	v_cmp_ne_u32_e32 vcc, 0, v33
	s_cmp_lg_u64 vcc, exec
	v_mov_b32_e32 v119, v131
	s_cbranch_scc1 .LBB401_193
; %bb.161:                              ;   in Loop: Header=BB401_160 Depth=1
	v_lshlrev_b64 v[34:35], 2, v[26:27]
	v_add_co_u32_e32 v34, vcc, v24, v34
	v_addc_co_u32_e32 v35, vcc, v25, v35, vcc
	flat_load_dword v131, v[34:35] glc
	s_waitcnt vmcnt(0) lgkmcnt(0)
	v_lshrrev_b32_e32 v100, 16, v131
	v_cmp_eq_u16_sdwa s[60:61], v100, v27 src0_sel:BYTE_0 src1_sel:DWORD
	s_and_saveexec_b64 vcc, s[60:61]
	s_cbranch_execz .LBB401_167
; %bb.162:                              ;   in Loop: Header=BB401_160 Depth=1
	s_mov_b32 s66, 1
	s_mov_b64 s[60:61], 0
.LBB401_163:                            ;   Parent Loop BB401_160 Depth=1
                                        ; =>  This Loop Header: Depth=2
                                        ;       Child Loop BB401_164 Depth 3
	s_max_u32 s67, s66, 1
.LBB401_164:                            ;   Parent Loop BB401_160 Depth=1
                                        ;     Parent Loop BB401_163 Depth=2
                                        ; =>    This Inner Loop Header: Depth=3
	s_add_i32 s67, s67, -1
	s_cmp_eq_u32 s67, 0
	s_sleep 1
	s_cbranch_scc0 .LBB401_164
; %bb.165:                              ;   in Loop: Header=BB401_163 Depth=2
	flat_load_dword v131, v[34:35] glc
	s_cmp_lt_u32 s66, 32
	s_cselect_b64 s[76:77], -1, 0
	s_cmp_lg_u64 s[76:77], 0
	s_addc_u32 s66, s66, 0
	s_waitcnt vmcnt(0) lgkmcnt(0)
	v_lshrrev_b32_e32 v100, 16, v131
	v_cmp_ne_u16_sdwa s[76:77], v100, v27 src0_sel:BYTE_0 src1_sel:DWORD
	s_or_b64 s[60:61], s[76:77], s[60:61]
	s_andn2_b64 exec, exec, s[60:61]
	s_cbranch_execnz .LBB401_163
; %bb.166:                              ;   in Loop: Header=BB401_160 Depth=1
	s_or_b64 exec, exec, s[60:61]
.LBB401_167:                            ;   in Loop: Header=BB401_160 Depth=1
	s_or_b64 exec, exec, vcc
	v_cmp_eq_u16_sdwa vcc, v100, v129 src0_sel:BYTE_0 src1_sel:DWORD
	v_and_b32_e32 v33, vcc_hi, v31
	v_or_b32_e32 v33, 0x80000000, v33
	v_ffbl_b32_e32 v35, v33
	v_and_b32_e32 v33, 0xffff, v131
	ds_bpermute_b32 v132, v99, v33
	v_and_b32_e32 v34, vcc_lo, v30
	v_add_u32_e32 v35, 32, v35
	v_ffbl_b32_e32 v34, v34
	v_min_u32_e32 v34, v34, v35
	v_cmp_lt_u32_e32 vcc, v98, v34
	s_and_saveexec_b64 s[66:67], vcc
	s_cbranch_execz .LBB401_171
; %bb.168:                              ;   in Loop: Header=BB401_160 Depth=1
	s_waitcnt lgkmcnt(0)
	v_cvt_f32_f16_e32 v35, v132
	v_cvt_f32_f16_e32 v133, v131
	v_cmp_u_f16_e32 vcc, v132, v132
	v_cmp_u_f16_e64 s[60:61], v131, v131
	v_min_f32_e32 v33, v35, v133
	v_max_f32_e32 v131, v35, v133
	v_cndmask_b32_e32 v33, v33, v35, vcc
	v_cndmask_b32_e32 v35, v131, v35, vcc
	v_cndmask_b32_e64 v33, v33, v133, s[60:61]
	v_cndmask_b32_e64 v35, v35, v133, s[60:61]
	v_cmp_neq_f32_e32 vcc, v33, v35
	v_cmp_class_f32_e64 s[60:61], v33, s13
	s_or_b64 vcc, vcc, s[60:61]
	s_and_saveexec_b64 s[60:61], vcc
	s_cbranch_execz .LBB401_170
; %bb.169:                              ;   in Loop: Header=BB401_160 Depth=1
	v_sub_f32_e32 v33, v33, v35
	v_mul_f32_e32 v131, 0x3fb8aa3b, v33
	v_fma_f32 v132, v33, s68, -v131
	v_rndne_f32_e32 v133, v131
	v_fmac_f32_e32 v132, 0x32a5705f, v33
	v_sub_f32_e32 v131, v131, v133
	v_add_f32_e32 v131, v131, v132
	v_cvt_i32_f32_e32 v132, v133
	v_exp_f32_e32 v131, v131
	v_cmp_ngt_f32_e32 vcc, s69, v33
	v_ldexp_f32 v131, v131, v132
	v_cndmask_b32_e32 v131, 0, v131, vcc
	v_cmp_nlt_f32_e32 vcc, s70, v33
	v_cndmask_b32_e32 v131, v130, v131, vcc
	v_add_f32_e32 v33, 1.0, v131
	v_add_f32_e32 v132, -1.0, v33
	v_sub_f32_e32 v133, v132, v33
	v_add_f32_e32 v133, 1.0, v133
	v_sub_f32_e32 v132, v131, v132
	v_add_f32_e32 v134, v132, v133
	v_frexp_mant_f32_e32 v135, v33
	v_cvt_f64_f32_e32 v[132:133], v33
	v_frexp_exp_i32_f64_e32 v132, v[132:133]
	v_cmp_gt_f32_e32 vcc, s72, v135
	v_subbrev_co_u32_e32 v148, vcc, 0, v132, vcc
	v_sub_u32_e32 v132, 0, v148
	v_ldexp_f32 v33, v33, v132
	v_ldexp_f32 v132, v134, v132
	v_add_f32_e32 v134, -1.0, v33
	v_add_f32_e32 v133, 1.0, v134
	v_sub_f32_e32 v133, v33, v133
	v_add_f32_e32 v135, v132, v133
	v_add_f32_e32 v133, 1.0, v33
	v_add_f32_e32 v144, -1.0, v133
	v_sub_f32_e32 v33, v33, v144
	v_add_f32_e32 v33, v132, v33
	v_add_f32_e32 v149, v133, v33
	v_rcp_f32_e32 v150, v149
	v_sub_f32_e32 v132, v133, v149
	v_add_f32_e32 v133, v134, v135
	v_add_f32_e32 v33, v33, v132
	v_mul_f32_e32 v160, v133, v150
	v_sub_f32_e32 v132, v134, v133
	v_mul_f32_e32 v134, v149, v160
	v_fma_f32 v144, v160, v149, -v134
	v_fmac_f32_e32 v144, v160, v33
	v_add_f32_e32 v151, v135, v132
	v_add_f32_e32 v132, v134, v144
	v_sub_f32_e32 v135, v133, v132
	v_pk_add_f32 v[146:147], v[132:133], v[134:135] neg_lo:[0,1] neg_hi:[0,1]
	v_mov_b32_e32 v145, v132
	v_pk_add_f32 v[132:133], v[146:147], v[144:145] neg_lo:[0,1] neg_hi:[0,1]
	v_add_f32_e32 v133, v151, v133
	v_add_f32_e32 v132, v132, v133
	;; [unrolled: 1-line block ×3, first 2 shown]
	v_mul_f32_e32 v151, v150, v133
	v_mul_f32_e32 v134, v149, v151
	v_fma_f32 v144, v151, v149, -v134
	v_fmac_f32_e32 v144, v151, v33
	v_sub_f32_e32 v33, v135, v133
	v_add_f32_e32 v33, v132, v33
	v_add_f32_e32 v132, v134, v144
	v_sub_f32_e32 v135, v133, v132
	v_pk_add_f32 v[146:147], v[132:133], v[134:135] neg_lo:[0,1] neg_hi:[0,1]
	v_mov_b32_e32 v145, v132
	v_pk_add_f32 v[132:133], v[146:147], v[144:145] neg_lo:[0,1] neg_hi:[0,1]
	v_add_f32_e32 v33, v33, v133
	v_add_f32_e32 v33, v132, v33
	;; [unrolled: 1-line block ×4, first 2 shown]
	v_sub_f32_e32 v132, v133, v160
	v_mul_f32_e32 v33, v150, v33
	v_sub_f32_e32 v132, v151, v132
	v_add_f32_e32 v134, v132, v33
	v_add_f32_e32 v144, v133, v134
	v_cvt_f32_i32_e32 v132, v148
	v_mul_f32_e32 v145, v144, v144
	v_mov_b32_e32 v33, 0x3ecc95a3
	v_sub_f32_e32 v133, v144, v133
	v_fmac_f32_e32 v33, 0x3e9b6dac, v145
	v_sub_f32_e32 v133, v134, v133
	v_fma_f32 v33, v145, v33, v128
	v_ldexp_f32 v146, v133, 1
	v_mul_f32_e32 v133, v144, v145
	v_ldexp_f32 v135, v144, 1
	v_pk_mul_f32 v[144:145], v[132:133], v[32:33]
	v_fma_f32 v134, v132, s73, -v144
	v_fmac_f32_e32 v134, 0xb102e308, v132
	v_pk_add_f32 v[132:133], v[144:145], v[134:135]
	v_sub_f32_e32 v33, v133, v135
	v_sub_f32_e32 v33, v145, v33
	v_add_f32_e32 v147, v146, v33
	v_mov_b32_e32 v146, v144
	v_pk_add_f32 v[144:145], v[132:133], v[144:145] neg_lo:[0,1] neg_hi:[0,1]
	v_pk_add_f32 v[148:149], v[132:133], v[146:147]
	v_mov_b32_e32 v145, v149
	v_mov_b32_e32 v135, v132
	v_pk_add_f32 v[150:151], v[134:135], v[144:145] neg_lo:[0,1] neg_hi:[0,1]
	v_pk_add_f32 v[134:135], v[134:135], v[144:145]
	v_mov_b32_e32 v144, v135
	v_pk_add_f32 v[160:161], v[144:145], v[132:133] neg_lo:[0,1] neg_hi:[0,1]
	v_mov_b32_e32 v33, v160
	v_pk_add_f32 v[162:163], v[148:149], v[32:33] neg_lo:[0,1] neg_hi:[0,1]
	v_mov_b32_e32 v134, v149
	v_mov_b32_e32 v148, v133
	;; [unrolled: 1-line block ×4, first 2 shown]
	v_pk_add_f32 v[134:135], v[134:135], v[148:149] neg_lo:[0,1] neg_hi:[0,1]
	v_mov_b32_e32 v146, v147
	v_mov_b32_e32 v147, v132
	v_pk_add_f32 v[132:133], v[146:147], v[134:135] neg_lo:[0,1] neg_hi:[0,1]
	v_mov_b32_e32 v162, v150
	v_pk_add_f32 v[134:135], v[162:163], v[132:133]
	v_mov_b32_e32 v146, v135
	v_pk_add_f32 v[146:147], v[134:135], v[146:147]
	v_pk_add_f32 v[144:145], v[144:145], v[146:147]
	v_mov_b32_e32 v135, v144
	v_pk_add_f32 v[148:149], v[134:135], v[150:151] neg_lo:[0,1] neg_hi:[0,1]
	v_mov_b32_e32 v133, v146
	v_sub_f32_e32 v33, v134, v148
	v_pk_add_f32 v[132:133], v[132:133], v[148:149] neg_lo:[0,1] neg_hi:[0,1]
	v_sub_f32_e32 v33, v150, v33
	v_add_f32_e32 v33, v132, v33
	v_add_f32_e32 v33, v33, v133
	v_cmp_eq_f32_e32 vcc, s71, v131
	v_cmp_lt_f32_e64 s[76:77], |v131|, s74
	v_add_f32_e32 v33, v144, v33
	s_or_b64 vcc, vcc, s[76:77]
	v_cndmask_b32_e32 v33, v33, v131, vcc
	v_add_f32_e32 v33, v35, v33
	v_cvt_f16_f32_e32 v132, v33
.LBB401_170:                            ;   in Loop: Header=BB401_160 Depth=1
	s_or_b64 exec, exec, s[60:61]
	v_and_b32_e32 v33, 0xffff, v132
	v_mov_b32_e32 v131, v132
.LBB401_171:                            ;   in Loop: Header=BB401_160 Depth=1
	s_or_b64 exec, exec, s[66:67]
	s_waitcnt lgkmcnt(0)
	ds_bpermute_b32 v132, v101, v33
	v_cmp_le_u32_e32 vcc, v102, v34
	s_and_saveexec_b64 s[66:67], vcc
	s_cbranch_execz .LBB401_175
; %bb.172:                              ;   in Loop: Header=BB401_160 Depth=1
	s_waitcnt lgkmcnt(0)
	v_cvt_f32_f16_e32 v35, v132
	v_cvt_f32_f16_e32 v133, v131
	v_cmp_u_f16_e32 vcc, v132, v132
	v_cmp_u_f16_e64 s[60:61], v131, v131
	v_min_f32_e32 v33, v35, v133
	v_max_f32_e32 v131, v35, v133
	v_cndmask_b32_e32 v33, v33, v35, vcc
	v_cndmask_b32_e32 v35, v131, v35, vcc
	v_cndmask_b32_e64 v33, v33, v133, s[60:61]
	v_cndmask_b32_e64 v35, v35, v133, s[60:61]
	v_cmp_neq_f32_e32 vcc, v33, v35
	v_cmp_class_f32_e64 s[60:61], v33, s13
	s_or_b64 vcc, vcc, s[60:61]
	s_and_saveexec_b64 s[60:61], vcc
	s_cbranch_execz .LBB401_174
; %bb.173:                              ;   in Loop: Header=BB401_160 Depth=1
	v_sub_f32_e32 v33, v33, v35
	v_mul_f32_e32 v131, 0x3fb8aa3b, v33
	v_fma_f32 v132, v33, s68, -v131
	v_rndne_f32_e32 v133, v131
	v_fmac_f32_e32 v132, 0x32a5705f, v33
	v_sub_f32_e32 v131, v131, v133
	v_add_f32_e32 v131, v131, v132
	v_cvt_i32_f32_e32 v132, v133
	v_exp_f32_e32 v131, v131
	v_cmp_ngt_f32_e32 vcc, s69, v33
	v_ldexp_f32 v131, v131, v132
	v_cndmask_b32_e32 v131, 0, v131, vcc
	v_cmp_nlt_f32_e32 vcc, s70, v33
	v_cndmask_b32_e32 v131, v130, v131, vcc
	v_add_f32_e32 v33, 1.0, v131
	v_add_f32_e32 v132, -1.0, v33
	v_sub_f32_e32 v133, v132, v33
	v_add_f32_e32 v133, 1.0, v133
	v_sub_f32_e32 v132, v131, v132
	v_add_f32_e32 v134, v132, v133
	v_frexp_mant_f32_e32 v135, v33
	v_cvt_f64_f32_e32 v[132:133], v33
	v_frexp_exp_i32_f64_e32 v132, v[132:133]
	v_cmp_gt_f32_e32 vcc, s72, v135
	v_subbrev_co_u32_e32 v148, vcc, 0, v132, vcc
	v_sub_u32_e32 v132, 0, v148
	v_ldexp_f32 v33, v33, v132
	v_ldexp_f32 v132, v134, v132
	v_add_f32_e32 v134, -1.0, v33
	v_add_f32_e32 v133, 1.0, v134
	v_sub_f32_e32 v133, v33, v133
	v_add_f32_e32 v135, v132, v133
	v_add_f32_e32 v133, 1.0, v33
	v_add_f32_e32 v144, -1.0, v133
	v_sub_f32_e32 v33, v33, v144
	v_add_f32_e32 v33, v132, v33
	v_add_f32_e32 v149, v133, v33
	v_rcp_f32_e32 v150, v149
	v_sub_f32_e32 v132, v133, v149
	v_add_f32_e32 v133, v134, v135
	v_add_f32_e32 v33, v33, v132
	v_mul_f32_e32 v160, v133, v150
	v_sub_f32_e32 v132, v134, v133
	v_mul_f32_e32 v134, v149, v160
	v_fma_f32 v144, v160, v149, -v134
	v_fmac_f32_e32 v144, v160, v33
	v_add_f32_e32 v151, v135, v132
	v_add_f32_e32 v132, v134, v144
	v_sub_f32_e32 v135, v133, v132
	v_pk_add_f32 v[146:147], v[132:133], v[134:135] neg_lo:[0,1] neg_hi:[0,1]
	v_mov_b32_e32 v145, v132
	v_pk_add_f32 v[132:133], v[146:147], v[144:145] neg_lo:[0,1] neg_hi:[0,1]
	v_add_f32_e32 v133, v151, v133
	v_add_f32_e32 v132, v132, v133
	;; [unrolled: 1-line block ×3, first 2 shown]
	v_mul_f32_e32 v151, v150, v133
	v_mul_f32_e32 v134, v149, v151
	v_fma_f32 v144, v151, v149, -v134
	v_fmac_f32_e32 v144, v151, v33
	v_sub_f32_e32 v33, v135, v133
	v_add_f32_e32 v33, v132, v33
	v_add_f32_e32 v132, v134, v144
	v_sub_f32_e32 v135, v133, v132
	v_pk_add_f32 v[146:147], v[132:133], v[134:135] neg_lo:[0,1] neg_hi:[0,1]
	v_mov_b32_e32 v145, v132
	v_pk_add_f32 v[132:133], v[146:147], v[144:145] neg_lo:[0,1] neg_hi:[0,1]
	v_add_f32_e32 v33, v33, v133
	v_add_f32_e32 v33, v132, v33
	;; [unrolled: 1-line block ×4, first 2 shown]
	v_sub_f32_e32 v132, v133, v160
	v_mul_f32_e32 v33, v150, v33
	v_sub_f32_e32 v132, v151, v132
	v_add_f32_e32 v134, v132, v33
	v_add_f32_e32 v144, v133, v134
	v_cvt_f32_i32_e32 v132, v148
	v_mul_f32_e32 v145, v144, v144
	v_mov_b32_e32 v33, 0x3ecc95a3
	v_sub_f32_e32 v133, v144, v133
	v_fmac_f32_e32 v33, 0x3e9b6dac, v145
	v_sub_f32_e32 v133, v134, v133
	v_fma_f32 v33, v145, v33, v128
	v_ldexp_f32 v146, v133, 1
	v_mul_f32_e32 v133, v144, v145
	v_ldexp_f32 v135, v144, 1
	v_pk_mul_f32 v[144:145], v[132:133], v[32:33]
	v_fma_f32 v134, v132, s73, -v144
	v_fmac_f32_e32 v134, 0xb102e308, v132
	v_pk_add_f32 v[132:133], v[144:145], v[134:135]
	v_sub_f32_e32 v33, v133, v135
	v_sub_f32_e32 v33, v145, v33
	v_add_f32_e32 v147, v146, v33
	v_mov_b32_e32 v146, v144
	v_pk_add_f32 v[144:145], v[132:133], v[144:145] neg_lo:[0,1] neg_hi:[0,1]
	v_pk_add_f32 v[148:149], v[132:133], v[146:147]
	v_mov_b32_e32 v145, v149
	v_mov_b32_e32 v135, v132
	v_pk_add_f32 v[150:151], v[134:135], v[144:145] neg_lo:[0,1] neg_hi:[0,1]
	v_pk_add_f32 v[134:135], v[134:135], v[144:145]
	v_mov_b32_e32 v144, v135
	v_pk_add_f32 v[160:161], v[144:145], v[132:133] neg_lo:[0,1] neg_hi:[0,1]
	v_mov_b32_e32 v33, v160
	v_pk_add_f32 v[162:163], v[148:149], v[32:33] neg_lo:[0,1] neg_hi:[0,1]
	v_mov_b32_e32 v134, v149
	v_mov_b32_e32 v148, v133
	;; [unrolled: 1-line block ×4, first 2 shown]
	v_pk_add_f32 v[134:135], v[134:135], v[148:149] neg_lo:[0,1] neg_hi:[0,1]
	v_mov_b32_e32 v146, v147
	v_mov_b32_e32 v147, v132
	v_pk_add_f32 v[132:133], v[146:147], v[134:135] neg_lo:[0,1] neg_hi:[0,1]
	v_mov_b32_e32 v162, v150
	v_pk_add_f32 v[134:135], v[162:163], v[132:133]
	v_mov_b32_e32 v146, v135
	v_pk_add_f32 v[146:147], v[134:135], v[146:147]
	v_pk_add_f32 v[144:145], v[144:145], v[146:147]
	v_mov_b32_e32 v135, v144
	v_pk_add_f32 v[148:149], v[134:135], v[150:151] neg_lo:[0,1] neg_hi:[0,1]
	v_mov_b32_e32 v133, v146
	v_sub_f32_e32 v33, v134, v148
	v_pk_add_f32 v[132:133], v[132:133], v[148:149] neg_lo:[0,1] neg_hi:[0,1]
	v_sub_f32_e32 v33, v150, v33
	v_add_f32_e32 v33, v132, v33
	v_add_f32_e32 v33, v33, v133
	v_cmp_eq_f32_e32 vcc, s71, v131
	v_cmp_lt_f32_e64 s[76:77], |v131|, s74
	v_add_f32_e32 v33, v144, v33
	s_or_b64 vcc, vcc, s[76:77]
	v_cndmask_b32_e32 v33, v33, v131, vcc
	v_add_f32_e32 v33, v35, v33
	v_cvt_f16_f32_e32 v132, v33
.LBB401_174:                            ;   in Loop: Header=BB401_160 Depth=1
	s_or_b64 exec, exec, s[60:61]
	v_and_b32_e32 v33, 0xffff, v132
	v_mov_b32_e32 v131, v132
.LBB401_175:                            ;   in Loop: Header=BB401_160 Depth=1
	s_or_b64 exec, exec, s[66:67]
	s_waitcnt lgkmcnt(0)
	ds_bpermute_b32 v132, v103, v33
	v_cmp_le_u32_e32 vcc, v112, v34
	s_and_saveexec_b64 s[66:67], vcc
	s_cbranch_execz .LBB401_179
; %bb.176:                              ;   in Loop: Header=BB401_160 Depth=1
	s_waitcnt lgkmcnt(0)
	v_cvt_f32_f16_e32 v35, v132
	v_cvt_f32_f16_e32 v133, v131
	v_cmp_u_f16_e32 vcc, v132, v132
	v_cmp_u_f16_e64 s[60:61], v131, v131
	v_min_f32_e32 v33, v35, v133
	v_max_f32_e32 v131, v35, v133
	v_cndmask_b32_e32 v33, v33, v35, vcc
	v_cndmask_b32_e32 v35, v131, v35, vcc
	v_cndmask_b32_e64 v33, v33, v133, s[60:61]
	v_cndmask_b32_e64 v35, v35, v133, s[60:61]
	v_cmp_neq_f32_e32 vcc, v33, v35
	v_cmp_class_f32_e64 s[60:61], v33, s13
	s_or_b64 vcc, vcc, s[60:61]
	s_and_saveexec_b64 s[60:61], vcc
	s_cbranch_execz .LBB401_178
; %bb.177:                              ;   in Loop: Header=BB401_160 Depth=1
	v_sub_f32_e32 v33, v33, v35
	v_mul_f32_e32 v131, 0x3fb8aa3b, v33
	v_fma_f32 v132, v33, s68, -v131
	v_rndne_f32_e32 v133, v131
	v_fmac_f32_e32 v132, 0x32a5705f, v33
	v_sub_f32_e32 v131, v131, v133
	v_add_f32_e32 v131, v131, v132
	v_cvt_i32_f32_e32 v132, v133
	v_exp_f32_e32 v131, v131
	v_cmp_ngt_f32_e32 vcc, s69, v33
	v_ldexp_f32 v131, v131, v132
	v_cndmask_b32_e32 v131, 0, v131, vcc
	v_cmp_nlt_f32_e32 vcc, s70, v33
	v_cndmask_b32_e32 v131, v130, v131, vcc
	v_add_f32_e32 v33, 1.0, v131
	v_add_f32_e32 v132, -1.0, v33
	v_sub_f32_e32 v133, v132, v33
	v_add_f32_e32 v133, 1.0, v133
	v_sub_f32_e32 v132, v131, v132
	v_add_f32_e32 v134, v132, v133
	v_frexp_mant_f32_e32 v135, v33
	v_cvt_f64_f32_e32 v[132:133], v33
	v_frexp_exp_i32_f64_e32 v132, v[132:133]
	v_cmp_gt_f32_e32 vcc, s72, v135
	v_subbrev_co_u32_e32 v148, vcc, 0, v132, vcc
	v_sub_u32_e32 v132, 0, v148
	v_ldexp_f32 v33, v33, v132
	v_ldexp_f32 v132, v134, v132
	v_add_f32_e32 v134, -1.0, v33
	v_add_f32_e32 v133, 1.0, v134
	v_sub_f32_e32 v133, v33, v133
	v_add_f32_e32 v135, v132, v133
	v_add_f32_e32 v133, 1.0, v33
	v_add_f32_e32 v144, -1.0, v133
	v_sub_f32_e32 v33, v33, v144
	v_add_f32_e32 v33, v132, v33
	v_add_f32_e32 v149, v133, v33
	v_rcp_f32_e32 v150, v149
	v_sub_f32_e32 v132, v133, v149
	v_add_f32_e32 v133, v134, v135
	v_add_f32_e32 v33, v33, v132
	v_mul_f32_e32 v160, v133, v150
	v_sub_f32_e32 v132, v134, v133
	v_mul_f32_e32 v134, v149, v160
	v_fma_f32 v144, v160, v149, -v134
	v_fmac_f32_e32 v144, v160, v33
	v_add_f32_e32 v151, v135, v132
	v_add_f32_e32 v132, v134, v144
	v_sub_f32_e32 v135, v133, v132
	v_pk_add_f32 v[146:147], v[132:133], v[134:135] neg_lo:[0,1] neg_hi:[0,1]
	v_mov_b32_e32 v145, v132
	v_pk_add_f32 v[132:133], v[146:147], v[144:145] neg_lo:[0,1] neg_hi:[0,1]
	v_add_f32_e32 v133, v151, v133
	v_add_f32_e32 v132, v132, v133
	;; [unrolled: 1-line block ×3, first 2 shown]
	v_mul_f32_e32 v151, v150, v133
	v_mul_f32_e32 v134, v149, v151
	v_fma_f32 v144, v151, v149, -v134
	v_fmac_f32_e32 v144, v151, v33
	v_sub_f32_e32 v33, v135, v133
	v_add_f32_e32 v33, v132, v33
	v_add_f32_e32 v132, v134, v144
	v_sub_f32_e32 v135, v133, v132
	v_pk_add_f32 v[146:147], v[132:133], v[134:135] neg_lo:[0,1] neg_hi:[0,1]
	v_mov_b32_e32 v145, v132
	v_pk_add_f32 v[132:133], v[146:147], v[144:145] neg_lo:[0,1] neg_hi:[0,1]
	v_add_f32_e32 v33, v33, v133
	v_add_f32_e32 v33, v132, v33
	;; [unrolled: 1-line block ×4, first 2 shown]
	v_sub_f32_e32 v132, v133, v160
	v_mul_f32_e32 v33, v150, v33
	v_sub_f32_e32 v132, v151, v132
	v_add_f32_e32 v134, v132, v33
	v_add_f32_e32 v144, v133, v134
	v_cvt_f32_i32_e32 v132, v148
	v_mul_f32_e32 v145, v144, v144
	v_mov_b32_e32 v33, 0x3ecc95a3
	v_sub_f32_e32 v133, v144, v133
	v_fmac_f32_e32 v33, 0x3e9b6dac, v145
	v_sub_f32_e32 v133, v134, v133
	v_fma_f32 v33, v145, v33, v128
	v_ldexp_f32 v146, v133, 1
	v_mul_f32_e32 v133, v144, v145
	v_ldexp_f32 v135, v144, 1
	v_pk_mul_f32 v[144:145], v[132:133], v[32:33]
	v_fma_f32 v134, v132, s73, -v144
	v_fmac_f32_e32 v134, 0xb102e308, v132
	v_pk_add_f32 v[132:133], v[144:145], v[134:135]
	v_sub_f32_e32 v33, v133, v135
	v_sub_f32_e32 v33, v145, v33
	v_add_f32_e32 v147, v146, v33
	v_mov_b32_e32 v146, v144
	v_pk_add_f32 v[144:145], v[132:133], v[144:145] neg_lo:[0,1] neg_hi:[0,1]
	v_pk_add_f32 v[148:149], v[132:133], v[146:147]
	v_mov_b32_e32 v145, v149
	v_mov_b32_e32 v135, v132
	v_pk_add_f32 v[150:151], v[134:135], v[144:145] neg_lo:[0,1] neg_hi:[0,1]
	v_pk_add_f32 v[134:135], v[134:135], v[144:145]
	v_mov_b32_e32 v144, v135
	v_pk_add_f32 v[160:161], v[144:145], v[132:133] neg_lo:[0,1] neg_hi:[0,1]
	v_mov_b32_e32 v33, v160
	v_pk_add_f32 v[162:163], v[148:149], v[32:33] neg_lo:[0,1] neg_hi:[0,1]
	v_mov_b32_e32 v134, v149
	v_mov_b32_e32 v148, v133
	;; [unrolled: 1-line block ×4, first 2 shown]
	v_pk_add_f32 v[134:135], v[134:135], v[148:149] neg_lo:[0,1] neg_hi:[0,1]
	v_mov_b32_e32 v146, v147
	v_mov_b32_e32 v147, v132
	v_pk_add_f32 v[132:133], v[146:147], v[134:135] neg_lo:[0,1] neg_hi:[0,1]
	v_mov_b32_e32 v162, v150
	v_pk_add_f32 v[134:135], v[162:163], v[132:133]
	v_mov_b32_e32 v146, v135
	v_pk_add_f32 v[146:147], v[134:135], v[146:147]
	v_pk_add_f32 v[144:145], v[144:145], v[146:147]
	v_mov_b32_e32 v135, v144
	v_pk_add_f32 v[148:149], v[134:135], v[150:151] neg_lo:[0,1] neg_hi:[0,1]
	v_mov_b32_e32 v133, v146
	v_sub_f32_e32 v33, v134, v148
	v_pk_add_f32 v[132:133], v[132:133], v[148:149] neg_lo:[0,1] neg_hi:[0,1]
	v_sub_f32_e32 v33, v150, v33
	v_add_f32_e32 v33, v132, v33
	v_add_f32_e32 v33, v33, v133
	v_cmp_eq_f32_e32 vcc, s71, v131
	v_cmp_lt_f32_e64 s[76:77], |v131|, s74
	v_add_f32_e32 v33, v144, v33
	s_or_b64 vcc, vcc, s[76:77]
	v_cndmask_b32_e32 v33, v33, v131, vcc
	v_add_f32_e32 v33, v35, v33
	v_cvt_f16_f32_e32 v132, v33
.LBB401_178:                            ;   in Loop: Header=BB401_160 Depth=1
	s_or_b64 exec, exec, s[60:61]
	v_and_b32_e32 v33, 0xffff, v132
	v_mov_b32_e32 v131, v132
.LBB401_179:                            ;   in Loop: Header=BB401_160 Depth=1
	s_or_b64 exec, exec, s[66:67]
	s_waitcnt lgkmcnt(0)
	ds_bpermute_b32 v132, v113, v33
	v_cmp_le_u32_e32 vcc, v114, v34
	s_and_saveexec_b64 s[66:67], vcc
	s_cbranch_execz .LBB401_183
; %bb.180:                              ;   in Loop: Header=BB401_160 Depth=1
	s_waitcnt lgkmcnt(0)
	v_cvt_f32_f16_e32 v35, v132
	v_cvt_f32_f16_e32 v133, v131
	v_cmp_u_f16_e32 vcc, v132, v132
	v_cmp_u_f16_e64 s[60:61], v131, v131
	v_min_f32_e32 v33, v35, v133
	v_max_f32_e32 v131, v35, v133
	v_cndmask_b32_e32 v33, v33, v35, vcc
	v_cndmask_b32_e32 v35, v131, v35, vcc
	v_cndmask_b32_e64 v33, v33, v133, s[60:61]
	v_cndmask_b32_e64 v35, v35, v133, s[60:61]
	v_cmp_neq_f32_e32 vcc, v33, v35
	v_cmp_class_f32_e64 s[60:61], v33, s13
	s_or_b64 vcc, vcc, s[60:61]
	s_and_saveexec_b64 s[60:61], vcc
	s_cbranch_execz .LBB401_182
; %bb.181:                              ;   in Loop: Header=BB401_160 Depth=1
	v_sub_f32_e32 v33, v33, v35
	v_mul_f32_e32 v131, 0x3fb8aa3b, v33
	v_fma_f32 v132, v33, s68, -v131
	v_rndne_f32_e32 v133, v131
	v_fmac_f32_e32 v132, 0x32a5705f, v33
	v_sub_f32_e32 v131, v131, v133
	v_add_f32_e32 v131, v131, v132
	v_cvt_i32_f32_e32 v132, v133
	v_exp_f32_e32 v131, v131
	v_cmp_ngt_f32_e32 vcc, s69, v33
	v_ldexp_f32 v131, v131, v132
	v_cndmask_b32_e32 v131, 0, v131, vcc
	v_cmp_nlt_f32_e32 vcc, s70, v33
	v_cndmask_b32_e32 v131, v130, v131, vcc
	v_add_f32_e32 v33, 1.0, v131
	v_add_f32_e32 v132, -1.0, v33
	v_sub_f32_e32 v133, v132, v33
	v_add_f32_e32 v133, 1.0, v133
	v_sub_f32_e32 v132, v131, v132
	v_add_f32_e32 v134, v132, v133
	v_frexp_mant_f32_e32 v135, v33
	v_cvt_f64_f32_e32 v[132:133], v33
	v_frexp_exp_i32_f64_e32 v132, v[132:133]
	v_cmp_gt_f32_e32 vcc, s72, v135
	v_subbrev_co_u32_e32 v148, vcc, 0, v132, vcc
	v_sub_u32_e32 v132, 0, v148
	v_ldexp_f32 v33, v33, v132
	v_ldexp_f32 v132, v134, v132
	v_add_f32_e32 v134, -1.0, v33
	v_add_f32_e32 v133, 1.0, v134
	v_sub_f32_e32 v133, v33, v133
	v_add_f32_e32 v135, v132, v133
	v_add_f32_e32 v133, 1.0, v33
	v_add_f32_e32 v144, -1.0, v133
	v_sub_f32_e32 v33, v33, v144
	v_add_f32_e32 v33, v132, v33
	v_add_f32_e32 v149, v133, v33
	v_rcp_f32_e32 v150, v149
	v_sub_f32_e32 v132, v133, v149
	v_add_f32_e32 v133, v134, v135
	v_add_f32_e32 v33, v33, v132
	v_mul_f32_e32 v160, v133, v150
	v_sub_f32_e32 v132, v134, v133
	v_mul_f32_e32 v134, v149, v160
	v_fma_f32 v144, v160, v149, -v134
	v_fmac_f32_e32 v144, v160, v33
	v_add_f32_e32 v151, v135, v132
	v_add_f32_e32 v132, v134, v144
	v_sub_f32_e32 v135, v133, v132
	v_pk_add_f32 v[146:147], v[132:133], v[134:135] neg_lo:[0,1] neg_hi:[0,1]
	v_mov_b32_e32 v145, v132
	v_pk_add_f32 v[132:133], v[146:147], v[144:145] neg_lo:[0,1] neg_hi:[0,1]
	v_add_f32_e32 v133, v151, v133
	v_add_f32_e32 v132, v132, v133
	;; [unrolled: 1-line block ×3, first 2 shown]
	v_mul_f32_e32 v151, v150, v133
	v_mul_f32_e32 v134, v149, v151
	v_fma_f32 v144, v151, v149, -v134
	v_fmac_f32_e32 v144, v151, v33
	v_sub_f32_e32 v33, v135, v133
	v_add_f32_e32 v33, v132, v33
	v_add_f32_e32 v132, v134, v144
	v_sub_f32_e32 v135, v133, v132
	v_pk_add_f32 v[146:147], v[132:133], v[134:135] neg_lo:[0,1] neg_hi:[0,1]
	v_mov_b32_e32 v145, v132
	v_pk_add_f32 v[132:133], v[146:147], v[144:145] neg_lo:[0,1] neg_hi:[0,1]
	v_add_f32_e32 v33, v33, v133
	v_add_f32_e32 v33, v132, v33
	;; [unrolled: 1-line block ×4, first 2 shown]
	v_sub_f32_e32 v132, v133, v160
	v_mul_f32_e32 v33, v150, v33
	v_sub_f32_e32 v132, v151, v132
	v_add_f32_e32 v134, v132, v33
	v_add_f32_e32 v144, v133, v134
	v_cvt_f32_i32_e32 v132, v148
	v_mul_f32_e32 v145, v144, v144
	v_mov_b32_e32 v33, 0x3ecc95a3
	v_sub_f32_e32 v133, v144, v133
	v_fmac_f32_e32 v33, 0x3e9b6dac, v145
	v_sub_f32_e32 v133, v134, v133
	v_fma_f32 v33, v145, v33, v128
	v_ldexp_f32 v146, v133, 1
	v_mul_f32_e32 v133, v144, v145
	v_ldexp_f32 v135, v144, 1
	v_pk_mul_f32 v[144:145], v[132:133], v[32:33]
	v_fma_f32 v134, v132, s73, -v144
	v_fmac_f32_e32 v134, 0xb102e308, v132
	v_pk_add_f32 v[132:133], v[144:145], v[134:135]
	v_sub_f32_e32 v33, v133, v135
	v_sub_f32_e32 v33, v145, v33
	v_add_f32_e32 v147, v146, v33
	v_mov_b32_e32 v146, v144
	v_pk_add_f32 v[144:145], v[132:133], v[144:145] neg_lo:[0,1] neg_hi:[0,1]
	v_pk_add_f32 v[148:149], v[132:133], v[146:147]
	v_mov_b32_e32 v145, v149
	v_mov_b32_e32 v135, v132
	v_pk_add_f32 v[150:151], v[134:135], v[144:145] neg_lo:[0,1] neg_hi:[0,1]
	v_pk_add_f32 v[134:135], v[134:135], v[144:145]
	v_mov_b32_e32 v144, v135
	v_pk_add_f32 v[160:161], v[144:145], v[132:133] neg_lo:[0,1] neg_hi:[0,1]
	v_mov_b32_e32 v33, v160
	v_pk_add_f32 v[162:163], v[148:149], v[32:33] neg_lo:[0,1] neg_hi:[0,1]
	v_mov_b32_e32 v134, v149
	v_mov_b32_e32 v148, v133
	;; [unrolled: 1-line block ×4, first 2 shown]
	v_pk_add_f32 v[134:135], v[134:135], v[148:149] neg_lo:[0,1] neg_hi:[0,1]
	v_mov_b32_e32 v146, v147
	v_mov_b32_e32 v147, v132
	v_pk_add_f32 v[132:133], v[146:147], v[134:135] neg_lo:[0,1] neg_hi:[0,1]
	v_mov_b32_e32 v162, v150
	v_pk_add_f32 v[134:135], v[162:163], v[132:133]
	v_mov_b32_e32 v146, v135
	v_pk_add_f32 v[146:147], v[134:135], v[146:147]
	v_pk_add_f32 v[144:145], v[144:145], v[146:147]
	v_mov_b32_e32 v135, v144
	v_pk_add_f32 v[148:149], v[134:135], v[150:151] neg_lo:[0,1] neg_hi:[0,1]
	v_mov_b32_e32 v133, v146
	v_sub_f32_e32 v33, v134, v148
	v_pk_add_f32 v[132:133], v[132:133], v[148:149] neg_lo:[0,1] neg_hi:[0,1]
	v_sub_f32_e32 v33, v150, v33
	v_add_f32_e32 v33, v132, v33
	v_add_f32_e32 v33, v33, v133
	v_cmp_eq_f32_e32 vcc, s71, v131
	v_cmp_lt_f32_e64 s[76:77], |v131|, s74
	v_add_f32_e32 v33, v144, v33
	s_or_b64 vcc, vcc, s[76:77]
	v_cndmask_b32_e32 v33, v33, v131, vcc
	v_add_f32_e32 v33, v35, v33
	v_cvt_f16_f32_e32 v132, v33
.LBB401_182:                            ;   in Loop: Header=BB401_160 Depth=1
	s_or_b64 exec, exec, s[60:61]
	v_and_b32_e32 v33, 0xffff, v132
	v_mov_b32_e32 v131, v132
.LBB401_183:                            ;   in Loop: Header=BB401_160 Depth=1
	s_or_b64 exec, exec, s[66:67]
	s_waitcnt lgkmcnt(0)
	ds_bpermute_b32 v132, v115, v33
	v_cmp_le_u32_e32 vcc, v116, v34
	s_and_saveexec_b64 s[66:67], vcc
	s_cbranch_execz .LBB401_187
; %bb.184:                              ;   in Loop: Header=BB401_160 Depth=1
	s_waitcnt lgkmcnt(0)
	v_cvt_f32_f16_e32 v35, v132
	v_cvt_f32_f16_e32 v133, v131
	v_cmp_u_f16_e32 vcc, v132, v132
	v_cmp_u_f16_e64 s[60:61], v131, v131
	v_min_f32_e32 v33, v35, v133
	v_max_f32_e32 v131, v35, v133
	v_cndmask_b32_e32 v33, v33, v35, vcc
	v_cndmask_b32_e32 v35, v131, v35, vcc
	v_cndmask_b32_e64 v33, v33, v133, s[60:61]
	v_cndmask_b32_e64 v35, v35, v133, s[60:61]
	v_cmp_neq_f32_e32 vcc, v33, v35
	v_cmp_class_f32_e64 s[60:61], v33, s13
	s_or_b64 vcc, vcc, s[60:61]
	s_and_saveexec_b64 s[60:61], vcc
	s_cbranch_execz .LBB401_186
; %bb.185:                              ;   in Loop: Header=BB401_160 Depth=1
	v_sub_f32_e32 v33, v33, v35
	v_mul_f32_e32 v131, 0x3fb8aa3b, v33
	v_fma_f32 v132, v33, s68, -v131
	v_rndne_f32_e32 v133, v131
	v_fmac_f32_e32 v132, 0x32a5705f, v33
	v_sub_f32_e32 v131, v131, v133
	v_add_f32_e32 v131, v131, v132
	v_cvt_i32_f32_e32 v132, v133
	v_exp_f32_e32 v131, v131
	v_cmp_ngt_f32_e32 vcc, s69, v33
	v_ldexp_f32 v131, v131, v132
	v_cndmask_b32_e32 v131, 0, v131, vcc
	v_cmp_nlt_f32_e32 vcc, s70, v33
	v_cndmask_b32_e32 v131, v130, v131, vcc
	v_add_f32_e32 v33, 1.0, v131
	v_add_f32_e32 v132, -1.0, v33
	v_sub_f32_e32 v133, v132, v33
	v_add_f32_e32 v133, 1.0, v133
	v_sub_f32_e32 v132, v131, v132
	v_add_f32_e32 v134, v132, v133
	v_frexp_mant_f32_e32 v135, v33
	v_cvt_f64_f32_e32 v[132:133], v33
	v_frexp_exp_i32_f64_e32 v132, v[132:133]
	v_cmp_gt_f32_e32 vcc, s72, v135
	v_subbrev_co_u32_e32 v148, vcc, 0, v132, vcc
	v_sub_u32_e32 v132, 0, v148
	v_ldexp_f32 v33, v33, v132
	v_ldexp_f32 v132, v134, v132
	v_add_f32_e32 v134, -1.0, v33
	v_add_f32_e32 v133, 1.0, v134
	v_sub_f32_e32 v133, v33, v133
	v_add_f32_e32 v135, v132, v133
	v_add_f32_e32 v133, 1.0, v33
	v_add_f32_e32 v144, -1.0, v133
	v_sub_f32_e32 v33, v33, v144
	v_add_f32_e32 v33, v132, v33
	v_add_f32_e32 v149, v133, v33
	v_rcp_f32_e32 v150, v149
	v_sub_f32_e32 v132, v133, v149
	v_add_f32_e32 v133, v134, v135
	v_add_f32_e32 v33, v33, v132
	v_mul_f32_e32 v160, v133, v150
	v_sub_f32_e32 v132, v134, v133
	v_mul_f32_e32 v134, v149, v160
	v_fma_f32 v144, v160, v149, -v134
	v_fmac_f32_e32 v144, v160, v33
	v_add_f32_e32 v151, v135, v132
	v_add_f32_e32 v132, v134, v144
	v_sub_f32_e32 v135, v133, v132
	v_pk_add_f32 v[146:147], v[132:133], v[134:135] neg_lo:[0,1] neg_hi:[0,1]
	v_mov_b32_e32 v145, v132
	v_pk_add_f32 v[132:133], v[146:147], v[144:145] neg_lo:[0,1] neg_hi:[0,1]
	v_add_f32_e32 v133, v151, v133
	v_add_f32_e32 v132, v132, v133
	;; [unrolled: 1-line block ×3, first 2 shown]
	v_mul_f32_e32 v151, v150, v133
	v_mul_f32_e32 v134, v149, v151
	v_fma_f32 v144, v151, v149, -v134
	v_fmac_f32_e32 v144, v151, v33
	v_sub_f32_e32 v33, v135, v133
	v_add_f32_e32 v33, v132, v33
	v_add_f32_e32 v132, v134, v144
	v_sub_f32_e32 v135, v133, v132
	v_pk_add_f32 v[146:147], v[132:133], v[134:135] neg_lo:[0,1] neg_hi:[0,1]
	v_mov_b32_e32 v145, v132
	v_pk_add_f32 v[132:133], v[146:147], v[144:145] neg_lo:[0,1] neg_hi:[0,1]
	v_add_f32_e32 v33, v33, v133
	v_add_f32_e32 v33, v132, v33
	;; [unrolled: 1-line block ×4, first 2 shown]
	v_sub_f32_e32 v132, v133, v160
	v_mul_f32_e32 v33, v150, v33
	v_sub_f32_e32 v132, v151, v132
	v_add_f32_e32 v134, v132, v33
	v_add_f32_e32 v144, v133, v134
	v_cvt_f32_i32_e32 v132, v148
	v_mul_f32_e32 v145, v144, v144
	v_mov_b32_e32 v33, 0x3ecc95a3
	v_sub_f32_e32 v133, v144, v133
	v_fmac_f32_e32 v33, 0x3e9b6dac, v145
	v_sub_f32_e32 v133, v134, v133
	v_fma_f32 v33, v145, v33, v128
	v_ldexp_f32 v146, v133, 1
	v_mul_f32_e32 v133, v144, v145
	v_ldexp_f32 v135, v144, 1
	v_pk_mul_f32 v[144:145], v[132:133], v[32:33]
	v_fma_f32 v134, v132, s73, -v144
	v_fmac_f32_e32 v134, 0xb102e308, v132
	v_pk_add_f32 v[132:133], v[144:145], v[134:135]
	v_sub_f32_e32 v33, v133, v135
	v_sub_f32_e32 v33, v145, v33
	v_add_f32_e32 v147, v146, v33
	v_mov_b32_e32 v146, v144
	v_pk_add_f32 v[144:145], v[132:133], v[144:145] neg_lo:[0,1] neg_hi:[0,1]
	v_pk_add_f32 v[148:149], v[132:133], v[146:147]
	v_mov_b32_e32 v145, v149
	v_mov_b32_e32 v135, v132
	v_pk_add_f32 v[150:151], v[134:135], v[144:145] neg_lo:[0,1] neg_hi:[0,1]
	v_pk_add_f32 v[134:135], v[134:135], v[144:145]
	v_mov_b32_e32 v144, v135
	v_pk_add_f32 v[160:161], v[144:145], v[132:133] neg_lo:[0,1] neg_hi:[0,1]
	v_mov_b32_e32 v33, v160
	v_pk_add_f32 v[162:163], v[148:149], v[32:33] neg_lo:[0,1] neg_hi:[0,1]
	v_mov_b32_e32 v134, v149
	v_mov_b32_e32 v148, v133
	;; [unrolled: 1-line block ×4, first 2 shown]
	v_pk_add_f32 v[134:135], v[134:135], v[148:149] neg_lo:[0,1] neg_hi:[0,1]
	v_mov_b32_e32 v146, v147
	v_mov_b32_e32 v147, v132
	v_pk_add_f32 v[132:133], v[146:147], v[134:135] neg_lo:[0,1] neg_hi:[0,1]
	v_mov_b32_e32 v162, v150
	v_pk_add_f32 v[134:135], v[162:163], v[132:133]
	v_mov_b32_e32 v146, v135
	v_pk_add_f32 v[146:147], v[134:135], v[146:147]
	v_pk_add_f32 v[144:145], v[144:145], v[146:147]
	v_mov_b32_e32 v135, v144
	v_pk_add_f32 v[148:149], v[134:135], v[150:151] neg_lo:[0,1] neg_hi:[0,1]
	v_mov_b32_e32 v133, v146
	v_sub_f32_e32 v33, v134, v148
	v_pk_add_f32 v[132:133], v[132:133], v[148:149] neg_lo:[0,1] neg_hi:[0,1]
	v_sub_f32_e32 v33, v150, v33
	v_add_f32_e32 v33, v132, v33
	v_add_f32_e32 v33, v33, v133
	v_cmp_eq_f32_e32 vcc, s71, v131
	v_cmp_lt_f32_e64 s[76:77], |v131|, s74
	v_add_f32_e32 v33, v144, v33
	s_or_b64 vcc, vcc, s[76:77]
	v_cndmask_b32_e32 v33, v33, v131, vcc
	v_add_f32_e32 v33, v35, v33
	v_cvt_f16_f32_e32 v132, v33
.LBB401_186:                            ;   in Loop: Header=BB401_160 Depth=1
	s_or_b64 exec, exec, s[60:61]
	v_and_b32_e32 v33, 0xffff, v132
	v_mov_b32_e32 v131, v132
.LBB401_187:                            ;   in Loop: Header=BB401_160 Depth=1
	s_or_b64 exec, exec, s[66:67]
	ds_bpermute_b32 v33, v117, v33
	v_cmp_le_u32_e32 vcc, v118, v34
	s_and_saveexec_b64 s[66:67], vcc
	s_cbranch_execz .LBB401_191
; %bb.188:                              ;   in Loop: Header=BB401_160 Depth=1
	s_waitcnt lgkmcnt(0)
	v_cvt_f32_f16_e32 v34, v33
	v_cvt_f32_f16_e32 v132, v131
	v_cmp_u_f16_e32 vcc, v33, v33
	v_cmp_u_f16_e64 s[60:61], v131, v131
	v_min_f32_e32 v35, v34, v132
	v_max_f32_e32 v131, v34, v132
	v_cndmask_b32_e32 v35, v35, v34, vcc
	v_cndmask_b32_e32 v34, v131, v34, vcc
	v_cndmask_b32_e64 v35, v35, v132, s[60:61]
	v_cndmask_b32_e64 v34, v34, v132, s[60:61]
	v_cmp_neq_f32_e32 vcc, v35, v34
	v_cmp_class_f32_e64 s[60:61], v35, s13
	s_or_b64 vcc, vcc, s[60:61]
	s_and_saveexec_b64 s[60:61], vcc
	s_cbranch_execz .LBB401_190
; %bb.189:                              ;   in Loop: Header=BB401_160 Depth=1
	v_sub_f32_e32 v33, v35, v34
	v_mul_f32_e32 v35, 0x3fb8aa3b, v33
	v_fma_f32 v131, v33, s68, -v35
	v_rndne_f32_e32 v132, v35
	v_fmac_f32_e32 v131, 0x32a5705f, v33
	v_sub_f32_e32 v35, v35, v132
	v_add_f32_e32 v35, v35, v131
	v_cvt_i32_f32_e32 v131, v132
	v_exp_f32_e32 v35, v35
	v_cmp_ngt_f32_e32 vcc, s69, v33
	v_ldexp_f32 v35, v35, v131
	v_cndmask_b32_e32 v35, 0, v35, vcc
	v_cmp_nlt_f32_e32 vcc, s70, v33
	v_cndmask_b32_e32 v35, v130, v35, vcc
	v_add_f32_e32 v33, 1.0, v35
	v_add_f32_e32 v131, -1.0, v33
	v_sub_f32_e32 v132, v131, v33
	v_add_f32_e32 v132, 1.0, v132
	v_sub_f32_e32 v131, v35, v131
	v_add_f32_e32 v131, v131, v132
	v_frexp_mant_f32_e32 v134, v33
	v_cvt_f64_f32_e32 v[132:133], v33
	v_frexp_exp_i32_f64_e32 v132, v[132:133]
	v_cmp_gt_f32_e32 vcc, s72, v134
	v_subbrev_co_u32_e32 v148, vcc, 0, v132, vcc
	v_sub_u32_e32 v132, 0, v148
	v_ldexp_f32 v33, v33, v132
	v_ldexp_f32 v131, v131, v132
	v_add_f32_e32 v132, -1.0, v33
	v_add_f32_e32 v133, 1.0, v132
	v_sub_f32_e32 v133, v33, v133
	v_add_f32_e32 v134, v131, v133
	v_add_f32_e32 v133, 1.0, v33
	v_add_f32_e32 v135, -1.0, v133
	v_sub_f32_e32 v33, v33, v135
	v_add_f32_e32 v33, v131, v33
	v_add_f32_e32 v131, v133, v33
	v_rcp_f32_e32 v149, v131
	v_sub_f32_e32 v133, v133, v131
	v_add_f32_e32 v33, v33, v133
	v_add_f32_e32 v133, v132, v134
	v_sub_f32_e32 v132, v132, v133
	v_mul_f32_e32 v151, v133, v149
	v_add_f32_e32 v150, v134, v132
	v_mul_f32_e32 v134, v131, v151
	v_fma_f32 v144, v151, v131, -v134
	v_fmac_f32_e32 v144, v151, v33
	v_add_f32_e32 v132, v134, v144
	v_sub_f32_e32 v135, v133, v132
	v_pk_add_f32 v[146:147], v[132:133], v[134:135] neg_lo:[0,1] neg_hi:[0,1]
	v_mov_b32_e32 v145, v132
	v_pk_add_f32 v[132:133], v[146:147], v[144:145] neg_lo:[0,1] neg_hi:[0,1]
	v_add_f32_e32 v133, v150, v133
	v_add_f32_e32 v132, v132, v133
	;; [unrolled: 1-line block ×3, first 2 shown]
	v_mul_f32_e32 v150, v149, v133
	v_mul_f32_e32 v134, v131, v150
	v_fma_f32 v144, v150, v131, -v134
	v_fmac_f32_e32 v144, v150, v33
	v_sub_f32_e32 v33, v135, v133
	v_add_f32_e32 v33, v132, v33
	v_add_f32_e32 v132, v134, v144
	v_sub_f32_e32 v135, v133, v132
	v_pk_add_f32 v[146:147], v[132:133], v[134:135] neg_lo:[0,1] neg_hi:[0,1]
	v_mov_b32_e32 v145, v132
	v_pk_add_f32 v[132:133], v[146:147], v[144:145] neg_lo:[0,1] neg_hi:[0,1]
	v_add_f32_e32 v33, v33, v133
	v_add_f32_e32 v33, v132, v33
	;; [unrolled: 1-line block ×4, first 2 shown]
	v_sub_f32_e32 v132, v131, v151
	v_mul_f32_e32 v33, v149, v33
	v_sub_f32_e32 v132, v150, v132
	v_add_f32_e32 v133, v132, v33
	v_add_f32_e32 v134, v131, v133
	v_cvt_f32_i32_e32 v132, v148
	v_mul_f32_e32 v144, v134, v134
	v_mov_b32_e32 v33, 0x3ecc95a3
	v_fmac_f32_e32 v33, 0x3e9b6dac, v144
	v_sub_f32_e32 v131, v134, v131
	v_fma_f32 v33, v144, v33, v128
	v_sub_f32_e32 v131, v133, v131
	v_mul_f32_e32 v133, v134, v144
	v_pk_mul_f32 v[144:145], v[132:133], v[32:33]
	v_ldexp_f32 v135, v134, 1
	v_fma_f32 v134, v132, s73, -v144
	v_fmac_f32_e32 v134, 0xb102e308, v132
	v_pk_add_f32 v[132:133], v[144:145], v[134:135]
	v_sub_f32_e32 v33, v133, v135
	v_ldexp_f32 v131, v131, 1
	v_sub_f32_e32 v33, v145, v33
	v_add_f32_e32 v147, v131, v33
	v_mov_b32_e32 v146, v144
	v_pk_add_f32 v[144:145], v[132:133], v[144:145] neg_lo:[0,1] neg_hi:[0,1]
	v_pk_add_f32 v[148:149], v[132:133], v[146:147]
	v_mov_b32_e32 v145, v149
	v_mov_b32_e32 v135, v132
	v_pk_add_f32 v[150:151], v[134:135], v[144:145] neg_lo:[0,1] neg_hi:[0,1]
	v_pk_add_f32 v[134:135], v[134:135], v[144:145]
	v_mov_b32_e32 v144, v135
	v_pk_add_f32 v[160:161], v[144:145], v[132:133] neg_lo:[0,1] neg_hi:[0,1]
	v_mov_b32_e32 v33, v160
	v_pk_add_f32 v[162:163], v[148:149], v[32:33] neg_lo:[0,1] neg_hi:[0,1]
	v_mov_b32_e32 v134, v149
	v_mov_b32_e32 v148, v133
	;; [unrolled: 1-line block ×4, first 2 shown]
	v_pk_add_f32 v[134:135], v[134:135], v[148:149] neg_lo:[0,1] neg_hi:[0,1]
	v_mov_b32_e32 v146, v147
	v_mov_b32_e32 v147, v132
	v_pk_add_f32 v[132:133], v[146:147], v[134:135] neg_lo:[0,1] neg_hi:[0,1]
	v_mov_b32_e32 v162, v150
	v_pk_add_f32 v[134:135], v[162:163], v[132:133]
	v_mov_b32_e32 v146, v135
	v_pk_add_f32 v[146:147], v[134:135], v[146:147]
	v_pk_add_f32 v[144:145], v[144:145], v[146:147]
	v_mov_b32_e32 v135, v144
	v_pk_add_f32 v[148:149], v[134:135], v[150:151] neg_lo:[0,1] neg_hi:[0,1]
	v_mov_b32_e32 v133, v146
	v_sub_f32_e32 v33, v134, v148
	v_pk_add_f32 v[132:133], v[132:133], v[148:149] neg_lo:[0,1] neg_hi:[0,1]
	v_sub_f32_e32 v33, v150, v33
	v_add_f32_e32 v33, v132, v33
	v_add_f32_e32 v33, v33, v133
	v_cmp_eq_f32_e32 vcc, s71, v35
	v_cmp_lt_f32_e64 s[76:77], |v35|, s74
	v_add_f32_e32 v33, v144, v33
	s_or_b64 vcc, vcc, s[76:77]
	v_cndmask_b32_e32 v33, v33, v35, vcc
	v_add_f32_e32 v33, v34, v33
	v_cvt_f16_f32_e32 v33, v33
.LBB401_190:                            ;   in Loop: Header=BB401_160 Depth=1
	s_or_b64 exec, exec, s[60:61]
	v_mov_b32_e32 v131, v33
.LBB401_191:                            ;   in Loop: Header=BB401_160 Depth=1
	s_or_b64 exec, exec, s[66:67]
	v_cvt_f32_f16_e32 v34, v131
	v_cvt_f32_f16_e32 v35, v119
	v_cmp_u_f16_e32 vcc, v131, v131
	v_cmp_u_f16_e64 s[60:61], v119, v119
	s_waitcnt lgkmcnt(0)
	v_min_f32_e32 v33, v34, v35
	v_max_f32_e32 v132, v34, v35
	v_cndmask_b32_e32 v33, v33, v34, vcc
	v_cndmask_b32_e32 v34, v132, v34, vcc
	v_cndmask_b32_e64 v33, v33, v35, s[60:61]
	v_cndmask_b32_e64 v34, v34, v35, s[60:61]
	v_cmp_neq_f32_e32 vcc, v33, v34
	v_cmp_class_f32_e64 s[60:61], v33, s13
	s_or_b64 vcc, vcc, s[60:61]
	s_and_saveexec_b64 s[60:61], vcc
	s_xor_b64 s[60:61], exec, s[60:61]
	s_cbranch_execz .LBB401_159
; %bb.192:                              ;   in Loop: Header=BB401_160 Depth=1
	v_sub_f32_e32 v33, v33, v34
	v_mul_f32_e32 v35, 0x3fb8aa3b, v33
	v_fma_f32 v131, v33, s68, -v35
	v_rndne_f32_e32 v132, v35
	v_fmac_f32_e32 v131, 0x32a5705f, v33
	v_sub_f32_e32 v35, v35, v132
	v_add_f32_e32 v35, v35, v131
	v_cvt_i32_f32_e32 v131, v132
	v_exp_f32_e32 v35, v35
	v_cmp_ngt_f32_e32 vcc, s69, v33
	v_ldexp_f32 v35, v35, v131
	v_cndmask_b32_e32 v35, 0, v35, vcc
	v_cmp_nlt_f32_e32 vcc, s70, v33
	v_cndmask_b32_e32 v35, v130, v35, vcc
	v_add_f32_e32 v33, 1.0, v35
	v_add_f32_e32 v131, -1.0, v33
	v_sub_f32_e32 v132, v131, v33
	v_add_f32_e32 v132, 1.0, v132
	v_sub_f32_e32 v131, v35, v131
	v_add_f32_e32 v131, v131, v132
	v_frexp_mant_f32_e32 v134, v33
	v_cvt_f64_f32_e32 v[132:133], v33
	v_frexp_exp_i32_f64_e32 v132, v[132:133]
	v_cmp_gt_f32_e32 vcc, s72, v134
	v_subbrev_co_u32_e32 v132, vcc, 0, v132, vcc
	v_sub_u32_e32 v133, 0, v132
	v_ldexp_f32 v33, v33, v133
	v_ldexp_f32 v131, v131, v133
	v_add_f32_e32 v133, -1.0, v33
	v_add_f32_e32 v144, 1.0, v33
	v_add_f32_e32 v134, 1.0, v133
	v_add_f32_e32 v145, -1.0, v144
	v_sub_f32_e32 v134, v33, v134
	v_sub_f32_e32 v33, v33, v145
	v_add_f32_e32 v33, v131, v33
	v_add_f32_e32 v134, v131, v134
	;; [unrolled: 1-line block ×3, first 2 shown]
	v_rcp_f32_e32 v145, v131
	v_add_f32_e32 v135, v133, v134
	v_sub_f32_e32 v133, v133, v135
	v_add_f32_e32 v133, v134, v133
	v_sub_f32_e32 v134, v144, v131
	v_add_f32_e32 v33, v33, v134
	v_mul_f32_e32 v134, v135, v145
	v_mul_f32_e32 v144, v131, v134
	v_fma_f32 v146, v134, v131, -v144
	v_fmac_f32_e32 v146, v134, v33
	v_add_f32_e32 v147, v144, v146
	v_sub_f32_e32 v148, v135, v147
	v_sub_f32_e32 v135, v135, v148
	v_sub_f32_e32 v144, v147, v144
	v_sub_f32_e32 v135, v135, v147
	v_add_f32_e32 v133, v133, v135
	v_sub_f32_e32 v135, v144, v146
	v_add_f32_e32 v133, v135, v133
	v_add_f32_e32 v135, v148, v133
	v_mul_f32_e32 v144, v145, v135
	v_mul_f32_e32 v146, v131, v144
	v_fma_f32 v131, v144, v131, -v146
	v_fmac_f32_e32 v131, v144, v33
	v_sub_f32_e32 v33, v148, v135
	v_add_f32_e32 v33, v133, v33
	v_add_f32_e32 v133, v146, v131
	v_sub_f32_e32 v147, v135, v133
	v_sub_f32_e32 v135, v135, v147
	;; [unrolled: 1-line block ×4, first 2 shown]
	v_add_f32_e32 v33, v33, v133
	v_sub_f32_e32 v131, v146, v131
	v_add_f32_e32 v33, v131, v33
	v_add_f32_e32 v131, v134, v144
	;; [unrolled: 1-line block ×3, first 2 shown]
	v_sub_f32_e32 v133, v131, v134
	v_mul_f32_e32 v33, v145, v33
	v_sub_f32_e32 v133, v144, v133
	v_add_f32_e32 v133, v133, v33
	v_add_f32_e32 v134, v131, v133
	v_cvt_f32_i32_e32 v132, v132
	v_mul_f32_e32 v144, v134, v134
	v_mov_b32_e32 v33, 0x3ecc95a3
	v_fmac_f32_e32 v33, 0x3e9b6dac, v144
	v_sub_f32_e32 v131, v134, v131
	v_fma_f32 v33, v144, v33, v128
	v_sub_f32_e32 v131, v133, v131
	v_mul_f32_e32 v133, v134, v144
	v_pk_mul_f32 v[144:145], v[132:133], v[32:33]
	v_ldexp_f32 v135, v134, 1
	v_fma_f32 v134, v132, s73, -v144
	v_fmac_f32_e32 v134, 0xb102e308, v132
	v_pk_add_f32 v[132:133], v[144:145], v[134:135]
	v_sub_f32_e32 v33, v133, v135
	v_ldexp_f32 v131, v131, 1
	v_sub_f32_e32 v33, v145, v33
	v_add_f32_e32 v147, v131, v33
	v_mov_b32_e32 v146, v144
	v_pk_add_f32 v[144:145], v[132:133], v[144:145] neg_lo:[0,1] neg_hi:[0,1]
	v_pk_add_f32 v[148:149], v[132:133], v[146:147]
	v_mov_b32_e32 v145, v149
	v_mov_b32_e32 v135, v132
	v_pk_add_f32 v[150:151], v[134:135], v[144:145] neg_lo:[0,1] neg_hi:[0,1]
	v_pk_add_f32 v[134:135], v[134:135], v[144:145]
	v_mov_b32_e32 v144, v135
	v_pk_add_f32 v[160:161], v[144:145], v[132:133] neg_lo:[0,1] neg_hi:[0,1]
	v_mov_b32_e32 v33, v160
	v_pk_add_f32 v[162:163], v[148:149], v[32:33] neg_lo:[0,1] neg_hi:[0,1]
	v_mov_b32_e32 v134, v149
	v_mov_b32_e32 v148, v133
	;; [unrolled: 1-line block ×4, first 2 shown]
	v_pk_add_f32 v[134:135], v[134:135], v[148:149] neg_lo:[0,1] neg_hi:[0,1]
	v_mov_b32_e32 v146, v147
	v_mov_b32_e32 v147, v132
	v_pk_add_f32 v[132:133], v[146:147], v[134:135] neg_lo:[0,1] neg_hi:[0,1]
	v_mov_b32_e32 v162, v150
	v_pk_add_f32 v[134:135], v[162:163], v[132:133]
	v_mov_b32_e32 v146, v135
	v_pk_add_f32 v[146:147], v[134:135], v[146:147]
	v_pk_add_f32 v[144:145], v[144:145], v[146:147]
	v_mov_b32_e32 v135, v144
	v_pk_add_f32 v[148:149], v[134:135], v[150:151] neg_lo:[0,1] neg_hi:[0,1]
	v_mov_b32_e32 v133, v146
	v_sub_f32_e32 v33, v134, v148
	v_pk_add_f32 v[132:133], v[132:133], v[148:149] neg_lo:[0,1] neg_hi:[0,1]
	v_sub_f32_e32 v33, v150, v33
	v_add_f32_e32 v33, v132, v33
	v_add_f32_e32 v33, v33, v133
	v_cmp_eq_f32_e32 vcc, s71, v35
	v_cmp_lt_f32_e64 s[66:67], |v35|, s74
	v_add_f32_e32 v33, v144, v33
	s_or_b64 vcc, vcc, s[66:67]
	v_cndmask_b32_e32 v33, v33, v35, vcc
	v_add_f32_e32 v33, v34, v33
	v_cvt_f16_f32_e32 v131, v33
	s_branch .LBB401_159
.LBB401_193:                            ;   in Loop: Header=BB401_160 Depth=1
                                        ; implicit-def: $vgpr131
                                        ; implicit-def: $vgpr100
	s_cbranch_execz .LBB401_160
; %bb.194:
	s_and_saveexec_b64 s[60:61], s[56:57]
	s_cbranch_execz .LBB401_198
; %bb.195:
	v_cvt_f32_f16_e32 v26, v119
	v_cvt_f32_f16_e32 v27, v97
	v_cmp_u_f16_e32 vcc, v119, v119
	v_cmp_u_f16_e64 s[56:57], v97, v97
	s_movk_i32 s13, 0x1f8
	v_min_f32_e32 v30, v26, v27
	v_max_f32_e32 v31, v26, v27
	v_cndmask_b32_e32 v30, v30, v26, vcc
	v_cndmask_b32_e32 v26, v31, v26, vcc
	v_cndmask_b32_e64 v30, v30, v27, s[56:57]
	v_cndmask_b32_e64 v26, v26, v27, s[56:57]
	v_cmp_neq_f32_e32 vcc, v30, v26
	v_cmp_class_f32_e64 s[56:57], v30, s13
	s_or_b64 vcc, vcc, s[56:57]
	v_mov_b32_e32 v27, v119
	s_and_saveexec_b64 s[56:57], vcc
	s_cbranch_execz .LBB401_197
; %bb.196:
	v_sub_f32_e32 v27, v30, v26
	s_mov_b32 s13, 0x3fb8aa3b
	v_mul_f32_e32 v30, 0x3fb8aa3b, v27
	v_fma_f32 v31, v27, s13, -v30
	v_rndne_f32_e32 v32, v30
	v_fmac_f32_e32 v31, 0x32a5705f, v27
	v_sub_f32_e32 v30, v30, v32
	v_add_f32_e32 v30, v30, v31
	v_exp_f32_e32 v30, v30
	v_cvt_i32_f32_e32 v31, v32
	s_mov_b32 s13, 0xc2ce8ed0
	v_cmp_ngt_f32_e32 vcc, s13, v27
	s_mov_b32 s13, 0x42b17218
	v_ldexp_f32 v30, v30, v31
	v_cndmask_b32_e32 v30, 0, v30, vcc
	v_mov_b32_e32 v31, 0x7f800000
	v_cmp_nlt_f32_e32 vcc, s13, v27
	v_cndmask_b32_e32 v97, v31, v30, vcc
	v_add_f32_e32 v27, 1.0, v97
	v_add_f32_e32 v30, -1.0, v27
	v_sub_f32_e32 v31, v30, v27
	v_add_f32_e32 v31, 1.0, v31
	v_sub_f32_e32 v30, v97, v30
	v_add_f32_e32 v32, v30, v31
	v_frexp_mant_f32_e32 v33, v27
	s_mov_b32 s13, 0x3f2aaaab
	v_cvt_f64_f32_e32 v[30:31], v27
	v_frexp_exp_i32_f64_e32 v30, v[30:31]
	v_cmp_gt_f32_e32 vcc, s13, v33
	v_subbrev_co_u32_e32 v100, vcc, 0, v30, vcc
	v_sub_u32_e32 v30, 0, v100
	v_ldexp_f32 v27, v27, v30
	v_ldexp_f32 v30, v32, v30
	v_add_f32_e32 v32, -1.0, v27
	v_add_f32_e32 v31, 1.0, v32
	v_sub_f32_e32 v31, v27, v31
	v_add_f32_e32 v33, v30, v31
	v_add_f32_e32 v31, 1.0, v27
	v_add_f32_e32 v34, -1.0, v31
	v_sub_f32_e32 v27, v27, v34
	v_add_f32_e32 v27, v30, v27
	v_add_f32_e32 v101, v31, v27
	v_rcp_f32_e32 v102, v101
	v_sub_f32_e32 v30, v31, v101
	v_add_f32_e32 v31, v32, v33
	v_add_f32_e32 v27, v27, v30
	v_mul_f32_e32 v112, v31, v102
	v_sub_f32_e32 v30, v32, v31
	v_mul_f32_e32 v32, v101, v112
	v_fma_f32 v34, v112, v101, -v32
	v_fmac_f32_e32 v34, v112, v27
	v_add_f32_e32 v103, v33, v30
	v_add_f32_e32 v30, v32, v34
	v_sub_f32_e32 v33, v31, v30
	v_pk_add_f32 v[98:99], v[30:31], v[32:33] neg_lo:[0,1] neg_hi:[0,1]
	v_mov_b32_e32 v35, v30
	v_pk_add_f32 v[30:31], v[98:99], v[34:35] neg_lo:[0,1] neg_hi:[0,1]
	v_add_f32_e32 v31, v103, v31
	v_add_f32_e32 v30, v30, v31
	;; [unrolled: 1-line block ×3, first 2 shown]
	v_mul_f32_e32 v103, v102, v31
	v_mul_f32_e32 v32, v101, v103
	v_fma_f32 v34, v103, v101, -v32
	v_fmac_f32_e32 v34, v103, v27
	v_sub_f32_e32 v27, v33, v31
	v_add_f32_e32 v27, v30, v27
	v_add_f32_e32 v30, v32, v34
	v_sub_f32_e32 v33, v31, v30
	v_pk_add_f32 v[98:99], v[30:31], v[32:33] neg_lo:[0,1] neg_hi:[0,1]
	v_mov_b32_e32 v35, v30
	v_pk_add_f32 v[30:31], v[98:99], v[34:35] neg_lo:[0,1] neg_hi:[0,1]
	v_add_f32_e32 v27, v27, v31
	v_add_f32_e32 v27, v30, v27
	;; [unrolled: 1-line block ×4, first 2 shown]
	v_sub_f32_e32 v31, v30, v112
	v_mul_f32_e32 v27, v102, v27
	v_sub_f32_e32 v31, v103, v31
	v_add_f32_e32 v27, v31, v27
	v_add_f32_e32 v33, v30, v27
	v_mul_f32_e32 v34, v33, v33
	v_mov_b32_e32 v32, 0x3ecc95a3
	v_fmac_f32_e32 v32, 0x3e9b6dac, v34
	v_mov_b32_e32 v31, 0x3f2aaada
	v_fmac_f32_e32 v31, v34, v32
	v_cvt_f32_i32_e32 v32, v100
	v_sub_f32_e32 v30, v33, v30
	v_sub_f32_e32 v27, v27, v30
	v_ldexp_f32 v35, v33, 1
	v_mul_f32_e32 v33, v33, v34
	v_mov_b32_e32 v30, 0x3f317218
	s_mov_b32 s13, 0x3f317218
	v_pk_mul_f32 v[30:31], v[32:33], v[30:31]
	v_fma_f32 v34, v32, s13, -v30
	v_fmac_f32_e32 v34, 0xb102e308, v32
	v_pk_add_f32 v[32:33], v[30:31], v[34:35]
	v_sub_f32_e32 v35, v33, v35
	v_ldexp_f32 v27, v27, 1
	v_sub_f32_e32 v35, v31, v35
	v_add_f32_e32 v99, v27, v35
	v_mov_b32_e32 v98, v30
	v_pk_add_f32 v[30:31], v[32:33], v[30:31] neg_lo:[0,1] neg_hi:[0,1]
	v_pk_add_f32 v[100:101], v[32:33], v[98:99]
	v_mov_b32_e32 v31, v101
	v_mov_b32_e32 v35, v32
	v_pk_add_f32 v[102:103], v[34:35], v[30:31] neg_lo:[0,1] neg_hi:[0,1]
	v_pk_add_f32 v[30:31], v[34:35], v[30:31]
	v_mov_b32_e32 v34, v31
	v_pk_add_f32 v[112:113], v[34:35], v[32:33] neg_lo:[0,1] neg_hi:[0,1]
	v_mov_b32_e32 v27, v112
	v_pk_add_f32 v[114:115], v[100:101], v[26:27] neg_lo:[0,1] neg_hi:[0,1]
	v_mov_b32_e32 v30, v101
	v_mov_b32_e32 v100, v33
	;; [unrolled: 1-line block ×4, first 2 shown]
	v_pk_add_f32 v[30:31], v[30:31], v[100:101] neg_lo:[0,1] neg_hi:[0,1]
	v_mov_b32_e32 v98, v99
	v_mov_b32_e32 v99, v32
	v_pk_add_f32 v[30:31], v[98:99], v[30:31] neg_lo:[0,1] neg_hi:[0,1]
	v_mov_b32_e32 v114, v102
	v_pk_add_f32 v[32:33], v[114:115], v[30:31]
	v_mov_b32_e32 v98, v33
	v_pk_add_f32 v[98:99], v[32:33], v[98:99]
	v_pk_add_f32 v[34:35], v[34:35], v[98:99]
	v_mov_b32_e32 v33, v34
	v_pk_add_f32 v[100:101], v[32:33], v[102:103] neg_lo:[0,1] neg_hi:[0,1]
	v_mov_b32_e32 v31, v98
	v_sub_f32_e32 v27, v32, v100
	v_pk_add_f32 v[30:31], v[30:31], v[100:101] neg_lo:[0,1] neg_hi:[0,1]
	v_sub_f32_e32 v27, v102, v27
	s_mov_b32 s66, 0x7f800000
	v_add_f32_e32 v27, v30, v27
	s_mov_b32 s13, 0x33800000
	v_add_f32_e32 v27, v27, v31
	v_cmp_eq_f32_e32 vcc, s66, v97
	v_cmp_lt_f32_e64 s[66:67], |v97|, s13
	v_add_f32_e32 v27, v34, v27
	s_or_b64 vcc, vcc, s[66:67]
	v_cndmask_b32_e32 v27, v27, v97, vcc
	v_add_f32_e32 v26, v26, v27
	v_cvt_f16_f32_e32 v27, v26
.LBB401_197:
	s_or_b64 exec, exec, s[56:57]
	s_add_i32 s12, s12, 64
	s_mov_b32 s13, 0
	s_lshl_b64 s[12:13], s[12:13], 2
	v_mov_b32_e32 v26, s13
	v_add_co_u32_e32 v30, vcc, s12, v24
	s_mov_b32 s12, 0x20000
	v_addc_co_u32_e32 v31, vcc, v25, v26, vcc
	v_or_b32_sdwa v26, v27, s12 dst_sel:DWORD dst_unused:UNUSED_PAD src0_sel:WORD_0 src1_sel:DWORD
	flat_store_dword v[30:31], v26
.LBB401_198:
	s_or_b64 exec, exec, s[60:61]
	v_cmp_eq_u32_e32 vcc, 0, v0
	s_and_b64 exec, exec, vcc
	s_cbranch_execz .LBB401_200
; %bb.199:
	v_mov_b32_e32 v26, 0
	ds_write_b16 v26, v119
.LBB401_200:
	s_or_b64 exec, exec, s[64:65]
	v_mov_b32_e32 v26, 0
	s_waitcnt lgkmcnt(0)
	; wave barrier
	s_waitcnt lgkmcnt(0)
	ds_read_u16 v26, v26
	v_cmp_ne_u32_e32 vcc, 0, v0
	v_mov_b32_e32 v27, v20
	s_and_saveexec_b64 s[12:13], vcc
	s_cbranch_execz .LBB401_204
; %bb.201:
	v_cvt_f32_f16_e32 v30, v96
	v_max_f32_e32 v27, v87, v87
	v_cmp_u_f16_e32 vcc, v96, v96
	v_min_f32_e32 v31, v30, v27
	v_max_f32_e32 v27, v30, v27
	v_cndmask_b32_e32 v31, v31, v30, vcc
	v_cndmask_b32_e32 v27, v27, v30, vcc
	v_cndmask_b32_e64 v31, v31, v87, s[54:55]
	v_cndmask_b32_e64 v27, v27, v87, s[54:55]
	s_movk_i32 s54, 0x1f8
	v_cmp_neq_f32_e32 vcc, v31, v27
	v_cmp_class_f32_e64 s[54:55], v31, s54
	s_or_b64 vcc, vcc, s[54:55]
	s_and_saveexec_b64 s[54:55], vcc
	s_cbranch_execz .LBB401_203
; %bb.202:
	v_sub_f32_e32 v30, v31, v27
	s_mov_b32 s56, 0x3fb8aa3b
	v_mul_f32_e32 v31, 0x3fb8aa3b, v30
	v_fma_f32 v32, v30, s56, -v31
	v_rndne_f32_e32 v33, v31
	v_fmac_f32_e32 v32, 0x32a5705f, v30
	v_sub_f32_e32 v31, v31, v33
	v_add_f32_e32 v31, v31, v32
	v_exp_f32_e32 v31, v31
	v_cvt_i32_f32_e32 v32, v33
	s_mov_b32 s56, 0xc2ce8ed0
	v_cmp_ngt_f32_e32 vcc, s56, v30
	s_mov_b32 s56, 0x42b17218
	v_ldexp_f32 v31, v31, v32
	v_cndmask_b32_e32 v31, 0, v31, vcc
	v_mov_b32_e32 v32, 0x7f800000
	v_cmp_nlt_f32_e32 vcc, s56, v30
	v_cndmask_b32_e32 v87, v32, v31, vcc
	v_add_f32_e32 v32, 1.0, v87
	v_add_f32_e32 v30, -1.0, v32
	v_sub_f32_e32 v31, v30, v32
	v_add_f32_e32 v31, 1.0, v31
	v_sub_f32_e32 v30, v87, v30
	v_add_f32_e32 v33, v30, v31
	v_frexp_mant_f32_e32 v34, v32
	s_mov_b32 s56, 0x3f2aaaab
	v_cvt_f64_f32_e32 v[30:31], v32
	v_frexp_exp_i32_f64_e32 v30, v[30:31]
	v_cmp_gt_f32_e32 vcc, s56, v34
	v_subbrev_co_u32_e32 v98, vcc, 0, v30, vcc
	v_sub_u32_e32 v30, 0, v98
	v_ldexp_f32 v31, v32, v30
	v_add_f32_e32 v32, -1.0, v31
	v_add_f32_e32 v34, 1.0, v31
	v_ldexp_f32 v30, v33, v30
	v_add_f32_e32 v33, 1.0, v32
	v_add_f32_e32 v35, -1.0, v34
	v_sub_f32_e32 v33, v31, v33
	v_sub_f32_e32 v31, v31, v35
	v_add_f32_e32 v33, v30, v33
	v_add_f32_e32 v30, v30, v31
	;; [unrolled: 1-line block ×3, first 2 shown]
	v_rcp_f32_e32 v101, v99
	v_sub_f32_e32 v31, v34, v99
	v_add_f32_e32 v100, v30, v31
	v_add_f32_e32 v31, v32, v33
	v_mul_f32_e32 v103, v31, v101
	v_sub_f32_e32 v30, v32, v31
	v_mul_f32_e32 v32, v99, v103
	v_fma_f32 v34, v103, v99, -v32
	v_fmac_f32_e32 v34, v103, v100
	v_add_f32_e32 v102, v33, v30
	v_add_f32_e32 v30, v32, v34
	v_sub_f32_e32 v33, v31, v30
	v_pk_add_f32 v[96:97], v[30:31], v[32:33] neg_lo:[0,1] neg_hi:[0,1]
	v_mov_b32_e32 v35, v30
	v_pk_add_f32 v[30:31], v[96:97], v[34:35] neg_lo:[0,1] neg_hi:[0,1]
	v_add_f32_e32 v31, v102, v31
	v_add_f32_e32 v30, v30, v31
	;; [unrolled: 1-line block ×3, first 2 shown]
	v_mul_f32_e32 v102, v101, v31
	v_mul_f32_e32 v32, v99, v102
	v_fma_f32 v34, v102, v99, -v32
	v_fmac_f32_e32 v34, v102, v100
	v_sub_f32_e32 v33, v33, v31
	v_add_f32_e32 v99, v30, v33
	v_add_f32_e32 v30, v32, v34
	v_sub_f32_e32 v33, v31, v30
	v_pk_add_f32 v[96:97], v[30:31], v[32:33] neg_lo:[0,1] neg_hi:[0,1]
	v_mov_b32_e32 v35, v30
	v_pk_add_f32 v[30:31], v[96:97], v[34:35] neg_lo:[0,1] neg_hi:[0,1]
	v_add_f32_e32 v31, v99, v31
	v_add_f32_e32 v30, v30, v31
	;; [unrolled: 1-line block ×4, first 2 shown]
	v_sub_f32_e32 v31, v33, v103
	v_mul_f32_e32 v30, v101, v30
	v_sub_f32_e32 v31, v102, v31
	v_add_f32_e32 v30, v31, v30
	v_add_f32_e32 v34, v33, v30
	v_mul_f32_e32 v96, v34, v34
	v_mov_b32_e32 v32, 0x3ecc95a3
	v_fmac_f32_e32 v32, 0x3e9b6dac, v96
	v_mov_b32_e32 v31, 0x3f2aaada
	v_fmac_f32_e32 v31, v96, v32
	v_cvt_f32_i32_e32 v32, v98
	v_sub_f32_e32 v33, v34, v33
	v_sub_f32_e32 v30, v30, v33
	v_ldexp_f32 v97, v30, 1
	v_mul_f32_e32 v33, v34, v96
	v_mov_b32_e32 v30, 0x3f317218
	s_mov_b32 s56, 0x3f317218
	v_pk_mul_f32 v[30:31], v[32:33], v[30:31]
	v_ldexp_f32 v35, v34, 1
	v_fma_f32 v34, v32, s56, -v30
	v_fmac_f32_e32 v34, 0xb102e308, v32
	v_pk_add_f32 v[32:33], v[30:31], v[34:35]
	v_sub_f32_e32 v35, v33, v35
	v_sub_f32_e32 v35, v31, v35
	v_add_f32_e32 v97, v97, v35
	v_mov_b32_e32 v96, v30
	v_pk_add_f32 v[30:31], v[32:33], v[30:31] neg_lo:[0,1] neg_hi:[0,1]
	v_pk_add_f32 v[98:99], v[32:33], v[96:97]
	v_mov_b32_e32 v31, v99
	v_mov_b32_e32 v35, v32
	v_pk_add_f32 v[100:101], v[34:35], v[30:31] neg_lo:[0,1] neg_hi:[0,1]
	v_pk_add_f32 v[30:31], v[34:35], v[30:31]
	v_mov_b32_e32 v34, v31
	v_pk_add_f32 v[102:103], v[34:35], v[32:33] neg_lo:[0,1] neg_hi:[0,1]
	v_mov_b32_e32 v35, v102
	v_pk_add_f32 v[112:113], v[98:99], v[34:35] neg_lo:[0,1] neg_hi:[0,1]
	v_mov_b32_e32 v30, v99
	v_mov_b32_e32 v98, v33
	;; [unrolled: 1-line block ×4, first 2 shown]
	v_pk_add_f32 v[30:31], v[30:31], v[98:99] neg_lo:[0,1] neg_hi:[0,1]
	v_mov_b32_e32 v96, v97
	v_mov_b32_e32 v97, v32
	v_pk_add_f32 v[30:31], v[96:97], v[30:31] neg_lo:[0,1] neg_hi:[0,1]
	v_mov_b32_e32 v112, v100
	v_pk_add_f32 v[32:33], v[112:113], v[30:31]
	v_mov_b32_e32 v96, v33
	v_pk_add_f32 v[96:97], v[32:33], v[96:97]
	v_pk_add_f32 v[34:35], v[34:35], v[96:97]
	v_mov_b32_e32 v33, v34
	v_pk_add_f32 v[98:99], v[32:33], v[100:101] neg_lo:[0,1] neg_hi:[0,1]
	v_mov_b32_e32 v31, v96
	v_sub_f32_e32 v32, v32, v98
	v_pk_add_f32 v[30:31], v[30:31], v[98:99] neg_lo:[0,1] neg_hi:[0,1]
	v_sub_f32_e32 v32, v100, v32
	s_mov_b32 s57, 0x7f800000
	v_add_f32_e32 v30, v30, v32
	s_mov_b32 s56, 0x33800000
	v_add_f32_e32 v30, v30, v31
	v_cmp_eq_f32_e32 vcc, s57, v87
	v_cmp_lt_f32_e64 s[56:57], |v87|, s56
	v_add_f32_e32 v30, v34, v30
	s_or_b64 vcc, vcc, s[56:57]
	v_cndmask_b32_e32 v30, v30, v87, vcc
	v_add_f32_e32 v27, v27, v30
	v_cvt_f16_f32_e32 v96, v27
	v_cvt_f32_f16_e32 v30, v96
.LBB401_203:
	s_or_b64 exec, exec, s[54:55]
	v_mov_b32_e32 v87, v30
	v_mov_b32_e32 v27, v96
.LBB401_204:
	s_or_b64 exec, exec, s[12:13]
	s_waitcnt lgkmcnt(0)
	v_cvt_f32_f16_e32 v96, v26
	v_max_f32_e32 v31, v87, v87
	v_cmp_u_f16_e32 vcc, v26, v26
	v_cmp_u_f16_e64 s[12:13], v27, v27
	v_min_f32_e32 v30, v96, v31
	v_max_f32_e32 v27, v96, v31
	v_cndmask_b32_e32 v30, v30, v96, vcc
	v_cndmask_b32_e32 v27, v27, v96, vcc
	v_cndmask_b32_e64 v30, v30, v87, s[12:13]
	v_cndmask_b32_e64 v27, v27, v87, s[12:13]
	s_movk_i32 s54, 0x1f8
	v_cmp_neq_f32_e32 vcc, v30, v27
	v_cmp_class_f32_e64 s[12:13], v30, s54
	s_or_b64 vcc, vcc, s[12:13]
	s_and_saveexec_b64 s[12:13], vcc
	s_cbranch_execz .LBB401_206
; %bb.205:
	v_sub_f32_e32 v26, v30, v27
	s_mov_b32 s55, 0x3fb8aa3b
	v_mul_f32_e32 v30, 0x3fb8aa3b, v26
	v_fma_f32 v31, v26, s55, -v30
	v_rndne_f32_e32 v32, v30
	v_fmac_f32_e32 v31, 0x32a5705f, v26
	v_sub_f32_e32 v30, v30, v32
	v_add_f32_e32 v30, v30, v31
	v_exp_f32_e32 v30, v30
	v_cvt_i32_f32_e32 v31, v32
	s_mov_b32 s55, 0xc2ce8ed0
	v_cmp_ngt_f32_e32 vcc, s55, v26
	s_mov_b32 s55, 0x42b17218
	v_ldexp_f32 v30, v30, v31
	v_cndmask_b32_e32 v30, 0, v30, vcc
	v_mov_b32_e32 v31, 0x7f800000
	v_cmp_nlt_f32_e32 vcc, s55, v26
	v_cndmask_b32_e32 v87, v31, v30, vcc
	v_add_f32_e32 v26, 1.0, v87
	v_add_f32_e32 v30, -1.0, v26
	v_sub_f32_e32 v31, v30, v26
	v_add_f32_e32 v31, 1.0, v31
	v_sub_f32_e32 v30, v87, v30
	v_add_f32_e32 v32, v30, v31
	v_frexp_mant_f32_e32 v33, v26
	s_mov_b32 s55, 0x3f2aaaab
	v_cvt_f64_f32_e32 v[30:31], v26
	v_frexp_exp_i32_f64_e32 v30, v[30:31]
	v_cmp_gt_f32_e32 vcc, s55, v33
	v_subbrev_co_u32_e32 v98, vcc, 0, v30, vcc
	v_sub_u32_e32 v30, 0, v98
	v_ldexp_f32 v26, v26, v30
	v_ldexp_f32 v30, v32, v30
	v_add_f32_e32 v32, -1.0, v26
	v_add_f32_e32 v31, 1.0, v32
	v_sub_f32_e32 v31, v26, v31
	v_add_f32_e32 v33, v30, v31
	v_add_f32_e32 v31, 1.0, v26
	v_add_f32_e32 v34, -1.0, v31
	v_sub_f32_e32 v26, v26, v34
	v_add_f32_e32 v26, v30, v26
	v_add_f32_e32 v99, v31, v26
	v_rcp_f32_e32 v100, v99
	v_sub_f32_e32 v30, v31, v99
	v_add_f32_e32 v31, v32, v33
	v_add_f32_e32 v26, v26, v30
	v_mul_f32_e32 v102, v31, v100
	v_sub_f32_e32 v30, v32, v31
	v_mul_f32_e32 v32, v99, v102
	v_fma_f32 v34, v102, v99, -v32
	v_fmac_f32_e32 v34, v102, v26
	v_add_f32_e32 v101, v33, v30
	v_add_f32_e32 v30, v32, v34
	v_sub_f32_e32 v33, v31, v30
	v_pk_add_f32 v[96:97], v[30:31], v[32:33] neg_lo:[0,1] neg_hi:[0,1]
	v_mov_b32_e32 v35, v30
	v_pk_add_f32 v[30:31], v[96:97], v[34:35] neg_lo:[0,1] neg_hi:[0,1]
	v_add_f32_e32 v31, v101, v31
	v_add_f32_e32 v30, v30, v31
	v_add_f32_e32 v31, v33, v30
	v_mul_f32_e32 v101, v100, v31
	v_mul_f32_e32 v32, v99, v101
	v_fma_f32 v34, v101, v99, -v32
	v_fmac_f32_e32 v34, v101, v26
	v_sub_f32_e32 v26, v33, v31
	v_add_f32_e32 v26, v30, v26
	v_add_f32_e32 v30, v32, v34
	v_sub_f32_e32 v33, v31, v30
	v_pk_add_f32 v[96:97], v[30:31], v[32:33] neg_lo:[0,1] neg_hi:[0,1]
	v_mov_b32_e32 v35, v30
	v_pk_add_f32 v[30:31], v[96:97], v[34:35] neg_lo:[0,1] neg_hi:[0,1]
	v_add_f32_e32 v26, v26, v31
	v_add_f32_e32 v26, v30, v26
	;; [unrolled: 1-line block ×4, first 2 shown]
	v_sub_f32_e32 v31, v30, v102
	v_mul_f32_e32 v26, v100, v26
	v_sub_f32_e32 v31, v101, v31
	v_add_f32_e32 v26, v31, v26
	v_add_f32_e32 v33, v30, v26
	v_mul_f32_e32 v34, v33, v33
	v_mov_b32_e32 v32, 0x3ecc95a3
	v_fmac_f32_e32 v32, 0x3e9b6dac, v34
	v_mov_b32_e32 v31, 0x3f2aaada
	v_fmac_f32_e32 v31, v34, v32
	v_cvt_f32_i32_e32 v32, v98
	v_sub_f32_e32 v30, v33, v30
	v_sub_f32_e32 v26, v26, v30
	v_ldexp_f32 v35, v33, 1
	v_mul_f32_e32 v33, v33, v34
	v_mov_b32_e32 v30, 0x3f317218
	s_mov_b32 s55, 0x3f317218
	v_pk_mul_f32 v[30:31], v[32:33], v[30:31]
	v_fma_f32 v34, v32, s55, -v30
	v_fmac_f32_e32 v34, 0xb102e308, v32
	v_pk_add_f32 v[32:33], v[30:31], v[34:35]
	v_sub_f32_e32 v35, v33, v35
	v_ldexp_f32 v26, v26, 1
	v_sub_f32_e32 v35, v31, v35
	v_add_f32_e32 v97, v26, v35
	v_mov_b32_e32 v96, v30
	v_pk_add_f32 v[30:31], v[32:33], v[30:31] neg_lo:[0,1] neg_hi:[0,1]
	v_pk_add_f32 v[98:99], v[32:33], v[96:97]
	v_mov_b32_e32 v31, v99
	v_mov_b32_e32 v35, v32
	v_pk_add_f32 v[100:101], v[34:35], v[30:31] neg_lo:[0,1] neg_hi:[0,1]
	v_pk_add_f32 v[30:31], v[34:35], v[30:31]
	v_mov_b32_e32 v26, v31
	v_pk_add_f32 v[34:35], v[26:27], v[32:33] neg_lo:[0,1] neg_hi:[0,1]
	v_mov_b32_e32 v35, v34
	v_pk_add_f32 v[102:103], v[98:99], v[34:35] neg_lo:[0,1] neg_hi:[0,1]
	v_mov_b32_e32 v30, v99
	v_mov_b32_e32 v98, v33
	;; [unrolled: 1-line block ×4, first 2 shown]
	v_pk_add_f32 v[30:31], v[30:31], v[98:99] neg_lo:[0,1] neg_hi:[0,1]
	v_mov_b32_e32 v34, v97
	v_mov_b32_e32 v35, v32
	v_pk_add_f32 v[30:31], v[34:35], v[30:31] neg_lo:[0,1] neg_hi:[0,1]
	v_mov_b32_e32 v102, v100
	v_pk_add_f32 v[32:33], v[102:103], v[30:31]
	v_mov_b32_e32 v34, v33
	v_pk_add_f32 v[34:35], v[32:33], v[34:35]
	v_pk_add_f32 v[96:97], v[26:27], v[34:35]
	v_mov_b32_e32 v33, v96
	v_pk_add_f32 v[98:99], v[32:33], v[100:101] neg_lo:[0,1] neg_hi:[0,1]
	v_mov_b32_e32 v31, v34
	v_sub_f32_e32 v26, v32, v98
	v_pk_add_f32 v[30:31], v[30:31], v[98:99] neg_lo:[0,1] neg_hi:[0,1]
	v_sub_f32_e32 v26, v100, v26
	s_mov_b32 s56, 0x7f800000
	v_add_f32_e32 v26, v30, v26
	s_mov_b32 s55, 0x33800000
	v_add_f32_e32 v26, v26, v31
	v_cmp_eq_f32_e32 vcc, s56, v87
	v_cmp_lt_f32_e64 s[56:57], |v87|, s55
	v_add_f32_e32 v26, v96, v26
	s_or_b64 vcc, vcc, s[56:57]
	v_cndmask_b32_e32 v26, v26, v87, vcc
	v_add_f32_e32 v26, v27, v26
	v_cvt_f16_f32_e32 v26, v26
	v_cvt_f32_f16_e32 v96, v26
.LBB401_206:
	s_or_b64 exec, exec, s[12:13]
	v_max_f32_e32 v27, v48, v48
	v_max_f32_e32 v30, v96, v96
	v_min_f32_e32 v31, v30, v27
	v_cmp_u_f16_e32 vcc, v26, v26
	v_max_f32_e32 v27, v30, v27
	v_cndmask_b32_e32 v31, v31, v96, vcc
	v_cndmask_b32_e32 v27, v27, v96, vcc
	v_cndmask_b32_e64 v31, v31, v48, s[6:7]
	v_cndmask_b32_e64 v30, v27, v48, s[6:7]
	v_cmp_neq_f32_e32 vcc, v31, v30
	v_cmp_class_f32_e64 s[6:7], v31, s54
	s_or_b64 s[12:13], vcc, s[6:7]
	v_mov_b32_e32 v97, v26
	v_mov_b32_e32 v27, v26
	s_and_saveexec_b64 s[6:7], s[12:13]
	s_cbranch_execz .LBB401_208
; %bb.207:
	v_sub_f32_e32 v27, v31, v30
	s_mov_b32 s12, 0x3fb8aa3b
	v_mul_f32_e32 v31, 0x3fb8aa3b, v27
	v_fma_f32 v32, v27, s12, -v31
	v_rndne_f32_e32 v33, v31
	v_fmac_f32_e32 v32, 0x32a5705f, v27
	v_sub_f32_e32 v31, v31, v33
	v_add_f32_e32 v31, v31, v32
	v_exp_f32_e32 v31, v31
	v_cvt_i32_f32_e32 v32, v33
	s_mov_b32 s12, 0xc2ce8ed0
	v_cmp_ngt_f32_e32 vcc, s12, v27
	s_mov_b32 s12, 0x42b17218
	v_ldexp_f32 v31, v31, v32
	v_cndmask_b32_e32 v31, 0, v31, vcc
	v_mov_b32_e32 v32, 0x7f800000
	v_cmp_nlt_f32_e32 vcc, s12, v27
	v_cndmask_b32_e32 v31, v32, v31, vcc
	v_add_f32_e32 v27, 1.0, v31
	v_add_f32_e32 v32, -1.0, v27
	v_sub_f32_e32 v33, v32, v27
	v_add_f32_e32 v33, 1.0, v33
	v_sub_f32_e32 v32, v31, v32
	v_add_f32_e32 v34, v32, v33
	v_frexp_mant_f32_e32 v35, v27
	s_mov_b32 s12, 0x3f2aaaab
	v_cvt_f64_f32_e32 v[32:33], v27
	v_frexp_exp_i32_f64_e32 v32, v[32:33]
	v_cmp_gt_f32_e32 vcc, s12, v35
	v_subbrev_co_u32_e32 v87, vcc, 0, v32, vcc
	v_sub_u32_e32 v32, 0, v87
	v_ldexp_f32 v27, v27, v32
	v_ldexp_f32 v32, v34, v32
	v_add_f32_e32 v34, -1.0, v27
	v_add_f32_e32 v33, 1.0, v34
	v_sub_f32_e32 v33, v27, v33
	v_add_f32_e32 v35, v32, v33
	v_add_f32_e32 v33, 1.0, v27
	v_add_f32_e32 v96, -1.0, v33
	v_sub_f32_e32 v27, v27, v96
	v_add_f32_e32 v27, v32, v27
	v_add_f32_e32 v100, v33, v27
	v_rcp_f32_e32 v101, v100
	v_sub_f32_e32 v32, v33, v100
	v_add_f32_e32 v33, v34, v35
	v_add_f32_e32 v27, v27, v32
	v_mul_f32_e32 v103, v33, v101
	v_sub_f32_e32 v32, v34, v33
	v_mul_f32_e32 v34, v100, v103
	v_fma_f32 v96, v103, v100, -v34
	v_fmac_f32_e32 v96, v103, v27
	v_add_f32_e32 v102, v35, v32
	v_add_f32_e32 v32, v34, v96
	v_sub_f32_e32 v35, v33, v32
	v_pk_add_f32 v[98:99], v[32:33], v[34:35] neg_lo:[0,1] neg_hi:[0,1]
	v_mov_b32_e32 v97, v32
	v_pk_add_f32 v[32:33], v[98:99], v[96:97] neg_lo:[0,1] neg_hi:[0,1]
	v_add_f32_e32 v33, v102, v33
	v_add_f32_e32 v32, v32, v33
	;; [unrolled: 1-line block ×3, first 2 shown]
	v_mul_f32_e32 v102, v101, v33
	v_mul_f32_e32 v34, v100, v102
	v_fma_f32 v96, v102, v100, -v34
	v_fmac_f32_e32 v96, v102, v27
	v_sub_f32_e32 v27, v35, v33
	v_add_f32_e32 v27, v32, v27
	v_add_f32_e32 v32, v34, v96
	v_sub_f32_e32 v35, v33, v32
	v_pk_add_f32 v[98:99], v[32:33], v[34:35] neg_lo:[0,1] neg_hi:[0,1]
	v_mov_b32_e32 v97, v32
	v_pk_add_f32 v[32:33], v[98:99], v[96:97] neg_lo:[0,1] neg_hi:[0,1]
	v_add_f32_e32 v27, v27, v33
	v_add_f32_e32 v27, v32, v27
	;; [unrolled: 1-line block ×4, first 2 shown]
	v_sub_f32_e32 v33, v32, v103
	v_mul_f32_e32 v27, v101, v27
	v_sub_f32_e32 v33, v102, v33
	v_add_f32_e32 v27, v33, v27
	v_add_f32_e32 v35, v32, v27
	v_mul_f32_e32 v96, v35, v35
	v_mov_b32_e32 v34, 0x3ecc95a3
	v_fmac_f32_e32 v34, 0x3e9b6dac, v96
	v_mov_b32_e32 v33, 0x3f2aaada
	v_fmac_f32_e32 v33, v96, v34
	v_cvt_f32_i32_e32 v34, v87
	v_sub_f32_e32 v32, v35, v32
	v_sub_f32_e32 v27, v27, v32
	v_ldexp_f32 v97, v35, 1
	v_mul_f32_e32 v35, v35, v96
	v_mov_b32_e32 v32, 0x3f317218
	s_mov_b32 s12, 0x3f317218
	v_pk_mul_f32 v[32:33], v[34:35], v[32:33]
	v_fma_f32 v96, v34, s12, -v32
	v_fmac_f32_e32 v96, 0xb102e308, v34
	v_pk_add_f32 v[34:35], v[32:33], v[96:97]
	v_sub_f32_e32 v87, v35, v97
	v_ldexp_f32 v27, v27, 1
	v_sub_f32_e32 v87, v33, v87
	v_add_f32_e32 v99, v27, v87
	v_mov_b32_e32 v98, v32
	v_pk_add_f32 v[32:33], v[34:35], v[32:33] neg_lo:[0,1] neg_hi:[0,1]
	v_pk_add_f32 v[100:101], v[34:35], v[98:99]
	v_mov_b32_e32 v33, v101
	v_mov_b32_e32 v97, v34
	v_pk_add_f32 v[102:103], v[96:97], v[32:33] neg_lo:[0,1] neg_hi:[0,1]
	v_pk_add_f32 v[32:33], v[96:97], v[32:33]
	v_mov_b32_e32 v96, v33
	v_pk_add_f32 v[112:113], v[96:97], v[34:35] neg_lo:[0,1] neg_hi:[0,1]
	v_mov_b32_e32 v27, v112
	v_pk_add_f32 v[114:115], v[100:101], v[26:27] neg_lo:[0,1] neg_hi:[0,1]
	v_mov_b32_e32 v32, v101
	v_mov_b32_e32 v100, v35
	;; [unrolled: 1-line block ×4, first 2 shown]
	v_pk_add_f32 v[32:33], v[32:33], v[100:101] neg_lo:[0,1] neg_hi:[0,1]
	v_mov_b32_e32 v98, v99
	v_mov_b32_e32 v99, v34
	v_pk_add_f32 v[32:33], v[98:99], v[32:33] neg_lo:[0,1] neg_hi:[0,1]
	v_mov_b32_e32 v114, v102
	v_pk_add_f32 v[34:35], v[114:115], v[32:33]
	v_mov_b32_e32 v98, v35
	v_pk_add_f32 v[98:99], v[34:35], v[98:99]
	v_pk_add_f32 v[96:97], v[96:97], v[98:99]
	v_mov_b32_e32 v35, v96
	v_pk_add_f32 v[100:101], v[34:35], v[102:103] neg_lo:[0,1] neg_hi:[0,1]
	v_mov_b32_e32 v33, v98
	v_sub_f32_e32 v27, v34, v100
	v_pk_add_f32 v[32:33], v[32:33], v[100:101] neg_lo:[0,1] neg_hi:[0,1]
	v_sub_f32_e32 v27, v102, v27
	s_mov_b32 s13, 0x7f800000
	v_add_f32_e32 v27, v32, v27
	s_mov_b32 s12, 0x33800000
	v_add_f32_e32 v27, v27, v33
	v_cmp_eq_f32_e32 vcc, s13, v31
	v_cmp_lt_f32_e64 s[12:13], |v31|, s12
	v_add_f32_e32 v27, v96, v27
	s_or_b64 vcc, vcc, s[12:13]
	v_cndmask_b32_e32 v27, v27, v31, vcc
	v_add_f32_e32 v27, v30, v27
	v_cvt_f16_f32_e32 v97, v27
	v_cvt_f32_f16_e32 v96, v97
	v_mov_b32_e32 v27, v97
.LBB401_208:
	s_or_b64 exec, exec, s[6:7]
	v_max_f32_e32 v30, v49, v49
	v_max_f32_e32 v31, v96, v96
	v_min_f32_e32 v32, v31, v30
	v_cmp_u_f16_e32 vcc, v97, v97
	v_max_f32_e32 v30, v31, v30
	v_cndmask_b32_e32 v32, v32, v96, vcc
	v_cndmask_b32_e32 v30, v30, v96, vcc
	v_cndmask_b32_e64 v32, v32, v49, s[8:9]
	v_cndmask_b32_e64 v31, v30, v49, s[8:9]
	s_movk_i32 s8, 0x1f8
	v_cmp_neq_f32_e32 vcc, v32, v31
	v_cmp_class_f32_e64 s[6:7], v32, s8
	s_or_b64 s[12:13], vcc, s[6:7]
	v_mov_b32_e32 v30, v27
	s_and_saveexec_b64 s[6:7], s[12:13]
	s_cbranch_execz .LBB401_210
; %bb.209:
	v_sub_f32_e32 v30, v32, v31
	s_mov_b32 s9, 0x3fb8aa3b
	v_mul_f32_e32 v32, 0x3fb8aa3b, v30
	v_fma_f32 v33, v30, s9, -v32
	v_rndne_f32_e32 v34, v32
	v_fmac_f32_e32 v33, 0x32a5705f, v30
	v_sub_f32_e32 v32, v32, v34
	v_add_f32_e32 v32, v32, v33
	v_exp_f32_e32 v32, v32
	v_cvt_i32_f32_e32 v33, v34
	s_mov_b32 s9, 0xc2ce8ed0
	v_cmp_ngt_f32_e32 vcc, s9, v30
	s_mov_b32 s9, 0x42b17218
	v_ldexp_f32 v32, v32, v33
	v_cndmask_b32_e32 v32, 0, v32, vcc
	v_mov_b32_e32 v33, 0x7f800000
	v_cmp_nlt_f32_e32 vcc, s9, v30
	v_cndmask_b32_e32 v87, v33, v32, vcc
	v_add_f32_e32 v30, 1.0, v87
	v_add_f32_e32 v32, -1.0, v30
	v_sub_f32_e32 v33, v32, v30
	v_add_f32_e32 v33, 1.0, v33
	v_sub_f32_e32 v32, v87, v32
	v_add_f32_e32 v34, v32, v33
	v_frexp_mant_f32_e32 v35, v30
	s_mov_b32 s9, 0x3f2aaaab
	v_cvt_f64_f32_e32 v[32:33], v30
	v_frexp_exp_i32_f64_e32 v32, v[32:33]
	v_cmp_gt_f32_e32 vcc, s9, v35
	v_subbrev_co_u32_e32 v49, vcc, 0, v32, vcc
	v_sub_u32_e32 v32, 0, v49
	v_ldexp_f32 v30, v30, v32
	v_ldexp_f32 v32, v34, v32
	v_add_f32_e32 v34, -1.0, v30
	v_add_f32_e32 v33, 1.0, v34
	v_sub_f32_e32 v33, v30, v33
	v_add_f32_e32 v35, v32, v33
	v_add_f32_e32 v33, 1.0, v30
	v_add_f32_e32 v96, -1.0, v33
	v_sub_f32_e32 v30, v30, v96
	v_add_f32_e32 v30, v32, v30
	v_add_f32_e32 v100, v33, v30
	v_rcp_f32_e32 v101, v100
	v_sub_f32_e32 v32, v33, v100
	v_add_f32_e32 v33, v34, v35
	v_add_f32_e32 v30, v30, v32
	v_mul_f32_e32 v103, v33, v101
	v_sub_f32_e32 v32, v34, v33
	v_mul_f32_e32 v34, v100, v103
	v_fma_f32 v96, v103, v100, -v34
	v_fmac_f32_e32 v96, v103, v30
	v_add_f32_e32 v102, v35, v32
	v_add_f32_e32 v32, v34, v96
	v_sub_f32_e32 v35, v33, v32
	v_pk_add_f32 v[98:99], v[32:33], v[34:35] neg_lo:[0,1] neg_hi:[0,1]
	v_mov_b32_e32 v97, v32
	v_pk_add_f32 v[32:33], v[98:99], v[96:97] neg_lo:[0,1] neg_hi:[0,1]
	v_add_f32_e32 v33, v102, v33
	v_add_f32_e32 v32, v32, v33
	;; [unrolled: 1-line block ×3, first 2 shown]
	v_mul_f32_e32 v102, v101, v33
	v_mul_f32_e32 v34, v100, v102
	v_fma_f32 v96, v102, v100, -v34
	v_fmac_f32_e32 v96, v102, v30
	v_sub_f32_e32 v30, v35, v33
	v_add_f32_e32 v30, v32, v30
	v_add_f32_e32 v32, v34, v96
	v_sub_f32_e32 v35, v33, v32
	v_pk_add_f32 v[98:99], v[32:33], v[34:35] neg_lo:[0,1] neg_hi:[0,1]
	v_mov_b32_e32 v97, v32
	v_pk_add_f32 v[32:33], v[98:99], v[96:97] neg_lo:[0,1] neg_hi:[0,1]
	v_add_f32_e32 v30, v30, v33
	v_add_f32_e32 v30, v32, v30
	;; [unrolled: 1-line block ×4, first 2 shown]
	v_sub_f32_e32 v33, v32, v103
	v_mul_f32_e32 v30, v101, v30
	v_sub_f32_e32 v33, v102, v33
	v_add_f32_e32 v30, v33, v30
	v_add_f32_e32 v35, v32, v30
	v_mul_f32_e32 v96, v35, v35
	v_mov_b32_e32 v34, 0x3ecc95a3
	v_fmac_f32_e32 v34, 0x3e9b6dac, v96
	v_mov_b32_e32 v33, 0x3f2aaada
	v_fmac_f32_e32 v33, v96, v34
	v_cvt_f32_i32_e32 v34, v49
	v_sub_f32_e32 v32, v35, v32
	v_sub_f32_e32 v30, v30, v32
	v_ldexp_f32 v97, v35, 1
	v_mul_f32_e32 v35, v35, v96
	v_mov_b32_e32 v32, 0x3f317218
	s_mov_b32 s9, 0x3f317218
	v_pk_mul_f32 v[32:33], v[34:35], v[32:33]
	v_fma_f32 v96, v34, s9, -v32
	v_fmac_f32_e32 v96, 0xb102e308, v34
	v_pk_add_f32 v[34:35], v[32:33], v[96:97]
	v_sub_f32_e32 v49, v35, v97
	v_ldexp_f32 v30, v30, 1
	v_sub_f32_e32 v49, v33, v49
	v_add_f32_e32 v99, v30, v49
	v_mov_b32_e32 v98, v32
	v_pk_add_f32 v[32:33], v[34:35], v[32:33] neg_lo:[0,1] neg_hi:[0,1]
	v_pk_add_f32 v[100:101], v[34:35], v[98:99]
	v_mov_b32_e32 v33, v101
	v_mov_b32_e32 v97, v34
	v_pk_add_f32 v[102:103], v[96:97], v[32:33] neg_lo:[0,1] neg_hi:[0,1]
	v_pk_add_f32 v[32:33], v[96:97], v[32:33]
	v_mov_b32_e32 v30, v33
	v_pk_add_f32 v[96:97], v[30:31], v[34:35] neg_lo:[0,1] neg_hi:[0,1]
	v_mov_b32_e32 v49, v96
	v_pk_add_f32 v[112:113], v[100:101], v[48:49] neg_lo:[0,1] neg_hi:[0,1]
	v_mov_b32_e32 v32, v101
	v_mov_b32_e32 v100, v35
	;; [unrolled: 1-line block ×4, first 2 shown]
	v_pk_add_f32 v[32:33], v[32:33], v[100:101] neg_lo:[0,1] neg_hi:[0,1]
	v_mov_b32_e32 v96, v99
	v_mov_b32_e32 v97, v34
	v_pk_add_f32 v[32:33], v[96:97], v[32:33] neg_lo:[0,1] neg_hi:[0,1]
	v_mov_b32_e32 v112, v102
	v_pk_add_f32 v[34:35], v[112:113], v[32:33]
	v_mov_b32_e32 v96, v35
	v_pk_add_f32 v[96:97], v[34:35], v[96:97]
	v_pk_add_f32 v[98:99], v[30:31], v[96:97]
	v_mov_b32_e32 v35, v98
	v_pk_add_f32 v[100:101], v[34:35], v[102:103] neg_lo:[0,1] neg_hi:[0,1]
	v_mov_b32_e32 v33, v96
	v_sub_f32_e32 v30, v34, v100
	v_pk_add_f32 v[32:33], v[32:33], v[100:101] neg_lo:[0,1] neg_hi:[0,1]
	v_sub_f32_e32 v30, v102, v30
	s_mov_b32 s12, 0x7f800000
	v_add_f32_e32 v30, v32, v30
	s_mov_b32 s9, 0x33800000
	v_add_f32_e32 v30, v30, v33
	v_cmp_eq_f32_e32 vcc, s12, v87
	v_cmp_lt_f32_e64 s[12:13], |v87|, s9
	v_add_f32_e32 v30, v98, v30
	s_or_b64 vcc, vcc, s[12:13]
	v_cndmask_b32_e32 v30, v30, v87, vcc
	v_add_f32_e32 v30, v31, v30
	v_cvt_f16_f32_e32 v97, v30
	v_cvt_f32_f16_e32 v96, v97
	v_mov_b32_e32 v30, v97
.LBB401_210:
	s_or_b64 exec, exec, s[6:7]
	v_max_f32_e32 v31, v50, v50
	v_max_f32_e32 v32, v96, v96
	v_min_f32_e32 v33, v32, v31
	v_cmp_u_f16_e32 vcc, v97, v97
	v_max_f32_e32 v31, v32, v31
	v_cndmask_b32_e32 v33, v33, v96, vcc
	v_cndmask_b32_e32 v31, v31, v96, vcc
	v_cndmask_b32_e64 v33, v33, v50, s[10:11]
	v_cndmask_b32_e64 v32, v31, v50, s[10:11]
	v_cmp_neq_f32_e32 vcc, v33, v32
	v_cmp_class_f32_e64 s[6:7], v33, s8
	s_or_b64 s[8:9], vcc, s[6:7]
	v_mov_b32_e32 v31, v30
	s_and_saveexec_b64 s[6:7], s[8:9]
	s_cbranch_execz .LBB401_212
; %bb.211:
	v_sub_f32_e32 v31, v33, v32
	s_mov_b32 s8, 0x3fb8aa3b
	v_mul_f32_e32 v33, 0x3fb8aa3b, v31
	v_fma_f32 v34, v31, s8, -v33
	v_rndne_f32_e32 v35, v33
	v_fmac_f32_e32 v34, 0x32a5705f, v31
	v_sub_f32_e32 v33, v33, v35
	v_add_f32_e32 v33, v33, v34
	v_exp_f32_e32 v33, v33
	v_cvt_i32_f32_e32 v34, v35
	s_mov_b32 s8, 0xc2ce8ed0
	v_cmp_ngt_f32_e32 vcc, s8, v31
	s_mov_b32 s8, 0x42b17218
	v_ldexp_f32 v33, v33, v34
	v_cndmask_b32_e32 v33, 0, v33, vcc
	v_mov_b32_e32 v34, 0x7f800000
	v_cmp_nlt_f32_e32 vcc, s8, v31
	v_cndmask_b32_e32 v33, v34, v33, vcc
	v_add_f32_e32 v31, 1.0, v33
	v_add_f32_e32 v34, -1.0, v31
	v_sub_f32_e32 v35, v34, v31
	v_add_f32_e32 v35, 1.0, v35
	v_sub_f32_e32 v34, v33, v34
	v_add_f32_e32 v49, v34, v35
	v_frexp_mant_f32_e32 v50, v31
	s_mov_b32 s8, 0x3f2aaaab
	v_cvt_f64_f32_e32 v[34:35], v31
	v_frexp_exp_i32_f64_e32 v34, v[34:35]
	v_cmp_gt_f32_e32 vcc, s8, v50
	v_subbrev_co_u32_e32 v50, vcc, 0, v34, vcc
	v_sub_u32_e32 v34, 0, v50
	v_ldexp_f32 v31, v31, v34
	v_ldexp_f32 v34, v49, v34
	v_add_f32_e32 v49, -1.0, v31
	v_add_f32_e32 v35, 1.0, v49
	v_sub_f32_e32 v35, v31, v35
	v_add_f32_e32 v87, v34, v35
	v_add_f32_e32 v35, 1.0, v31
	v_add_f32_e32 v96, -1.0, v35
	v_sub_f32_e32 v31, v31, v96
	v_add_f32_e32 v31, v34, v31
	v_add_f32_e32 v102, v35, v31
	v_rcp_f32_e32 v103, v102
	v_sub_f32_e32 v34, v35, v102
	v_add_f32_e32 v35, v49, v87
	v_add_f32_e32 v31, v31, v34
	v_sub_f32_e32 v34, v49, v35
	v_add_f32_e32 v49, v87, v34
	v_mul_f32_e32 v87, v35, v103
	v_mul_f32_e32 v96, v102, v87
	v_fma_f32 v98, v87, v102, -v96
	v_fmac_f32_e32 v98, v87, v31
	v_add_f32_e32 v34, v96, v98
	v_sub_f32_e32 v97, v35, v34
	v_pk_add_f32 v[100:101], v[34:35], v[96:97] neg_lo:[0,1] neg_hi:[0,1]
	v_mov_b32_e32 v99, v34
	v_pk_add_f32 v[34:35], v[100:101], v[98:99] neg_lo:[0,1] neg_hi:[0,1]
	v_add_f32_e32 v35, v49, v35
	v_add_f32_e32 v34, v34, v35
	;; [unrolled: 1-line block ×3, first 2 shown]
	v_mul_f32_e32 v49, v103, v35
	v_mul_f32_e32 v96, v102, v49
	v_fma_f32 v98, v49, v102, -v96
	v_fmac_f32_e32 v98, v49, v31
	v_sub_f32_e32 v31, v97, v35
	v_add_f32_e32 v31, v34, v31
	v_add_f32_e32 v34, v96, v98
	v_sub_f32_e32 v97, v35, v34
	v_pk_add_f32 v[100:101], v[34:35], v[96:97] neg_lo:[0,1] neg_hi:[0,1]
	v_mov_b32_e32 v99, v34
	v_pk_add_f32 v[34:35], v[100:101], v[98:99] neg_lo:[0,1] neg_hi:[0,1]
	v_add_f32_e32 v31, v31, v35
	v_add_f32_e32 v31, v34, v31
	;; [unrolled: 1-line block ×4, first 2 shown]
	v_sub_f32_e32 v35, v34, v87
	v_mul_f32_e32 v31, v103, v31
	v_sub_f32_e32 v35, v49, v35
	v_add_f32_e32 v31, v35, v31
	v_add_f32_e32 v49, v34, v31
	v_mul_f32_e32 v87, v49, v49
	v_mov_b32_e32 v96, 0x3ecc95a3
	v_fmac_f32_e32 v96, 0x3e9b6dac, v87
	v_mov_b32_e32 v35, 0x3f2aaada
	v_fmac_f32_e32 v35, v87, v96
	v_cvt_f32_i32_e32 v96, v50
	v_sub_f32_e32 v34, v49, v34
	v_sub_f32_e32 v31, v31, v34
	v_mul_f32_e32 v97, v49, v87
	v_mov_b32_e32 v34, 0x3f317218
	s_mov_b32 s8, 0x3f317218
	v_pk_mul_f32 v[34:35], v[96:97], v[34:35]
	v_fma_f32 v98, v96, s8, -v34
	v_ldexp_f32 v99, v49, 1
	v_fmac_f32_e32 v98, 0xb102e308, v96
	v_pk_add_f32 v[96:97], v[34:35], v[98:99]
	v_sub_f32_e32 v49, v97, v99
	v_ldexp_f32 v31, v31, 1
	v_sub_f32_e32 v49, v35, v49
	v_add_f32_e32 v101, v31, v49
	v_mov_b32_e32 v100, v34
	v_pk_add_f32 v[34:35], v[96:97], v[34:35] neg_lo:[0,1] neg_hi:[0,1]
	v_pk_add_f32 v[102:103], v[96:97], v[100:101]
	v_mov_b32_e32 v35, v103
	v_mov_b32_e32 v99, v96
	v_pk_add_f32 v[112:113], v[98:99], v[34:35] neg_lo:[0,1] neg_hi:[0,1]
	v_pk_add_f32 v[34:35], v[98:99], v[34:35]
	v_mov_b32_e32 v50, v35
	v_pk_add_f32 v[98:99], v[50:51], v[96:97] neg_lo:[0,1] neg_hi:[0,1]
	v_mov_b32_e32 v31, v98
	v_pk_add_f32 v[114:115], v[102:103], v[30:31] neg_lo:[0,1] neg_hi:[0,1]
	v_mov_b32_e32 v34, v103
	v_mov_b32_e32 v102, v97
	;; [unrolled: 1-line block ×4, first 2 shown]
	v_pk_add_f32 v[34:35], v[34:35], v[102:103] neg_lo:[0,1] neg_hi:[0,1]
	v_mov_b32_e32 v98, v101
	v_mov_b32_e32 v99, v96
	v_pk_add_f32 v[34:35], v[98:99], v[34:35] neg_lo:[0,1] neg_hi:[0,1]
	v_mov_b32_e32 v114, v112
	v_pk_add_f32 v[96:97], v[114:115], v[34:35]
	v_mov_b32_e32 v98, v97
	v_pk_add_f32 v[98:99], v[96:97], v[98:99]
	v_pk_add_f32 v[100:101], v[50:51], v[98:99]
	v_mov_b32_e32 v97, v100
	v_pk_add_f32 v[102:103], v[96:97], v[112:113] neg_lo:[0,1] neg_hi:[0,1]
	v_mov_b32_e32 v35, v98
	v_sub_f32_e32 v31, v96, v102
	v_pk_add_f32 v[34:35], v[34:35], v[102:103] neg_lo:[0,1] neg_hi:[0,1]
	v_sub_f32_e32 v31, v112, v31
	s_mov_b32 s9, 0x7f800000
	v_add_f32_e32 v31, v34, v31
	s_mov_b32 s8, 0x33800000
	v_add_f32_e32 v31, v31, v35
	v_cmp_eq_f32_e32 vcc, s9, v33
	v_cmp_lt_f32_e64 s[8:9], |v33|, s8
	v_add_f32_e32 v31, v100, v31
	s_or_b64 vcc, vcc, s[8:9]
	v_cndmask_b32_e32 v31, v31, v33, vcc
	v_add_f32_e32 v31, v32, v31
	v_cvt_f16_f32_e32 v97, v31
	v_cvt_f32_f16_e32 v96, v97
	v_mov_b32_e32 v31, v97
.LBB401_212:
	s_or_b64 exec, exec, s[6:7]
	v_max_f32_e32 v32, v51, v51
	v_max_f32_e32 v33, v96, v96
	v_min_f32_e32 v34, v33, v32
	v_cmp_u_f16_e32 vcc, v97, v97
	v_max_f32_e32 v32, v33, v32
	v_cndmask_b32_e32 v34, v34, v96, vcc
	v_cndmask_b32_e32 v32, v32, v96, vcc
	v_cndmask_b32_e64 v34, v34, v51, s[58:59]
	v_cndmask_b32_e64 v33, v32, v51, s[58:59]
	s_movk_i32 s8, 0x1f8
	v_cmp_neq_f32_e32 vcc, v34, v33
	v_cmp_class_f32_e64 s[6:7], v34, s8
	s_or_b64 s[10:11], vcc, s[6:7]
	v_mov_b32_e32 v32, v31
	s_and_saveexec_b64 s[6:7], s[10:11]
	s_cbranch_execz .LBB401_214
; %bb.213:
	v_sub_f32_e32 v32, v34, v33
	s_mov_b32 s9, 0x3fb8aa3b
	v_mul_f32_e32 v34, 0x3fb8aa3b, v32
	v_fma_f32 v35, v32, s9, -v34
	v_rndne_f32_e32 v49, v34
	v_fmac_f32_e32 v35, 0x32a5705f, v32
	v_sub_f32_e32 v34, v34, v49
	v_add_f32_e32 v34, v34, v35
	v_exp_f32_e32 v34, v34
	v_cvt_i32_f32_e32 v35, v49
	s_mov_b32 s9, 0xc2ce8ed0
	v_cmp_ngt_f32_e32 vcc, s9, v32
	s_mov_b32 s9, 0x42b17218
	v_ldexp_f32 v34, v34, v35
	v_cndmask_b32_e32 v34, 0, v34, vcc
	v_mov_b32_e32 v35, 0x7f800000
	v_cmp_nlt_f32_e32 vcc, s9, v32
	v_cndmask_b32_e32 v87, v35, v34, vcc
	v_add_f32_e32 v32, 1.0, v87
	v_add_f32_e32 v34, -1.0, v32
	v_sub_f32_e32 v35, v34, v32
	v_add_f32_e32 v35, 1.0, v35
	v_sub_f32_e32 v34, v87, v34
	v_add_f32_e32 v49, v34, v35
	v_frexp_mant_f32_e32 v50, v32
	s_mov_b32 s9, 0x3f2aaaab
	v_cvt_f64_f32_e32 v[34:35], v32
	v_frexp_exp_i32_f64_e32 v34, v[34:35]
	v_cmp_gt_f32_e32 vcc, s9, v50
	v_subbrev_co_u32_e32 v100, vcc, 0, v34, vcc
	v_sub_u32_e32 v34, 0, v100
	v_ldexp_f32 v32, v32, v34
	v_ldexp_f32 v34, v49, v34
	v_add_f32_e32 v49, -1.0, v32
	v_add_f32_e32 v35, 1.0, v49
	v_sub_f32_e32 v35, v32, v35
	v_add_f32_e32 v50, v34, v35
	v_add_f32_e32 v35, 1.0, v32
	v_add_f32_e32 v51, -1.0, v35
	v_sub_f32_e32 v32, v32, v51
	v_add_f32_e32 v32, v34, v32
	v_add_f32_e32 v101, v35, v32
	v_rcp_f32_e32 v102, v101
	v_sub_f32_e32 v34, v35, v101
	v_add_f32_e32 v35, v49, v50
	v_add_f32_e32 v32, v32, v34
	v_sub_f32_e32 v34, v49, v35
	v_mul_f32_e32 v103, v35, v102
	v_add_f32_e32 v49, v50, v34
	v_mul_f32_e32 v50, v101, v103
	v_fma_f32 v96, v103, v101, -v50
	v_fmac_f32_e32 v96, v103, v32
	v_add_f32_e32 v34, v50, v96
	v_sub_f32_e32 v51, v35, v34
	v_pk_add_f32 v[98:99], v[34:35], v[50:51] neg_lo:[0,1] neg_hi:[0,1]
	v_mov_b32_e32 v97, v34
	v_pk_add_f32 v[34:35], v[98:99], v[96:97] neg_lo:[0,1] neg_hi:[0,1]
	v_add_f32_e32 v35, v49, v35
	v_add_f32_e32 v34, v34, v35
	v_add_f32_e32 v35, v51, v34
	v_mul_f32_e32 v49, v102, v35
	v_mul_f32_e32 v50, v101, v49
	v_fma_f32 v96, v49, v101, -v50
	v_fmac_f32_e32 v96, v49, v32
	v_sub_f32_e32 v32, v51, v35
	v_add_f32_e32 v32, v34, v32
	v_add_f32_e32 v34, v50, v96
	v_sub_f32_e32 v51, v35, v34
	v_pk_add_f32 v[98:99], v[34:35], v[50:51] neg_lo:[0,1] neg_hi:[0,1]
	v_mov_b32_e32 v97, v34
	v_pk_add_f32 v[34:35], v[98:99], v[96:97] neg_lo:[0,1] neg_hi:[0,1]
	v_add_f32_e32 v32, v32, v35
	v_add_f32_e32 v32, v34, v32
	;; [unrolled: 1-line block ×4, first 2 shown]
	v_sub_f32_e32 v35, v34, v103
	v_mul_f32_e32 v32, v102, v32
	v_sub_f32_e32 v35, v49, v35
	v_add_f32_e32 v32, v35, v32
	v_add_f32_e32 v49, v34, v32
	v_mul_f32_e32 v51, v49, v49
	v_mov_b32_e32 v50, 0x3ecc95a3
	v_fmac_f32_e32 v50, 0x3e9b6dac, v51
	v_mov_b32_e32 v35, 0x3f2aaada
	v_fmac_f32_e32 v35, v51, v50
	v_cvt_f32_i32_e32 v50, v100
	v_sub_f32_e32 v34, v49, v34
	v_sub_f32_e32 v32, v32, v34
	v_mul_f32_e32 v51, v49, v51
	v_mov_b32_e32 v34, 0x3f317218
	s_mov_b32 s9, 0x3f317218
	v_pk_mul_f32 v[34:35], v[50:51], v[34:35]
	v_fma_f32 v96, v50, s9, -v34
	v_ldexp_f32 v97, v49, 1
	v_fmac_f32_e32 v96, 0xb102e308, v50
	v_pk_add_f32 v[50:51], v[34:35], v[96:97]
	v_sub_f32_e32 v49, v51, v97
	v_ldexp_f32 v32, v32, 1
	v_sub_f32_e32 v49, v35, v49
	v_add_f32_e32 v99, v32, v49
	v_mov_b32_e32 v98, v34
	v_pk_add_f32 v[34:35], v[50:51], v[34:35] neg_lo:[0,1] neg_hi:[0,1]
	v_pk_add_f32 v[100:101], v[50:51], v[98:99]
	v_mov_b32_e32 v35, v101
	v_mov_b32_e32 v97, v50
	v_pk_add_f32 v[102:103], v[96:97], v[34:35] neg_lo:[0,1] neg_hi:[0,1]
	v_pk_add_f32 v[34:35], v[96:97], v[34:35]
	v_mov_b32_e32 v32, v35
	v_pk_add_f32 v[96:97], v[32:33], v[50:51] neg_lo:[0,1] neg_hi:[0,1]
	v_mov_b32_e32 v49, v96
	v_pk_add_f32 v[112:113], v[100:101], v[48:49] neg_lo:[0,1] neg_hi:[0,1]
	v_mov_b32_e32 v34, v101
	v_mov_b32_e32 v100, v51
	;; [unrolled: 1-line block ×4, first 2 shown]
	v_pk_add_f32 v[34:35], v[34:35], v[100:101] neg_lo:[0,1] neg_hi:[0,1]
	v_mov_b32_e32 v96, v99
	v_mov_b32_e32 v97, v50
	v_pk_add_f32 v[34:35], v[96:97], v[34:35] neg_lo:[0,1] neg_hi:[0,1]
	v_mov_b32_e32 v112, v102
	v_pk_add_f32 v[50:51], v[112:113], v[34:35]
	v_mov_b32_e32 v96, v51
	v_pk_add_f32 v[96:97], v[50:51], v[96:97]
	v_pk_add_f32 v[98:99], v[32:33], v[96:97]
	v_mov_b32_e32 v51, v98
	v_pk_add_f32 v[100:101], v[50:51], v[102:103] neg_lo:[0,1] neg_hi:[0,1]
	v_mov_b32_e32 v35, v96
	v_sub_f32_e32 v32, v50, v100
	v_pk_add_f32 v[34:35], v[34:35], v[100:101] neg_lo:[0,1] neg_hi:[0,1]
	v_sub_f32_e32 v32, v102, v32
	s_mov_b32 s10, 0x7f800000
	v_add_f32_e32 v32, v34, v32
	s_mov_b32 s9, 0x33800000
	v_add_f32_e32 v32, v32, v35
	v_cmp_eq_f32_e32 vcc, s10, v87
	v_cmp_lt_f32_e64 s[10:11], |v87|, s9
	v_add_f32_e32 v32, v98, v32
	s_or_b64 vcc, vcc, s[10:11]
	v_cndmask_b32_e32 v32, v32, v87, vcc
	v_add_f32_e32 v32, v33, v32
	v_cvt_f16_f32_e32 v97, v32
	v_cvt_f32_f16_e32 v96, v97
	v_mov_b32_e32 v32, v97
.LBB401_214:
	s_or_b64 exec, exec, s[6:7]
	v_max_f32_e32 v33, v52, v52
	v_max_f32_e32 v34, v96, v96
	v_min_f32_e32 v35, v34, v33
	v_cmp_u_f16_e32 vcc, v97, v97
	v_max_f32_e32 v33, v34, v33
	v_cndmask_b32_e32 v35, v35, v96, vcc
	v_cndmask_b32_e32 v33, v33, v96, vcc
	v_cndmask_b32_e64 v35, v35, v52, s[14:15]
	v_cndmask_b32_e64 v34, v33, v52, s[14:15]
	v_cmp_neq_f32_e32 vcc, v35, v34
	v_cmp_class_f32_e64 s[6:7], v35, s8
	s_or_b64 s[8:9], vcc, s[6:7]
	v_mov_b32_e32 v33, v32
	s_and_saveexec_b64 s[6:7], s[8:9]
	s_cbranch_execz .LBB401_216
; %bb.215:
	v_sub_f32_e32 v33, v35, v34
	s_mov_b32 s8, 0x3fb8aa3b
	v_mul_f32_e32 v35, 0x3fb8aa3b, v33
	v_fma_f32 v49, v33, s8, -v35
	v_rndne_f32_e32 v50, v35
	v_fmac_f32_e32 v49, 0x32a5705f, v33
	v_sub_f32_e32 v35, v35, v50
	v_add_f32_e32 v35, v35, v49
	v_exp_f32_e32 v35, v35
	v_cvt_i32_f32_e32 v49, v50
	s_mov_b32 s8, 0xc2ce8ed0
	v_cmp_ngt_f32_e32 vcc, s8, v33
	s_mov_b32 s8, 0x42b17218
	v_ldexp_f32 v35, v35, v49
	v_cndmask_b32_e32 v35, 0, v35, vcc
	v_mov_b32_e32 v49, 0x7f800000
	v_cmp_nlt_f32_e32 vcc, s8, v33
	v_cndmask_b32_e32 v35, v49, v35, vcc
	v_add_f32_e32 v33, 1.0, v35
	v_add_f32_e32 v49, -1.0, v33
	v_sub_f32_e32 v50, v49, v33
	v_add_f32_e32 v50, 1.0, v50
	v_sub_f32_e32 v49, v35, v49
	v_add_f32_e32 v49, v49, v50
	v_frexp_mant_f32_e32 v52, v33
	s_mov_b32 s8, 0x3f2aaaab
	v_cvt_f64_f32_e32 v[50:51], v33
	v_frexp_exp_i32_f64_e32 v50, v[50:51]
	v_cmp_gt_f32_e32 vcc, s8, v52
	v_subbrev_co_u32_e32 v52, vcc, 0, v50, vcc
	v_sub_u32_e32 v50, 0, v52
	v_ldexp_f32 v33, v33, v50
	v_ldexp_f32 v49, v49, v50
	v_add_f32_e32 v50, -1.0, v33
	v_add_f32_e32 v51, 1.0, v50
	v_sub_f32_e32 v51, v33, v51
	v_add_f32_e32 v87, v49, v51
	v_add_f32_e32 v51, 1.0, v33
	v_add_f32_e32 v96, -1.0, v51
	v_sub_f32_e32 v33, v33, v96
	v_add_f32_e32 v33, v49, v33
	v_add_f32_e32 v49, v51, v33
	v_rcp_f32_e32 v102, v49
	v_sub_f32_e32 v51, v51, v49
	v_add_f32_e32 v33, v33, v51
	v_add_f32_e32 v51, v50, v87
	v_mul_f32_e32 v103, v51, v102
	v_mul_f32_e32 v96, v49, v103
	v_fma_f32 v98, v103, v49, -v96
	v_sub_f32_e32 v50, v50, v51
	v_fmac_f32_e32 v98, v103, v33
	v_add_f32_e32 v87, v87, v50
	v_add_f32_e32 v50, v96, v98
	v_sub_f32_e32 v97, v51, v50
	v_pk_add_f32 v[100:101], v[50:51], v[96:97] neg_lo:[0,1] neg_hi:[0,1]
	v_mov_b32_e32 v99, v50
	v_pk_add_f32 v[50:51], v[100:101], v[98:99] neg_lo:[0,1] neg_hi:[0,1]
	v_add_f32_e32 v51, v87, v51
	v_add_f32_e32 v50, v50, v51
	;; [unrolled: 1-line block ×3, first 2 shown]
	v_mul_f32_e32 v87, v102, v51
	v_mul_f32_e32 v96, v49, v87
	v_fma_f32 v98, v87, v49, -v96
	v_fmac_f32_e32 v98, v87, v33
	v_sub_f32_e32 v33, v97, v51
	v_add_f32_e32 v33, v50, v33
	v_add_f32_e32 v50, v96, v98
	v_sub_f32_e32 v97, v51, v50
	v_pk_add_f32 v[100:101], v[50:51], v[96:97] neg_lo:[0,1] neg_hi:[0,1]
	v_mov_b32_e32 v99, v50
	v_pk_add_f32 v[50:51], v[100:101], v[98:99] neg_lo:[0,1] neg_hi:[0,1]
	v_add_f32_e32 v33, v33, v51
	v_add_f32_e32 v33, v50, v33
	;; [unrolled: 1-line block ×4, first 2 shown]
	v_sub_f32_e32 v50, v49, v103
	v_mul_f32_e32 v33, v102, v33
	v_sub_f32_e32 v50, v87, v50
	v_add_f32_e32 v33, v50, v33
	v_add_f32_e32 v50, v49, v33
	v_mul_f32_e32 v87, v50, v50
	v_mov_b32_e32 v96, 0x3ecc95a3
	v_fmac_f32_e32 v96, 0x3e9b6dac, v87
	v_mov_b32_e32 v51, 0x3f2aaada
	v_fmac_f32_e32 v51, v87, v96
	v_cvt_f32_i32_e32 v96, v52
	v_sub_f32_e32 v49, v50, v49
	v_ldexp_f32 v99, v50, 1
	v_mul_f32_e32 v97, v50, v87
	v_mov_b32_e32 v50, 0x3f317218
	s_mov_b32 s8, 0x3f317218
	v_pk_mul_f32 v[50:51], v[96:97], v[50:51]
	v_fma_f32 v98, v96, s8, -v50
	v_fmac_f32_e32 v98, 0xb102e308, v96
	v_pk_add_f32 v[96:97], v[50:51], v[98:99]
	v_sub_f32_e32 v33, v33, v49
	v_sub_f32_e32 v49, v97, v99
	v_ldexp_f32 v33, v33, 1
	v_sub_f32_e32 v49, v51, v49
	v_add_f32_e32 v101, v33, v49
	v_mov_b32_e32 v100, v50
	v_pk_add_f32 v[50:51], v[96:97], v[50:51] neg_lo:[0,1] neg_hi:[0,1]
	v_pk_add_f32 v[102:103], v[96:97], v[100:101]
	v_mov_b32_e32 v51, v103
	v_mov_b32_e32 v99, v96
	v_pk_add_f32 v[112:113], v[98:99], v[50:51] neg_lo:[0,1] neg_hi:[0,1]
	v_pk_add_f32 v[50:51], v[98:99], v[50:51]
	v_mov_b32_e32 v52, v51
	v_pk_add_f32 v[98:99], v[52:53], v[96:97] neg_lo:[0,1] neg_hi:[0,1]
	v_mov_b32_e32 v33, v98
	v_pk_add_f32 v[114:115], v[102:103], v[32:33] neg_lo:[0,1] neg_hi:[0,1]
	v_mov_b32_e32 v50, v103
	v_mov_b32_e32 v102, v97
	v_mov_b32_e32 v103, v98
	v_mov_b32_e32 v113, v51
	v_pk_add_f32 v[50:51], v[50:51], v[102:103] neg_lo:[0,1] neg_hi:[0,1]
	v_mov_b32_e32 v98, v101
	v_mov_b32_e32 v99, v96
	v_pk_add_f32 v[50:51], v[98:99], v[50:51] neg_lo:[0,1] neg_hi:[0,1]
	v_mov_b32_e32 v114, v112
	v_pk_add_f32 v[96:97], v[114:115], v[50:51]
	v_mov_b32_e32 v98, v97
	v_pk_add_f32 v[98:99], v[96:97], v[98:99]
	v_pk_add_f32 v[100:101], v[52:53], v[98:99]
	v_mov_b32_e32 v97, v100
	v_pk_add_f32 v[102:103], v[96:97], v[112:113] neg_lo:[0,1] neg_hi:[0,1]
	v_mov_b32_e32 v51, v98
	v_sub_f32_e32 v33, v96, v102
	v_pk_add_f32 v[50:51], v[50:51], v[102:103] neg_lo:[0,1] neg_hi:[0,1]
	v_sub_f32_e32 v33, v112, v33
	s_mov_b32 s9, 0x7f800000
	v_add_f32_e32 v33, v50, v33
	s_mov_b32 s8, 0x33800000
	v_add_f32_e32 v33, v33, v51
	v_cmp_eq_f32_e32 vcc, s9, v35
	v_cmp_lt_f32_e64 s[8:9], |v35|, s8
	v_add_f32_e32 v33, v100, v33
	s_or_b64 vcc, vcc, s[8:9]
	v_cndmask_b32_e32 v33, v33, v35, vcc
	v_add_f32_e32 v33, v34, v33
	v_cvt_f16_f32_e32 v97, v33
	v_cvt_f32_f16_e32 v96, v97
	v_mov_b32_e32 v33, v97
.LBB401_216:
	s_or_b64 exec, exec, s[6:7]
	v_max_f32_e32 v34, v53, v53
	v_max_f32_e32 v35, v96, v96
	v_min_f32_e32 v49, v35, v34
	v_cmp_u_f16_e32 vcc, v97, v97
	v_max_f32_e32 v34, v35, v34
	v_cndmask_b32_e32 v49, v49, v96, vcc
	v_cndmask_b32_e32 v34, v34, v96, vcc
	v_cndmask_b32_e64 v49, v49, v53, s[16:17]
	v_cndmask_b32_e64 v35, v34, v53, s[16:17]
	s_movk_i32 s8, 0x1f8
	v_cmp_neq_f32_e32 vcc, v49, v35
	v_cmp_class_f32_e64 s[6:7], v49, s8
	s_or_b64 s[10:11], vcc, s[6:7]
	v_mov_b32_e32 v34, v33
	s_and_saveexec_b64 s[6:7], s[10:11]
	s_cbranch_execz .LBB401_218
; %bb.217:
	v_sub_f32_e32 v34, v49, v35
	s_mov_b32 s9, 0x3fb8aa3b
	v_mul_f32_e32 v49, 0x3fb8aa3b, v34
	v_fma_f32 v50, v34, s9, -v49
	v_rndne_f32_e32 v51, v49
	v_fmac_f32_e32 v50, 0x32a5705f, v34
	v_sub_f32_e32 v49, v49, v51
	v_add_f32_e32 v49, v49, v50
	v_exp_f32_e32 v49, v49
	v_cvt_i32_f32_e32 v50, v51
	s_mov_b32 s9, 0xc2ce8ed0
	v_cmp_ngt_f32_e32 vcc, s9, v34
	s_mov_b32 s9, 0x42b17218
	v_ldexp_f32 v49, v49, v50
	v_cndmask_b32_e32 v49, 0, v49, vcc
	v_mov_b32_e32 v50, 0x7f800000
	v_cmp_nlt_f32_e32 vcc, s9, v34
	v_cndmask_b32_e32 v87, v50, v49, vcc
	v_add_f32_e32 v34, 1.0, v87
	v_add_f32_e32 v49, -1.0, v34
	v_sub_f32_e32 v50, v49, v34
	v_add_f32_e32 v50, 1.0, v50
	v_sub_f32_e32 v49, v87, v49
	v_add_f32_e32 v49, v49, v50
	v_frexp_mant_f32_e32 v52, v34
	s_mov_b32 s9, 0x3f2aaaab
	v_cvt_f64_f32_e32 v[50:51], v34
	v_frexp_exp_i32_f64_e32 v50, v[50:51]
	v_cmp_gt_f32_e32 vcc, s9, v52
	v_subbrev_co_u32_e32 v100, vcc, 0, v50, vcc
	v_sub_u32_e32 v50, 0, v100
	v_ldexp_f32 v34, v34, v50
	v_ldexp_f32 v49, v49, v50
	v_add_f32_e32 v50, -1.0, v34
	v_add_f32_e32 v51, 1.0, v50
	v_sub_f32_e32 v51, v34, v51
	v_add_f32_e32 v52, v49, v51
	v_add_f32_e32 v51, 1.0, v34
	v_add_f32_e32 v53, -1.0, v51
	v_sub_f32_e32 v34, v34, v53
	v_add_f32_e32 v34, v49, v34
	v_add_f32_e32 v49, v51, v34
	v_rcp_f32_e32 v101, v49
	v_sub_f32_e32 v51, v51, v49
	v_add_f32_e32 v34, v34, v51
	v_add_f32_e32 v51, v50, v52
	v_sub_f32_e32 v50, v50, v51
	v_mul_f32_e32 v103, v51, v101
	v_add_f32_e32 v102, v52, v50
	v_mul_f32_e32 v52, v49, v103
	v_fma_f32 v96, v103, v49, -v52
	v_fmac_f32_e32 v96, v103, v34
	v_add_f32_e32 v50, v52, v96
	v_sub_f32_e32 v53, v51, v50
	v_pk_add_f32 v[98:99], v[50:51], v[52:53] neg_lo:[0,1] neg_hi:[0,1]
	v_mov_b32_e32 v97, v50
	v_pk_add_f32 v[50:51], v[98:99], v[96:97] neg_lo:[0,1] neg_hi:[0,1]
	v_add_f32_e32 v51, v102, v51
	v_add_f32_e32 v50, v50, v51
	;; [unrolled: 1-line block ×3, first 2 shown]
	v_mul_f32_e32 v102, v101, v51
	v_mul_f32_e32 v52, v49, v102
	v_fma_f32 v96, v102, v49, -v52
	v_fmac_f32_e32 v96, v102, v34
	v_sub_f32_e32 v34, v53, v51
	v_add_f32_e32 v34, v50, v34
	v_add_f32_e32 v50, v52, v96
	v_sub_f32_e32 v53, v51, v50
	v_pk_add_f32 v[98:99], v[50:51], v[52:53] neg_lo:[0,1] neg_hi:[0,1]
	v_mov_b32_e32 v97, v50
	v_pk_add_f32 v[50:51], v[98:99], v[96:97] neg_lo:[0,1] neg_hi:[0,1]
	v_add_f32_e32 v34, v34, v51
	v_add_f32_e32 v34, v50, v34
	;; [unrolled: 1-line block ×4, first 2 shown]
	v_sub_f32_e32 v50, v49, v103
	v_mul_f32_e32 v34, v101, v34
	v_sub_f32_e32 v50, v102, v50
	v_add_f32_e32 v34, v50, v34
	v_add_f32_e32 v50, v49, v34
	v_mul_f32_e32 v53, v50, v50
	v_mov_b32_e32 v52, 0x3ecc95a3
	v_fmac_f32_e32 v52, 0x3e9b6dac, v53
	v_mov_b32_e32 v51, 0x3f2aaada
	v_fmac_f32_e32 v51, v53, v52
	v_cvt_f32_i32_e32 v52, v100
	v_sub_f32_e32 v49, v50, v49
	v_ldexp_f32 v97, v50, 1
	v_mul_f32_e32 v53, v50, v53
	v_mov_b32_e32 v50, 0x3f317218
	s_mov_b32 s9, 0x3f317218
	v_pk_mul_f32 v[50:51], v[52:53], v[50:51]
	v_fma_f32 v96, v52, s9, -v50
	v_fmac_f32_e32 v96, 0xb102e308, v52
	v_pk_add_f32 v[52:53], v[50:51], v[96:97]
	v_sub_f32_e32 v34, v34, v49
	v_sub_f32_e32 v49, v53, v97
	v_ldexp_f32 v34, v34, 1
	v_sub_f32_e32 v49, v51, v49
	v_add_f32_e32 v99, v34, v49
	v_mov_b32_e32 v98, v50
	v_pk_add_f32 v[50:51], v[52:53], v[50:51] neg_lo:[0,1] neg_hi:[0,1]
	v_pk_add_f32 v[100:101], v[52:53], v[98:99]
	v_mov_b32_e32 v51, v101
	v_mov_b32_e32 v97, v52
	v_pk_add_f32 v[102:103], v[96:97], v[50:51] neg_lo:[0,1] neg_hi:[0,1]
	v_pk_add_f32 v[50:51], v[96:97], v[50:51]
	v_mov_b32_e32 v34, v51
	v_pk_add_f32 v[96:97], v[34:35], v[52:53] neg_lo:[0,1] neg_hi:[0,1]
	v_mov_b32_e32 v49, v96
	v_pk_add_f32 v[112:113], v[100:101], v[48:49] neg_lo:[0,1] neg_hi:[0,1]
	v_mov_b32_e32 v50, v101
	v_mov_b32_e32 v100, v53
	;; [unrolled: 1-line block ×4, first 2 shown]
	v_pk_add_f32 v[50:51], v[50:51], v[100:101] neg_lo:[0,1] neg_hi:[0,1]
	v_mov_b32_e32 v96, v99
	v_mov_b32_e32 v97, v52
	v_pk_add_f32 v[50:51], v[96:97], v[50:51] neg_lo:[0,1] neg_hi:[0,1]
	v_mov_b32_e32 v112, v102
	v_pk_add_f32 v[52:53], v[112:113], v[50:51]
	v_mov_b32_e32 v96, v53
	v_pk_add_f32 v[96:97], v[52:53], v[96:97]
	v_pk_add_f32 v[98:99], v[34:35], v[96:97]
	v_mov_b32_e32 v53, v98
	v_pk_add_f32 v[100:101], v[52:53], v[102:103] neg_lo:[0,1] neg_hi:[0,1]
	v_mov_b32_e32 v51, v96
	v_sub_f32_e32 v34, v52, v100
	v_pk_add_f32 v[50:51], v[50:51], v[100:101] neg_lo:[0,1] neg_hi:[0,1]
	v_sub_f32_e32 v34, v102, v34
	s_mov_b32 s10, 0x7f800000
	v_add_f32_e32 v34, v50, v34
	s_mov_b32 s9, 0x33800000
	v_add_f32_e32 v34, v34, v51
	v_cmp_eq_f32_e32 vcc, s10, v87
	v_cmp_lt_f32_e64 s[10:11], |v87|, s9
	v_add_f32_e32 v34, v98, v34
	s_or_b64 vcc, vcc, s[10:11]
	v_cndmask_b32_e32 v34, v34, v87, vcc
	v_add_f32_e32 v34, v35, v34
	v_cvt_f16_f32_e32 v97, v34
	v_cvt_f32_f16_e32 v96, v97
	v_mov_b32_e32 v34, v97
.LBB401_218:
	s_or_b64 exec, exec, s[6:7]
	v_max_f32_e32 v35, v54, v54
	v_max_f32_e32 v49, v96, v96
	v_min_f32_e32 v50, v49, v35
	v_cmp_u_f16_e32 vcc, v97, v97
	v_max_f32_e32 v35, v49, v35
	v_cndmask_b32_e32 v50, v50, v96, vcc
	v_cndmask_b32_e32 v35, v35, v96, vcc
	v_cndmask_b32_e64 v50, v50, v54, s[18:19]
	v_cndmask_b32_e64 v49, v35, v54, s[18:19]
	v_cmp_neq_f32_e32 vcc, v50, v49
	v_cmp_class_f32_e64 s[6:7], v50, s8
	s_or_b64 s[8:9], vcc, s[6:7]
	v_mov_b32_e32 v35, v34
	s_and_saveexec_b64 s[6:7], s[8:9]
	s_cbranch_execz .LBB401_220
; %bb.219:
	v_sub_f32_e32 v35, v50, v49
	s_mov_b32 s8, 0x3fb8aa3b
	v_mul_f32_e32 v50, 0x3fb8aa3b, v35
	v_fma_f32 v51, v35, s8, -v50
	v_rndne_f32_e32 v52, v50
	v_fmac_f32_e32 v51, 0x32a5705f, v35
	v_sub_f32_e32 v50, v50, v52
	v_add_f32_e32 v50, v50, v51
	v_exp_f32_e32 v50, v50
	v_cvt_i32_f32_e32 v51, v52
	s_mov_b32 s8, 0xc2ce8ed0
	v_cmp_ngt_f32_e32 vcc, s8, v35
	s_mov_b32 s8, 0x42b17218
	v_ldexp_f32 v50, v50, v51
	v_cndmask_b32_e32 v50, 0, v50, vcc
	v_mov_b32_e32 v51, 0x7f800000
	v_cmp_nlt_f32_e32 vcc, s8, v35
	v_cndmask_b32_e32 v87, v51, v50, vcc
	v_add_f32_e32 v35, 1.0, v87
	v_add_f32_e32 v50, -1.0, v35
	v_sub_f32_e32 v51, v50, v35
	v_add_f32_e32 v51, 1.0, v51
	v_sub_f32_e32 v50, v87, v50
	v_add_f32_e32 v52, v50, v51
	v_frexp_mant_f32_e32 v53, v35
	s_mov_b32 s8, 0x3f2aaaab
	v_cvt_f64_f32_e32 v[50:51], v35
	v_frexp_exp_i32_f64_e32 v50, v[50:51]
	v_cmp_gt_f32_e32 vcc, s8, v53
	v_subbrev_co_u32_e32 v54, vcc, 0, v50, vcc
	v_sub_u32_e32 v50, 0, v54
	v_ldexp_f32 v35, v35, v50
	v_ldexp_f32 v50, v52, v50
	v_add_f32_e32 v52, -1.0, v35
	v_add_f32_e32 v51, 1.0, v52
	v_sub_f32_e32 v51, v35, v51
	v_add_f32_e32 v53, v50, v51
	v_add_f32_e32 v51, 1.0, v35
	v_add_f32_e32 v96, -1.0, v51
	v_sub_f32_e32 v35, v35, v96
	v_add_f32_e32 v35, v50, v35
	v_add_f32_e32 v100, v51, v35
	v_rcp_f32_e32 v101, v100
	v_sub_f32_e32 v50, v51, v100
	v_add_f32_e32 v51, v52, v53
	v_add_f32_e32 v35, v35, v50
	v_mul_f32_e32 v103, v51, v101
	v_sub_f32_e32 v50, v52, v51
	v_mul_f32_e32 v52, v100, v103
	v_fma_f32 v96, v103, v100, -v52
	v_fmac_f32_e32 v96, v103, v35
	v_add_f32_e32 v102, v53, v50
	v_add_f32_e32 v50, v52, v96
	v_sub_f32_e32 v53, v51, v50
	v_pk_add_f32 v[98:99], v[50:51], v[52:53] neg_lo:[0,1] neg_hi:[0,1]
	v_mov_b32_e32 v97, v50
	v_pk_add_f32 v[50:51], v[98:99], v[96:97] neg_lo:[0,1] neg_hi:[0,1]
	v_add_f32_e32 v51, v102, v51
	v_add_f32_e32 v50, v50, v51
	;; [unrolled: 1-line block ×3, first 2 shown]
	v_mul_f32_e32 v102, v101, v51
	v_mul_f32_e32 v52, v100, v102
	v_fma_f32 v96, v102, v100, -v52
	v_fmac_f32_e32 v96, v102, v35
	v_sub_f32_e32 v35, v53, v51
	v_add_f32_e32 v35, v50, v35
	v_add_f32_e32 v50, v52, v96
	v_sub_f32_e32 v53, v51, v50
	v_pk_add_f32 v[98:99], v[50:51], v[52:53] neg_lo:[0,1] neg_hi:[0,1]
	v_mov_b32_e32 v97, v50
	v_pk_add_f32 v[50:51], v[98:99], v[96:97] neg_lo:[0,1] neg_hi:[0,1]
	v_add_f32_e32 v35, v35, v51
	v_add_f32_e32 v35, v50, v35
	;; [unrolled: 1-line block ×4, first 2 shown]
	v_sub_f32_e32 v51, v50, v103
	v_mul_f32_e32 v35, v101, v35
	v_sub_f32_e32 v51, v102, v51
	v_add_f32_e32 v35, v51, v35
	v_add_f32_e32 v53, v50, v35
	v_mul_f32_e32 v96, v53, v53
	v_mov_b32_e32 v52, 0x3ecc95a3
	v_fmac_f32_e32 v52, 0x3e9b6dac, v96
	v_mov_b32_e32 v51, 0x3f2aaada
	v_fmac_f32_e32 v51, v96, v52
	v_cvt_f32_i32_e32 v52, v54
	v_sub_f32_e32 v50, v53, v50
	v_sub_f32_e32 v35, v35, v50
	v_ldexp_f32 v97, v53, 1
	v_mul_f32_e32 v53, v53, v96
	v_mov_b32_e32 v50, 0x3f317218
	s_mov_b32 s8, 0x3f317218
	v_pk_mul_f32 v[50:51], v[52:53], v[50:51]
	v_fma_f32 v96, v52, s8, -v50
	v_fmac_f32_e32 v96, 0xb102e308, v52
	v_pk_add_f32 v[52:53], v[50:51], v[96:97]
	v_sub_f32_e32 v54, v53, v97
	v_ldexp_f32 v35, v35, 1
	v_sub_f32_e32 v54, v51, v54
	v_add_f32_e32 v99, v35, v54
	v_mov_b32_e32 v98, v50
	v_pk_add_f32 v[50:51], v[52:53], v[50:51] neg_lo:[0,1] neg_hi:[0,1]
	v_pk_add_f32 v[100:101], v[52:53], v[98:99]
	v_mov_b32_e32 v51, v101
	v_mov_b32_e32 v97, v52
	v_pk_add_f32 v[102:103], v[96:97], v[50:51] neg_lo:[0,1] neg_hi:[0,1]
	v_pk_add_f32 v[50:51], v[96:97], v[50:51]
	v_mov_b32_e32 v54, v51
	v_pk_add_f32 v[96:97], v[54:55], v[52:53] neg_lo:[0,1] neg_hi:[0,1]
	v_mov_b32_e32 v35, v96
	v_pk_add_f32 v[112:113], v[100:101], v[34:35] neg_lo:[0,1] neg_hi:[0,1]
	v_mov_b32_e32 v50, v101
	v_mov_b32_e32 v100, v53
	;; [unrolled: 1-line block ×4, first 2 shown]
	v_pk_add_f32 v[50:51], v[50:51], v[100:101] neg_lo:[0,1] neg_hi:[0,1]
	v_mov_b32_e32 v96, v99
	v_mov_b32_e32 v97, v52
	v_pk_add_f32 v[50:51], v[96:97], v[50:51] neg_lo:[0,1] neg_hi:[0,1]
	v_mov_b32_e32 v112, v102
	v_pk_add_f32 v[52:53], v[112:113], v[50:51]
	v_mov_b32_e32 v96, v53
	v_pk_add_f32 v[96:97], v[52:53], v[96:97]
	v_pk_add_f32 v[98:99], v[54:55], v[96:97]
	v_mov_b32_e32 v53, v98
	v_pk_add_f32 v[100:101], v[52:53], v[102:103] neg_lo:[0,1] neg_hi:[0,1]
	v_mov_b32_e32 v51, v96
	v_sub_f32_e32 v35, v52, v100
	v_pk_add_f32 v[50:51], v[50:51], v[100:101] neg_lo:[0,1] neg_hi:[0,1]
	v_sub_f32_e32 v35, v102, v35
	s_mov_b32 s9, 0x7f800000
	v_add_f32_e32 v35, v50, v35
	s_mov_b32 s8, 0x33800000
	v_add_f32_e32 v35, v35, v51
	v_cmp_eq_f32_e32 vcc, s9, v87
	v_cmp_lt_f32_e64 s[8:9], |v87|, s8
	v_add_f32_e32 v35, v98, v35
	s_or_b64 vcc, vcc, s[8:9]
	v_cndmask_b32_e32 v35, v35, v87, vcc
	v_add_f32_e32 v35, v49, v35
	v_cvt_f16_f32_e32 v97, v35
	v_cvt_f32_f16_e32 v96, v97
	v_mov_b32_e32 v35, v97
.LBB401_220:
	s_or_b64 exec, exec, s[6:7]
	v_max_f32_e32 v49, v55, v55
	v_max_f32_e32 v50, v96, v96
	v_min_f32_e32 v51, v50, v49
	v_cmp_u_f16_e32 vcc, v97, v97
	v_max_f32_e32 v49, v50, v49
	v_cndmask_b32_e32 v51, v51, v96, vcc
	v_cndmask_b32_e32 v49, v49, v96, vcc
	v_cndmask_b32_e64 v51, v51, v55, s[20:21]
	v_cndmask_b32_e64 v50, v49, v55, s[20:21]
	s_movk_i32 s8, 0x1f8
	v_cmp_neq_f32_e32 vcc, v51, v50
	v_cmp_class_f32_e64 s[6:7], v51, s8
	s_or_b64 s[10:11], vcc, s[6:7]
	v_mov_b32_e32 v49, v35
	s_and_saveexec_b64 s[6:7], s[10:11]
	s_cbranch_execz .LBB401_222
; %bb.221:
	v_sub_f32_e32 v49, v51, v50
	s_mov_b32 s9, 0x3fb8aa3b
	v_mul_f32_e32 v51, 0x3fb8aa3b, v49
	v_fma_f32 v52, v49, s9, -v51
	v_rndne_f32_e32 v53, v51
	v_fmac_f32_e32 v52, 0x32a5705f, v49
	v_sub_f32_e32 v51, v51, v53
	v_add_f32_e32 v51, v51, v52
	v_exp_f32_e32 v51, v51
	v_cvt_i32_f32_e32 v52, v53
	s_mov_b32 s9, 0xc2ce8ed0
	v_cmp_ngt_f32_e32 vcc, s9, v49
	s_mov_b32 s9, 0x42b17218
	v_ldexp_f32 v51, v51, v52
	v_cndmask_b32_e32 v51, 0, v51, vcc
	v_mov_b32_e32 v52, 0x7f800000
	v_cmp_nlt_f32_e32 vcc, s9, v49
	v_cndmask_b32_e32 v51, v52, v51, vcc
	v_add_f32_e32 v49, 1.0, v51
	v_add_f32_e32 v52, -1.0, v49
	v_sub_f32_e32 v53, v52, v49
	v_add_f32_e32 v53, 1.0, v53
	v_sub_f32_e32 v52, v51, v52
	v_add_f32_e32 v54, v52, v53
	v_frexp_mant_f32_e32 v55, v49
	s_mov_b32 s9, 0x3f2aaaab
	v_cvt_f64_f32_e32 v[52:53], v49
	v_frexp_exp_i32_f64_e32 v52, v[52:53]
	v_cmp_gt_f32_e32 vcc, s9, v55
	v_subbrev_co_u32_e32 v87, vcc, 0, v52, vcc
	v_sub_u32_e32 v52, 0, v87
	v_ldexp_f32 v49, v49, v52
	v_ldexp_f32 v52, v54, v52
	v_add_f32_e32 v54, -1.0, v49
	v_add_f32_e32 v53, 1.0, v54
	v_sub_f32_e32 v53, v49, v53
	v_add_f32_e32 v55, v52, v53
	v_add_f32_e32 v53, 1.0, v49
	v_add_f32_e32 v96, -1.0, v53
	v_sub_f32_e32 v49, v49, v96
	v_add_f32_e32 v49, v52, v49
	v_add_f32_e32 v100, v53, v49
	v_rcp_f32_e32 v101, v100
	v_sub_f32_e32 v52, v53, v100
	v_add_f32_e32 v53, v54, v55
	v_add_f32_e32 v49, v49, v52
	v_mul_f32_e32 v103, v53, v101
	v_sub_f32_e32 v52, v54, v53
	v_mul_f32_e32 v54, v100, v103
	v_fma_f32 v96, v103, v100, -v54
	v_fmac_f32_e32 v96, v103, v49
	v_add_f32_e32 v102, v55, v52
	v_add_f32_e32 v52, v54, v96
	v_sub_f32_e32 v55, v53, v52
	v_pk_add_f32 v[98:99], v[52:53], v[54:55] neg_lo:[0,1] neg_hi:[0,1]
	v_mov_b32_e32 v97, v52
	v_pk_add_f32 v[52:53], v[98:99], v[96:97] neg_lo:[0,1] neg_hi:[0,1]
	v_add_f32_e32 v53, v102, v53
	v_add_f32_e32 v52, v52, v53
	;; [unrolled: 1-line block ×3, first 2 shown]
	v_mul_f32_e32 v102, v101, v53
	v_mul_f32_e32 v54, v100, v102
	v_fma_f32 v96, v102, v100, -v54
	v_fmac_f32_e32 v96, v102, v49
	v_sub_f32_e32 v49, v55, v53
	v_add_f32_e32 v49, v52, v49
	v_add_f32_e32 v52, v54, v96
	v_sub_f32_e32 v55, v53, v52
	v_pk_add_f32 v[98:99], v[52:53], v[54:55] neg_lo:[0,1] neg_hi:[0,1]
	v_mov_b32_e32 v97, v52
	v_pk_add_f32 v[52:53], v[98:99], v[96:97] neg_lo:[0,1] neg_hi:[0,1]
	v_add_f32_e32 v49, v49, v53
	v_add_f32_e32 v49, v52, v49
	;; [unrolled: 1-line block ×4, first 2 shown]
	v_sub_f32_e32 v53, v52, v103
	v_mul_f32_e32 v49, v101, v49
	v_sub_f32_e32 v53, v102, v53
	v_add_f32_e32 v49, v53, v49
	v_add_f32_e32 v55, v52, v49
	v_mul_f32_e32 v96, v55, v55
	v_mov_b32_e32 v54, 0x3ecc95a3
	v_fmac_f32_e32 v54, 0x3e9b6dac, v96
	v_mov_b32_e32 v53, 0x3f2aaada
	v_fmac_f32_e32 v53, v96, v54
	v_cvt_f32_i32_e32 v54, v87
	v_sub_f32_e32 v52, v55, v52
	v_sub_f32_e32 v49, v49, v52
	v_ldexp_f32 v97, v55, 1
	v_mul_f32_e32 v55, v55, v96
	v_mov_b32_e32 v52, 0x3f317218
	s_mov_b32 s9, 0x3f317218
	v_pk_mul_f32 v[52:53], v[54:55], v[52:53]
	v_fma_f32 v96, v54, s9, -v52
	v_fmac_f32_e32 v96, 0xb102e308, v54
	v_pk_add_f32 v[54:55], v[52:53], v[96:97]
	v_sub_f32_e32 v87, v55, v97
	v_ldexp_f32 v49, v49, 1
	v_sub_f32_e32 v87, v53, v87
	v_add_f32_e32 v99, v49, v87
	v_mov_b32_e32 v98, v52
	v_pk_add_f32 v[52:53], v[54:55], v[52:53] neg_lo:[0,1] neg_hi:[0,1]
	v_pk_add_f32 v[100:101], v[54:55], v[98:99]
	v_mov_b32_e32 v53, v101
	v_mov_b32_e32 v97, v54
	v_pk_add_f32 v[102:103], v[96:97], v[52:53] neg_lo:[0,1] neg_hi:[0,1]
	v_pk_add_f32 v[52:53], v[96:97], v[52:53]
	v_mov_b32_e32 v96, v53
	v_pk_add_f32 v[112:113], v[96:97], v[54:55] neg_lo:[0,1] neg_hi:[0,1]
	v_mov_b32_e32 v49, v112
	v_pk_add_f32 v[114:115], v[100:101], v[48:49] neg_lo:[0,1] neg_hi:[0,1]
	v_mov_b32_e32 v52, v101
	v_mov_b32_e32 v100, v55
	;; [unrolled: 1-line block ×4, first 2 shown]
	v_pk_add_f32 v[52:53], v[52:53], v[100:101] neg_lo:[0,1] neg_hi:[0,1]
	v_mov_b32_e32 v98, v99
	v_mov_b32_e32 v99, v54
	v_pk_add_f32 v[52:53], v[98:99], v[52:53] neg_lo:[0,1] neg_hi:[0,1]
	v_mov_b32_e32 v114, v102
	v_pk_add_f32 v[54:55], v[114:115], v[52:53]
	v_mov_b32_e32 v98, v55
	v_pk_add_f32 v[98:99], v[54:55], v[98:99]
	v_pk_add_f32 v[96:97], v[96:97], v[98:99]
	v_mov_b32_e32 v55, v96
	v_pk_add_f32 v[100:101], v[54:55], v[102:103] neg_lo:[0,1] neg_hi:[0,1]
	v_mov_b32_e32 v53, v98
	v_sub_f32_e32 v49, v54, v100
	v_pk_add_f32 v[52:53], v[52:53], v[100:101] neg_lo:[0,1] neg_hi:[0,1]
	v_sub_f32_e32 v49, v102, v49
	s_mov_b32 s10, 0x7f800000
	v_add_f32_e32 v49, v52, v49
	s_mov_b32 s9, 0x33800000
	v_add_f32_e32 v49, v49, v53
	v_cmp_eq_f32_e32 vcc, s10, v51
	v_cmp_lt_f32_e64 s[10:11], |v51|, s9
	v_add_f32_e32 v49, v96, v49
	s_or_b64 vcc, vcc, s[10:11]
	v_cndmask_b32_e32 v49, v49, v51, vcc
	v_add_f32_e32 v49, v50, v49
	v_cvt_f16_f32_e32 v97, v49
	v_cvt_f32_f16_e32 v96, v97
	v_mov_b32_e32 v49, v97
.LBB401_222:
	s_or_b64 exec, exec, s[6:7]
	v_max_f32_e32 v50, v64, v64
	v_max_f32_e32 v51, v96, v96
	v_min_f32_e32 v52, v51, v50
	v_cmp_u_f16_e32 vcc, v97, v97
	v_max_f32_e32 v50, v51, v50
	v_cndmask_b32_e32 v52, v52, v96, vcc
	v_cndmask_b32_e32 v50, v50, v96, vcc
	v_cndmask_b32_e64 v52, v52, v64, s[22:23]
	v_cndmask_b32_e64 v51, v50, v64, s[22:23]
	v_cmp_neq_f32_e32 vcc, v52, v51
	v_cmp_class_f32_e64 s[6:7], v52, s8
	s_or_b64 s[8:9], vcc, s[6:7]
	v_mov_b32_e32 v50, v49
	s_and_saveexec_b64 s[6:7], s[8:9]
	s_cbranch_execz .LBB401_224
; %bb.223:
	v_sub_f32_e32 v50, v52, v51
	s_mov_b32 s8, 0x3fb8aa3b
	v_mul_f32_e32 v52, 0x3fb8aa3b, v50
	v_fma_f32 v53, v50, s8, -v52
	v_rndne_f32_e32 v54, v52
	v_fmac_f32_e32 v53, 0x32a5705f, v50
	v_sub_f32_e32 v52, v52, v54
	v_add_f32_e32 v52, v52, v53
	v_exp_f32_e32 v52, v52
	v_cvt_i32_f32_e32 v53, v54
	s_mov_b32 s8, 0xc2ce8ed0
	v_cmp_ngt_f32_e32 vcc, s8, v50
	s_mov_b32 s8, 0x42b17218
	v_ldexp_f32 v52, v52, v53
	v_cndmask_b32_e32 v52, 0, v52, vcc
	v_mov_b32_e32 v53, 0x7f800000
	v_cmp_nlt_f32_e32 vcc, s8, v50
	v_cndmask_b32_e32 v114, v53, v52, vcc
	v_add_f32_e32 v50, 1.0, v114
	v_add_f32_e32 v52, -1.0, v50
	v_sub_f32_e32 v53, v52, v50
	v_add_f32_e32 v53, 1.0, v53
	v_sub_f32_e32 v52, v114, v52
	v_add_f32_e32 v54, v52, v53
	v_frexp_mant_f32_e32 v55, v50
	s_mov_b32 s8, 0x3f2aaaab
	v_cvt_f64_f32_e32 v[52:53], v50
	v_frexp_exp_i32_f64_e32 v52, v[52:53]
	v_cmp_gt_f32_e32 vcc, s8, v55
	v_subbrev_co_u32_e32 v64, vcc, 0, v52, vcc
	v_sub_u32_e32 v52, 0, v64
	v_ldexp_f32 v50, v50, v52
	v_ldexp_f32 v52, v54, v52
	v_add_f32_e32 v54, -1.0, v50
	v_add_f32_e32 v53, 1.0, v54
	v_sub_f32_e32 v53, v50, v53
	v_add_f32_e32 v55, v52, v53
	v_add_f32_e32 v53, 1.0, v50
	v_add_f32_e32 v87, -1.0, v53
	v_sub_f32_e32 v50, v50, v87
	v_add_f32_e32 v50, v52, v50
	v_add_f32_e32 v87, v53, v50
	v_rcp_f32_e32 v100, v87
	v_sub_f32_e32 v52, v53, v87
	v_add_f32_e32 v53, v54, v55
	v_add_f32_e32 v50, v50, v52
	v_mul_f32_e32 v102, v53, v100
	v_sub_f32_e32 v52, v54, v53
	v_mul_f32_e32 v54, v87, v102
	v_fma_f32 v96, v102, v87, -v54
	v_fmac_f32_e32 v96, v102, v50
	v_add_f32_e32 v101, v55, v52
	v_add_f32_e32 v52, v54, v96
	v_sub_f32_e32 v55, v53, v52
	v_pk_add_f32 v[98:99], v[52:53], v[54:55] neg_lo:[0,1] neg_hi:[0,1]
	v_mov_b32_e32 v97, v52
	v_pk_add_f32 v[52:53], v[98:99], v[96:97] neg_lo:[0,1] neg_hi:[0,1]
	v_add_f32_e32 v53, v101, v53
	v_add_f32_e32 v52, v52, v53
	;; [unrolled: 1-line block ×3, first 2 shown]
	v_mul_f32_e32 v101, v100, v53
	v_mul_f32_e32 v54, v87, v101
	v_fma_f32 v96, v101, v87, -v54
	v_fmac_f32_e32 v96, v101, v50
	v_sub_f32_e32 v50, v55, v53
	v_add_f32_e32 v50, v52, v50
	v_add_f32_e32 v52, v54, v96
	v_sub_f32_e32 v55, v53, v52
	v_pk_add_f32 v[98:99], v[52:53], v[54:55] neg_lo:[0,1] neg_hi:[0,1]
	v_mov_b32_e32 v97, v52
	v_pk_add_f32 v[52:53], v[98:99], v[96:97] neg_lo:[0,1] neg_hi:[0,1]
	v_add_f32_e32 v50, v50, v53
	v_add_f32_e32 v50, v52, v50
	;; [unrolled: 1-line block ×4, first 2 shown]
	v_sub_f32_e32 v53, v52, v102
	v_mul_f32_e32 v50, v100, v50
	v_sub_f32_e32 v53, v101, v53
	v_add_f32_e32 v50, v53, v50
	v_add_f32_e32 v55, v52, v50
	v_mul_f32_e32 v87, v55, v55
	v_mov_b32_e32 v54, 0x3ecc95a3
	v_fmac_f32_e32 v54, 0x3e9b6dac, v87
	v_mov_b32_e32 v53, 0x3f2aaada
	v_fmac_f32_e32 v53, v87, v54
	v_cvt_f32_i32_e32 v54, v64
	v_sub_f32_e32 v52, v55, v52
	v_sub_f32_e32 v50, v50, v52
	v_ldexp_f32 v97, v55, 1
	v_mul_f32_e32 v55, v55, v87
	v_mov_b32_e32 v52, 0x3f317218
	s_mov_b32 s8, 0x3f317218
	v_pk_mul_f32 v[52:53], v[54:55], v[52:53]
	v_fma_f32 v96, v54, s8, -v52
	v_fmac_f32_e32 v96, 0xb102e308, v54
	v_pk_add_f32 v[54:55], v[52:53], v[96:97]
	v_sub_f32_e32 v64, v55, v97
	v_ldexp_f32 v50, v50, 1
	v_sub_f32_e32 v64, v53, v64
	v_add_f32_e32 v99, v50, v64
	v_mov_b32_e32 v98, v52
	v_pk_add_f32 v[52:53], v[54:55], v[52:53] neg_lo:[0,1] neg_hi:[0,1]
	v_pk_add_f32 v[100:101], v[54:55], v[98:99]
	v_mov_b32_e32 v53, v101
	v_mov_b32_e32 v97, v54
	v_pk_add_f32 v[102:103], v[96:97], v[52:53] neg_lo:[0,1] neg_hi:[0,1]
	v_pk_add_f32 v[52:53], v[96:97], v[52:53]
	v_mov_b32_e32 v50, v53
	v_pk_add_f32 v[96:97], v[50:51], v[54:55] neg_lo:[0,1] neg_hi:[0,1]
	v_mov_b32_e32 v87, v96
	v_pk_add_f32 v[112:113], v[100:101], v[86:87] neg_lo:[0,1] neg_hi:[0,1]
	v_mov_b32_e32 v52, v101
	v_mov_b32_e32 v100, v55
	;; [unrolled: 1-line block ×4, first 2 shown]
	v_pk_add_f32 v[52:53], v[52:53], v[100:101] neg_lo:[0,1] neg_hi:[0,1]
	v_mov_b32_e32 v96, v99
	v_mov_b32_e32 v97, v54
	v_pk_add_f32 v[52:53], v[96:97], v[52:53] neg_lo:[0,1] neg_hi:[0,1]
	v_mov_b32_e32 v112, v102
	v_pk_add_f32 v[54:55], v[112:113], v[52:53]
	v_mov_b32_e32 v64, v55
	v_pk_add_f32 v[96:97], v[54:55], v[64:65]
	v_pk_add_f32 v[98:99], v[50:51], v[96:97]
	v_mov_b32_e32 v55, v98
	v_pk_add_f32 v[100:101], v[54:55], v[102:103] neg_lo:[0,1] neg_hi:[0,1]
	v_mov_b32_e32 v53, v96
	v_sub_f32_e32 v50, v54, v100
	v_pk_add_f32 v[52:53], v[52:53], v[100:101] neg_lo:[0,1] neg_hi:[0,1]
	v_sub_f32_e32 v50, v102, v50
	s_mov_b32 s9, 0x7f800000
	v_add_f32_e32 v50, v52, v50
	s_mov_b32 s8, 0x33800000
	v_add_f32_e32 v50, v50, v53
	v_cmp_eq_f32_e32 vcc, s9, v114
	v_cmp_lt_f32_e64 s[8:9], |v114|, s8
	v_add_f32_e32 v50, v98, v50
	s_or_b64 vcc, vcc, s[8:9]
	v_cndmask_b32_e32 v50, v50, v114, vcc
	v_add_f32_e32 v50, v51, v50
	v_cvt_f16_f32_e32 v97, v50
	v_cvt_f32_f16_e32 v96, v97
	v_mov_b32_e32 v50, v97
.LBB401_224:
	s_or_b64 exec, exec, s[6:7]
	v_max_f32_e32 v51, v65, v65
	v_max_f32_e32 v53, v96, v96
	v_min_f32_e32 v52, v53, v51
	v_cmp_u_f16_e32 vcc, v97, v97
	v_max_f32_e32 v51, v53, v51
	v_cndmask_b32_e32 v52, v52, v96, vcc
	v_cndmask_b32_e32 v51, v51, v96, vcc
	v_cndmask_b32_e64 v52, v52, v65, s[24:25]
	v_cndmask_b32_e64 v51, v51, v65, s[24:25]
	s_movk_i32 s8, 0x1f8
	v_cmp_neq_f32_e32 vcc, v52, v51
	v_cmp_class_f32_e64 s[6:7], v52, s8
	s_or_b64 s[10:11], vcc, s[6:7]
	v_mov_b32_e32 v87, v50
	s_and_saveexec_b64 s[6:7], s[10:11]
	s_cbranch_execz .LBB401_226
; %bb.225:
	v_sub_f32_e32 v52, v52, v51
	s_mov_b32 s9, 0x3fb8aa3b
	v_mul_f32_e32 v53, 0x3fb8aa3b, v52
	v_fma_f32 v54, v52, s9, -v53
	v_rndne_f32_e32 v55, v53
	v_fmac_f32_e32 v54, 0x32a5705f, v52
	v_sub_f32_e32 v53, v53, v55
	v_add_f32_e32 v53, v53, v54
	v_exp_f32_e32 v53, v53
	v_cvt_i32_f32_e32 v54, v55
	s_mov_b32 s9, 0xc2ce8ed0
	v_cmp_ngt_f32_e32 vcc, s9, v52
	s_mov_b32 s9, 0x42b17218
	v_ldexp_f32 v53, v53, v54
	v_cndmask_b32_e32 v53, 0, v53, vcc
	v_mov_b32_e32 v54, 0x7f800000
	v_cmp_nlt_f32_e32 vcc, s9, v52
	v_cndmask_b32_e32 v87, v54, v53, vcc
	v_add_f32_e32 v54, 1.0, v87
	v_add_f32_e32 v52, -1.0, v54
	v_sub_f32_e32 v53, v52, v54
	v_add_f32_e32 v53, 1.0, v53
	v_sub_f32_e32 v52, v87, v52
	v_add_f32_e32 v55, v52, v53
	v_frexp_mant_f32_e32 v64, v54
	s_mov_b32 s9, 0x3f2aaaab
	v_cvt_f64_f32_e32 v[52:53], v54
	v_frexp_exp_i32_f64_e32 v52, v[52:53]
	v_cmp_gt_f32_e32 vcc, s9, v64
	v_subbrev_co_u32_e32 v98, vcc, 0, v52, vcc
	v_sub_u32_e32 v52, 0, v98
	v_ldexp_f32 v53, v54, v52
	v_add_f32_e32 v54, -1.0, v53
	v_add_f32_e32 v64, 1.0, v53
	v_ldexp_f32 v52, v55, v52
	v_add_f32_e32 v55, 1.0, v54
	v_add_f32_e32 v65, -1.0, v64
	v_sub_f32_e32 v55, v53, v55
	v_sub_f32_e32 v53, v53, v65
	v_add_f32_e32 v55, v52, v55
	v_add_f32_e32 v52, v52, v53
	;; [unrolled: 1-line block ×3, first 2 shown]
	v_rcp_f32_e32 v101, v99
	v_sub_f32_e32 v53, v64, v99
	v_add_f32_e32 v100, v52, v53
	v_add_f32_e32 v53, v54, v55
	v_mul_f32_e32 v103, v53, v101
	v_sub_f32_e32 v52, v54, v53
	v_mul_f32_e32 v54, v99, v103
	v_fma_f32 v64, v103, v99, -v54
	v_fmac_f32_e32 v64, v103, v100
	v_add_f32_e32 v102, v55, v52
	v_add_f32_e32 v52, v54, v64
	v_sub_f32_e32 v55, v53, v52
	v_pk_add_f32 v[96:97], v[52:53], v[54:55] neg_lo:[0,1] neg_hi:[0,1]
	v_mov_b32_e32 v65, v52
	v_pk_add_f32 v[52:53], v[96:97], v[64:65] neg_lo:[0,1] neg_hi:[0,1]
	v_add_f32_e32 v53, v102, v53
	v_add_f32_e32 v52, v52, v53
	;; [unrolled: 1-line block ×3, first 2 shown]
	v_mul_f32_e32 v102, v101, v53
	v_mul_f32_e32 v54, v99, v102
	v_fma_f32 v64, v102, v99, -v54
	v_fmac_f32_e32 v64, v102, v100
	v_sub_f32_e32 v55, v55, v53
	v_add_f32_e32 v99, v52, v55
	v_add_f32_e32 v52, v54, v64
	v_sub_f32_e32 v55, v53, v52
	v_pk_add_f32 v[96:97], v[52:53], v[54:55] neg_lo:[0,1] neg_hi:[0,1]
	v_mov_b32_e32 v65, v52
	v_pk_add_f32 v[52:53], v[96:97], v[64:65] neg_lo:[0,1] neg_hi:[0,1]
	v_add_f32_e32 v53, v99, v53
	v_add_f32_e32 v52, v52, v53
	v_add_f32_e32 v52, v55, v52
	v_add_f32_e32 v55, v103, v102
	v_sub_f32_e32 v53, v55, v103
	v_mul_f32_e32 v52, v101, v52
	v_sub_f32_e32 v53, v102, v53
	v_add_f32_e32 v52, v53, v52
	v_add_f32_e32 v64, v55, v52
	v_mul_f32_e32 v96, v64, v64
	v_mov_b32_e32 v54, 0x3ecc95a3
	v_fmac_f32_e32 v54, 0x3e9b6dac, v96
	v_mov_b32_e32 v53, 0x3f2aaada
	v_fmac_f32_e32 v53, v96, v54
	v_cvt_f32_i32_e32 v54, v98
	v_sub_f32_e32 v55, v64, v55
	v_sub_f32_e32 v52, v52, v55
	v_ldexp_f32 v97, v52, 1
	v_mul_f32_e32 v55, v64, v96
	v_mov_b32_e32 v52, 0x3f317218
	s_mov_b32 s9, 0x3f317218
	v_pk_mul_f32 v[52:53], v[54:55], v[52:53]
	v_ldexp_f32 v65, v64, 1
	v_fma_f32 v64, v54, s9, -v52
	v_fmac_f32_e32 v64, 0xb102e308, v54
	v_pk_add_f32 v[54:55], v[52:53], v[64:65]
	v_sub_f32_e32 v65, v55, v65
	v_sub_f32_e32 v65, v53, v65
	v_add_f32_e32 v97, v97, v65
	v_mov_b32_e32 v96, v52
	v_pk_add_f32 v[52:53], v[54:55], v[52:53] neg_lo:[0,1] neg_hi:[0,1]
	v_pk_add_f32 v[98:99], v[54:55], v[96:97]
	v_mov_b32_e32 v53, v99
	v_mov_b32_e32 v65, v54
	v_pk_add_f32 v[100:101], v[64:65], v[52:53] neg_lo:[0,1] neg_hi:[0,1]
	v_pk_add_f32 v[52:53], v[64:65], v[52:53]
	v_mov_b32_e32 v64, v53
	v_pk_add_f32 v[102:103], v[64:65], v[54:55] neg_lo:[0,1] neg_hi:[0,1]
	v_mov_b32_e32 v65, v102
	v_pk_add_f32 v[112:113], v[98:99], v[64:65] neg_lo:[0,1] neg_hi:[0,1]
	v_mov_b32_e32 v52, v99
	v_mov_b32_e32 v98, v55
	;; [unrolled: 1-line block ×4, first 2 shown]
	v_pk_add_f32 v[52:53], v[52:53], v[98:99] neg_lo:[0,1] neg_hi:[0,1]
	v_mov_b32_e32 v96, v97
	v_mov_b32_e32 v97, v54
	v_pk_add_f32 v[52:53], v[96:97], v[52:53] neg_lo:[0,1] neg_hi:[0,1]
	v_mov_b32_e32 v112, v100
	v_pk_add_f32 v[54:55], v[112:113], v[52:53]
	v_mov_b32_e32 v96, v55
	v_pk_add_f32 v[96:97], v[54:55], v[96:97]
	v_pk_add_f32 v[64:65], v[64:65], v[96:97]
	v_mov_b32_e32 v55, v64
	v_pk_add_f32 v[98:99], v[54:55], v[100:101] neg_lo:[0,1] neg_hi:[0,1]
	v_mov_b32_e32 v53, v96
	v_sub_f32_e32 v54, v54, v98
	v_pk_add_f32 v[52:53], v[52:53], v[98:99] neg_lo:[0,1] neg_hi:[0,1]
	v_sub_f32_e32 v54, v100, v54
	s_mov_b32 s10, 0x7f800000
	v_add_f32_e32 v52, v52, v54
	s_mov_b32 s9, 0x33800000
	v_add_f32_e32 v52, v52, v53
	v_cmp_eq_f32_e32 vcc, s10, v87
	v_cmp_lt_f32_e64 s[10:11], |v87|, s9
	v_add_f32_e32 v52, v64, v52
	s_or_b64 vcc, vcc, s[10:11]
	v_cndmask_b32_e32 v52, v52, v87, vcc
	v_add_f32_e32 v51, v51, v52
	v_cvt_f16_f32_e32 v97, v51
	v_cvt_f32_f16_e32 v96, v97
	v_mov_b32_e32 v87, v97
.LBB401_226:
	s_or_b64 exec, exec, s[6:7]
	v_max_f32_e32 v51, v66, v66
	v_max_f32_e32 v52, v96, v96
	v_min_f32_e32 v53, v52, v51
	v_cmp_u_f16_e32 vcc, v97, v97
	v_max_f32_e32 v51, v52, v51
	v_cndmask_b32_e32 v53, v53, v96, vcc
	v_cndmask_b32_e32 v51, v51, v96, vcc
	v_cndmask_b32_e64 v53, v53, v66, s[26:27]
	v_cndmask_b32_e64 v52, v51, v66, s[26:27]
	v_cmp_neq_f32_e32 vcc, v53, v52
	v_cmp_class_f32_e64 s[6:7], v53, s8
	s_or_b64 s[8:9], vcc, s[6:7]
	v_mov_b32_e32 v51, v87
	s_and_saveexec_b64 s[6:7], s[8:9]
	s_cbranch_execz .LBB401_228
; %bb.227:
	v_sub_f32_e32 v51, v53, v52
	s_mov_b32 s8, 0x3fb8aa3b
	v_mul_f32_e32 v53, 0x3fb8aa3b, v51
	v_fma_f32 v54, v51, s8, -v53
	v_rndne_f32_e32 v55, v53
	v_fmac_f32_e32 v54, 0x32a5705f, v51
	v_sub_f32_e32 v53, v53, v55
	v_add_f32_e32 v53, v53, v54
	v_exp_f32_e32 v53, v53
	v_cvt_i32_f32_e32 v54, v55
	s_mov_b32 s8, 0xc2ce8ed0
	v_cmp_ngt_f32_e32 vcc, s8, v51
	s_mov_b32 s8, 0x42b17218
	v_ldexp_f32 v53, v53, v54
	v_cndmask_b32_e32 v53, 0, v53, vcc
	v_mov_b32_e32 v54, 0x7f800000
	v_cmp_nlt_f32_e32 vcc, s8, v51
	v_cndmask_b32_e32 v53, v54, v53, vcc
	v_add_f32_e32 v51, 1.0, v53
	v_add_f32_e32 v54, -1.0, v51
	v_sub_f32_e32 v55, v54, v51
	v_add_f32_e32 v55, 1.0, v55
	v_sub_f32_e32 v54, v53, v54
	v_add_f32_e32 v64, v54, v55
	v_frexp_mant_f32_e32 v65, v51
	s_mov_b32 s8, 0x3f2aaaab
	v_cvt_f64_f32_e32 v[54:55], v51
	v_frexp_exp_i32_f64_e32 v54, v[54:55]
	v_cmp_gt_f32_e32 vcc, s8, v65
	v_subbrev_co_u32_e32 v66, vcc, 0, v54, vcc
	v_sub_u32_e32 v54, 0, v66
	v_ldexp_f32 v51, v51, v54
	v_ldexp_f32 v54, v64, v54
	v_add_f32_e32 v64, -1.0, v51
	v_add_f32_e32 v55, 1.0, v64
	v_sub_f32_e32 v55, v51, v55
	v_add_f32_e32 v65, v54, v55
	v_add_f32_e32 v55, 1.0, v51
	v_add_f32_e32 v96, -1.0, v55
	v_sub_f32_e32 v51, v51, v96
	v_add_f32_e32 v51, v54, v51
	v_add_f32_e32 v100, v55, v51
	v_rcp_f32_e32 v101, v100
	v_sub_f32_e32 v54, v55, v100
	v_add_f32_e32 v55, v64, v65
	v_add_f32_e32 v51, v51, v54
	v_mul_f32_e32 v103, v55, v101
	v_sub_f32_e32 v54, v64, v55
	v_mul_f32_e32 v64, v100, v103
	v_fma_f32 v96, v103, v100, -v64
	v_fmac_f32_e32 v96, v103, v51
	v_add_f32_e32 v102, v65, v54
	v_add_f32_e32 v54, v64, v96
	v_sub_f32_e32 v65, v55, v54
	v_pk_add_f32 v[98:99], v[54:55], v[64:65] neg_lo:[0,1] neg_hi:[0,1]
	v_mov_b32_e32 v97, v54
	v_pk_add_f32 v[54:55], v[98:99], v[96:97] neg_lo:[0,1] neg_hi:[0,1]
	v_add_f32_e32 v55, v102, v55
	v_add_f32_e32 v54, v54, v55
	;; [unrolled: 1-line block ×3, first 2 shown]
	v_mul_f32_e32 v102, v101, v55
	v_mul_f32_e32 v64, v100, v102
	v_fma_f32 v96, v102, v100, -v64
	v_fmac_f32_e32 v96, v102, v51
	v_sub_f32_e32 v51, v65, v55
	v_add_f32_e32 v51, v54, v51
	v_add_f32_e32 v54, v64, v96
	v_sub_f32_e32 v65, v55, v54
	v_pk_add_f32 v[98:99], v[54:55], v[64:65] neg_lo:[0,1] neg_hi:[0,1]
	v_mov_b32_e32 v97, v54
	v_pk_add_f32 v[54:55], v[98:99], v[96:97] neg_lo:[0,1] neg_hi:[0,1]
	v_add_f32_e32 v51, v51, v55
	v_add_f32_e32 v51, v54, v51
	v_add_f32_e32 v54, v103, v102
	v_add_f32_e32 v51, v65, v51
	v_sub_f32_e32 v55, v54, v103
	v_mul_f32_e32 v51, v101, v51
	v_sub_f32_e32 v55, v102, v55
	v_add_f32_e32 v51, v55, v51
	v_add_f32_e32 v65, v54, v51
	v_mul_f32_e32 v96, v65, v65
	v_mov_b32_e32 v64, 0x3ecc95a3
	v_fmac_f32_e32 v64, 0x3e9b6dac, v96
	v_mov_b32_e32 v55, 0x3f2aaada
	v_fmac_f32_e32 v55, v96, v64
	v_cvt_f32_i32_e32 v64, v66
	v_sub_f32_e32 v54, v65, v54
	v_sub_f32_e32 v51, v51, v54
	v_ldexp_f32 v97, v65, 1
	v_mul_f32_e32 v65, v65, v96
	v_mov_b32_e32 v54, 0x3f317218
	s_mov_b32 s8, 0x3f317218
	v_pk_mul_f32 v[54:55], v[64:65], v[54:55]
	v_fma_f32 v96, v64, s8, -v54
	v_fmac_f32_e32 v96, 0xb102e308, v64
	v_pk_add_f32 v[64:65], v[54:55], v[96:97]
	v_sub_f32_e32 v66, v65, v97
	v_ldexp_f32 v51, v51, 1
	v_sub_f32_e32 v66, v55, v66
	v_add_f32_e32 v99, v51, v66
	v_mov_b32_e32 v98, v54
	v_pk_add_f32 v[54:55], v[64:65], v[54:55] neg_lo:[0,1] neg_hi:[0,1]
	v_pk_add_f32 v[100:101], v[64:65], v[98:99]
	v_mov_b32_e32 v55, v101
	v_mov_b32_e32 v97, v64
	v_pk_add_f32 v[102:103], v[96:97], v[54:55] neg_lo:[0,1] neg_hi:[0,1]
	v_pk_add_f32 v[54:55], v[96:97], v[54:55]
	v_mov_b32_e32 v66, v55
	v_pk_add_f32 v[96:97], v[66:67], v[64:65] neg_lo:[0,1] neg_hi:[0,1]
	v_mov_b32_e32 v51, v96
	v_pk_add_f32 v[112:113], v[100:101], v[50:51] neg_lo:[0,1] neg_hi:[0,1]
	v_mov_b32_e32 v54, v101
	v_mov_b32_e32 v100, v65
	;; [unrolled: 1-line block ×4, first 2 shown]
	v_pk_add_f32 v[54:55], v[54:55], v[100:101] neg_lo:[0,1] neg_hi:[0,1]
	v_mov_b32_e32 v96, v99
	v_mov_b32_e32 v97, v64
	v_pk_add_f32 v[54:55], v[96:97], v[54:55] neg_lo:[0,1] neg_hi:[0,1]
	v_mov_b32_e32 v112, v102
	v_pk_add_f32 v[64:65], v[112:113], v[54:55]
	v_mov_b32_e32 v96, v65
	v_pk_add_f32 v[96:97], v[64:65], v[96:97]
	v_pk_add_f32 v[98:99], v[66:67], v[96:97]
	v_mov_b32_e32 v65, v98
	v_pk_add_f32 v[100:101], v[64:65], v[102:103] neg_lo:[0,1] neg_hi:[0,1]
	v_mov_b32_e32 v55, v96
	v_sub_f32_e32 v51, v64, v100
	v_pk_add_f32 v[54:55], v[54:55], v[100:101] neg_lo:[0,1] neg_hi:[0,1]
	v_sub_f32_e32 v51, v102, v51
	s_mov_b32 s9, 0x7f800000
	v_add_f32_e32 v51, v54, v51
	s_mov_b32 s8, 0x33800000
	v_add_f32_e32 v51, v51, v55
	v_cmp_eq_f32_e32 vcc, s9, v53
	v_cmp_lt_f32_e64 s[8:9], |v53|, s8
	v_add_f32_e32 v51, v98, v51
	s_or_b64 vcc, vcc, s[8:9]
	v_cndmask_b32_e32 v51, v51, v53, vcc
	v_add_f32_e32 v51, v52, v51
	v_cvt_f16_f32_e32 v97, v51
	v_cvt_f32_f16_e32 v96, v97
	v_mov_b32_e32 v51, v97
.LBB401_228:
	s_or_b64 exec, exec, s[6:7]
	v_max_f32_e32 v52, v67, v67
	v_max_f32_e32 v54, v96, v96
	v_min_f32_e32 v53, v54, v52
	v_cmp_u_f16_e32 vcc, v97, v97
	v_max_f32_e32 v52, v54, v52
	v_cndmask_b32_e32 v53, v53, v96, vcc
	v_cndmask_b32_e32 v52, v52, v96, vcc
	v_cndmask_b32_e64 v53, v53, v67, s[28:29]
	v_cndmask_b32_e64 v52, v52, v67, s[28:29]
	s_movk_i32 s8, 0x1f8
	v_cmp_neq_f32_e32 vcc, v53, v52
	v_cmp_class_f32_e64 s[6:7], v53, s8
	s_or_b64 s[10:11], vcc, s[6:7]
	v_mov_b32_e32 v66, v51
	s_and_saveexec_b64 s[6:7], s[10:11]
	s_cbranch_execz .LBB401_230
; %bb.229:
	v_sub_f32_e32 v53, v53, v52
	s_mov_b32 s9, 0x3fb8aa3b
	v_mul_f32_e32 v54, 0x3fb8aa3b, v53
	v_fma_f32 v55, v53, s9, -v54
	v_rndne_f32_e32 v64, v54
	v_fmac_f32_e32 v55, 0x32a5705f, v53
	v_sub_f32_e32 v54, v54, v64
	v_add_f32_e32 v54, v54, v55
	v_exp_f32_e32 v54, v54
	v_cvt_i32_f32_e32 v55, v64
	s_mov_b32 s9, 0xc2ce8ed0
	v_cmp_ngt_f32_e32 vcc, s9, v53
	s_mov_b32 s9, 0x42b17218
	v_ldexp_f32 v54, v54, v55
	v_cndmask_b32_e32 v54, 0, v54, vcc
	v_mov_b32_e32 v55, 0x7f800000
	v_cmp_nlt_f32_e32 vcc, s9, v53
	v_cndmask_b32_e32 v114, v55, v54, vcc
	v_add_f32_e32 v53, 1.0, v114
	v_add_f32_e32 v54, -1.0, v53
	v_sub_f32_e32 v55, v54, v53
	v_add_f32_e32 v55, 1.0, v55
	v_sub_f32_e32 v54, v114, v54
	v_add_f32_e32 v64, v54, v55
	v_frexp_mant_f32_e32 v65, v53
	s_mov_b32 s9, 0x3f2aaaab
	v_cvt_f64_f32_e32 v[54:55], v53
	v_frexp_exp_i32_f64_e32 v54, v[54:55]
	v_cmp_gt_f32_e32 vcc, s9, v65
	v_subbrev_co_u32_e32 v98, vcc, 0, v54, vcc
	v_sub_u32_e32 v54, 0, v98
	v_ldexp_f32 v53, v53, v54
	v_ldexp_f32 v54, v64, v54
	v_add_f32_e32 v64, -1.0, v53
	v_add_f32_e32 v55, 1.0, v64
	v_sub_f32_e32 v55, v53, v55
	v_add_f32_e32 v65, v54, v55
	v_add_f32_e32 v55, 1.0, v53
	v_add_f32_e32 v66, -1.0, v55
	v_sub_f32_e32 v53, v53, v66
	v_add_f32_e32 v53, v54, v53
	v_add_f32_e32 v99, v55, v53
	v_rcp_f32_e32 v100, v99
	v_sub_f32_e32 v54, v55, v99
	v_add_f32_e32 v55, v64, v65
	v_add_f32_e32 v53, v53, v54
	v_mul_f32_e32 v102, v55, v100
	v_sub_f32_e32 v54, v64, v55
	v_mul_f32_e32 v64, v99, v102
	v_fma_f32 v66, v102, v99, -v64
	v_fmac_f32_e32 v66, v102, v53
	v_add_f32_e32 v101, v65, v54
	v_add_f32_e32 v54, v64, v66
	v_sub_f32_e32 v65, v55, v54
	v_pk_add_f32 v[96:97], v[54:55], v[64:65] neg_lo:[0,1] neg_hi:[0,1]
	v_mov_b32_e32 v67, v54
	v_pk_add_f32 v[54:55], v[96:97], v[66:67] neg_lo:[0,1] neg_hi:[0,1]
	v_add_f32_e32 v55, v101, v55
	v_add_f32_e32 v54, v54, v55
	v_add_f32_e32 v55, v65, v54
	v_mul_f32_e32 v101, v100, v55
	v_mul_f32_e32 v64, v99, v101
	v_fma_f32 v66, v101, v99, -v64
	v_fmac_f32_e32 v66, v101, v53
	v_sub_f32_e32 v53, v65, v55
	v_add_f32_e32 v53, v54, v53
	v_add_f32_e32 v54, v64, v66
	v_sub_f32_e32 v65, v55, v54
	v_pk_add_f32 v[96:97], v[54:55], v[64:65] neg_lo:[0,1] neg_hi:[0,1]
	v_mov_b32_e32 v67, v54
	v_pk_add_f32 v[54:55], v[96:97], v[66:67] neg_lo:[0,1] neg_hi:[0,1]
	v_add_f32_e32 v53, v53, v55
	v_add_f32_e32 v53, v54, v53
	;; [unrolled: 1-line block ×4, first 2 shown]
	v_sub_f32_e32 v55, v54, v102
	v_mul_f32_e32 v53, v100, v53
	v_sub_f32_e32 v55, v101, v55
	v_add_f32_e32 v53, v55, v53
	v_add_f32_e32 v65, v54, v53
	v_mul_f32_e32 v66, v65, v65
	v_mov_b32_e32 v64, 0x3ecc95a3
	v_fmac_f32_e32 v64, 0x3e9b6dac, v66
	v_mov_b32_e32 v55, 0x3f2aaada
	v_fmac_f32_e32 v55, v66, v64
	v_cvt_f32_i32_e32 v64, v98
	v_sub_f32_e32 v54, v65, v54
	v_sub_f32_e32 v53, v53, v54
	v_ldexp_f32 v67, v65, 1
	v_mul_f32_e32 v65, v65, v66
	v_mov_b32_e32 v54, 0x3f317218
	s_mov_b32 s9, 0x3f317218
	v_pk_mul_f32 v[54:55], v[64:65], v[54:55]
	v_fma_f32 v66, v64, s9, -v54
	v_fmac_f32_e32 v66, 0xb102e308, v64
	v_pk_add_f32 v[64:65], v[54:55], v[66:67]
	v_sub_f32_e32 v67, v65, v67
	v_ldexp_f32 v53, v53, 1
	v_sub_f32_e32 v67, v55, v67
	v_add_f32_e32 v97, v53, v67
	v_mov_b32_e32 v96, v54
	v_pk_add_f32 v[54:55], v[64:65], v[54:55] neg_lo:[0,1] neg_hi:[0,1]
	v_pk_add_f32 v[98:99], v[64:65], v[96:97]
	v_mov_b32_e32 v55, v99
	v_mov_b32_e32 v67, v64
	v_pk_add_f32 v[100:101], v[66:67], v[54:55] neg_lo:[0,1] neg_hi:[0,1]
	v_pk_add_f32 v[54:55], v[66:67], v[54:55]
	v_mov_b32_e32 v66, v55
	v_pk_add_f32 v[102:103], v[66:67], v[64:65] neg_lo:[0,1] neg_hi:[0,1]
	v_mov_b32_e32 v53, v102
	v_pk_add_f32 v[112:113], v[98:99], v[52:53] neg_lo:[0,1] neg_hi:[0,1]
	v_mov_b32_e32 v54, v99
	v_mov_b32_e32 v98, v65
	v_mov_b32_e32 v99, v102
	v_mov_b32_e32 v101, v55
	v_pk_add_f32 v[54:55], v[54:55], v[98:99] neg_lo:[0,1] neg_hi:[0,1]
	v_mov_b32_e32 v96, v97
	v_mov_b32_e32 v97, v64
	v_pk_add_f32 v[54:55], v[96:97], v[54:55] neg_lo:[0,1] neg_hi:[0,1]
	v_mov_b32_e32 v112, v100
	v_pk_add_f32 v[64:65], v[112:113], v[54:55]
	v_mov_b32_e32 v96, v65
	v_pk_add_f32 v[96:97], v[64:65], v[96:97]
	v_pk_add_f32 v[66:67], v[66:67], v[96:97]
	v_mov_b32_e32 v65, v66
	v_pk_add_f32 v[98:99], v[64:65], v[100:101] neg_lo:[0,1] neg_hi:[0,1]
	v_mov_b32_e32 v55, v96
	v_sub_f32_e32 v53, v64, v98
	v_pk_add_f32 v[54:55], v[54:55], v[98:99] neg_lo:[0,1] neg_hi:[0,1]
	v_sub_f32_e32 v53, v100, v53
	s_mov_b32 s10, 0x7f800000
	v_add_f32_e32 v53, v54, v53
	s_mov_b32 s9, 0x33800000
	v_add_f32_e32 v53, v53, v55
	v_cmp_eq_f32_e32 vcc, s10, v114
	v_cmp_lt_f32_e64 s[10:11], |v114|, s9
	v_add_f32_e32 v53, v66, v53
	s_or_b64 vcc, vcc, s[10:11]
	v_cndmask_b32_e32 v53, v53, v114, vcc
	v_add_f32_e32 v52, v52, v53
	v_cvt_f16_f32_e32 v97, v52
	v_cvt_f32_f16_e32 v96, v97
	v_mov_b32_e32 v66, v97
.LBB401_230:
	s_or_b64 exec, exec, s[6:7]
	v_max_f32_e32 v52, v68, v68
	v_max_f32_e32 v53, v96, v96
	v_min_f32_e32 v54, v53, v52
	v_cmp_u_f16_e32 vcc, v97, v97
	v_max_f32_e32 v52, v53, v52
	v_cndmask_b32_e32 v54, v54, v96, vcc
	v_cndmask_b32_e32 v52, v52, v96, vcc
	v_cndmask_b32_e64 v54, v54, v68, s[30:31]
	v_cndmask_b32_e64 v53, v52, v68, s[30:31]
	v_cmp_neq_f32_e32 vcc, v54, v53
	v_cmp_class_f32_e64 s[6:7], v54, s8
	s_or_b64 s[8:9], vcc, s[6:7]
	v_mov_b32_e32 v52, v66
	s_and_saveexec_b64 s[6:7], s[8:9]
	s_cbranch_execz .LBB401_232
; %bb.231:
	v_sub_f32_e32 v52, v54, v53
	s_mov_b32 s8, 0x3fb8aa3b
	v_mul_f32_e32 v54, 0x3fb8aa3b, v52
	v_fma_f32 v55, v52, s8, -v54
	v_rndne_f32_e32 v64, v54
	v_fmac_f32_e32 v55, 0x32a5705f, v52
	v_sub_f32_e32 v54, v54, v64
	v_add_f32_e32 v54, v54, v55
	v_exp_f32_e32 v54, v54
	v_cvt_i32_f32_e32 v55, v64
	s_mov_b32 s8, 0xc2ce8ed0
	v_cmp_ngt_f32_e32 vcc, s8, v52
	s_mov_b32 s8, 0x42b17218
	v_ldexp_f32 v54, v54, v55
	v_cndmask_b32_e32 v54, 0, v54, vcc
	v_mov_b32_e32 v55, 0x7f800000
	v_cmp_nlt_f32_e32 vcc, s8, v52
	v_cndmask_b32_e32 v114, v55, v54, vcc
	v_add_f32_e32 v52, 1.0, v114
	v_add_f32_e32 v54, -1.0, v52
	v_sub_f32_e32 v55, v54, v52
	v_add_f32_e32 v55, 1.0, v55
	v_sub_f32_e32 v54, v114, v54
	v_add_f32_e32 v64, v54, v55
	v_frexp_mant_f32_e32 v65, v52
	s_mov_b32 s8, 0x3f2aaaab
	v_cvt_f64_f32_e32 v[54:55], v52
	v_frexp_exp_i32_f64_e32 v54, v[54:55]
	v_cmp_gt_f32_e32 vcc, s8, v65
	v_subbrev_co_u32_e32 v67, vcc, 0, v54, vcc
	v_sub_u32_e32 v54, 0, v67
	v_ldexp_f32 v52, v52, v54
	v_ldexp_f32 v54, v64, v54
	v_add_f32_e32 v64, -1.0, v52
	v_add_f32_e32 v55, 1.0, v64
	v_sub_f32_e32 v55, v52, v55
	v_add_f32_e32 v65, v54, v55
	v_add_f32_e32 v55, 1.0, v52
	v_add_f32_e32 v68, -1.0, v55
	v_sub_f32_e32 v52, v52, v68
	v_add_f32_e32 v52, v54, v52
	v_add_f32_e32 v68, v55, v52
	v_rcp_f32_e32 v100, v68
	v_sub_f32_e32 v54, v55, v68
	v_add_f32_e32 v55, v64, v65
	v_add_f32_e32 v52, v52, v54
	v_mul_f32_e32 v102, v55, v100
	v_sub_f32_e32 v54, v64, v55
	v_mul_f32_e32 v64, v68, v102
	v_fma_f32 v96, v102, v68, -v64
	v_fmac_f32_e32 v96, v102, v52
	v_add_f32_e32 v101, v65, v54
	v_add_f32_e32 v54, v64, v96
	v_sub_f32_e32 v65, v55, v54
	v_pk_add_f32 v[98:99], v[54:55], v[64:65] neg_lo:[0,1] neg_hi:[0,1]
	v_mov_b32_e32 v97, v54
	v_pk_add_f32 v[54:55], v[98:99], v[96:97] neg_lo:[0,1] neg_hi:[0,1]
	v_add_f32_e32 v55, v101, v55
	v_add_f32_e32 v54, v54, v55
	v_add_f32_e32 v55, v65, v54
	v_mul_f32_e32 v101, v100, v55
	v_mul_f32_e32 v64, v68, v101
	v_fma_f32 v96, v101, v68, -v64
	v_fmac_f32_e32 v96, v101, v52
	v_sub_f32_e32 v52, v65, v55
	v_add_f32_e32 v52, v54, v52
	v_add_f32_e32 v54, v64, v96
	v_sub_f32_e32 v65, v55, v54
	v_pk_add_f32 v[98:99], v[54:55], v[64:65] neg_lo:[0,1] neg_hi:[0,1]
	v_mov_b32_e32 v97, v54
	v_pk_add_f32 v[54:55], v[98:99], v[96:97] neg_lo:[0,1] neg_hi:[0,1]
	v_add_f32_e32 v52, v52, v55
	v_add_f32_e32 v52, v54, v52
	v_add_f32_e32 v54, v102, v101
	v_add_f32_e32 v52, v65, v52
	v_sub_f32_e32 v55, v54, v102
	v_mul_f32_e32 v52, v100, v52
	v_sub_f32_e32 v55, v101, v55
	v_add_f32_e32 v52, v55, v52
	v_add_f32_e32 v65, v54, v52
	v_mul_f32_e32 v68, v65, v65
	v_mov_b32_e32 v64, 0x3ecc95a3
	v_fmac_f32_e32 v64, 0x3e9b6dac, v68
	v_mov_b32_e32 v55, 0x3f2aaada
	v_fmac_f32_e32 v55, v68, v64
	v_cvt_f32_i32_e32 v64, v67
	v_sub_f32_e32 v54, v65, v54
	v_sub_f32_e32 v52, v52, v54
	v_ldexp_f32 v97, v65, 1
	v_mul_f32_e32 v65, v65, v68
	v_mov_b32_e32 v54, 0x3f317218
	s_mov_b32 s8, 0x3f317218
	v_pk_mul_f32 v[54:55], v[64:65], v[54:55]
	v_fma_f32 v96, v64, s8, -v54
	v_fmac_f32_e32 v96, 0xb102e308, v64
	v_pk_add_f32 v[64:65], v[54:55], v[96:97]
	v_sub_f32_e32 v67, v65, v97
	v_ldexp_f32 v52, v52, 1
	v_sub_f32_e32 v67, v55, v67
	v_add_f32_e32 v99, v52, v67
	v_mov_b32_e32 v98, v54
	v_pk_add_f32 v[54:55], v[64:65], v[54:55] neg_lo:[0,1] neg_hi:[0,1]
	v_pk_add_f32 v[100:101], v[64:65], v[98:99]
	v_mov_b32_e32 v55, v101
	v_mov_b32_e32 v97, v64
	v_pk_add_f32 v[102:103], v[96:97], v[54:55] neg_lo:[0,1] neg_hi:[0,1]
	v_pk_add_f32 v[54:55], v[96:97], v[54:55]
	v_mov_b32_e32 v52, v55
	v_pk_add_f32 v[96:97], v[52:53], v[64:65] neg_lo:[0,1] neg_hi:[0,1]
	v_mov_b32_e32 v67, v96
	v_pk_add_f32 v[112:113], v[100:101], v[66:67] neg_lo:[0,1] neg_hi:[0,1]
	v_mov_b32_e32 v54, v101
	v_mov_b32_e32 v100, v65
	;; [unrolled: 1-line block ×4, first 2 shown]
	v_pk_add_f32 v[54:55], v[54:55], v[100:101] neg_lo:[0,1] neg_hi:[0,1]
	v_mov_b32_e32 v96, v99
	v_mov_b32_e32 v97, v64
	v_pk_add_f32 v[54:55], v[96:97], v[54:55] neg_lo:[0,1] neg_hi:[0,1]
	v_mov_b32_e32 v112, v102
	v_pk_add_f32 v[64:65], v[112:113], v[54:55]
	v_mov_b32_e32 v68, v65
	v_pk_add_f32 v[96:97], v[64:65], v[68:69]
	v_pk_add_f32 v[98:99], v[52:53], v[96:97]
	v_mov_b32_e32 v65, v98
	v_pk_add_f32 v[100:101], v[64:65], v[102:103] neg_lo:[0,1] neg_hi:[0,1]
	v_mov_b32_e32 v55, v96
	v_sub_f32_e32 v52, v64, v100
	v_pk_add_f32 v[54:55], v[54:55], v[100:101] neg_lo:[0,1] neg_hi:[0,1]
	v_sub_f32_e32 v52, v102, v52
	s_mov_b32 s9, 0x7f800000
	v_add_f32_e32 v52, v54, v52
	s_mov_b32 s8, 0x33800000
	v_add_f32_e32 v52, v52, v55
	v_cmp_eq_f32_e32 vcc, s9, v114
	v_cmp_lt_f32_e64 s[8:9], |v114|, s8
	v_add_f32_e32 v52, v98, v52
	s_or_b64 vcc, vcc, s[8:9]
	v_cndmask_b32_e32 v52, v52, v114, vcc
	v_add_f32_e32 v52, v53, v52
	v_cvt_f16_f32_e32 v97, v52
	v_cvt_f32_f16_e32 v96, v97
	v_mov_b32_e32 v52, v97
.LBB401_232:
	s_or_b64 exec, exec, s[6:7]
	v_max_f32_e32 v53, v69, v69
	v_max_f32_e32 v55, v96, v96
	v_min_f32_e32 v54, v55, v53
	v_cmp_u_f16_e32 vcc, v97, v97
	v_max_f32_e32 v53, v55, v53
	v_cndmask_b32_e32 v54, v54, v96, vcc
	v_cndmask_b32_e32 v53, v53, v96, vcc
	v_cndmask_b32_e64 v54, v54, v69, s[34:35]
	v_cndmask_b32_e64 v53, v53, v69, s[34:35]
	s_movk_i32 s8, 0x1f8
	v_cmp_neq_f32_e32 vcc, v54, v53
	v_cmp_class_f32_e64 s[6:7], v54, s8
	s_or_b64 s[10:11], vcc, s[6:7]
	v_mov_b32_e32 v67, v52
	s_and_saveexec_b64 s[6:7], s[10:11]
	s_cbranch_execz .LBB401_234
; %bb.233:
	v_sub_f32_e32 v54, v54, v53
	s_mov_b32 s9, 0x3fb8aa3b
	v_mul_f32_e32 v55, 0x3fb8aa3b, v54
	v_fma_f32 v64, v54, s9, -v55
	v_rndne_f32_e32 v65, v55
	v_fmac_f32_e32 v64, 0x32a5705f, v54
	v_sub_f32_e32 v55, v55, v65
	v_add_f32_e32 v55, v55, v64
	v_exp_f32_e32 v55, v55
	v_cvt_i32_f32_e32 v64, v65
	s_mov_b32 s9, 0xc2ce8ed0
	v_cmp_ngt_f32_e32 vcc, s9, v54
	s_mov_b32 s9, 0x42b17218
	v_ldexp_f32 v55, v55, v64
	v_cndmask_b32_e32 v55, 0, v55, vcc
	v_mov_b32_e32 v64, 0x7f800000
	v_cmp_nlt_f32_e32 vcc, s9, v54
	v_cndmask_b32_e32 v114, v64, v55, vcc
	v_add_f32_e32 v64, 1.0, v114
	v_add_f32_e32 v54, -1.0, v64
	v_sub_f32_e32 v55, v54, v64
	v_add_f32_e32 v55, 1.0, v55
	v_sub_f32_e32 v54, v114, v54
	v_add_f32_e32 v65, v54, v55
	v_frexp_mant_f32_e32 v67, v64
	s_mov_b32 s9, 0x3f2aaaab
	v_cvt_f64_f32_e32 v[54:55], v64
	v_frexp_exp_i32_f64_e32 v54, v[54:55]
	v_cmp_gt_f32_e32 vcc, s9, v67
	v_subbrev_co_u32_e32 v67, vcc, 0, v54, vcc
	v_sub_u32_e32 v54, 0, v67
	v_ldexp_f32 v55, v64, v54
	v_add_f32_e32 v64, -1.0, v55
	v_add_f32_e32 v68, 1.0, v55
	v_ldexp_f32 v54, v65, v54
	v_add_f32_e32 v65, 1.0, v64
	v_add_f32_e32 v69, -1.0, v68
	v_sub_f32_e32 v65, v55, v65
	v_sub_f32_e32 v55, v55, v69
	v_add_f32_e32 v65, v54, v65
	v_add_f32_e32 v54, v54, v55
	;; [unrolled: 1-line block ×3, first 2 shown]
	v_rcp_f32_e32 v100, v98
	v_sub_f32_e32 v55, v68, v98
	v_add_f32_e32 v99, v54, v55
	v_add_f32_e32 v55, v64, v65
	v_mul_f32_e32 v102, v55, v100
	v_sub_f32_e32 v54, v64, v55
	v_mul_f32_e32 v64, v98, v102
	v_fma_f32 v68, v102, v98, -v64
	v_fmac_f32_e32 v68, v102, v99
	v_add_f32_e32 v101, v65, v54
	v_add_f32_e32 v54, v64, v68
	v_sub_f32_e32 v65, v55, v54
	v_pk_add_f32 v[96:97], v[54:55], v[64:65] neg_lo:[0,1] neg_hi:[0,1]
	v_mov_b32_e32 v69, v54
	v_pk_add_f32 v[54:55], v[96:97], v[68:69] neg_lo:[0,1] neg_hi:[0,1]
	v_add_f32_e32 v55, v101, v55
	v_add_f32_e32 v54, v54, v55
	;; [unrolled: 1-line block ×3, first 2 shown]
	v_mul_f32_e32 v101, v100, v55
	v_mul_f32_e32 v64, v98, v101
	v_fma_f32 v68, v101, v98, -v64
	v_fmac_f32_e32 v68, v101, v99
	v_sub_f32_e32 v65, v65, v55
	v_add_f32_e32 v98, v54, v65
	v_add_f32_e32 v54, v64, v68
	v_sub_f32_e32 v65, v55, v54
	v_pk_add_f32 v[96:97], v[54:55], v[64:65] neg_lo:[0,1] neg_hi:[0,1]
	v_mov_b32_e32 v69, v54
	v_pk_add_f32 v[54:55], v[96:97], v[68:69] neg_lo:[0,1] neg_hi:[0,1]
	v_add_f32_e32 v55, v98, v55
	v_add_f32_e32 v54, v54, v55
	;; [unrolled: 1-line block ×4, first 2 shown]
	v_sub_f32_e32 v55, v65, v102
	v_mul_f32_e32 v54, v100, v54
	v_sub_f32_e32 v55, v101, v55
	v_add_f32_e32 v54, v55, v54
	v_add_f32_e32 v68, v65, v54
	v_mul_f32_e32 v96, v68, v68
	v_mov_b32_e32 v64, 0x3ecc95a3
	v_fmac_f32_e32 v64, 0x3e9b6dac, v96
	v_mov_b32_e32 v55, 0x3f2aaada
	v_fmac_f32_e32 v55, v96, v64
	v_cvt_f32_i32_e32 v64, v67
	v_sub_f32_e32 v65, v68, v65
	v_sub_f32_e32 v54, v54, v65
	v_ldexp_f32 v67, v54, 1
	v_mul_f32_e32 v65, v68, v96
	v_mov_b32_e32 v54, 0x3f317218
	s_mov_b32 s9, 0x3f317218
	v_pk_mul_f32 v[54:55], v[64:65], v[54:55]
	v_ldexp_f32 v69, v68, 1
	v_fma_f32 v68, v64, s9, -v54
	v_fmac_f32_e32 v68, 0xb102e308, v64
	v_pk_add_f32 v[64:65], v[54:55], v[68:69]
	v_sub_f32_e32 v69, v65, v69
	v_sub_f32_e32 v69, v55, v69
	v_add_f32_e32 v97, v67, v69
	v_mov_b32_e32 v96, v54
	v_pk_add_f32 v[54:55], v[64:65], v[54:55] neg_lo:[0,1] neg_hi:[0,1]
	v_pk_add_f32 v[98:99], v[64:65], v[96:97]
	v_mov_b32_e32 v55, v99
	v_mov_b32_e32 v69, v64
	v_pk_add_f32 v[100:101], v[68:69], v[54:55] neg_lo:[0,1] neg_hi:[0,1]
	v_pk_add_f32 v[54:55], v[68:69], v[54:55]
	v_mov_b32_e32 v68, v55
	v_pk_add_f32 v[102:103], v[68:69], v[64:65] neg_lo:[0,1] neg_hi:[0,1]
	v_mov_b32_e32 v67, v102
	v_pk_add_f32 v[112:113], v[98:99], v[66:67] neg_lo:[0,1] neg_hi:[0,1]
	v_mov_b32_e32 v54, v99
	v_mov_b32_e32 v98, v65
	v_mov_b32_e32 v99, v102
	v_mov_b32_e32 v101, v55
	v_pk_add_f32 v[54:55], v[54:55], v[98:99] neg_lo:[0,1] neg_hi:[0,1]
	v_mov_b32_e32 v96, v97
	v_mov_b32_e32 v97, v64
	v_pk_add_f32 v[54:55], v[96:97], v[54:55] neg_lo:[0,1] neg_hi:[0,1]
	v_mov_b32_e32 v112, v100
	v_pk_add_f32 v[64:65], v[112:113], v[54:55]
	v_mov_b32_e32 v96, v65
	v_pk_add_f32 v[96:97], v[64:65], v[96:97]
	v_pk_add_f32 v[68:69], v[68:69], v[96:97]
	v_mov_b32_e32 v65, v68
	v_pk_add_f32 v[98:99], v[64:65], v[100:101] neg_lo:[0,1] neg_hi:[0,1]
	v_mov_b32_e32 v55, v96
	v_sub_f32_e32 v64, v64, v98
	v_pk_add_f32 v[54:55], v[54:55], v[98:99] neg_lo:[0,1] neg_hi:[0,1]
	v_sub_f32_e32 v64, v100, v64
	s_mov_b32 s10, 0x7f800000
	v_add_f32_e32 v54, v54, v64
	s_mov_b32 s9, 0x33800000
	v_add_f32_e32 v54, v54, v55
	v_cmp_eq_f32_e32 vcc, s10, v114
	v_cmp_lt_f32_e64 s[10:11], |v114|, s9
	v_add_f32_e32 v54, v68, v54
	s_or_b64 vcc, vcc, s[10:11]
	v_cndmask_b32_e32 v54, v54, v114, vcc
	v_add_f32_e32 v53, v53, v54
	v_cvt_f16_f32_e32 v97, v53
	v_cvt_f32_f16_e32 v96, v97
	v_mov_b32_e32 v67, v97
.LBB401_234:
	s_or_b64 exec, exec, s[6:7]
	v_max_f32_e32 v53, v70, v70
	v_max_f32_e32 v54, v96, v96
	v_min_f32_e32 v55, v54, v53
	v_cmp_u_f16_e32 vcc, v97, v97
	v_max_f32_e32 v53, v54, v53
	v_cndmask_b32_e32 v55, v55, v96, vcc
	v_cndmask_b32_e32 v53, v53, v96, vcc
	v_cndmask_b32_e64 v55, v55, v70, s[36:37]
	v_cndmask_b32_e64 v54, v53, v70, s[36:37]
	v_cmp_neq_f32_e32 vcc, v55, v54
	v_cmp_class_f32_e64 s[6:7], v55, s8
	s_or_b64 s[8:9], vcc, s[6:7]
	v_mov_b32_e32 v53, v67
	s_and_saveexec_b64 s[6:7], s[8:9]
	s_cbranch_execz .LBB401_236
; %bb.235:
	v_sub_f32_e32 v53, v55, v54
	s_mov_b32 s8, 0x3fb8aa3b
	v_mul_f32_e32 v55, 0x3fb8aa3b, v53
	v_fma_f32 v64, v53, s8, -v55
	v_rndne_f32_e32 v65, v55
	v_fmac_f32_e32 v64, 0x32a5705f, v53
	v_sub_f32_e32 v55, v55, v65
	v_add_f32_e32 v55, v55, v64
	v_exp_f32_e32 v55, v55
	v_cvt_i32_f32_e32 v64, v65
	s_mov_b32 s8, 0xc2ce8ed0
	v_cmp_ngt_f32_e32 vcc, s8, v53
	s_mov_b32 s8, 0x42b17218
	v_ldexp_f32 v55, v55, v64
	v_cndmask_b32_e32 v55, 0, v55, vcc
	v_mov_b32_e32 v64, 0x7f800000
	v_cmp_nlt_f32_e32 vcc, s8, v53
	v_cndmask_b32_e32 v55, v64, v55, vcc
	v_add_f32_e32 v53, 1.0, v55
	v_add_f32_e32 v64, -1.0, v53
	v_sub_f32_e32 v65, v64, v53
	v_add_f32_e32 v65, 1.0, v65
	v_sub_f32_e32 v64, v55, v64
	v_add_f32_e32 v68, v64, v65
	v_frexp_mant_f32_e32 v69, v53
	s_mov_b32 s8, 0x3f2aaaab
	v_cvt_f64_f32_e32 v[64:65], v53
	v_frexp_exp_i32_f64_e32 v64, v[64:65]
	v_cmp_gt_f32_e32 vcc, s8, v69
	v_subbrev_co_u32_e32 v70, vcc, 0, v64, vcc
	v_sub_u32_e32 v64, 0, v70
	v_ldexp_f32 v53, v53, v64
	v_ldexp_f32 v64, v68, v64
	v_add_f32_e32 v68, -1.0, v53
	v_add_f32_e32 v65, 1.0, v68
	v_sub_f32_e32 v65, v53, v65
	v_add_f32_e32 v69, v64, v65
	v_add_f32_e32 v65, 1.0, v53
	v_add_f32_e32 v96, -1.0, v65
	v_sub_f32_e32 v53, v53, v96
	v_add_f32_e32 v53, v64, v53
	v_add_f32_e32 v100, v65, v53
	v_rcp_f32_e32 v101, v100
	v_sub_f32_e32 v64, v65, v100
	v_add_f32_e32 v65, v68, v69
	v_add_f32_e32 v53, v53, v64
	v_mul_f32_e32 v103, v65, v101
	v_sub_f32_e32 v64, v68, v65
	v_mul_f32_e32 v68, v100, v103
	v_fma_f32 v96, v103, v100, -v68
	v_fmac_f32_e32 v96, v103, v53
	v_add_f32_e32 v102, v69, v64
	v_add_f32_e32 v64, v68, v96
	v_sub_f32_e32 v69, v65, v64
	v_pk_add_f32 v[98:99], v[64:65], v[68:69] neg_lo:[0,1] neg_hi:[0,1]
	v_mov_b32_e32 v97, v64
	v_pk_add_f32 v[64:65], v[98:99], v[96:97] neg_lo:[0,1] neg_hi:[0,1]
	v_add_f32_e32 v65, v102, v65
	v_add_f32_e32 v64, v64, v65
	;; [unrolled: 1-line block ×3, first 2 shown]
	v_mul_f32_e32 v102, v101, v65
	v_mul_f32_e32 v68, v100, v102
	v_fma_f32 v96, v102, v100, -v68
	v_fmac_f32_e32 v96, v102, v53
	v_sub_f32_e32 v53, v69, v65
	v_add_f32_e32 v53, v64, v53
	v_add_f32_e32 v64, v68, v96
	v_sub_f32_e32 v69, v65, v64
	v_pk_add_f32 v[98:99], v[64:65], v[68:69] neg_lo:[0,1] neg_hi:[0,1]
	v_mov_b32_e32 v97, v64
	v_pk_add_f32 v[64:65], v[98:99], v[96:97] neg_lo:[0,1] neg_hi:[0,1]
	v_add_f32_e32 v53, v53, v65
	v_add_f32_e32 v53, v64, v53
	;; [unrolled: 1-line block ×4, first 2 shown]
	v_sub_f32_e32 v65, v64, v103
	v_mul_f32_e32 v53, v101, v53
	v_sub_f32_e32 v65, v102, v65
	v_add_f32_e32 v53, v65, v53
	v_add_f32_e32 v69, v64, v53
	v_mul_f32_e32 v96, v69, v69
	v_mov_b32_e32 v68, 0x3ecc95a3
	v_fmac_f32_e32 v68, 0x3e9b6dac, v96
	v_mov_b32_e32 v65, 0x3f2aaada
	v_fmac_f32_e32 v65, v96, v68
	v_cvt_f32_i32_e32 v68, v70
	v_sub_f32_e32 v64, v69, v64
	v_sub_f32_e32 v53, v53, v64
	v_ldexp_f32 v97, v69, 1
	v_mul_f32_e32 v69, v69, v96
	v_mov_b32_e32 v64, 0x3f317218
	s_mov_b32 s8, 0x3f317218
	v_pk_mul_f32 v[64:65], v[68:69], v[64:65]
	v_fma_f32 v96, v68, s8, -v64
	v_fmac_f32_e32 v96, 0xb102e308, v68
	v_pk_add_f32 v[68:69], v[64:65], v[96:97]
	v_sub_f32_e32 v70, v69, v97
	v_ldexp_f32 v53, v53, 1
	v_sub_f32_e32 v70, v65, v70
	v_add_f32_e32 v99, v53, v70
	v_mov_b32_e32 v98, v64
	v_pk_add_f32 v[64:65], v[68:69], v[64:65] neg_lo:[0,1] neg_hi:[0,1]
	v_pk_add_f32 v[100:101], v[68:69], v[98:99]
	v_mov_b32_e32 v65, v101
	v_mov_b32_e32 v97, v68
	v_pk_add_f32 v[102:103], v[96:97], v[64:65] neg_lo:[0,1] neg_hi:[0,1]
	v_pk_add_f32 v[64:65], v[96:97], v[64:65]
	v_mov_b32_e32 v70, v65
	v_pk_add_f32 v[96:97], v[70:71], v[68:69] neg_lo:[0,1] neg_hi:[0,1]
	v_mov_b32_e32 v53, v96
	v_pk_add_f32 v[112:113], v[100:101], v[52:53] neg_lo:[0,1] neg_hi:[0,1]
	v_mov_b32_e32 v64, v101
	v_mov_b32_e32 v100, v69
	;; [unrolled: 1-line block ×4, first 2 shown]
	v_pk_add_f32 v[64:65], v[64:65], v[100:101] neg_lo:[0,1] neg_hi:[0,1]
	v_mov_b32_e32 v96, v99
	v_mov_b32_e32 v97, v68
	v_pk_add_f32 v[64:65], v[96:97], v[64:65] neg_lo:[0,1] neg_hi:[0,1]
	v_mov_b32_e32 v112, v102
	v_pk_add_f32 v[68:69], v[112:113], v[64:65]
	v_mov_b32_e32 v96, v69
	v_pk_add_f32 v[96:97], v[68:69], v[96:97]
	v_pk_add_f32 v[98:99], v[70:71], v[96:97]
	v_mov_b32_e32 v69, v98
	v_pk_add_f32 v[100:101], v[68:69], v[102:103] neg_lo:[0,1] neg_hi:[0,1]
	v_mov_b32_e32 v65, v96
	v_sub_f32_e32 v53, v68, v100
	v_pk_add_f32 v[64:65], v[64:65], v[100:101] neg_lo:[0,1] neg_hi:[0,1]
	v_sub_f32_e32 v53, v102, v53
	s_mov_b32 s9, 0x7f800000
	v_add_f32_e32 v53, v64, v53
	s_mov_b32 s8, 0x33800000
	v_add_f32_e32 v53, v53, v65
	v_cmp_eq_f32_e32 vcc, s9, v55
	v_cmp_lt_f32_e64 s[8:9], |v55|, s8
	v_add_f32_e32 v53, v98, v53
	s_or_b64 vcc, vcc, s[8:9]
	v_cndmask_b32_e32 v53, v53, v55, vcc
	v_add_f32_e32 v53, v54, v53
	v_cvt_f16_f32_e32 v97, v53
	v_cvt_f32_f16_e32 v96, v97
	v_mov_b32_e32 v53, v97
.LBB401_236:
	s_or_b64 exec, exec, s[6:7]
	v_max_f32_e32 v54, v71, v71
	v_max_f32_e32 v64, v96, v96
	v_min_f32_e32 v55, v64, v54
	v_cmp_u_f16_e32 vcc, v97, v97
	v_max_f32_e32 v54, v64, v54
	v_cndmask_b32_e32 v55, v55, v96, vcc
	v_cndmask_b32_e32 v54, v54, v96, vcc
	v_cndmask_b32_e64 v55, v55, v71, s[38:39]
	v_cndmask_b32_e64 v54, v54, v71, s[38:39]
	s_movk_i32 s8, 0x1f8
	v_cmp_neq_f32_e32 vcc, v55, v54
	v_cmp_class_f32_e64 s[6:7], v55, s8
	s_or_b64 s[10:11], vcc, s[6:7]
	v_mov_b32_e32 v68, v53
	s_and_saveexec_b64 s[6:7], s[10:11]
	s_cbranch_execz .LBB401_238
; %bb.237:
	v_sub_f32_e32 v55, v55, v54
	s_mov_b32 s9, 0x3fb8aa3b
	v_mul_f32_e32 v64, 0x3fb8aa3b, v55
	v_fma_f32 v65, v55, s9, -v64
	v_rndne_f32_e32 v68, v64
	v_fmac_f32_e32 v65, 0x32a5705f, v55
	v_sub_f32_e32 v64, v64, v68
	v_add_f32_e32 v64, v64, v65
	v_exp_f32_e32 v64, v64
	v_cvt_i32_f32_e32 v65, v68
	s_mov_b32 s9, 0xc2ce8ed0
	v_cmp_ngt_f32_e32 vcc, s9, v55
	s_mov_b32 s9, 0x42b17218
	v_ldexp_f32 v64, v64, v65
	v_cndmask_b32_e32 v64, 0, v64, vcc
	v_mov_b32_e32 v65, 0x7f800000
	v_cmp_nlt_f32_e32 vcc, s9, v55
	v_cndmask_b32_e32 v114, v65, v64, vcc
	v_add_f32_e32 v55, 1.0, v114
	v_add_f32_e32 v64, -1.0, v55
	v_sub_f32_e32 v65, v64, v55
	v_add_f32_e32 v65, 1.0, v65
	v_sub_f32_e32 v64, v114, v64
	v_add_f32_e32 v68, v64, v65
	v_frexp_mant_f32_e32 v69, v55
	s_mov_b32 s9, 0x3f2aaaab
	v_cvt_f64_f32_e32 v[64:65], v55
	v_frexp_exp_i32_f64_e32 v64, v[64:65]
	v_cmp_gt_f32_e32 vcc, s9, v69
	v_subbrev_co_u32_e32 v98, vcc, 0, v64, vcc
	v_sub_u32_e32 v64, 0, v98
	v_ldexp_f32 v55, v55, v64
	v_ldexp_f32 v64, v68, v64
	v_add_f32_e32 v68, -1.0, v55
	v_add_f32_e32 v65, 1.0, v68
	v_sub_f32_e32 v65, v55, v65
	v_add_f32_e32 v69, v64, v65
	v_add_f32_e32 v65, 1.0, v55
	v_add_f32_e32 v70, -1.0, v65
	v_sub_f32_e32 v55, v55, v70
	v_add_f32_e32 v55, v64, v55
	v_add_f32_e32 v99, v65, v55
	v_rcp_f32_e32 v100, v99
	v_sub_f32_e32 v64, v65, v99
	v_add_f32_e32 v65, v68, v69
	v_add_f32_e32 v55, v55, v64
	v_mul_f32_e32 v102, v65, v100
	v_sub_f32_e32 v64, v68, v65
	v_mul_f32_e32 v68, v99, v102
	v_fma_f32 v70, v102, v99, -v68
	v_fmac_f32_e32 v70, v102, v55
	v_add_f32_e32 v101, v69, v64
	v_add_f32_e32 v64, v68, v70
	v_sub_f32_e32 v69, v65, v64
	v_pk_add_f32 v[96:97], v[64:65], v[68:69] neg_lo:[0,1] neg_hi:[0,1]
	v_mov_b32_e32 v71, v64
	v_pk_add_f32 v[64:65], v[96:97], v[70:71] neg_lo:[0,1] neg_hi:[0,1]
	v_add_f32_e32 v65, v101, v65
	v_add_f32_e32 v64, v64, v65
	;; [unrolled: 1-line block ×3, first 2 shown]
	v_mul_f32_e32 v101, v100, v65
	v_mul_f32_e32 v68, v99, v101
	v_fma_f32 v70, v101, v99, -v68
	v_fmac_f32_e32 v70, v101, v55
	v_sub_f32_e32 v55, v69, v65
	v_add_f32_e32 v55, v64, v55
	v_add_f32_e32 v64, v68, v70
	v_sub_f32_e32 v69, v65, v64
	v_pk_add_f32 v[96:97], v[64:65], v[68:69] neg_lo:[0,1] neg_hi:[0,1]
	v_mov_b32_e32 v71, v64
	v_pk_add_f32 v[64:65], v[96:97], v[70:71] neg_lo:[0,1] neg_hi:[0,1]
	v_add_f32_e32 v55, v55, v65
	v_add_f32_e32 v55, v64, v55
	;; [unrolled: 1-line block ×4, first 2 shown]
	v_sub_f32_e32 v65, v64, v102
	v_mul_f32_e32 v55, v100, v55
	v_sub_f32_e32 v65, v101, v65
	v_add_f32_e32 v55, v65, v55
	v_add_f32_e32 v69, v64, v55
	v_mul_f32_e32 v70, v69, v69
	v_mov_b32_e32 v68, 0x3ecc95a3
	v_fmac_f32_e32 v68, 0x3e9b6dac, v70
	v_mov_b32_e32 v65, 0x3f2aaada
	v_fmac_f32_e32 v65, v70, v68
	v_cvt_f32_i32_e32 v68, v98
	v_sub_f32_e32 v64, v69, v64
	v_sub_f32_e32 v55, v55, v64
	v_ldexp_f32 v71, v69, 1
	v_mul_f32_e32 v69, v69, v70
	v_mov_b32_e32 v64, 0x3f317218
	s_mov_b32 s9, 0x3f317218
	v_pk_mul_f32 v[64:65], v[68:69], v[64:65]
	v_fma_f32 v70, v68, s9, -v64
	v_fmac_f32_e32 v70, 0xb102e308, v68
	v_pk_add_f32 v[68:69], v[64:65], v[70:71]
	v_sub_f32_e32 v71, v69, v71
	v_ldexp_f32 v55, v55, 1
	v_sub_f32_e32 v71, v65, v71
	v_add_f32_e32 v97, v55, v71
	v_mov_b32_e32 v96, v64
	v_pk_add_f32 v[64:65], v[68:69], v[64:65] neg_lo:[0,1] neg_hi:[0,1]
	v_pk_add_f32 v[98:99], v[68:69], v[96:97]
	v_mov_b32_e32 v65, v99
	v_mov_b32_e32 v71, v68
	v_pk_add_f32 v[100:101], v[70:71], v[64:65] neg_lo:[0,1] neg_hi:[0,1]
	v_pk_add_f32 v[64:65], v[70:71], v[64:65]
	v_mov_b32_e32 v70, v65
	v_pk_add_f32 v[102:103], v[70:71], v[68:69] neg_lo:[0,1] neg_hi:[0,1]
	v_mov_b32_e32 v55, v102
	v_pk_add_f32 v[112:113], v[98:99], v[54:55] neg_lo:[0,1] neg_hi:[0,1]
	v_mov_b32_e32 v64, v99
	v_mov_b32_e32 v98, v69
	;; [unrolled: 1-line block ×4, first 2 shown]
	v_pk_add_f32 v[64:65], v[64:65], v[98:99] neg_lo:[0,1] neg_hi:[0,1]
	v_mov_b32_e32 v96, v97
	v_mov_b32_e32 v97, v68
	v_pk_add_f32 v[64:65], v[96:97], v[64:65] neg_lo:[0,1] neg_hi:[0,1]
	v_mov_b32_e32 v112, v100
	v_pk_add_f32 v[68:69], v[112:113], v[64:65]
	v_mov_b32_e32 v96, v69
	v_pk_add_f32 v[96:97], v[68:69], v[96:97]
	v_pk_add_f32 v[70:71], v[70:71], v[96:97]
	v_mov_b32_e32 v69, v70
	v_pk_add_f32 v[98:99], v[68:69], v[100:101] neg_lo:[0,1] neg_hi:[0,1]
	v_mov_b32_e32 v65, v96
	v_sub_f32_e32 v55, v68, v98
	v_pk_add_f32 v[64:65], v[64:65], v[98:99] neg_lo:[0,1] neg_hi:[0,1]
	v_sub_f32_e32 v55, v100, v55
	s_mov_b32 s10, 0x7f800000
	v_add_f32_e32 v55, v64, v55
	s_mov_b32 s9, 0x33800000
	v_add_f32_e32 v55, v55, v65
	v_cmp_eq_f32_e32 vcc, s10, v114
	v_cmp_lt_f32_e64 s[10:11], |v114|, s9
	v_add_f32_e32 v55, v70, v55
	s_or_b64 vcc, vcc, s[10:11]
	v_cndmask_b32_e32 v55, v55, v114, vcc
	v_add_f32_e32 v54, v54, v55
	v_cvt_f16_f32_e32 v97, v54
	v_cvt_f32_f16_e32 v96, v97
	v_mov_b32_e32 v68, v97
.LBB401_238:
	s_or_b64 exec, exec, s[6:7]
	v_max_f32_e32 v54, v80, v80
	v_max_f32_e32 v55, v96, v96
	v_min_f32_e32 v64, v55, v54
	v_cmp_u_f16_e32 vcc, v97, v97
	v_max_f32_e32 v54, v55, v54
	v_cndmask_b32_e32 v64, v64, v96, vcc
	v_cndmask_b32_e32 v54, v54, v96, vcc
	v_cndmask_b32_e64 v64, v64, v80, s[40:41]
	v_cndmask_b32_e64 v55, v54, v80, s[40:41]
	v_cmp_neq_f32_e32 vcc, v64, v55
	v_cmp_class_f32_e64 s[6:7], v64, s8
	s_or_b64 s[8:9], vcc, s[6:7]
	v_mov_b32_e32 v54, v68
	s_and_saveexec_b64 s[6:7], s[8:9]
	s_cbranch_execz .LBB401_240
; %bb.239:
	v_sub_f32_e32 v54, v64, v55
	s_mov_b32 s8, 0x3fb8aa3b
	v_mul_f32_e32 v64, 0x3fb8aa3b, v54
	v_fma_f32 v65, v54, s8, -v64
	v_rndne_f32_e32 v69, v64
	v_fmac_f32_e32 v65, 0x32a5705f, v54
	v_sub_f32_e32 v64, v64, v69
	v_add_f32_e32 v64, v64, v65
	v_exp_f32_e32 v64, v64
	v_cvt_i32_f32_e32 v65, v69
	s_mov_b32 s8, 0xc2ce8ed0
	v_cmp_ngt_f32_e32 vcc, s8, v54
	s_mov_b32 s8, 0x42b17218
	v_ldexp_f32 v64, v64, v65
	v_cndmask_b32_e32 v64, 0, v64, vcc
	v_mov_b32_e32 v65, 0x7f800000
	v_cmp_nlt_f32_e32 vcc, s8, v54
	v_cndmask_b32_e32 v114, v65, v64, vcc
	v_add_f32_e32 v54, 1.0, v114
	v_add_f32_e32 v64, -1.0, v54
	v_sub_f32_e32 v65, v64, v54
	v_add_f32_e32 v65, 1.0, v65
	v_sub_f32_e32 v64, v114, v64
	v_add_f32_e32 v69, v64, v65
	v_frexp_mant_f32_e32 v70, v54
	s_mov_b32 s8, 0x3f2aaaab
	v_cvt_f64_f32_e32 v[64:65], v54
	v_frexp_exp_i32_f64_e32 v64, v[64:65]
	v_cmp_gt_f32_e32 vcc, s8, v70
	v_subbrev_co_u32_e32 v80, vcc, 0, v64, vcc
	v_sub_u32_e32 v64, 0, v80
	v_ldexp_f32 v54, v54, v64
	v_ldexp_f32 v64, v69, v64
	v_add_f32_e32 v69, -1.0, v54
	v_add_f32_e32 v65, 1.0, v69
	v_sub_f32_e32 v65, v54, v65
	v_add_f32_e32 v70, v64, v65
	v_add_f32_e32 v65, 1.0, v54
	v_add_f32_e32 v71, -1.0, v65
	v_sub_f32_e32 v54, v54, v71
	v_add_f32_e32 v54, v64, v54
	v_add_f32_e32 v100, v65, v54
	v_rcp_f32_e32 v101, v100
	v_sub_f32_e32 v64, v65, v100
	v_add_f32_e32 v65, v69, v70
	v_add_f32_e32 v54, v54, v64
	v_sub_f32_e32 v64, v69, v65
	v_mul_f32_e32 v102, v65, v101
	v_add_f32_e32 v69, v70, v64
	v_mul_f32_e32 v70, v100, v102
	v_fma_f32 v96, v102, v100, -v70
	v_fmac_f32_e32 v96, v102, v54
	v_add_f32_e32 v64, v70, v96
	v_sub_f32_e32 v71, v65, v64
	v_pk_add_f32 v[98:99], v[64:65], v[70:71] neg_lo:[0,1] neg_hi:[0,1]
	v_mov_b32_e32 v97, v64
	v_pk_add_f32 v[64:65], v[98:99], v[96:97] neg_lo:[0,1] neg_hi:[0,1]
	v_add_f32_e32 v65, v69, v65
	v_add_f32_e32 v64, v64, v65
	v_add_f32_e32 v65, v71, v64
	v_mul_f32_e32 v69, v101, v65
	v_mul_f32_e32 v70, v100, v69
	v_fma_f32 v96, v69, v100, -v70
	v_fmac_f32_e32 v96, v69, v54
	v_sub_f32_e32 v54, v71, v65
	v_add_f32_e32 v54, v64, v54
	v_add_f32_e32 v64, v70, v96
	v_sub_f32_e32 v71, v65, v64
	v_pk_add_f32 v[98:99], v[64:65], v[70:71] neg_lo:[0,1] neg_hi:[0,1]
	v_mov_b32_e32 v97, v64
	v_pk_add_f32 v[64:65], v[98:99], v[96:97] neg_lo:[0,1] neg_hi:[0,1]
	v_add_f32_e32 v54, v54, v65
	v_add_f32_e32 v54, v64, v54
	;; [unrolled: 1-line block ×4, first 2 shown]
	v_sub_f32_e32 v65, v64, v102
	v_mul_f32_e32 v54, v101, v54
	v_sub_f32_e32 v65, v69, v65
	v_add_f32_e32 v54, v65, v54
	v_add_f32_e32 v69, v64, v54
	v_mul_f32_e32 v71, v69, v69
	v_mov_b32_e32 v70, 0x3ecc95a3
	v_fmac_f32_e32 v70, 0x3e9b6dac, v71
	v_mov_b32_e32 v65, 0x3f2aaada
	v_fmac_f32_e32 v65, v71, v70
	v_cvt_f32_i32_e32 v70, v80
	v_sub_f32_e32 v64, v69, v64
	v_sub_f32_e32 v54, v54, v64
	v_mul_f32_e32 v71, v69, v71
	v_mov_b32_e32 v64, 0x3f317218
	s_mov_b32 s8, 0x3f317218
	v_pk_mul_f32 v[64:65], v[70:71], v[64:65]
	v_fma_f32 v96, v70, s8, -v64
	v_ldexp_f32 v97, v69, 1
	v_fmac_f32_e32 v96, 0xb102e308, v70
	v_pk_add_f32 v[70:71], v[64:65], v[96:97]
	v_sub_f32_e32 v69, v71, v97
	v_ldexp_f32 v54, v54, 1
	v_sub_f32_e32 v69, v65, v69
	v_add_f32_e32 v99, v54, v69
	v_mov_b32_e32 v98, v64
	v_pk_add_f32 v[64:65], v[70:71], v[64:65] neg_lo:[0,1] neg_hi:[0,1]
	v_pk_add_f32 v[100:101], v[70:71], v[98:99]
	v_mov_b32_e32 v65, v101
	v_mov_b32_e32 v97, v70
	v_pk_add_f32 v[102:103], v[96:97], v[64:65] neg_lo:[0,1] neg_hi:[0,1]
	v_pk_add_f32 v[64:65], v[96:97], v[64:65]
	v_mov_b32_e32 v54, v65
	v_pk_add_f32 v[96:97], v[54:55], v[70:71] neg_lo:[0,1] neg_hi:[0,1]
	v_mov_b32_e32 v69, v96
	v_pk_add_f32 v[112:113], v[100:101], v[68:69] neg_lo:[0,1] neg_hi:[0,1]
	v_mov_b32_e32 v64, v101
	v_mov_b32_e32 v100, v71
	v_mov_b32_e32 v101, v96
	v_mov_b32_e32 v103, v65
	v_pk_add_f32 v[64:65], v[64:65], v[100:101] neg_lo:[0,1] neg_hi:[0,1]
	v_mov_b32_e32 v96, v99
	v_mov_b32_e32 v97, v70
	v_pk_add_f32 v[64:65], v[96:97], v[64:65] neg_lo:[0,1] neg_hi:[0,1]
	v_mov_b32_e32 v112, v102
	v_pk_add_f32 v[70:71], v[112:113], v[64:65]
	v_mov_b32_e32 v80, v71
	v_pk_add_f32 v[96:97], v[70:71], v[80:81]
	v_pk_add_f32 v[98:99], v[54:55], v[96:97]
	v_mov_b32_e32 v71, v98
	v_pk_add_f32 v[100:101], v[70:71], v[102:103] neg_lo:[0,1] neg_hi:[0,1]
	v_mov_b32_e32 v65, v96
	v_sub_f32_e32 v54, v70, v100
	v_pk_add_f32 v[64:65], v[64:65], v[100:101] neg_lo:[0,1] neg_hi:[0,1]
	v_sub_f32_e32 v54, v102, v54
	s_mov_b32 s9, 0x7f800000
	v_add_f32_e32 v54, v64, v54
	s_mov_b32 s8, 0x33800000
	v_add_f32_e32 v54, v54, v65
	v_cmp_eq_f32_e32 vcc, s9, v114
	v_cmp_lt_f32_e64 s[8:9], |v114|, s8
	v_add_f32_e32 v54, v98, v54
	s_or_b64 vcc, vcc, s[8:9]
	v_cndmask_b32_e32 v54, v54, v114, vcc
	v_add_f32_e32 v54, v55, v54
	v_cvt_f16_f32_e32 v97, v54
	v_cvt_f32_f16_e32 v96, v97
	v_mov_b32_e32 v54, v97
.LBB401_240:
	s_or_b64 exec, exec, s[6:7]
	v_max_f32_e32 v55, v81, v81
	v_max_f32_e32 v65, v96, v96
	v_min_f32_e32 v64, v65, v55
	v_cmp_u_f16_e32 vcc, v97, v97
	v_max_f32_e32 v55, v65, v55
	v_cndmask_b32_e32 v64, v64, v96, vcc
	v_cndmask_b32_e32 v55, v55, v96, vcc
	v_cndmask_b32_e64 v64, v64, v81, s[42:43]
	v_cndmask_b32_e64 v55, v55, v81, s[42:43]
	s_movk_i32 s8, 0x1f8
	v_cmp_neq_f32_e32 vcc, v64, v55
	v_cmp_class_f32_e64 s[6:7], v64, s8
	s_or_b64 s[10:11], vcc, s[6:7]
	v_mov_b32_e32 v69, v54
	s_and_saveexec_b64 s[6:7], s[10:11]
	s_cbranch_execz .LBB401_242
; %bb.241:
	v_sub_f32_e32 v64, v64, v55
	s_mov_b32 s9, 0x3fb8aa3b
	v_mul_f32_e32 v65, 0x3fb8aa3b, v64
	v_fma_f32 v69, v64, s9, -v65
	v_rndne_f32_e32 v70, v65
	v_fmac_f32_e32 v69, 0x32a5705f, v64
	v_sub_f32_e32 v65, v65, v70
	v_add_f32_e32 v65, v65, v69
	v_exp_f32_e32 v65, v65
	v_cvt_i32_f32_e32 v69, v70
	s_mov_b32 s9, 0xc2ce8ed0
	v_cmp_ngt_f32_e32 vcc, s9, v64
	s_mov_b32 s9, 0x42b17218
	v_ldexp_f32 v65, v65, v69
	v_cndmask_b32_e32 v65, 0, v65, vcc
	v_mov_b32_e32 v69, 0x7f800000
	v_cmp_nlt_f32_e32 vcc, s9, v64
	v_cndmask_b32_e32 v114, v69, v65, vcc
	v_add_f32_e32 v69, 1.0, v114
	v_add_f32_e32 v64, -1.0, v69
	v_sub_f32_e32 v65, v64, v69
	v_add_f32_e32 v65, 1.0, v65
	v_sub_f32_e32 v64, v114, v64
	v_add_f32_e32 v70, v64, v65
	v_frexp_mant_f32_e32 v71, v69
	s_mov_b32 s9, 0x3f2aaaab
	v_cvt_f64_f32_e32 v[64:65], v69
	v_frexp_exp_i32_f64_e32 v64, v[64:65]
	v_cmp_gt_f32_e32 vcc, s9, v71
	v_subbrev_co_u32_e32 v98, vcc, 0, v64, vcc
	v_sub_u32_e32 v64, 0, v98
	v_ldexp_f32 v65, v69, v64
	v_add_f32_e32 v69, -1.0, v65
	v_add_f32_e32 v71, 1.0, v65
	v_ldexp_f32 v64, v70, v64
	v_add_f32_e32 v70, 1.0, v69
	v_add_f32_e32 v80, -1.0, v71
	v_sub_f32_e32 v70, v65, v70
	v_sub_f32_e32 v65, v65, v80
	v_add_f32_e32 v70, v64, v70
	v_add_f32_e32 v64, v64, v65
	;; [unrolled: 1-line block ×3, first 2 shown]
	v_rcp_f32_e32 v101, v99
	v_sub_f32_e32 v65, v71, v99
	v_add_f32_e32 v100, v64, v65
	v_add_f32_e32 v65, v69, v70
	v_sub_f32_e32 v64, v69, v65
	v_mul_f32_e32 v102, v65, v101
	v_add_f32_e32 v69, v70, v64
	v_mul_f32_e32 v70, v99, v102
	v_fma_f32 v80, v102, v99, -v70
	v_fmac_f32_e32 v80, v102, v100
	v_add_f32_e32 v64, v70, v80
	v_sub_f32_e32 v71, v65, v64
	v_pk_add_f32 v[96:97], v[64:65], v[70:71] neg_lo:[0,1] neg_hi:[0,1]
	v_mov_b32_e32 v81, v64
	v_pk_add_f32 v[64:65], v[96:97], v[80:81] neg_lo:[0,1] neg_hi:[0,1]
	v_add_f32_e32 v65, v69, v65
	v_add_f32_e32 v64, v64, v65
	;; [unrolled: 1-line block ×3, first 2 shown]
	v_mul_f32_e32 v69, v101, v65
	v_mul_f32_e32 v70, v99, v69
	v_fma_f32 v80, v69, v99, -v70
	v_fmac_f32_e32 v80, v69, v100
	v_sub_f32_e32 v71, v71, v65
	v_add_f32_e32 v99, v64, v71
	v_add_f32_e32 v64, v70, v80
	v_sub_f32_e32 v71, v65, v64
	v_pk_add_f32 v[96:97], v[64:65], v[70:71] neg_lo:[0,1] neg_hi:[0,1]
	v_mov_b32_e32 v81, v64
	v_pk_add_f32 v[64:65], v[96:97], v[80:81] neg_lo:[0,1] neg_hi:[0,1]
	v_add_f32_e32 v65, v99, v65
	v_add_f32_e32 v64, v64, v65
	;; [unrolled: 1-line block ×4, first 2 shown]
	v_sub_f32_e32 v65, v71, v102
	v_mul_f32_e32 v64, v101, v64
	v_sub_f32_e32 v65, v69, v65
	v_add_f32_e32 v64, v65, v64
	v_add_f32_e32 v69, v71, v64
	v_mul_f32_e32 v80, v69, v69
	v_mov_b32_e32 v70, 0x3ecc95a3
	v_fmac_f32_e32 v70, 0x3e9b6dac, v80
	v_mov_b32_e32 v65, 0x3f2aaada
	v_fmac_f32_e32 v65, v80, v70
	v_cvt_f32_i32_e32 v70, v98
	v_sub_f32_e32 v71, v69, v71
	v_sub_f32_e32 v64, v64, v71
	v_ldexp_f32 v96, v64, 1
	v_mul_f32_e32 v71, v69, v80
	v_mov_b32_e32 v64, 0x3f317218
	s_mov_b32 s9, 0x3f317218
	v_pk_mul_f32 v[64:65], v[70:71], v[64:65]
	v_fma_f32 v80, v70, s9, -v64
	v_ldexp_f32 v81, v69, 1
	v_fmac_f32_e32 v80, 0xb102e308, v70
	v_pk_add_f32 v[70:71], v[64:65], v[80:81]
	v_sub_f32_e32 v69, v71, v81
	v_sub_f32_e32 v69, v65, v69
	v_add_f32_e32 v97, v96, v69
	v_mov_b32_e32 v96, v64
	v_pk_add_f32 v[64:65], v[70:71], v[64:65] neg_lo:[0,1] neg_hi:[0,1]
	v_pk_add_f32 v[98:99], v[70:71], v[96:97]
	v_mov_b32_e32 v65, v99
	v_mov_b32_e32 v81, v70
	v_pk_add_f32 v[100:101], v[80:81], v[64:65] neg_lo:[0,1] neg_hi:[0,1]
	v_pk_add_f32 v[64:65], v[80:81], v[64:65]
	v_mov_b32_e32 v80, v65
	v_pk_add_f32 v[102:103], v[80:81], v[70:71] neg_lo:[0,1] neg_hi:[0,1]
	v_mov_b32_e32 v69, v102
	v_pk_add_f32 v[112:113], v[98:99], v[68:69] neg_lo:[0,1] neg_hi:[0,1]
	v_mov_b32_e32 v64, v99
	v_mov_b32_e32 v98, v71
	;; [unrolled: 1-line block ×4, first 2 shown]
	v_pk_add_f32 v[64:65], v[64:65], v[98:99] neg_lo:[0,1] neg_hi:[0,1]
	v_mov_b32_e32 v96, v97
	v_mov_b32_e32 v97, v70
	v_pk_add_f32 v[64:65], v[96:97], v[64:65] neg_lo:[0,1] neg_hi:[0,1]
	v_mov_b32_e32 v112, v100
	v_pk_add_f32 v[70:71], v[112:113], v[64:65]
	v_mov_b32_e32 v96, v71
	v_pk_add_f32 v[96:97], v[70:71], v[96:97]
	v_pk_add_f32 v[80:81], v[80:81], v[96:97]
	v_mov_b32_e32 v71, v80
	v_pk_add_f32 v[98:99], v[70:71], v[100:101] neg_lo:[0,1] neg_hi:[0,1]
	v_mov_b32_e32 v65, v96
	v_sub_f32_e32 v69, v70, v98
	v_pk_add_f32 v[64:65], v[64:65], v[98:99] neg_lo:[0,1] neg_hi:[0,1]
	v_sub_f32_e32 v69, v100, v69
	s_mov_b32 s10, 0x7f800000
	v_add_f32_e32 v64, v64, v69
	s_mov_b32 s9, 0x33800000
	v_add_f32_e32 v64, v64, v65
	v_cmp_eq_f32_e32 vcc, s10, v114
	v_cmp_lt_f32_e64 s[10:11], |v114|, s9
	v_add_f32_e32 v64, v80, v64
	s_or_b64 vcc, vcc, s[10:11]
	v_cndmask_b32_e32 v64, v64, v114, vcc
	v_add_f32_e32 v55, v55, v64
	v_cvt_f16_f32_e32 v97, v55
	v_cvt_f32_f16_e32 v96, v97
	v_mov_b32_e32 v69, v97
.LBB401_242:
	s_or_b64 exec, exec, s[6:7]
	v_max_f32_e32 v55, v82, v82
	v_max_f32_e32 v64, v96, v96
	v_min_f32_e32 v65, v64, v55
	v_cmp_u_f16_e32 vcc, v97, v97
	v_max_f32_e32 v55, v64, v55
	v_cndmask_b32_e32 v65, v65, v96, vcc
	v_cndmask_b32_e32 v55, v55, v96, vcc
	v_cndmask_b32_e64 v65, v65, v82, s[44:45]
	v_cndmask_b32_e64 v64, v55, v82, s[44:45]
	v_cmp_neq_f32_e32 vcc, v65, v64
	v_cmp_class_f32_e64 s[6:7], v65, s8
	s_or_b64 s[8:9], vcc, s[6:7]
	v_mov_b32_e32 v55, v69
	s_and_saveexec_b64 s[6:7], s[8:9]
	s_cbranch_execz .LBB401_244
; %bb.243:
	v_sub_f32_e32 v55, v65, v64
	s_mov_b32 s8, 0x3fb8aa3b
	v_mul_f32_e32 v65, 0x3fb8aa3b, v55
	v_fma_f32 v70, v55, s8, -v65
	v_rndne_f32_e32 v71, v65
	v_fmac_f32_e32 v70, 0x32a5705f, v55
	v_sub_f32_e32 v65, v65, v71
	v_add_f32_e32 v65, v65, v70
	v_exp_f32_e32 v65, v65
	v_cvt_i32_f32_e32 v70, v71
	s_mov_b32 s8, 0xc2ce8ed0
	v_cmp_ngt_f32_e32 vcc, s8, v55
	s_mov_b32 s8, 0x42b17218
	v_ldexp_f32 v65, v65, v70
	v_cndmask_b32_e32 v65, 0, v65, vcc
	v_mov_b32_e32 v70, 0x7f800000
	v_cmp_nlt_f32_e32 vcc, s8, v55
	v_cndmask_b32_e32 v65, v70, v65, vcc
	v_add_f32_e32 v55, 1.0, v65
	v_add_f32_e32 v70, -1.0, v55
	v_sub_f32_e32 v71, v70, v55
	v_add_f32_e32 v71, 1.0, v71
	v_sub_f32_e32 v70, v65, v70
	v_add_f32_e32 v80, v70, v71
	v_frexp_mant_f32_e32 v81, v55
	s_mov_b32 s8, 0x3f2aaaab
	v_cvt_f64_f32_e32 v[70:71], v55
	v_frexp_exp_i32_f64_e32 v70, v[70:71]
	v_cmp_gt_f32_e32 vcc, s8, v81
	v_subbrev_co_u32_e32 v82, vcc, 0, v70, vcc
	v_sub_u32_e32 v70, 0, v82
	v_ldexp_f32 v55, v55, v70
	v_ldexp_f32 v70, v80, v70
	v_add_f32_e32 v80, -1.0, v55
	v_add_f32_e32 v71, 1.0, v80
	v_sub_f32_e32 v71, v55, v71
	v_add_f32_e32 v81, v70, v71
	v_add_f32_e32 v71, 1.0, v55
	v_add_f32_e32 v96, -1.0, v71
	v_sub_f32_e32 v55, v55, v96
	v_add_f32_e32 v55, v70, v55
	v_add_f32_e32 v100, v71, v55
	v_rcp_f32_e32 v101, v100
	v_sub_f32_e32 v70, v71, v100
	v_add_f32_e32 v71, v80, v81
	v_add_f32_e32 v55, v55, v70
	v_mul_f32_e32 v103, v71, v101
	v_sub_f32_e32 v70, v80, v71
	v_mul_f32_e32 v80, v100, v103
	v_fma_f32 v96, v103, v100, -v80
	v_fmac_f32_e32 v96, v103, v55
	v_add_f32_e32 v102, v81, v70
	v_add_f32_e32 v70, v80, v96
	v_sub_f32_e32 v81, v71, v70
	v_pk_add_f32 v[98:99], v[70:71], v[80:81] neg_lo:[0,1] neg_hi:[0,1]
	v_mov_b32_e32 v97, v70
	v_pk_add_f32 v[70:71], v[98:99], v[96:97] neg_lo:[0,1] neg_hi:[0,1]
	v_add_f32_e32 v71, v102, v71
	v_add_f32_e32 v70, v70, v71
	;; [unrolled: 1-line block ×3, first 2 shown]
	v_mul_f32_e32 v102, v101, v71
	v_mul_f32_e32 v80, v100, v102
	v_fma_f32 v96, v102, v100, -v80
	v_fmac_f32_e32 v96, v102, v55
	v_sub_f32_e32 v55, v81, v71
	v_add_f32_e32 v55, v70, v55
	v_add_f32_e32 v70, v80, v96
	v_sub_f32_e32 v81, v71, v70
	v_pk_add_f32 v[98:99], v[70:71], v[80:81] neg_lo:[0,1] neg_hi:[0,1]
	v_mov_b32_e32 v97, v70
	v_pk_add_f32 v[70:71], v[98:99], v[96:97] neg_lo:[0,1] neg_hi:[0,1]
	v_add_f32_e32 v55, v55, v71
	v_add_f32_e32 v55, v70, v55
	;; [unrolled: 1-line block ×4, first 2 shown]
	v_sub_f32_e32 v71, v70, v103
	v_mul_f32_e32 v55, v101, v55
	v_sub_f32_e32 v71, v102, v71
	v_add_f32_e32 v55, v71, v55
	v_add_f32_e32 v81, v70, v55
	v_mul_f32_e32 v96, v81, v81
	v_mov_b32_e32 v80, 0x3ecc95a3
	v_fmac_f32_e32 v80, 0x3e9b6dac, v96
	v_mov_b32_e32 v71, 0x3f2aaada
	v_fmac_f32_e32 v71, v96, v80
	v_cvt_f32_i32_e32 v80, v82
	v_sub_f32_e32 v70, v81, v70
	v_sub_f32_e32 v55, v55, v70
	v_ldexp_f32 v97, v81, 1
	v_mul_f32_e32 v81, v81, v96
	v_mov_b32_e32 v70, 0x3f317218
	s_mov_b32 s8, 0x3f317218
	v_pk_mul_f32 v[70:71], v[80:81], v[70:71]
	v_fma_f32 v96, v80, s8, -v70
	v_fmac_f32_e32 v96, 0xb102e308, v80
	v_pk_add_f32 v[80:81], v[70:71], v[96:97]
	v_sub_f32_e32 v82, v81, v97
	v_ldexp_f32 v55, v55, 1
	v_sub_f32_e32 v82, v71, v82
	v_add_f32_e32 v99, v55, v82
	v_mov_b32_e32 v98, v70
	v_pk_add_f32 v[70:71], v[80:81], v[70:71] neg_lo:[0,1] neg_hi:[0,1]
	v_pk_add_f32 v[100:101], v[80:81], v[98:99]
	v_mov_b32_e32 v71, v101
	v_mov_b32_e32 v97, v80
	v_pk_add_f32 v[102:103], v[96:97], v[70:71] neg_lo:[0,1] neg_hi:[0,1]
	v_pk_add_f32 v[70:71], v[96:97], v[70:71]
	v_mov_b32_e32 v82, v71
	v_pk_add_f32 v[96:97], v[82:83], v[80:81] neg_lo:[0,1] neg_hi:[0,1]
	v_mov_b32_e32 v55, v96
	v_pk_add_f32 v[112:113], v[100:101], v[54:55] neg_lo:[0,1] neg_hi:[0,1]
	v_mov_b32_e32 v70, v101
	v_mov_b32_e32 v100, v81
	;; [unrolled: 1-line block ×4, first 2 shown]
	v_pk_add_f32 v[70:71], v[70:71], v[100:101] neg_lo:[0,1] neg_hi:[0,1]
	v_mov_b32_e32 v96, v99
	v_mov_b32_e32 v97, v80
	v_pk_add_f32 v[70:71], v[96:97], v[70:71] neg_lo:[0,1] neg_hi:[0,1]
	v_mov_b32_e32 v112, v102
	v_pk_add_f32 v[80:81], v[112:113], v[70:71]
	v_mov_b32_e32 v96, v81
	v_pk_add_f32 v[96:97], v[80:81], v[96:97]
	v_pk_add_f32 v[98:99], v[82:83], v[96:97]
	v_mov_b32_e32 v81, v98
	v_pk_add_f32 v[100:101], v[80:81], v[102:103] neg_lo:[0,1] neg_hi:[0,1]
	v_mov_b32_e32 v71, v96
	v_sub_f32_e32 v55, v80, v100
	v_pk_add_f32 v[70:71], v[70:71], v[100:101] neg_lo:[0,1] neg_hi:[0,1]
	v_sub_f32_e32 v55, v102, v55
	s_mov_b32 s9, 0x7f800000
	v_add_f32_e32 v55, v70, v55
	s_mov_b32 s8, 0x33800000
	v_add_f32_e32 v55, v55, v71
	v_cmp_eq_f32_e32 vcc, s9, v65
	v_cmp_lt_f32_e64 s[8:9], |v65|, s8
	v_add_f32_e32 v55, v98, v55
	s_or_b64 vcc, vcc, s[8:9]
	v_cndmask_b32_e32 v55, v55, v65, vcc
	v_add_f32_e32 v55, v64, v55
	v_cvt_f16_f32_e32 v97, v55
	v_cvt_f32_f16_e32 v96, v97
	v_mov_b32_e32 v55, v97
.LBB401_244:
	s_or_b64 exec, exec, s[6:7]
	v_max_f32_e32 v64, v83, v83
	v_max_f32_e32 v70, v96, v96
	v_min_f32_e32 v65, v70, v64
	v_cmp_u_f16_e32 vcc, v97, v97
	v_max_f32_e32 v64, v70, v64
	v_cndmask_b32_e32 v65, v65, v96, vcc
	v_cndmask_b32_e32 v64, v64, v96, vcc
	v_cndmask_b32_e64 v65, v65, v83, s[46:47]
	v_cndmask_b32_e64 v64, v64, v83, s[46:47]
	s_movk_i32 s8, 0x1f8
	v_cmp_neq_f32_e32 vcc, v65, v64
	v_cmp_class_f32_e64 s[6:7], v65, s8
	s_or_b64 s[10:11], vcc, s[6:7]
	v_mov_b32_e32 v70, v55
	s_and_saveexec_b64 s[6:7], s[10:11]
	s_cbranch_execz .LBB401_246
; %bb.245:
	v_sub_f32_e32 v65, v65, v64
	s_mov_b32 s9, 0x3fb8aa3b
	v_mul_f32_e32 v70, 0x3fb8aa3b, v65
	v_fma_f32 v71, v65, s9, -v70
	v_rndne_f32_e32 v80, v70
	v_fmac_f32_e32 v71, 0x32a5705f, v65
	v_sub_f32_e32 v70, v70, v80
	v_add_f32_e32 v70, v70, v71
	v_exp_f32_e32 v70, v70
	v_cvt_i32_f32_e32 v71, v80
	s_mov_b32 s9, 0xc2ce8ed0
	v_cmp_ngt_f32_e32 vcc, s9, v65
	s_mov_b32 s9, 0x42b17218
	v_ldexp_f32 v70, v70, v71
	v_cndmask_b32_e32 v70, 0, v70, vcc
	v_mov_b32_e32 v71, 0x7f800000
	v_cmp_nlt_f32_e32 vcc, s9, v65
	v_cndmask_b32_e32 v114, v71, v70, vcc
	v_add_f32_e32 v65, 1.0, v114
	v_add_f32_e32 v70, -1.0, v65
	v_sub_f32_e32 v71, v70, v65
	v_add_f32_e32 v71, 1.0, v71
	v_sub_f32_e32 v70, v114, v70
	v_add_f32_e32 v80, v70, v71
	v_frexp_mant_f32_e32 v81, v65
	s_mov_b32 s9, 0x3f2aaaab
	v_cvt_f64_f32_e32 v[70:71], v65
	v_frexp_exp_i32_f64_e32 v70, v[70:71]
	v_cmp_gt_f32_e32 vcc, s9, v81
	v_subbrev_co_u32_e32 v98, vcc, 0, v70, vcc
	v_sub_u32_e32 v70, 0, v98
	v_ldexp_f32 v65, v65, v70
	v_ldexp_f32 v70, v80, v70
	v_add_f32_e32 v80, -1.0, v65
	v_add_f32_e32 v71, 1.0, v80
	v_sub_f32_e32 v71, v65, v71
	v_add_f32_e32 v81, v70, v71
	v_add_f32_e32 v71, 1.0, v65
	v_add_f32_e32 v82, -1.0, v71
	v_sub_f32_e32 v65, v65, v82
	v_add_f32_e32 v65, v70, v65
	v_add_f32_e32 v99, v71, v65
	v_rcp_f32_e32 v100, v99
	v_sub_f32_e32 v70, v71, v99
	v_add_f32_e32 v71, v80, v81
	v_add_f32_e32 v65, v65, v70
	v_mul_f32_e32 v102, v71, v100
	v_sub_f32_e32 v70, v80, v71
	v_mul_f32_e32 v80, v99, v102
	v_fma_f32 v82, v102, v99, -v80
	v_fmac_f32_e32 v82, v102, v65
	v_add_f32_e32 v101, v81, v70
	v_add_f32_e32 v70, v80, v82
	v_sub_f32_e32 v81, v71, v70
	v_pk_add_f32 v[96:97], v[70:71], v[80:81] neg_lo:[0,1] neg_hi:[0,1]
	v_mov_b32_e32 v83, v70
	v_pk_add_f32 v[70:71], v[96:97], v[82:83] neg_lo:[0,1] neg_hi:[0,1]
	v_add_f32_e32 v71, v101, v71
	v_add_f32_e32 v70, v70, v71
	;; [unrolled: 1-line block ×3, first 2 shown]
	v_mul_f32_e32 v101, v100, v71
	v_mul_f32_e32 v80, v99, v101
	v_fma_f32 v82, v101, v99, -v80
	v_fmac_f32_e32 v82, v101, v65
	v_sub_f32_e32 v65, v81, v71
	v_add_f32_e32 v65, v70, v65
	v_add_f32_e32 v70, v80, v82
	v_sub_f32_e32 v81, v71, v70
	v_pk_add_f32 v[96:97], v[70:71], v[80:81] neg_lo:[0,1] neg_hi:[0,1]
	v_mov_b32_e32 v83, v70
	v_pk_add_f32 v[70:71], v[96:97], v[82:83] neg_lo:[0,1] neg_hi:[0,1]
	v_add_f32_e32 v65, v65, v71
	v_add_f32_e32 v65, v70, v65
	;; [unrolled: 1-line block ×4, first 2 shown]
	v_sub_f32_e32 v71, v70, v102
	v_mul_f32_e32 v65, v100, v65
	v_sub_f32_e32 v71, v101, v71
	v_add_f32_e32 v65, v71, v65
	v_add_f32_e32 v81, v70, v65
	v_mul_f32_e32 v82, v81, v81
	v_mov_b32_e32 v80, 0x3ecc95a3
	v_fmac_f32_e32 v80, 0x3e9b6dac, v82
	v_mov_b32_e32 v71, 0x3f2aaada
	v_fmac_f32_e32 v71, v82, v80
	v_cvt_f32_i32_e32 v80, v98
	v_sub_f32_e32 v70, v81, v70
	v_sub_f32_e32 v65, v65, v70
	v_ldexp_f32 v83, v81, 1
	v_mul_f32_e32 v81, v81, v82
	v_mov_b32_e32 v70, 0x3f317218
	s_mov_b32 s9, 0x3f317218
	v_pk_mul_f32 v[70:71], v[80:81], v[70:71]
	v_fma_f32 v82, v80, s9, -v70
	v_fmac_f32_e32 v82, 0xb102e308, v80
	v_pk_add_f32 v[80:81], v[70:71], v[82:83]
	v_sub_f32_e32 v83, v81, v83
	v_ldexp_f32 v65, v65, 1
	v_sub_f32_e32 v83, v71, v83
	v_add_f32_e32 v97, v65, v83
	v_mov_b32_e32 v96, v70
	v_pk_add_f32 v[70:71], v[80:81], v[70:71] neg_lo:[0,1] neg_hi:[0,1]
	v_pk_add_f32 v[98:99], v[80:81], v[96:97]
	v_mov_b32_e32 v71, v99
	v_mov_b32_e32 v83, v80
	v_pk_add_f32 v[100:101], v[82:83], v[70:71] neg_lo:[0,1] neg_hi:[0,1]
	v_pk_add_f32 v[70:71], v[82:83], v[70:71]
	v_mov_b32_e32 v82, v71
	v_pk_add_f32 v[102:103], v[82:83], v[80:81] neg_lo:[0,1] neg_hi:[0,1]
	v_mov_b32_e32 v65, v102
	v_pk_add_f32 v[112:113], v[98:99], v[64:65] neg_lo:[0,1] neg_hi:[0,1]
	v_mov_b32_e32 v70, v99
	v_mov_b32_e32 v98, v81
	;; [unrolled: 1-line block ×4, first 2 shown]
	v_pk_add_f32 v[70:71], v[70:71], v[98:99] neg_lo:[0,1] neg_hi:[0,1]
	v_mov_b32_e32 v96, v97
	v_mov_b32_e32 v97, v80
	v_pk_add_f32 v[70:71], v[96:97], v[70:71] neg_lo:[0,1] neg_hi:[0,1]
	v_mov_b32_e32 v112, v100
	v_pk_add_f32 v[80:81], v[112:113], v[70:71]
	v_mov_b32_e32 v96, v81
	v_pk_add_f32 v[96:97], v[80:81], v[96:97]
	v_pk_add_f32 v[82:83], v[82:83], v[96:97]
	v_mov_b32_e32 v81, v82
	v_pk_add_f32 v[98:99], v[80:81], v[100:101] neg_lo:[0,1] neg_hi:[0,1]
	v_mov_b32_e32 v71, v96
	v_sub_f32_e32 v65, v80, v98
	v_pk_add_f32 v[70:71], v[70:71], v[98:99] neg_lo:[0,1] neg_hi:[0,1]
	v_sub_f32_e32 v65, v100, v65
	s_mov_b32 s10, 0x7f800000
	v_add_f32_e32 v65, v70, v65
	s_mov_b32 s9, 0x33800000
	v_add_f32_e32 v65, v65, v71
	v_cmp_eq_f32_e32 vcc, s10, v114
	v_cmp_lt_f32_e64 s[10:11], |v114|, s9
	v_add_f32_e32 v65, v82, v65
	s_or_b64 vcc, vcc, s[10:11]
	v_cndmask_b32_e32 v65, v65, v114, vcc
	v_add_f32_e32 v64, v64, v65
	v_cvt_f16_f32_e32 v97, v64
	v_cvt_f32_f16_e32 v96, v97
	v_mov_b32_e32 v70, v97
.LBB401_246:
	s_or_b64 exec, exec, s[6:7]
	v_max_f32_e32 v64, v84, v84
	v_max_f32_e32 v65, v96, v96
	v_min_f32_e32 v71, v65, v64
	v_cmp_u_f16_e32 vcc, v97, v97
	v_max_f32_e32 v64, v65, v64
	v_cndmask_b32_e32 v71, v71, v96, vcc
	v_cndmask_b32_e32 v64, v64, v96, vcc
	v_cndmask_b32_e64 v71, v71, v84, s[48:49]
	v_cndmask_b32_e64 v65, v64, v84, s[48:49]
	v_cmp_neq_f32_e32 vcc, v71, v65
	v_cmp_class_f32_e64 s[6:7], v71, s8
	s_or_b64 s[8:9], vcc, s[6:7]
	v_mov_b32_e32 v64, v70
	s_and_saveexec_b64 s[6:7], s[8:9]
	s_cbranch_execz .LBB401_248
; %bb.247:
	v_sub_f32_e32 v64, v71, v65
	s_mov_b32 s8, 0x3fb8aa3b
	v_mul_f32_e32 v71, 0x3fb8aa3b, v64
	v_fma_f32 v80, v64, s8, -v71
	v_rndne_f32_e32 v81, v71
	v_fmac_f32_e32 v80, 0x32a5705f, v64
	v_sub_f32_e32 v71, v71, v81
	v_add_f32_e32 v71, v71, v80
	v_exp_f32_e32 v71, v71
	v_cvt_i32_f32_e32 v80, v81
	s_mov_b32 s8, 0xc2ce8ed0
	v_cmp_ngt_f32_e32 vcc, s8, v64
	s_mov_b32 s8, 0x42b17218
	v_ldexp_f32 v71, v71, v80
	v_cndmask_b32_e32 v71, 0, v71, vcc
	v_mov_b32_e32 v80, 0x7f800000
	v_cmp_nlt_f32_e32 vcc, s8, v64
	v_cndmask_b32_e32 v114, v80, v71, vcc
	v_add_f32_e32 v64, 1.0, v114
	v_add_f32_e32 v71, -1.0, v64
	v_sub_f32_e32 v80, v71, v64
	v_add_f32_e32 v80, 1.0, v80
	v_sub_f32_e32 v71, v114, v71
	v_add_f32_e32 v71, v71, v80
	v_frexp_mant_f32_e32 v82, v64
	s_mov_b32 s8, 0x3f2aaaab
	v_cvt_f64_f32_e32 v[80:81], v64
	v_frexp_exp_i32_f64_e32 v80, v[80:81]
	v_cmp_gt_f32_e32 vcc, s8, v82
	v_subbrev_co_u32_e32 v84, vcc, 0, v80, vcc
	v_sub_u32_e32 v80, 0, v84
	v_ldexp_f32 v64, v64, v80
	v_ldexp_f32 v71, v71, v80
	v_add_f32_e32 v80, -1.0, v64
	v_add_f32_e32 v81, 1.0, v80
	v_sub_f32_e32 v81, v64, v81
	v_add_f32_e32 v82, v71, v81
	v_add_f32_e32 v81, 1.0, v64
	v_add_f32_e32 v83, -1.0, v81
	v_sub_f32_e32 v64, v64, v83
	v_add_f32_e32 v64, v71, v64
	v_add_f32_e32 v71, v81, v64
	v_rcp_f32_e32 v100, v71
	v_sub_f32_e32 v81, v81, v71
	v_add_f32_e32 v64, v64, v81
	v_add_f32_e32 v81, v80, v82
	v_sub_f32_e32 v80, v80, v81
	v_mul_f32_e32 v102, v81, v100
	v_add_f32_e32 v101, v82, v80
	v_mul_f32_e32 v82, v71, v102
	v_fma_f32 v96, v102, v71, -v82
	v_fmac_f32_e32 v96, v102, v64
	v_add_f32_e32 v80, v82, v96
	v_sub_f32_e32 v83, v81, v80
	v_pk_add_f32 v[98:99], v[80:81], v[82:83] neg_lo:[0,1] neg_hi:[0,1]
	v_mov_b32_e32 v97, v80
	v_pk_add_f32 v[80:81], v[98:99], v[96:97] neg_lo:[0,1] neg_hi:[0,1]
	v_add_f32_e32 v81, v101, v81
	v_add_f32_e32 v80, v80, v81
	;; [unrolled: 1-line block ×3, first 2 shown]
	v_mul_f32_e32 v101, v100, v81
	v_mul_f32_e32 v82, v71, v101
	v_fma_f32 v96, v101, v71, -v82
	v_fmac_f32_e32 v96, v101, v64
	v_sub_f32_e32 v64, v83, v81
	v_add_f32_e32 v64, v80, v64
	v_add_f32_e32 v80, v82, v96
	v_sub_f32_e32 v83, v81, v80
	v_pk_add_f32 v[98:99], v[80:81], v[82:83] neg_lo:[0,1] neg_hi:[0,1]
	v_mov_b32_e32 v97, v80
	v_pk_add_f32 v[80:81], v[98:99], v[96:97] neg_lo:[0,1] neg_hi:[0,1]
	v_add_f32_e32 v64, v64, v81
	v_add_f32_e32 v64, v80, v64
	v_add_f32_e32 v71, v102, v101
	v_add_f32_e32 v64, v83, v64
	v_sub_f32_e32 v80, v71, v102
	v_mul_f32_e32 v64, v100, v64
	v_sub_f32_e32 v80, v101, v80
	v_add_f32_e32 v64, v80, v64
	v_add_f32_e32 v80, v71, v64
	v_mul_f32_e32 v83, v80, v80
	v_mov_b32_e32 v82, 0x3ecc95a3
	v_fmac_f32_e32 v82, 0x3e9b6dac, v83
	v_mov_b32_e32 v81, 0x3f2aaada
	v_fmac_f32_e32 v81, v83, v82
	v_cvt_f32_i32_e32 v82, v84
	v_sub_f32_e32 v71, v80, v71
	v_ldexp_f32 v97, v80, 1
	v_mul_f32_e32 v83, v80, v83
	v_mov_b32_e32 v80, 0x3f317218
	s_mov_b32 s8, 0x3f317218
	v_pk_mul_f32 v[80:81], v[82:83], v[80:81]
	v_fma_f32 v96, v82, s8, -v80
	v_fmac_f32_e32 v96, 0xb102e308, v82
	v_pk_add_f32 v[82:83], v[80:81], v[96:97]
	v_sub_f32_e32 v64, v64, v71
	v_sub_f32_e32 v71, v83, v97
	v_ldexp_f32 v64, v64, 1
	v_sub_f32_e32 v71, v81, v71
	v_add_f32_e32 v99, v64, v71
	v_mov_b32_e32 v98, v80
	v_pk_add_f32 v[80:81], v[82:83], v[80:81] neg_lo:[0,1] neg_hi:[0,1]
	v_pk_add_f32 v[100:101], v[82:83], v[98:99]
	v_mov_b32_e32 v81, v101
	v_mov_b32_e32 v97, v82
	v_pk_add_f32 v[102:103], v[96:97], v[80:81] neg_lo:[0,1] neg_hi:[0,1]
	v_pk_add_f32 v[80:81], v[96:97], v[80:81]
	v_mov_b32_e32 v64, v81
	v_pk_add_f32 v[96:97], v[64:65], v[82:83] neg_lo:[0,1] neg_hi:[0,1]
	v_mov_b32_e32 v71, v96
	v_pk_add_f32 v[112:113], v[100:101], v[70:71] neg_lo:[0,1] neg_hi:[0,1]
	v_mov_b32_e32 v80, v101
	v_mov_b32_e32 v100, v83
	;; [unrolled: 1-line block ×4, first 2 shown]
	v_pk_add_f32 v[80:81], v[80:81], v[100:101] neg_lo:[0,1] neg_hi:[0,1]
	v_mov_b32_e32 v96, v99
	v_mov_b32_e32 v97, v82
	v_pk_add_f32 v[80:81], v[96:97], v[80:81] neg_lo:[0,1] neg_hi:[0,1]
	v_mov_b32_e32 v112, v102
	v_pk_add_f32 v[82:83], v[112:113], v[80:81]
	v_mov_b32_e32 v84, v83
	v_pk_add_f32 v[96:97], v[82:83], v[84:85]
	v_pk_add_f32 v[98:99], v[64:65], v[96:97]
	v_mov_b32_e32 v83, v98
	v_pk_add_f32 v[100:101], v[82:83], v[102:103] neg_lo:[0,1] neg_hi:[0,1]
	v_mov_b32_e32 v81, v96
	v_sub_f32_e32 v64, v82, v100
	v_pk_add_f32 v[80:81], v[80:81], v[100:101] neg_lo:[0,1] neg_hi:[0,1]
	v_sub_f32_e32 v64, v102, v64
	s_mov_b32 s9, 0x7f800000
	v_add_f32_e32 v64, v80, v64
	s_mov_b32 s8, 0x33800000
	v_add_f32_e32 v64, v64, v81
	v_cmp_eq_f32_e32 vcc, s9, v114
	v_cmp_lt_f32_e64 s[8:9], |v114|, s8
	v_add_f32_e32 v64, v98, v64
	s_or_b64 vcc, vcc, s[8:9]
	v_cndmask_b32_e32 v64, v64, v114, vcc
	v_add_f32_e32 v64, v65, v64
	v_cvt_f16_f32_e32 v97, v64
	v_cvt_f32_f16_e32 v96, v97
	v_mov_b32_e32 v64, v97
.LBB401_248:
	s_or_b64 exec, exec, s[6:7]
	v_max_f32_e32 v65, v85, v85
	v_max_f32_e32 v71, v96, v96
	v_min_f32_e32 v80, v71, v65
	v_cmp_u_f16_e32 vcc, v97, v97
	v_max_f32_e32 v65, v71, v65
	v_cndmask_b32_e32 v80, v80, v96, vcc
	v_cndmask_b32_e32 v65, v65, v96, vcc
	v_cndmask_b32_e64 v80, v80, v85, s[50:51]
	v_cndmask_b32_e64 v65, v65, v85, s[50:51]
	s_movk_i32 s8, 0x1f8
	v_cmp_neq_f32_e32 vcc, v80, v65
	v_cmp_class_f32_e64 s[6:7], v80, s8
	s_or_b64 s[10:11], vcc, s[6:7]
	v_mov_b32_e32 v71, v64
	s_and_saveexec_b64 s[6:7], s[10:11]
	s_cbranch_execz .LBB401_250
; %bb.249:
	v_sub_f32_e32 v71, v80, v65
	s_mov_b32 s9, 0x3fb8aa3b
	v_mul_f32_e32 v80, 0x3fb8aa3b, v71
	v_fma_f32 v81, v71, s9, -v80
	v_rndne_f32_e32 v82, v80
	v_fmac_f32_e32 v81, 0x32a5705f, v71
	v_sub_f32_e32 v80, v80, v82
	v_add_f32_e32 v80, v80, v81
	v_exp_f32_e32 v80, v80
	v_cvt_i32_f32_e32 v81, v82
	s_mov_b32 s9, 0xc2ce8ed0
	v_cmp_ngt_f32_e32 vcc, s9, v71
	s_mov_b32 s9, 0x42b17218
	v_ldexp_f32 v80, v80, v81
	v_cndmask_b32_e32 v80, 0, v80, vcc
	v_mov_b32_e32 v81, 0x7f800000
	v_cmp_nlt_f32_e32 vcc, s9, v71
	v_cndmask_b32_e32 v114, v81, v80, vcc
	v_add_f32_e32 v71, 1.0, v114
	v_add_f32_e32 v80, -1.0, v71
	v_sub_f32_e32 v81, v80, v71
	v_add_f32_e32 v81, 1.0, v81
	v_sub_f32_e32 v80, v114, v80
	v_add_f32_e32 v82, v80, v81
	v_frexp_mant_f32_e32 v83, v71
	s_mov_b32 s9, 0x3f2aaaab
	v_cvt_f64_f32_e32 v[80:81], v71
	v_frexp_exp_i32_f64_e32 v80, v[80:81]
	v_cmp_gt_f32_e32 vcc, s9, v83
	v_subbrev_co_u32_e32 v98, vcc, 0, v80, vcc
	v_sub_u32_e32 v80, 0, v98
	v_ldexp_f32 v71, v71, v80
	v_ldexp_f32 v80, v82, v80
	v_add_f32_e32 v82, -1.0, v71
	v_add_f32_e32 v81, 1.0, v82
	v_sub_f32_e32 v81, v71, v81
	v_add_f32_e32 v83, v80, v81
	v_add_f32_e32 v81, 1.0, v71
	v_add_f32_e32 v84, -1.0, v81
	v_sub_f32_e32 v71, v71, v84
	v_add_f32_e32 v71, v80, v71
	v_add_f32_e32 v99, v81, v71
	v_rcp_f32_e32 v100, v99
	v_sub_f32_e32 v80, v81, v99
	v_add_f32_e32 v81, v82, v83
	v_add_f32_e32 v71, v71, v80
	v_mul_f32_e32 v102, v81, v100
	v_sub_f32_e32 v80, v82, v81
	v_mul_f32_e32 v82, v99, v102
	v_fma_f32 v84, v102, v99, -v82
	v_fmac_f32_e32 v84, v102, v71
	v_add_f32_e32 v101, v83, v80
	v_add_f32_e32 v80, v82, v84
	v_sub_f32_e32 v83, v81, v80
	v_pk_add_f32 v[96:97], v[80:81], v[82:83] neg_lo:[0,1] neg_hi:[0,1]
	v_mov_b32_e32 v85, v80
	v_pk_add_f32 v[80:81], v[96:97], v[84:85] neg_lo:[0,1] neg_hi:[0,1]
	v_add_f32_e32 v81, v101, v81
	v_add_f32_e32 v80, v80, v81
	;; [unrolled: 1-line block ×3, first 2 shown]
	v_mul_f32_e32 v101, v100, v81
	v_mul_f32_e32 v82, v99, v101
	v_fma_f32 v84, v101, v99, -v82
	v_fmac_f32_e32 v84, v101, v71
	v_sub_f32_e32 v71, v83, v81
	v_add_f32_e32 v71, v80, v71
	v_add_f32_e32 v80, v82, v84
	v_sub_f32_e32 v83, v81, v80
	v_pk_add_f32 v[96:97], v[80:81], v[82:83] neg_lo:[0,1] neg_hi:[0,1]
	v_mov_b32_e32 v85, v80
	v_pk_add_f32 v[80:81], v[96:97], v[84:85] neg_lo:[0,1] neg_hi:[0,1]
	v_add_f32_e32 v71, v71, v81
	v_add_f32_e32 v71, v80, v71
	;; [unrolled: 1-line block ×4, first 2 shown]
	v_sub_f32_e32 v81, v80, v102
	v_mul_f32_e32 v71, v100, v71
	v_sub_f32_e32 v81, v101, v81
	v_add_f32_e32 v71, v81, v71
	v_add_f32_e32 v83, v80, v71
	v_mul_f32_e32 v84, v83, v83
	v_mov_b32_e32 v82, 0x3ecc95a3
	v_fmac_f32_e32 v82, 0x3e9b6dac, v84
	v_mov_b32_e32 v81, 0x3f2aaada
	v_fmac_f32_e32 v81, v84, v82
	v_cvt_f32_i32_e32 v82, v98
	v_sub_f32_e32 v80, v83, v80
	v_sub_f32_e32 v71, v71, v80
	v_ldexp_f32 v85, v83, 1
	v_mul_f32_e32 v83, v83, v84
	v_mov_b32_e32 v80, 0x3f317218
	s_mov_b32 s9, 0x3f317218
	v_pk_mul_f32 v[80:81], v[82:83], v[80:81]
	v_fma_f32 v84, v82, s9, -v80
	v_fmac_f32_e32 v84, 0xb102e308, v82
	v_pk_add_f32 v[82:83], v[80:81], v[84:85]
	v_sub_f32_e32 v85, v83, v85
	v_ldexp_f32 v71, v71, 1
	v_sub_f32_e32 v85, v81, v85
	v_add_f32_e32 v97, v71, v85
	v_mov_b32_e32 v96, v80
	v_pk_add_f32 v[80:81], v[82:83], v[80:81] neg_lo:[0,1] neg_hi:[0,1]
	v_pk_add_f32 v[98:99], v[82:83], v[96:97]
	v_mov_b32_e32 v81, v99
	v_mov_b32_e32 v85, v82
	v_pk_add_f32 v[100:101], v[84:85], v[80:81] neg_lo:[0,1] neg_hi:[0,1]
	v_pk_add_f32 v[80:81], v[84:85], v[80:81]
	v_mov_b32_e32 v84, v81
	v_pk_add_f32 v[102:103], v[84:85], v[82:83] neg_lo:[0,1] neg_hi:[0,1]
	v_mov_b32_e32 v71, v102
	v_pk_add_f32 v[112:113], v[98:99], v[70:71] neg_lo:[0,1] neg_hi:[0,1]
	v_mov_b32_e32 v80, v99
	v_mov_b32_e32 v98, v83
	;; [unrolled: 1-line block ×4, first 2 shown]
	v_pk_add_f32 v[80:81], v[80:81], v[98:99] neg_lo:[0,1] neg_hi:[0,1]
	v_mov_b32_e32 v96, v97
	v_mov_b32_e32 v97, v82
	v_pk_add_f32 v[80:81], v[96:97], v[80:81] neg_lo:[0,1] neg_hi:[0,1]
	v_mov_b32_e32 v112, v100
	v_pk_add_f32 v[82:83], v[112:113], v[80:81]
	v_mov_b32_e32 v96, v83
	v_pk_add_f32 v[96:97], v[82:83], v[96:97]
	v_pk_add_f32 v[84:85], v[84:85], v[96:97]
	v_mov_b32_e32 v83, v84
	v_pk_add_f32 v[98:99], v[82:83], v[100:101] neg_lo:[0,1] neg_hi:[0,1]
	v_mov_b32_e32 v81, v96
	v_sub_f32_e32 v71, v82, v98
	v_pk_add_f32 v[80:81], v[80:81], v[98:99] neg_lo:[0,1] neg_hi:[0,1]
	v_sub_f32_e32 v71, v100, v71
	s_mov_b32 s10, 0x7f800000
	v_add_f32_e32 v71, v80, v71
	s_mov_b32 s9, 0x33800000
	v_add_f32_e32 v71, v71, v81
	v_cmp_eq_f32_e32 vcc, s10, v114
	v_cmp_lt_f32_e64 s[10:11], |v114|, s9
	v_add_f32_e32 v71, v84, v71
	s_or_b64 vcc, vcc, s[10:11]
	v_cndmask_b32_e32 v71, v71, v114, vcc
	v_add_f32_e32 v65, v65, v71
	v_cvt_f16_f32_e32 v97, v65
	v_cvt_f32_f16_e32 v96, v97
	v_mov_b32_e32 v71, v97
.LBB401_250:
	s_or_b64 exec, exec, s[6:7]
	v_max_f32_e32 v65, v86, v86
	v_max_f32_e32 v80, v96, v96
	v_min_f32_e32 v81, v80, v65
	v_cmp_u_f16_e32 vcc, v97, v97
	v_max_f32_e32 v65, v80, v65
	v_cndmask_b32_e32 v81, v81, v96, vcc
	v_cndmask_b32_e32 v65, v65, v96, vcc
	v_cndmask_b32_e64 v81, v81, v86, s[52:53]
	v_cndmask_b32_e64 v80, v65, v86, s[52:53]
	v_cmp_neq_f32_e32 vcc, v81, v80
	v_cmp_class_f32_e64 s[6:7], v81, s8
	s_or_b64 s[8:9], vcc, s[6:7]
	v_mov_b32_e32 v65, v71
	s_and_saveexec_b64 s[6:7], s[8:9]
	s_cbranch_execz .LBB401_252
; %bb.251:
	v_sub_f32_e32 v65, v81, v80
	s_mov_b32 s8, 0x3fb8aa3b
	v_mul_f32_e32 v81, 0x3fb8aa3b, v65
	v_fma_f32 v82, v65, s8, -v81
	v_rndne_f32_e32 v83, v81
	v_fmac_f32_e32 v82, 0x32a5705f, v65
	v_sub_f32_e32 v81, v81, v83
	v_add_f32_e32 v81, v81, v82
	v_exp_f32_e32 v81, v81
	v_cvt_i32_f32_e32 v82, v83
	s_mov_b32 s8, 0xc2ce8ed0
	v_cmp_ngt_f32_e32 vcc, s8, v65
	s_mov_b32 s8, 0x42b17218
	v_ldexp_f32 v81, v81, v82
	v_cndmask_b32_e32 v81, 0, v81, vcc
	v_mov_b32_e32 v82, 0x7f800000
	v_cmp_nlt_f32_e32 vcc, s8, v65
	v_cndmask_b32_e32 v81, v82, v81, vcc
	v_add_f32_e32 v65, 1.0, v81
	v_add_f32_e32 v82, -1.0, v65
	v_sub_f32_e32 v83, v82, v65
	v_add_f32_e32 v83, 1.0, v83
	v_sub_f32_e32 v82, v81, v82
	v_add_f32_e32 v84, v82, v83
	v_frexp_mant_f32_e32 v85, v65
	s_mov_b32 s8, 0x3f2aaaab
	v_cvt_f64_f32_e32 v[82:83], v65
	v_frexp_exp_i32_f64_e32 v82, v[82:83]
	v_cmp_gt_f32_e32 vcc, s8, v85
	v_subbrev_co_u32_e32 v86, vcc, 0, v82, vcc
	v_sub_u32_e32 v82, 0, v86
	v_ldexp_f32 v65, v65, v82
	v_ldexp_f32 v82, v84, v82
	v_add_f32_e32 v84, -1.0, v65
	v_add_f32_e32 v83, 1.0, v84
	v_sub_f32_e32 v83, v65, v83
	v_add_f32_e32 v85, v82, v83
	v_add_f32_e32 v83, 1.0, v65
	v_add_f32_e32 v96, -1.0, v83
	v_sub_f32_e32 v65, v65, v96
	v_add_f32_e32 v65, v82, v65
	v_add_f32_e32 v100, v83, v65
	v_rcp_f32_e32 v101, v100
	v_sub_f32_e32 v82, v83, v100
	v_add_f32_e32 v83, v84, v85
	v_add_f32_e32 v65, v65, v82
	v_mul_f32_e32 v103, v83, v101
	v_sub_f32_e32 v82, v84, v83
	v_mul_f32_e32 v84, v100, v103
	v_fma_f32 v96, v103, v100, -v84
	v_fmac_f32_e32 v96, v103, v65
	v_add_f32_e32 v102, v85, v82
	v_add_f32_e32 v82, v84, v96
	v_sub_f32_e32 v85, v83, v82
	v_pk_add_f32 v[98:99], v[82:83], v[84:85] neg_lo:[0,1] neg_hi:[0,1]
	v_mov_b32_e32 v97, v82
	v_pk_add_f32 v[82:83], v[98:99], v[96:97] neg_lo:[0,1] neg_hi:[0,1]
	v_add_f32_e32 v83, v102, v83
	v_add_f32_e32 v82, v82, v83
	v_add_f32_e32 v83, v85, v82
	v_mul_f32_e32 v102, v101, v83
	v_mul_f32_e32 v84, v100, v102
	v_fma_f32 v96, v102, v100, -v84
	v_fmac_f32_e32 v96, v102, v65
	v_sub_f32_e32 v65, v85, v83
	v_add_f32_e32 v65, v82, v65
	v_add_f32_e32 v82, v84, v96
	v_sub_f32_e32 v85, v83, v82
	v_pk_add_f32 v[98:99], v[82:83], v[84:85] neg_lo:[0,1] neg_hi:[0,1]
	v_mov_b32_e32 v97, v82
	v_pk_add_f32 v[82:83], v[98:99], v[96:97] neg_lo:[0,1] neg_hi:[0,1]
	v_add_f32_e32 v65, v65, v83
	v_add_f32_e32 v65, v82, v65
	;; [unrolled: 1-line block ×4, first 2 shown]
	v_sub_f32_e32 v83, v82, v103
	v_mul_f32_e32 v65, v101, v65
	v_sub_f32_e32 v83, v102, v83
	v_add_f32_e32 v65, v83, v65
	v_add_f32_e32 v85, v82, v65
	v_mul_f32_e32 v96, v85, v85
	v_mov_b32_e32 v84, 0x3ecc95a3
	v_fmac_f32_e32 v84, 0x3e9b6dac, v96
	v_mov_b32_e32 v83, 0x3f2aaada
	v_fmac_f32_e32 v83, v96, v84
	v_cvt_f32_i32_e32 v84, v86
	v_sub_f32_e32 v82, v85, v82
	v_sub_f32_e32 v65, v65, v82
	v_ldexp_f32 v97, v85, 1
	v_mul_f32_e32 v85, v85, v96
	v_mov_b32_e32 v82, 0x3f317218
	s_mov_b32 s8, 0x3f317218
	v_pk_mul_f32 v[82:83], v[84:85], v[82:83]
	v_fma_f32 v96, v84, s8, -v82
	v_fmac_f32_e32 v96, 0xb102e308, v84
	v_pk_add_f32 v[84:85], v[82:83], v[96:97]
	v_sub_f32_e32 v86, v85, v97
	v_ldexp_f32 v65, v65, 1
	v_sub_f32_e32 v86, v83, v86
	v_add_f32_e32 v99, v65, v86
	v_mov_b32_e32 v98, v82
	v_pk_add_f32 v[82:83], v[84:85], v[82:83] neg_lo:[0,1] neg_hi:[0,1]
	v_pk_add_f32 v[100:101], v[84:85], v[98:99]
	v_mov_b32_e32 v83, v101
	v_mov_b32_e32 v97, v84
	v_pk_add_f32 v[102:103], v[96:97], v[82:83] neg_lo:[0,1] neg_hi:[0,1]
	v_pk_add_f32 v[82:83], v[96:97], v[82:83]
	v_mov_b32_e32 v86, v83
	v_pk_add_f32 v[96:97], v[86:87], v[84:85] neg_lo:[0,1] neg_hi:[0,1]
	v_mov_b32_e32 v65, v96
	v_pk_add_f32 v[112:113], v[100:101], v[64:65] neg_lo:[0,1] neg_hi:[0,1]
	v_mov_b32_e32 v82, v101
	v_mov_b32_e32 v100, v85
	;; [unrolled: 1-line block ×4, first 2 shown]
	v_pk_add_f32 v[82:83], v[82:83], v[100:101] neg_lo:[0,1] neg_hi:[0,1]
	v_mov_b32_e32 v96, v99
	v_mov_b32_e32 v97, v84
	v_pk_add_f32 v[82:83], v[96:97], v[82:83] neg_lo:[0,1] neg_hi:[0,1]
	v_mov_b32_e32 v112, v102
	v_pk_add_f32 v[84:85], v[112:113], v[82:83]
	v_mov_b32_e32 v96, v85
	v_pk_add_f32 v[96:97], v[84:85], v[96:97]
	v_pk_add_f32 v[98:99], v[86:87], v[96:97]
	v_mov_b32_e32 v85, v98
	v_pk_add_f32 v[100:101], v[84:85], v[102:103] neg_lo:[0,1] neg_hi:[0,1]
	v_mov_b32_e32 v83, v96
	v_sub_f32_e32 v65, v84, v100
	v_pk_add_f32 v[82:83], v[82:83], v[100:101] neg_lo:[0,1] neg_hi:[0,1]
	v_sub_f32_e32 v65, v102, v65
	s_mov_b32 s9, 0x7f800000
	v_add_f32_e32 v65, v82, v65
	s_mov_b32 s8, 0x33800000
	v_add_f32_e32 v65, v65, v83
	v_cmp_eq_f32_e32 vcc, s9, v81
	v_cmp_lt_f32_e64 s[8:9], |v81|, s8
	v_add_f32_e32 v65, v98, v65
	s_or_b64 vcc, vcc, s[8:9]
	v_cndmask_b32_e32 v65, v65, v81, vcc
	v_add_f32_e32 v65, v80, v65
	v_cvt_f16_f32_e32 v65, v65
.LBB401_252:
	s_or_b64 exec, exec, s[6:7]
	s_branch .LBB401_383
.LBB401_253:
                                        ; implicit-def: $vgpr26
                                        ; implicit-def: $vgpr27
                                        ; implicit-def: $vgpr30
                                        ; implicit-def: $vgpr31
                                        ; implicit-def: $vgpr32
                                        ; implicit-def: $vgpr33
                                        ; implicit-def: $vgpr34
                                        ; implicit-def: $vgpr35
                                        ; implicit-def: $vgpr49
                                        ; implicit-def: $vgpr50
                                        ; implicit-def: $vgpr87
                                        ; implicit-def: $vgpr51
                                        ; implicit-def: $vgpr66
                                        ; implicit-def: $vgpr52
                                        ; implicit-def: $vgpr67
                                        ; implicit-def: $vgpr53
                                        ; implicit-def: $vgpr68
                                        ; implicit-def: $vgpr54
                                        ; implicit-def: $vgpr69
                                        ; implicit-def: $vgpr55
                                        ; implicit-def: $vgpr70
                                        ; implicit-def: $vgpr64
                                        ; implicit-def: $vgpr71
                                        ; implicit-def: $vgpr65
	s_cbranch_execz .LBB401_383
; %bb.254:
	v_cmp_ne_u64_e32 vcc, 0, v[6:7]
	v_cmp_eq_u32_e64 s[6:7], 0, v0
	v_cmp_ne_u32_e64 s[8:9], 0, v0
	s_and_b64 s[10:11], s[6:7], vcc
	v_mov_b32_e32 v26, v20
	s_and_saveexec_b64 s[6:7], s[10:11]
	s_cbranch_execz .LBB401_258
; %bb.255:
	flat_load_ushort v26, v[2:3]
	v_cvt_f32_f16_e32 v2, v20
	s_movk_i32 s10, 0x1f8
	s_waitcnt vmcnt(0) lgkmcnt(0)
	v_cvt_f32_f16_e32 v3, v26
	v_cmp_u_f16_e32 vcc, v26, v26
	v_min_f32_e32 v6, v3, v2
	v_max_f32_e32 v7, v3, v2
	v_cndmask_b32_e32 v6, v6, v3, vcc
	v_cndmask_b32_e32 v7, v7, v3, vcc
	v_cmp_u_f16_e32 vcc, v20, v20
	v_cndmask_b32_e32 v3, v6, v2, vcc
	v_cndmask_b32_e32 v2, v7, v2, vcc
	v_cmp_neq_f32_e32 vcc, v3, v2
	v_cmp_class_f32_e64 s[10:11], v3, s10
	s_or_b64 s[12:13], vcc, s[10:11]
	s_and_saveexec_b64 s[10:11], s[12:13]
	s_cbranch_execz .LBB401_257
; %bb.256:
	v_sub_f32_e32 v3, v3, v2
	s_mov_b32 s12, 0x3fb8aa3b
	v_mul_f32_e32 v6, 0x3fb8aa3b, v3
	v_fma_f32 v7, v3, s12, -v6
	v_rndne_f32_e32 v26, v6
	v_fmac_f32_e32 v7, 0x32a5705f, v3
	v_sub_f32_e32 v6, v6, v26
	v_add_f32_e32 v6, v6, v7
	v_exp_f32_e32 v6, v6
	v_cvt_i32_f32_e32 v7, v26
	s_mov_b32 s12, 0xc2ce8ed0
	v_cmp_ngt_f32_e32 vcc, s12, v3
	s_mov_b32 s12, 0x42b17218
	v_ldexp_f32 v6, v6, v7
	v_cndmask_b32_e32 v6, 0, v6, vcc
	v_mov_b32_e32 v7, 0x7f800000
	v_cmp_nlt_f32_e32 vcc, s12, v3
	v_cndmask_b32_e32 v49, v7, v6, vcc
	v_add_f32_e32 v3, 1.0, v49
	v_add_f32_e32 v6, -1.0, v3
	v_sub_f32_e32 v7, v6, v3
	v_add_f32_e32 v7, 1.0, v7
	v_sub_f32_e32 v6, v49, v6
	v_add_f32_e32 v26, v6, v7
	v_frexp_mant_f32_e32 v27, v3
	s_mov_b32 s12, 0x3f2aaaab
	v_cvt_f64_f32_e32 v[6:7], v3
	v_frexp_exp_i32_f64_e32 v6, v[6:7]
	v_cmp_gt_f32_e32 vcc, s12, v27
	v_subbrev_co_u32_e32 v34, vcc, 0, v6, vcc
	v_sub_u32_e32 v6, 0, v34
	v_ldexp_f32 v3, v3, v6
	v_ldexp_f32 v6, v26, v6
	v_add_f32_e32 v26, -1.0, v3
	v_add_f32_e32 v7, 1.0, v26
	v_sub_f32_e32 v7, v3, v7
	v_add_f32_e32 v27, v6, v7
	v_add_f32_e32 v7, 1.0, v3
	v_add_f32_e32 v30, -1.0, v7
	v_sub_f32_e32 v3, v3, v30
	v_add_f32_e32 v3, v6, v3
	v_add_f32_e32 v35, v7, v3
	v_rcp_f32_e32 v50, v35
	v_sub_f32_e32 v6, v7, v35
	v_add_f32_e32 v7, v26, v27
	v_add_f32_e32 v3, v3, v6
	v_mul_f32_e32 v52, v7, v50
	v_sub_f32_e32 v6, v26, v7
	v_mul_f32_e32 v26, v35, v52
	v_fma_f32 v30, v52, v35, -v26
	v_fmac_f32_e32 v30, v52, v3
	v_add_f32_e32 v51, v27, v6
	v_add_f32_e32 v6, v26, v30
	v_sub_f32_e32 v27, v7, v6
	v_pk_add_f32 v[32:33], v[6:7], v[26:27] neg_lo:[0,1] neg_hi:[0,1]
	v_mov_b32_e32 v31, v6
	v_pk_add_f32 v[6:7], v[32:33], v[30:31] neg_lo:[0,1] neg_hi:[0,1]
	v_add_f32_e32 v7, v51, v7
	v_add_f32_e32 v6, v6, v7
	;; [unrolled: 1-line block ×3, first 2 shown]
	v_mul_f32_e32 v51, v50, v7
	v_mul_f32_e32 v26, v35, v51
	v_fma_f32 v30, v51, v35, -v26
	v_fmac_f32_e32 v30, v51, v3
	v_sub_f32_e32 v3, v27, v7
	v_add_f32_e32 v3, v6, v3
	v_add_f32_e32 v6, v26, v30
	v_sub_f32_e32 v27, v7, v6
	v_pk_add_f32 v[32:33], v[6:7], v[26:27] neg_lo:[0,1] neg_hi:[0,1]
	v_mov_b32_e32 v31, v6
	v_pk_add_f32 v[6:7], v[32:33], v[30:31] neg_lo:[0,1] neg_hi:[0,1]
	v_add_f32_e32 v3, v3, v7
	v_add_f32_e32 v3, v6, v3
	;; [unrolled: 1-line block ×4, first 2 shown]
	v_sub_f32_e32 v7, v6, v52
	v_mul_f32_e32 v3, v50, v3
	v_sub_f32_e32 v7, v51, v7
	v_add_f32_e32 v3, v7, v3
	v_add_f32_e32 v27, v6, v3
	v_mul_f32_e32 v30, v27, v27
	v_mov_b32_e32 v26, 0x3ecc95a3
	v_fmac_f32_e32 v26, 0x3e9b6dac, v30
	v_mov_b32_e32 v7, 0x3f2aaada
	v_fmac_f32_e32 v7, v30, v26
	v_cvt_f32_i32_e32 v26, v34
	v_sub_f32_e32 v6, v27, v6
	v_sub_f32_e32 v3, v3, v6
	v_ldexp_f32 v31, v27, 1
	v_mul_f32_e32 v27, v27, v30
	v_mov_b32_e32 v6, 0x3f317218
	s_mov_b32 s12, 0x3f317218
	v_pk_mul_f32 v[6:7], v[26:27], v[6:7]
	v_fma_f32 v30, v26, s12, -v6
	v_fmac_f32_e32 v30, 0xb102e308, v26
	v_pk_add_f32 v[26:27], v[6:7], v[30:31]
	v_sub_f32_e32 v31, v27, v31
	v_ldexp_f32 v3, v3, 1
	v_sub_f32_e32 v31, v7, v31
	v_add_f32_e32 v33, v3, v31
	v_mov_b32_e32 v32, v6
	v_pk_add_f32 v[6:7], v[26:27], v[6:7] neg_lo:[0,1] neg_hi:[0,1]
	v_pk_add_f32 v[34:35], v[26:27], v[32:33]
	v_mov_b32_e32 v7, v35
	v_mov_b32_e32 v31, v26
	v_pk_add_f32 v[50:51], v[30:31], v[6:7] neg_lo:[0,1] neg_hi:[0,1]
	v_pk_add_f32 v[6:7], v[30:31], v[6:7]
	v_mov_b32_e32 v30, v7
	v_pk_add_f32 v[52:53], v[30:31], v[26:27] neg_lo:[0,1] neg_hi:[0,1]
	v_mov_b32_e32 v3, v52
	v_pk_add_f32 v[54:55], v[34:35], v[2:3] neg_lo:[0,1] neg_hi:[0,1]
	v_mov_b32_e32 v6, v35
	v_mov_b32_e32 v34, v27
	;; [unrolled: 1-line block ×4, first 2 shown]
	v_pk_add_f32 v[6:7], v[6:7], v[34:35] neg_lo:[0,1] neg_hi:[0,1]
	v_mov_b32_e32 v32, v33
	v_mov_b32_e32 v33, v26
	v_pk_add_f32 v[6:7], v[32:33], v[6:7] neg_lo:[0,1] neg_hi:[0,1]
	v_mov_b32_e32 v54, v50
	v_pk_add_f32 v[26:27], v[54:55], v[6:7]
	v_mov_b32_e32 v32, v27
	v_pk_add_f32 v[32:33], v[26:27], v[32:33]
	v_pk_add_f32 v[30:31], v[30:31], v[32:33]
	v_mov_b32_e32 v27, v30
	v_pk_add_f32 v[34:35], v[26:27], v[50:51] neg_lo:[0,1] neg_hi:[0,1]
	v_mov_b32_e32 v7, v32
	v_sub_f32_e32 v3, v26, v34
	v_pk_add_f32 v[6:7], v[6:7], v[34:35] neg_lo:[0,1] neg_hi:[0,1]
	v_sub_f32_e32 v3, v50, v3
	s_mov_b32 s13, 0x7f800000
	v_add_f32_e32 v3, v6, v3
	s_mov_b32 s12, 0x33800000
	v_add_f32_e32 v3, v3, v7
	v_cmp_eq_f32_e32 vcc, s13, v49
	v_cmp_lt_f32_e64 s[12:13], |v49|, s12
	v_add_f32_e32 v3, v30, v3
	s_or_b64 vcc, vcc, s[12:13]
	v_cndmask_b32_e32 v3, v3, v49, vcc
	v_add_f32_e32 v2, v2, v3
	v_cvt_f16_f32_e32 v26, v2
.LBB401_257:
	s_or_b64 exec, exec, s[10:11]
.LBB401_258:
	s_or_b64 exec, exec, s[6:7]
	v_cvt_f32_f16_e32 v2, v26
	v_cmp_u_f16_e64 s[54:55], v26, v26
	v_cmp_u_f16_sdwa vcc, v20, v20 src0_sel:WORD_1 src1_sel:WORD_1
	s_movk_i32 s12, 0x1f8
	v_min_f32_e32 v27, v2, v48
	v_max_f32_e32 v30, v2, v48
	v_cndmask_b32_e64 v3, v27, v2, s[54:55]
	v_cndmask_b32_e32 v6, v3, v48, vcc
	v_cndmask_b32_e64 v3, v30, v2, s[54:55]
	v_cndmask_b32_e32 v3, v3, v48, vcc
	v_cmp_neq_f32_e64 s[6:7], v6, v3
	v_cmp_class_f32_e64 s[10:11], v6, s12
	s_or_b64 s[6:7], s[6:7], s[10:11]
	v_mov_b32_e32 v32, v2
	v_mov_b32_e32 v31, v26
	s_and_saveexec_b64 s[10:11], s[6:7]
	s_cbranch_execz .LBB401_260
; %bb.259:
	v_sub_f32_e32 v6, v6, v3
	s_mov_b32 s6, 0x3fb8aa3b
	v_mul_f32_e32 v7, 0x3fb8aa3b, v6
	v_fma_f32 v20, v6, s6, -v7
	v_rndne_f32_e32 v31, v7
	v_fmac_f32_e32 v20, 0x32a5705f, v6
	v_sub_f32_e32 v7, v7, v31
	v_add_f32_e32 v7, v7, v20
	v_exp_f32_e32 v7, v7
	v_cvt_i32_f32_e32 v20, v31
	s_mov_b32 s6, 0xc2ce8ed0
	v_cmp_ngt_f32_e64 s[6:7], s6, v6
	s_mov_b32 s13, 0x7f800000
	v_ldexp_f32 v7, v7, v20
	v_cndmask_b32_e64 v7, 0, v7, s[6:7]
	s_mov_b32 s6, 0x42b17218
	v_mov_b32_e32 v20, 0x7f800000
	v_cmp_nlt_f32_e64 s[6:7], s6, v6
	v_cndmask_b32_e64 v49, v20, v7, s[6:7]
	v_add_f32_e32 v20, 1.0, v49
	v_add_f32_e32 v6, -1.0, v20
	v_sub_f32_e32 v7, v6, v20
	v_add_f32_e32 v7, 1.0, v7
	v_sub_f32_e32 v6, v49, v6
	v_add_f32_e32 v31, v6, v7
	v_frexp_mant_f32_e32 v32, v20
	s_mov_b32 s6, 0x3f2aaaab
	v_cvt_f64_f32_e32 v[6:7], v20
	v_frexp_exp_i32_f64_e32 v6, v[6:7]
	v_cmp_gt_f32_e64 s[6:7], s6, v32
	v_subbrev_co_u32_e64 v52, s[6:7], 0, v6, s[6:7]
	v_sub_u32_e32 v6, 0, v52
	v_ldexp_f32 v7, v20, v6
	v_add_f32_e32 v20, -1.0, v7
	v_add_f32_e32 v32, 1.0, v7
	v_ldexp_f32 v6, v31, v6
	v_add_f32_e32 v31, 1.0, v20
	v_add_f32_e32 v33, -1.0, v32
	v_sub_f32_e32 v31, v7, v31
	v_sub_f32_e32 v7, v7, v33
	v_add_f32_e32 v31, v6, v31
	v_add_f32_e32 v6, v6, v7
	;; [unrolled: 1-line block ×3, first 2 shown]
	v_rcp_f32_e32 v55, v53
	v_sub_f32_e32 v7, v32, v53
	v_add_f32_e32 v54, v6, v7
	v_add_f32_e32 v7, v20, v31
	v_sub_f32_e32 v6, v20, v7
	v_add_f32_e32 v20, v31, v6
	v_mul_f32_e32 v31, v7, v55
	v_mul_f32_e32 v32, v53, v31
	v_fma_f32 v34, v31, v53, -v32
	v_fmac_f32_e32 v34, v31, v54
	v_add_f32_e32 v6, v32, v34
	v_sub_f32_e32 v33, v7, v6
	v_pk_add_f32 v[50:51], v[6:7], v[32:33] neg_lo:[0,1] neg_hi:[0,1]
	v_mov_b32_e32 v35, v6
	v_pk_add_f32 v[6:7], v[50:51], v[34:35] neg_lo:[0,1] neg_hi:[0,1]
	v_add_f32_e32 v7, v20, v7
	v_add_f32_e32 v6, v6, v7
	;; [unrolled: 1-line block ×3, first 2 shown]
	v_mul_f32_e32 v20, v55, v7
	v_mul_f32_e32 v32, v53, v20
	v_fma_f32 v34, v20, v53, -v32
	v_fmac_f32_e32 v34, v20, v54
	v_sub_f32_e32 v33, v33, v7
	v_add_f32_e32 v53, v6, v33
	v_add_f32_e32 v6, v32, v34
	v_sub_f32_e32 v33, v7, v6
	v_pk_add_f32 v[50:51], v[6:7], v[32:33] neg_lo:[0,1] neg_hi:[0,1]
	v_mov_b32_e32 v35, v6
	v_pk_add_f32 v[6:7], v[50:51], v[34:35] neg_lo:[0,1] neg_hi:[0,1]
	v_add_f32_e32 v7, v53, v7
	v_add_f32_e32 v6, v6, v7
	;; [unrolled: 1-line block ×4, first 2 shown]
	v_sub_f32_e32 v7, v33, v31
	v_mul_f32_e32 v6, v55, v6
	v_sub_f32_e32 v7, v20, v7
	v_add_f32_e32 v6, v7, v6
	v_add_f32_e32 v20, v33, v6
	v_mul_f32_e32 v31, v20, v20
	v_mov_b32_e32 v32, 0x3ecc95a3
	v_fmac_f32_e32 v32, 0x3e9b6dac, v31
	v_mov_b32_e32 v7, 0x3f2aaada
	v_fmac_f32_e32 v7, v31, v32
	v_cvt_f32_i32_e32 v32, v52
	v_sub_f32_e32 v33, v20, v33
	v_sub_f32_e32 v6, v6, v33
	v_ldexp_f32 v50, v6, 1
	v_mul_f32_e32 v33, v20, v31
	v_mov_b32_e32 v6, 0x3f317218
	s_mov_b32 s6, 0x3f317218
	v_pk_mul_f32 v[6:7], v[32:33], v[6:7]
	v_fma_f32 v34, v32, s6, -v6
	v_ldexp_f32 v35, v20, 1
	v_fmac_f32_e32 v34, 0xb102e308, v32
	v_pk_add_f32 v[32:33], v[6:7], v[34:35]
	v_sub_f32_e32 v20, v33, v35
	v_sub_f32_e32 v20, v7, v20
	v_add_f32_e32 v51, v50, v20
	v_mov_b32_e32 v50, v6
	v_pk_add_f32 v[6:7], v[32:33], v[6:7] neg_lo:[0,1] neg_hi:[0,1]
	v_pk_add_f32 v[52:53], v[32:33], v[50:51]
	v_mov_b32_e32 v7, v53
	v_mov_b32_e32 v35, v32
	v_pk_add_f32 v[54:55], v[34:35], v[6:7] neg_lo:[0,1] neg_hi:[0,1]
	v_pk_add_f32 v[6:7], v[34:35], v[6:7]
	v_mov_b32_e32 v20, v7
	v_pk_add_f32 v[34:35], v[20:21], v[32:33] neg_lo:[0,1] neg_hi:[0,1]
	v_mov_b32_e32 v31, v34
	v_pk_add_f32 v[64:65], v[52:53], v[30:31] neg_lo:[0,1] neg_hi:[0,1]
	v_mov_b32_e32 v6, v53
	v_mov_b32_e32 v52, v33
	;; [unrolled: 1-line block ×4, first 2 shown]
	v_pk_add_f32 v[6:7], v[6:7], v[52:53] neg_lo:[0,1] neg_hi:[0,1]
	v_mov_b32_e32 v34, v51
	v_mov_b32_e32 v35, v32
	v_pk_add_f32 v[6:7], v[34:35], v[6:7] neg_lo:[0,1] neg_hi:[0,1]
	v_mov_b32_e32 v64, v54
	v_pk_add_f32 v[32:33], v[64:65], v[6:7]
	v_mov_b32_e32 v34, v33
	v_pk_add_f32 v[34:35], v[32:33], v[34:35]
	v_pk_add_f32 v[50:51], v[20:21], v[34:35]
	v_mov_b32_e32 v33, v50
	v_pk_add_f32 v[52:53], v[32:33], v[54:55] neg_lo:[0,1] neg_hi:[0,1]
	v_mov_b32_e32 v7, v34
	v_sub_f32_e32 v20, v32, v52
	v_pk_add_f32 v[6:7], v[6:7], v[52:53] neg_lo:[0,1] neg_hi:[0,1]
	v_sub_f32_e32 v20, v54, v20
	v_add_f32_e32 v6, v6, v20
	v_cmp_eq_f32_e64 s[6:7], s13, v49
	s_mov_b32 s13, 0x33800000
	v_add_f32_e32 v6, v6, v7
	v_cmp_lt_f32_e64 s[14:15], |v49|, s13
	v_add_f32_e32 v6, v50, v6
	s_or_b64 s[6:7], s[6:7], s[14:15]
	v_cndmask_b32_e64 v6, v6, v49, s[6:7]
	v_add_f32_e32 v3, v3, v6
	v_cvt_f16_f32_e32 v31, v3
	v_cvt_f32_f16_e32 v32, v31
.LBB401_260:
	s_or_b64 exec, exec, s[10:11]
	v_cvt_f32_f16_e32 v3, v21
	v_max_f32_e32 v6, v32, v32
	v_cmp_u_f16_e64 s[10:11], v31, v31
	v_cmp_u_f16_e64 s[6:7], v21, v21
	v_min_f32_e32 v7, v6, v3
	v_max_f32_e32 v6, v6, v3
	v_cndmask_b32_e64 v7, v7, v32, s[10:11]
	v_cndmask_b32_e64 v6, v6, v32, s[10:11]
	;; [unrolled: 1-line block ×4, first 2 shown]
	v_cmp_neq_f32_e64 s[10:11], v7, v6
	v_cmp_class_f32_e64 s[12:13], v7, s12
	s_or_b64 s[10:11], s[10:11], s[12:13]
	s_and_saveexec_b64 s[12:13], s[10:11]
	s_cbranch_execz .LBB401_262
; %bb.261:
	v_sub_f32_e32 v7, v7, v6
	s_mov_b32 s10, 0x3fb8aa3b
	v_mul_f32_e32 v20, 0x3fb8aa3b, v7
	v_fma_f32 v31, v7, s10, -v20
	v_rndne_f32_e32 v32, v20
	v_fmac_f32_e32 v31, 0x32a5705f, v7
	v_sub_f32_e32 v20, v20, v32
	v_add_f32_e32 v20, v20, v31
	v_exp_f32_e32 v20, v20
	v_cvt_i32_f32_e32 v31, v32
	s_mov_b32 s10, 0xc2ce8ed0
	v_cmp_ngt_f32_e64 s[10:11], s10, v7
	s_mov_b32 s14, 0x7f800000
	v_ldexp_f32 v20, v20, v31
	v_cndmask_b32_e64 v20, 0, v20, s[10:11]
	s_mov_b32 s10, 0x42b17218
	v_mov_b32_e32 v31, 0x7f800000
	v_cmp_nlt_f32_e64 s[10:11], s10, v7
	v_cndmask_b32_e64 v31, v31, v20, s[10:11]
	v_add_f32_e32 v7, 1.0, v31
	v_add_f32_e32 v20, -1.0, v7
	v_sub_f32_e32 v32, v20, v7
	v_add_f32_e32 v32, 1.0, v32
	v_sub_f32_e32 v20, v31, v20
	v_add_f32_e32 v20, v20, v32
	v_frexp_mant_f32_e32 v34, v7
	s_mov_b32 s10, 0x3f2aaaab
	v_cvt_f64_f32_e32 v[32:33], v7
	v_frexp_exp_i32_f64_e32 v32, v[32:33]
	v_cmp_gt_f32_e64 s[10:11], s10, v34
	v_subbrev_co_u32_e64 v49, s[10:11], 0, v32, s[10:11]
	v_sub_u32_e32 v32, 0, v49
	v_ldexp_f32 v7, v7, v32
	v_ldexp_f32 v20, v20, v32
	v_add_f32_e32 v32, -1.0, v7
	v_add_f32_e32 v33, 1.0, v32
	v_sub_f32_e32 v33, v7, v33
	v_add_f32_e32 v34, v20, v33
	v_add_f32_e32 v33, 1.0, v7
	v_add_f32_e32 v35, -1.0, v33
	v_sub_f32_e32 v7, v7, v35
	v_add_f32_e32 v7, v20, v7
	v_add_f32_e32 v20, v33, v7
	v_rcp_f32_e32 v54, v20
	v_sub_f32_e32 v33, v33, v20
	v_add_f32_e32 v7, v7, v33
	v_add_f32_e32 v33, v32, v34
	v_sub_f32_e32 v32, v32, v33
	v_mul_f32_e32 v64, v33, v54
	v_add_f32_e32 v55, v34, v32
	v_mul_f32_e32 v34, v20, v64
	v_fma_f32 v50, v64, v20, -v34
	v_fmac_f32_e32 v50, v64, v7
	v_add_f32_e32 v32, v34, v50
	v_sub_f32_e32 v35, v33, v32
	v_pk_add_f32 v[52:53], v[32:33], v[34:35] neg_lo:[0,1] neg_hi:[0,1]
	v_mov_b32_e32 v51, v32
	v_pk_add_f32 v[32:33], v[52:53], v[50:51] neg_lo:[0,1] neg_hi:[0,1]
	v_add_f32_e32 v33, v55, v33
	v_add_f32_e32 v32, v32, v33
	;; [unrolled: 1-line block ×3, first 2 shown]
	v_mul_f32_e32 v55, v54, v33
	v_mul_f32_e32 v34, v20, v55
	v_fma_f32 v50, v55, v20, -v34
	v_fmac_f32_e32 v50, v55, v7
	v_sub_f32_e32 v7, v35, v33
	v_add_f32_e32 v7, v32, v7
	v_add_f32_e32 v32, v34, v50
	v_sub_f32_e32 v35, v33, v32
	v_pk_add_f32 v[52:53], v[32:33], v[34:35] neg_lo:[0,1] neg_hi:[0,1]
	v_mov_b32_e32 v51, v32
	v_pk_add_f32 v[32:33], v[52:53], v[50:51] neg_lo:[0,1] neg_hi:[0,1]
	v_add_f32_e32 v7, v7, v33
	v_add_f32_e32 v7, v32, v7
	;; [unrolled: 1-line block ×4, first 2 shown]
	v_sub_f32_e32 v32, v20, v64
	v_mul_f32_e32 v7, v54, v7
	v_sub_f32_e32 v32, v55, v32
	v_add_f32_e32 v7, v32, v7
	v_add_f32_e32 v32, v20, v7
	v_mul_f32_e32 v35, v32, v32
	v_mov_b32_e32 v34, 0x3ecc95a3
	v_fmac_f32_e32 v34, 0x3e9b6dac, v35
	v_mov_b32_e32 v33, 0x3f2aaada
	v_fmac_f32_e32 v33, v35, v34
	v_cvt_f32_i32_e32 v34, v49
	v_sub_f32_e32 v20, v32, v20
	v_ldexp_f32 v51, v32, 1
	v_mul_f32_e32 v35, v32, v35
	v_mov_b32_e32 v32, 0x3f317218
	s_mov_b32 s10, 0x3f317218
	v_pk_mul_f32 v[32:33], v[34:35], v[32:33]
	v_fma_f32 v50, v34, s10, -v32
	v_fmac_f32_e32 v50, 0xb102e308, v34
	v_pk_add_f32 v[34:35], v[32:33], v[50:51]
	v_sub_f32_e32 v7, v7, v20
	v_sub_f32_e32 v20, v35, v51
	v_ldexp_f32 v7, v7, 1
	v_sub_f32_e32 v20, v33, v20
	v_add_f32_e32 v53, v7, v20
	v_mov_b32_e32 v52, v32
	v_pk_add_f32 v[32:33], v[34:35], v[32:33] neg_lo:[0,1] neg_hi:[0,1]
	v_pk_add_f32 v[54:55], v[34:35], v[52:53]
	v_mov_b32_e32 v33, v55
	v_mov_b32_e32 v51, v34
	v_pk_add_f32 v[64:65], v[50:51], v[32:33] neg_lo:[0,1] neg_hi:[0,1]
	v_pk_add_f32 v[32:33], v[50:51], v[32:33]
	v_mov_b32_e32 v20, v33
	v_pk_add_f32 v[50:51], v[20:21], v[34:35] neg_lo:[0,1] neg_hi:[0,1]
	v_mov_b32_e32 v7, v50
	v_pk_add_f32 v[66:67], v[54:55], v[6:7] neg_lo:[0,1] neg_hi:[0,1]
	v_mov_b32_e32 v32, v55
	v_mov_b32_e32 v54, v35
	;; [unrolled: 1-line block ×4, first 2 shown]
	v_pk_add_f32 v[32:33], v[32:33], v[54:55] neg_lo:[0,1] neg_hi:[0,1]
	v_mov_b32_e32 v50, v53
	v_mov_b32_e32 v51, v34
	v_pk_add_f32 v[32:33], v[50:51], v[32:33] neg_lo:[0,1] neg_hi:[0,1]
	v_mov_b32_e32 v66, v64
	v_pk_add_f32 v[34:35], v[66:67], v[32:33]
	v_mov_b32_e32 v50, v35
	v_pk_add_f32 v[50:51], v[34:35], v[50:51]
	v_pk_add_f32 v[52:53], v[20:21], v[50:51]
	v_mov_b32_e32 v35, v52
	v_pk_add_f32 v[54:55], v[34:35], v[64:65] neg_lo:[0,1] neg_hi:[0,1]
	v_mov_b32_e32 v33, v50
	v_sub_f32_e32 v7, v34, v54
	v_pk_add_f32 v[32:33], v[32:33], v[54:55] neg_lo:[0,1] neg_hi:[0,1]
	v_sub_f32_e32 v7, v64, v7
	v_add_f32_e32 v7, v32, v7
	v_cmp_eq_f32_e64 s[10:11], s14, v31
	s_mov_b32 s14, 0x33800000
	v_add_f32_e32 v7, v7, v33
	v_cmp_lt_f32_e64 s[14:15], |v31|, s14
	v_add_f32_e32 v7, v52, v7
	s_or_b64 s[10:11], s[10:11], s[14:15]
	v_cndmask_b32_e64 v7, v7, v31, s[10:11]
	v_add_f32_e32 v6, v6, v7
	v_cvt_f16_f32_e32 v31, v6
	v_cvt_f32_f16_e32 v32, v31
.LBB401_262:
	s_or_b64 exec, exec, s[12:13]
	v_cvt_f32_f16_sdwa v6, v21 dst_sel:DWORD dst_unused:UNUSED_PAD src0_sel:WORD_1
	v_max_f32_e32 v7, v32, v32
	v_cmp_u_f16_e64 s[12:13], v31, v31
	v_cmp_u_f16_sdwa s[10:11], v21, v21 src0_sel:WORD_1 src1_sel:WORD_1
	v_min_f32_e32 v20, v7, v6
	v_max_f32_e32 v7, v7, v6
	v_cndmask_b32_e64 v20, v20, v32, s[12:13]
	v_cndmask_b32_e64 v7, v7, v32, s[12:13]
	v_cndmask_b32_e64 v20, v20, v6, s[10:11]
	v_cndmask_b32_e64 v7, v7, v6, s[10:11]
	s_movk_i32 s16, 0x1f8
	v_cmp_neq_f32_e64 s[12:13], v20, v7
	v_cmp_class_f32_e64 s[14:15], v20, s16
	s_or_b64 s[12:13], s[12:13], s[14:15]
	s_and_saveexec_b64 s[14:15], s[12:13]
	s_cbranch_execz .LBB401_264
; %bb.263:
	v_sub_f32_e32 v20, v20, v7
	s_mov_b32 s12, 0x3fb8aa3b
	v_mul_f32_e32 v21, 0x3fb8aa3b, v20
	v_fma_f32 v31, v20, s12, -v21
	v_rndne_f32_e32 v32, v21
	v_fmac_f32_e32 v31, 0x32a5705f, v20
	v_sub_f32_e32 v21, v21, v32
	v_add_f32_e32 v21, v21, v31
	v_exp_f32_e32 v21, v21
	v_cvt_i32_f32_e32 v31, v32
	s_mov_b32 s12, 0xc2ce8ed0
	v_cmp_ngt_f32_e64 s[12:13], s12, v20
	s_mov_b32 s17, 0x7f800000
	v_ldexp_f32 v21, v21, v31
	v_cndmask_b32_e64 v21, 0, v21, s[12:13]
	s_mov_b32 s12, 0x42b17218
	v_mov_b32_e32 v31, 0x7f800000
	v_cmp_nlt_f32_e64 s[12:13], s12, v20
	v_cndmask_b32_e64 v49, v31, v21, s[12:13]
	v_add_f32_e32 v31, 1.0, v49
	v_add_f32_e32 v20, -1.0, v31
	v_sub_f32_e32 v21, v20, v31
	v_add_f32_e32 v21, 1.0, v21
	v_sub_f32_e32 v20, v49, v20
	v_add_f32_e32 v32, v20, v21
	v_frexp_mant_f32_e32 v33, v31
	s_mov_b32 s12, 0x3f2aaaab
	v_cvt_f64_f32_e32 v[20:21], v31
	v_frexp_exp_i32_f64_e32 v20, v[20:21]
	v_cmp_gt_f32_e64 s[12:13], s12, v33
	v_subbrev_co_u32_e64 v52, s[12:13], 0, v20, s[12:13]
	v_sub_u32_e32 v20, 0, v52
	v_ldexp_f32 v21, v31, v20
	v_add_f32_e32 v31, -1.0, v21
	v_add_f32_e32 v33, 1.0, v21
	v_ldexp_f32 v20, v32, v20
	v_add_f32_e32 v32, 1.0, v31
	v_add_f32_e32 v34, -1.0, v33
	v_sub_f32_e32 v32, v21, v32
	v_sub_f32_e32 v21, v21, v34
	v_add_f32_e32 v32, v20, v32
	v_add_f32_e32 v20, v20, v21
	;; [unrolled: 1-line block ×3, first 2 shown]
	v_rcp_f32_e32 v55, v53
	v_sub_f32_e32 v21, v33, v53
	v_add_f32_e32 v54, v20, v21
	v_add_f32_e32 v21, v31, v32
	v_sub_f32_e32 v20, v31, v21
	v_mul_f32_e32 v64, v21, v55
	v_add_f32_e32 v31, v32, v20
	v_mul_f32_e32 v32, v53, v64
	v_fma_f32 v34, v64, v53, -v32
	v_fmac_f32_e32 v34, v64, v54
	v_add_f32_e32 v20, v32, v34
	v_sub_f32_e32 v33, v21, v20
	v_pk_add_f32 v[50:51], v[20:21], v[32:33] neg_lo:[0,1] neg_hi:[0,1]
	v_mov_b32_e32 v35, v20
	v_pk_add_f32 v[20:21], v[50:51], v[34:35] neg_lo:[0,1] neg_hi:[0,1]
	v_add_f32_e32 v21, v31, v21
	v_add_f32_e32 v20, v20, v21
	;; [unrolled: 1-line block ×3, first 2 shown]
	v_mul_f32_e32 v31, v55, v21
	v_mul_f32_e32 v32, v53, v31
	v_fma_f32 v34, v31, v53, -v32
	v_fmac_f32_e32 v34, v31, v54
	v_sub_f32_e32 v33, v33, v21
	v_add_f32_e32 v53, v20, v33
	v_add_f32_e32 v20, v32, v34
	v_sub_f32_e32 v33, v21, v20
	v_pk_add_f32 v[50:51], v[20:21], v[32:33] neg_lo:[0,1] neg_hi:[0,1]
	v_mov_b32_e32 v35, v20
	v_pk_add_f32 v[20:21], v[50:51], v[34:35] neg_lo:[0,1] neg_hi:[0,1]
	v_add_f32_e32 v21, v53, v21
	v_add_f32_e32 v20, v20, v21
	;; [unrolled: 1-line block ×4, first 2 shown]
	v_sub_f32_e32 v21, v33, v64
	v_mul_f32_e32 v20, v55, v20
	v_sub_f32_e32 v21, v31, v21
	v_add_f32_e32 v20, v21, v20
	v_add_f32_e32 v31, v33, v20
	v_mul_f32_e32 v34, v31, v31
	v_mov_b32_e32 v32, 0x3ecc95a3
	v_fmac_f32_e32 v32, 0x3e9b6dac, v34
	v_mov_b32_e32 v21, 0x3f2aaada
	v_fmac_f32_e32 v21, v34, v32
	v_cvt_f32_i32_e32 v32, v52
	v_sub_f32_e32 v33, v31, v33
	v_sub_f32_e32 v20, v20, v33
	v_ldexp_f32 v50, v20, 1
	v_mul_f32_e32 v33, v31, v34
	v_mov_b32_e32 v20, 0x3f317218
	s_mov_b32 s12, 0x3f317218
	v_pk_mul_f32 v[20:21], v[32:33], v[20:21]
	v_fma_f32 v34, v32, s12, -v20
	v_ldexp_f32 v35, v31, 1
	v_fmac_f32_e32 v34, 0xb102e308, v32
	v_pk_add_f32 v[32:33], v[20:21], v[34:35]
	v_sub_f32_e32 v31, v33, v35
	v_sub_f32_e32 v31, v21, v31
	v_add_f32_e32 v51, v50, v31
	v_mov_b32_e32 v50, v20
	v_pk_add_f32 v[20:21], v[32:33], v[20:21] neg_lo:[0,1] neg_hi:[0,1]
	v_pk_add_f32 v[52:53], v[32:33], v[50:51]
	v_mov_b32_e32 v21, v53
	v_mov_b32_e32 v35, v32
	v_pk_add_f32 v[54:55], v[34:35], v[20:21] neg_lo:[0,1] neg_hi:[0,1]
	v_pk_add_f32 v[20:21], v[34:35], v[20:21]
	v_mov_b32_e32 v34, v21
	v_pk_add_f32 v[64:65], v[34:35], v[32:33] neg_lo:[0,1] neg_hi:[0,1]
	v_mov_b32_e32 v31, v64
	v_pk_add_f32 v[66:67], v[52:53], v[30:31] neg_lo:[0,1] neg_hi:[0,1]
	v_mov_b32_e32 v20, v53
	v_mov_b32_e32 v52, v33
	;; [unrolled: 1-line block ×4, first 2 shown]
	v_pk_add_f32 v[20:21], v[20:21], v[52:53] neg_lo:[0,1] neg_hi:[0,1]
	v_mov_b32_e32 v50, v51
	v_mov_b32_e32 v51, v32
	v_pk_add_f32 v[20:21], v[50:51], v[20:21] neg_lo:[0,1] neg_hi:[0,1]
	v_mov_b32_e32 v66, v54
	v_pk_add_f32 v[32:33], v[66:67], v[20:21]
	v_mov_b32_e32 v50, v33
	v_pk_add_f32 v[50:51], v[32:33], v[50:51]
	v_pk_add_f32 v[34:35], v[34:35], v[50:51]
	v_mov_b32_e32 v33, v34
	v_pk_add_f32 v[52:53], v[32:33], v[54:55] neg_lo:[0,1] neg_hi:[0,1]
	v_mov_b32_e32 v21, v50
	v_sub_f32_e32 v31, v32, v52
	v_pk_add_f32 v[20:21], v[20:21], v[52:53] neg_lo:[0,1] neg_hi:[0,1]
	v_sub_f32_e32 v31, v54, v31
	v_add_f32_e32 v20, v20, v31
	v_cmp_eq_f32_e64 s[12:13], s17, v49
	s_mov_b32 s17, 0x33800000
	v_add_f32_e32 v20, v20, v21
	v_cmp_lt_f32_e64 s[18:19], |v49|, s17
	v_add_f32_e32 v20, v34, v20
	s_or_b64 s[12:13], s[12:13], s[18:19]
	v_cndmask_b32_e64 v20, v20, v49, s[12:13]
	v_add_f32_e32 v7, v7, v20
	v_cvt_f16_f32_e32 v31, v7
	v_cvt_f32_f16_e32 v32, v31
.LBB401_264:
	s_or_b64 exec, exec, s[14:15]
	v_cvt_f32_f16_e32 v7, v22
	v_max_f32_e32 v20, v32, v32
	v_cmp_u_f16_e64 s[14:15], v31, v31
	v_cmp_u_f16_e64 s[12:13], v22, v22
	v_min_f32_e32 v21, v20, v7
	v_max_f32_e32 v20, v20, v7
	v_cndmask_b32_e64 v21, v21, v32, s[14:15]
	v_cndmask_b32_e64 v20, v20, v32, s[14:15]
	;; [unrolled: 1-line block ×4, first 2 shown]
	v_cmp_neq_f32_e64 s[14:15], v21, v20
	v_cmp_class_f32_e64 s[16:17], v21, s16
	s_or_b64 s[14:15], s[14:15], s[16:17]
	s_and_saveexec_b64 s[16:17], s[14:15]
	s_cbranch_execz .LBB401_266
; %bb.265:
	v_sub_f32_e32 v21, v21, v20
	s_mov_b32 s14, 0x3fb8aa3b
	v_mul_f32_e32 v31, 0x3fb8aa3b, v21
	v_fma_f32 v32, v21, s14, -v31
	v_rndne_f32_e32 v33, v31
	v_fmac_f32_e32 v32, 0x32a5705f, v21
	v_sub_f32_e32 v31, v31, v33
	v_add_f32_e32 v31, v31, v32
	v_exp_f32_e32 v31, v31
	v_cvt_i32_f32_e32 v32, v33
	s_mov_b32 s14, 0xc2ce8ed0
	v_cmp_ngt_f32_e64 s[14:15], s14, v21
	s_mov_b32 s18, 0x7f800000
	v_ldexp_f32 v31, v31, v32
	v_cndmask_b32_e64 v31, 0, v31, s[14:15]
	s_mov_b32 s14, 0x42b17218
	v_mov_b32_e32 v32, 0x7f800000
	v_cmp_nlt_f32_e64 s[14:15], s14, v21
	v_cndmask_b32_e64 v31, v32, v31, s[14:15]
	v_add_f32_e32 v21, 1.0, v31
	v_add_f32_e32 v32, -1.0, v21
	v_sub_f32_e32 v33, v32, v21
	v_add_f32_e32 v33, 1.0, v33
	v_sub_f32_e32 v32, v31, v32
	v_add_f32_e32 v34, v32, v33
	v_frexp_mant_f32_e32 v35, v21
	s_mov_b32 s14, 0x3f2aaaab
	v_cvt_f64_f32_e32 v[32:33], v21
	v_frexp_exp_i32_f64_e32 v32, v[32:33]
	v_cmp_gt_f32_e64 s[14:15], s14, v35
	v_subbrev_co_u32_e64 v49, s[14:15], 0, v32, s[14:15]
	v_sub_u32_e32 v32, 0, v49
	v_ldexp_f32 v21, v21, v32
	v_ldexp_f32 v32, v34, v32
	v_add_f32_e32 v34, -1.0, v21
	v_add_f32_e32 v33, 1.0, v34
	v_sub_f32_e32 v33, v21, v33
	v_add_f32_e32 v35, v32, v33
	v_add_f32_e32 v33, 1.0, v21
	v_add_f32_e32 v50, -1.0, v33
	v_sub_f32_e32 v21, v21, v50
	v_add_f32_e32 v21, v32, v21
	v_add_f32_e32 v54, v33, v21
	v_rcp_f32_e32 v55, v54
	v_sub_f32_e32 v32, v33, v54
	v_add_f32_e32 v33, v34, v35
	v_add_f32_e32 v21, v21, v32
	v_mul_f32_e32 v65, v33, v55
	v_sub_f32_e32 v32, v34, v33
	v_mul_f32_e32 v34, v54, v65
	v_fma_f32 v50, v65, v54, -v34
	v_fmac_f32_e32 v50, v65, v21
	v_add_f32_e32 v64, v35, v32
	v_add_f32_e32 v32, v34, v50
	v_sub_f32_e32 v35, v33, v32
	v_pk_add_f32 v[52:53], v[32:33], v[34:35] neg_lo:[0,1] neg_hi:[0,1]
	v_mov_b32_e32 v51, v32
	v_pk_add_f32 v[32:33], v[52:53], v[50:51] neg_lo:[0,1] neg_hi:[0,1]
	v_add_f32_e32 v33, v64, v33
	v_add_f32_e32 v32, v32, v33
	;; [unrolled: 1-line block ×3, first 2 shown]
	v_mul_f32_e32 v64, v55, v33
	v_mul_f32_e32 v34, v54, v64
	v_fma_f32 v50, v64, v54, -v34
	v_fmac_f32_e32 v50, v64, v21
	v_sub_f32_e32 v21, v35, v33
	v_add_f32_e32 v21, v32, v21
	v_add_f32_e32 v32, v34, v50
	v_sub_f32_e32 v35, v33, v32
	v_pk_add_f32 v[52:53], v[32:33], v[34:35] neg_lo:[0,1] neg_hi:[0,1]
	v_mov_b32_e32 v51, v32
	v_pk_add_f32 v[32:33], v[52:53], v[50:51] neg_lo:[0,1] neg_hi:[0,1]
	v_add_f32_e32 v21, v21, v33
	v_add_f32_e32 v21, v32, v21
	;; [unrolled: 1-line block ×4, first 2 shown]
	v_sub_f32_e32 v33, v32, v65
	v_mul_f32_e32 v21, v55, v21
	v_sub_f32_e32 v33, v64, v33
	v_add_f32_e32 v21, v33, v21
	v_add_f32_e32 v35, v32, v21
	v_mul_f32_e32 v50, v35, v35
	v_mov_b32_e32 v34, 0x3ecc95a3
	v_fmac_f32_e32 v34, 0x3e9b6dac, v50
	v_mov_b32_e32 v33, 0x3f2aaada
	v_fmac_f32_e32 v33, v50, v34
	v_cvt_f32_i32_e32 v34, v49
	v_sub_f32_e32 v32, v35, v32
	v_sub_f32_e32 v21, v21, v32
	v_ldexp_f32 v51, v35, 1
	v_mul_f32_e32 v35, v35, v50
	v_mov_b32_e32 v32, 0x3f317218
	s_mov_b32 s14, 0x3f317218
	v_pk_mul_f32 v[32:33], v[34:35], v[32:33]
	v_fma_f32 v50, v34, s14, -v32
	v_fmac_f32_e32 v50, 0xb102e308, v34
	v_pk_add_f32 v[34:35], v[32:33], v[50:51]
	v_sub_f32_e32 v49, v35, v51
	v_ldexp_f32 v21, v21, 1
	v_sub_f32_e32 v49, v33, v49
	v_add_f32_e32 v53, v21, v49
	v_mov_b32_e32 v52, v32
	v_pk_add_f32 v[32:33], v[34:35], v[32:33] neg_lo:[0,1] neg_hi:[0,1]
	v_pk_add_f32 v[54:55], v[34:35], v[52:53]
	v_mov_b32_e32 v33, v55
	v_mov_b32_e32 v51, v34
	v_pk_add_f32 v[64:65], v[50:51], v[32:33] neg_lo:[0,1] neg_hi:[0,1]
	v_pk_add_f32 v[32:33], v[50:51], v[32:33]
	v_mov_b32_e32 v50, v33
	v_pk_add_f32 v[66:67], v[50:51], v[34:35] neg_lo:[0,1] neg_hi:[0,1]
	v_mov_b32_e32 v21, v66
	v_pk_add_f32 v[68:69], v[54:55], v[20:21] neg_lo:[0,1] neg_hi:[0,1]
	v_mov_b32_e32 v32, v55
	v_mov_b32_e32 v54, v35
	;; [unrolled: 1-line block ×4, first 2 shown]
	v_pk_add_f32 v[32:33], v[32:33], v[54:55] neg_lo:[0,1] neg_hi:[0,1]
	v_mov_b32_e32 v52, v53
	v_mov_b32_e32 v53, v34
	v_pk_add_f32 v[32:33], v[52:53], v[32:33] neg_lo:[0,1] neg_hi:[0,1]
	v_mov_b32_e32 v68, v64
	v_pk_add_f32 v[34:35], v[68:69], v[32:33]
	v_mov_b32_e32 v52, v35
	v_pk_add_f32 v[52:53], v[34:35], v[52:53]
	v_pk_add_f32 v[50:51], v[50:51], v[52:53]
	v_mov_b32_e32 v35, v50
	v_pk_add_f32 v[54:55], v[34:35], v[64:65] neg_lo:[0,1] neg_hi:[0,1]
	v_mov_b32_e32 v33, v52
	v_sub_f32_e32 v21, v34, v54
	v_pk_add_f32 v[32:33], v[32:33], v[54:55] neg_lo:[0,1] neg_hi:[0,1]
	v_sub_f32_e32 v21, v64, v21
	v_add_f32_e32 v21, v32, v21
	v_cmp_eq_f32_e64 s[14:15], s18, v31
	s_mov_b32 s18, 0x33800000
	v_add_f32_e32 v21, v21, v33
	v_cmp_lt_f32_e64 s[18:19], |v31|, s18
	v_add_f32_e32 v21, v50, v21
	s_or_b64 s[14:15], s[14:15], s[18:19]
	v_cndmask_b32_e64 v21, v21, v31, s[14:15]
	v_add_f32_e32 v20, v20, v21
	v_cvt_f16_f32_e32 v31, v20
	v_cvt_f32_f16_e32 v32, v31
.LBB401_266:
	s_or_b64 exec, exec, s[16:17]
	v_cvt_f32_f16_sdwa v20, v22 dst_sel:DWORD dst_unused:UNUSED_PAD src0_sel:WORD_1
	v_max_f32_e32 v21, v32, v32
	v_cmp_u_f16_e64 s[16:17], v31, v31
	v_cmp_u_f16_sdwa s[14:15], v22, v22 src0_sel:WORD_1 src1_sel:WORD_1
	v_min_f32_e32 v33, v21, v20
	v_max_f32_e32 v21, v21, v20
	v_cndmask_b32_e64 v33, v33, v32, s[16:17]
	v_cndmask_b32_e64 v21, v21, v32, s[16:17]
	;; [unrolled: 1-line block ×4, first 2 shown]
	s_movk_i32 s20, 0x1f8
	v_cmp_neq_f32_e64 s[16:17], v22, v21
	v_cmp_class_f32_e64 s[18:19], v22, s20
	s_or_b64 s[16:17], s[16:17], s[18:19]
	s_and_saveexec_b64 s[18:19], s[16:17]
	s_cbranch_execz .LBB401_268
; %bb.267:
	v_sub_f32_e32 v22, v22, v21
	s_mov_b32 s16, 0x3fb8aa3b
	v_mul_f32_e32 v31, 0x3fb8aa3b, v22
	v_fma_f32 v32, v22, s16, -v31
	v_rndne_f32_e32 v33, v31
	v_fmac_f32_e32 v32, 0x32a5705f, v22
	v_sub_f32_e32 v31, v31, v33
	v_add_f32_e32 v31, v31, v32
	v_exp_f32_e32 v31, v31
	v_cvt_i32_f32_e32 v32, v33
	s_mov_b32 s16, 0xc2ce8ed0
	v_cmp_ngt_f32_e64 s[16:17], s16, v22
	s_mov_b32 s21, 0x7f800000
	v_ldexp_f32 v31, v31, v32
	v_cndmask_b32_e64 v31, 0, v31, s[16:17]
	s_mov_b32 s16, 0x42b17218
	v_mov_b32_e32 v32, 0x7f800000
	v_cmp_nlt_f32_e64 s[16:17], s16, v22
	v_cndmask_b32_e64 v49, v32, v31, s[16:17]
	v_add_f32_e32 v22, 1.0, v49
	v_add_f32_e32 v31, -1.0, v22
	v_sub_f32_e32 v32, v31, v22
	v_add_f32_e32 v32, 1.0, v32
	v_sub_f32_e32 v31, v49, v31
	v_add_f32_e32 v31, v31, v32
	v_frexp_mant_f32_e32 v34, v22
	s_mov_b32 s16, 0x3f2aaaab
	v_cvt_f64_f32_e32 v[32:33], v22
	v_frexp_exp_i32_f64_e32 v32, v[32:33]
	v_cmp_gt_f32_e64 s[16:17], s16, v34
	v_subbrev_co_u32_e64 v54, s[16:17], 0, v32, s[16:17]
	v_sub_u32_e32 v32, 0, v54
	v_ldexp_f32 v22, v22, v32
	v_ldexp_f32 v31, v31, v32
	v_add_f32_e32 v32, -1.0, v22
	v_add_f32_e32 v33, 1.0, v32
	v_sub_f32_e32 v33, v22, v33
	v_add_f32_e32 v34, v31, v33
	v_add_f32_e32 v33, 1.0, v22
	v_add_f32_e32 v35, -1.0, v33
	v_sub_f32_e32 v22, v22, v35
	v_add_f32_e32 v22, v31, v22
	v_add_f32_e32 v31, v33, v22
	v_rcp_f32_e32 v55, v31
	v_sub_f32_e32 v33, v33, v31
	v_add_f32_e32 v22, v22, v33
	v_add_f32_e32 v33, v32, v34
	v_sub_f32_e32 v32, v32, v33
	v_mul_f32_e32 v65, v33, v55
	v_add_f32_e32 v64, v34, v32
	v_mul_f32_e32 v34, v31, v65
	v_fma_f32 v50, v65, v31, -v34
	v_fmac_f32_e32 v50, v65, v22
	v_add_f32_e32 v32, v34, v50
	v_sub_f32_e32 v35, v33, v32
	v_pk_add_f32 v[52:53], v[32:33], v[34:35] neg_lo:[0,1] neg_hi:[0,1]
	v_mov_b32_e32 v51, v32
	v_pk_add_f32 v[32:33], v[52:53], v[50:51] neg_lo:[0,1] neg_hi:[0,1]
	v_add_f32_e32 v33, v64, v33
	v_add_f32_e32 v32, v32, v33
	;; [unrolled: 1-line block ×3, first 2 shown]
	v_mul_f32_e32 v64, v55, v33
	v_mul_f32_e32 v34, v31, v64
	v_fma_f32 v50, v64, v31, -v34
	v_fmac_f32_e32 v50, v64, v22
	v_sub_f32_e32 v22, v35, v33
	v_add_f32_e32 v22, v32, v22
	v_add_f32_e32 v32, v34, v50
	v_sub_f32_e32 v35, v33, v32
	v_pk_add_f32 v[52:53], v[32:33], v[34:35] neg_lo:[0,1] neg_hi:[0,1]
	v_mov_b32_e32 v51, v32
	v_pk_add_f32 v[32:33], v[52:53], v[50:51] neg_lo:[0,1] neg_hi:[0,1]
	v_add_f32_e32 v22, v22, v33
	v_add_f32_e32 v22, v32, v22
	;; [unrolled: 1-line block ×4, first 2 shown]
	v_sub_f32_e32 v32, v31, v65
	v_mul_f32_e32 v22, v55, v22
	v_sub_f32_e32 v32, v64, v32
	v_add_f32_e32 v22, v32, v22
	v_add_f32_e32 v32, v31, v22
	v_mul_f32_e32 v35, v32, v32
	v_mov_b32_e32 v34, 0x3ecc95a3
	v_fmac_f32_e32 v34, 0x3e9b6dac, v35
	v_mov_b32_e32 v33, 0x3f2aaada
	v_fmac_f32_e32 v33, v35, v34
	v_cvt_f32_i32_e32 v34, v54
	v_sub_f32_e32 v31, v32, v31
	v_ldexp_f32 v51, v32, 1
	v_mul_f32_e32 v35, v32, v35
	v_mov_b32_e32 v32, 0x3f317218
	s_mov_b32 s16, 0x3f317218
	v_pk_mul_f32 v[32:33], v[34:35], v[32:33]
	v_fma_f32 v50, v34, s16, -v32
	v_fmac_f32_e32 v50, 0xb102e308, v34
	v_pk_add_f32 v[34:35], v[32:33], v[50:51]
	v_sub_f32_e32 v22, v22, v31
	v_sub_f32_e32 v31, v35, v51
	v_ldexp_f32 v22, v22, 1
	v_sub_f32_e32 v31, v33, v31
	v_add_f32_e32 v53, v22, v31
	v_mov_b32_e32 v52, v32
	v_pk_add_f32 v[32:33], v[34:35], v[32:33] neg_lo:[0,1] neg_hi:[0,1]
	v_pk_add_f32 v[54:55], v[34:35], v[52:53]
	v_mov_b32_e32 v33, v55
	v_mov_b32_e32 v51, v34
	v_pk_add_f32 v[64:65], v[50:51], v[32:33] neg_lo:[0,1] neg_hi:[0,1]
	v_pk_add_f32 v[32:33], v[50:51], v[32:33]
	v_mov_b32_e32 v22, v33
	v_pk_add_f32 v[50:51], v[22:23], v[34:35] neg_lo:[0,1] neg_hi:[0,1]
	v_mov_b32_e32 v31, v50
	v_pk_add_f32 v[66:67], v[54:55], v[30:31] neg_lo:[0,1] neg_hi:[0,1]
	v_mov_b32_e32 v32, v55
	v_mov_b32_e32 v54, v35
	;; [unrolled: 1-line block ×4, first 2 shown]
	v_pk_add_f32 v[32:33], v[32:33], v[54:55] neg_lo:[0,1] neg_hi:[0,1]
	v_mov_b32_e32 v50, v53
	v_mov_b32_e32 v51, v34
	v_pk_add_f32 v[32:33], v[50:51], v[32:33] neg_lo:[0,1] neg_hi:[0,1]
	v_mov_b32_e32 v66, v64
	v_pk_add_f32 v[34:35], v[66:67], v[32:33]
	v_mov_b32_e32 v50, v35
	v_pk_add_f32 v[50:51], v[34:35], v[50:51]
	v_pk_add_f32 v[52:53], v[22:23], v[50:51]
	v_mov_b32_e32 v35, v52
	v_pk_add_f32 v[54:55], v[34:35], v[64:65] neg_lo:[0,1] neg_hi:[0,1]
	v_mov_b32_e32 v33, v50
	v_sub_f32_e32 v22, v34, v54
	v_pk_add_f32 v[32:33], v[32:33], v[54:55] neg_lo:[0,1] neg_hi:[0,1]
	v_sub_f32_e32 v22, v64, v22
	v_add_f32_e32 v22, v32, v22
	v_cmp_eq_f32_e64 s[16:17], s21, v49
	s_mov_b32 s21, 0x33800000
	v_add_f32_e32 v22, v22, v33
	v_cmp_lt_f32_e64 s[22:23], |v49|, s21
	v_add_f32_e32 v22, v52, v22
	s_or_b64 s[16:17], s[16:17], s[22:23]
	v_cndmask_b32_e64 v22, v22, v49, s[16:17]
	v_add_f32_e32 v21, v21, v22
	v_cvt_f16_f32_e32 v31, v21
	v_cvt_f32_f16_e32 v32, v31
.LBB401_268:
	s_or_b64 exec, exec, s[18:19]
	v_cvt_f32_f16_e32 v21, v23
	v_max_f32_e32 v22, v32, v32
	v_cmp_u_f16_e64 s[18:19], v31, v31
	v_cmp_u_f16_e64 s[16:17], v23, v23
	v_min_f32_e32 v33, v22, v21
	v_max_f32_e32 v22, v22, v21
	v_cndmask_b32_e64 v33, v33, v32, s[18:19]
	v_cndmask_b32_e64 v22, v22, v32, s[18:19]
	;; [unrolled: 1-line block ×4, first 2 shown]
	v_cmp_neq_f32_e64 s[18:19], v33, v22
	v_cmp_class_f32_e64 s[20:21], v33, s20
	s_or_b64 s[18:19], s[18:19], s[20:21]
	s_and_saveexec_b64 s[20:21], s[18:19]
	s_cbranch_execz .LBB401_270
; %bb.269:
	v_sub_f32_e32 v31, v33, v22
	s_mov_b32 s18, 0x3fb8aa3b
	v_mul_f32_e32 v32, 0x3fb8aa3b, v31
	v_fma_f32 v33, v31, s18, -v32
	v_rndne_f32_e32 v34, v32
	v_fmac_f32_e32 v33, 0x32a5705f, v31
	v_sub_f32_e32 v32, v32, v34
	v_add_f32_e32 v32, v32, v33
	v_exp_f32_e32 v32, v32
	v_cvt_i32_f32_e32 v33, v34
	s_mov_b32 s18, 0xc2ce8ed0
	v_cmp_ngt_f32_e64 s[18:19], s18, v31
	s_mov_b32 s22, 0x7f800000
	v_ldexp_f32 v32, v32, v33
	v_cndmask_b32_e64 v32, 0, v32, s[18:19]
	s_mov_b32 s18, 0x42b17218
	v_mov_b32_e32 v33, 0x7f800000
	v_cmp_nlt_f32_e64 s[18:19], s18, v31
	v_cndmask_b32_e64 v49, v33, v32, s[18:19]
	v_add_f32_e32 v31, 1.0, v49
	v_add_f32_e32 v32, -1.0, v31
	v_sub_f32_e32 v33, v32, v31
	v_add_f32_e32 v33, 1.0, v33
	v_sub_f32_e32 v32, v49, v32
	v_add_f32_e32 v34, v32, v33
	v_frexp_mant_f32_e32 v35, v31
	s_mov_b32 s18, 0x3f2aaaab
	v_cvt_f64_f32_e32 v[32:33], v31
	v_frexp_exp_i32_f64_e32 v32, v[32:33]
	v_cmp_gt_f32_e64 s[18:19], s18, v35
	v_subbrev_co_u32_e64 v54, s[18:19], 0, v32, s[18:19]
	v_sub_u32_e32 v32, 0, v54
	v_ldexp_f32 v31, v31, v32
	v_ldexp_f32 v32, v34, v32
	v_add_f32_e32 v34, -1.0, v31
	v_add_f32_e32 v33, 1.0, v34
	v_sub_f32_e32 v33, v31, v33
	v_add_f32_e32 v35, v32, v33
	v_add_f32_e32 v33, 1.0, v31
	v_add_f32_e32 v50, -1.0, v33
	v_sub_f32_e32 v31, v31, v50
	v_add_f32_e32 v31, v32, v31
	v_add_f32_e32 v55, v33, v31
	v_rcp_f32_e32 v64, v55
	v_sub_f32_e32 v32, v33, v55
	v_add_f32_e32 v33, v34, v35
	v_add_f32_e32 v31, v31, v32
	v_mul_f32_e32 v66, v33, v64
	v_sub_f32_e32 v32, v34, v33
	v_mul_f32_e32 v34, v55, v66
	v_fma_f32 v50, v66, v55, -v34
	v_fmac_f32_e32 v50, v66, v31
	v_add_f32_e32 v65, v35, v32
	v_add_f32_e32 v32, v34, v50
	v_sub_f32_e32 v35, v33, v32
	v_pk_add_f32 v[52:53], v[32:33], v[34:35] neg_lo:[0,1] neg_hi:[0,1]
	v_mov_b32_e32 v51, v32
	v_pk_add_f32 v[32:33], v[52:53], v[50:51] neg_lo:[0,1] neg_hi:[0,1]
	v_add_f32_e32 v33, v65, v33
	v_add_f32_e32 v32, v32, v33
	;; [unrolled: 1-line block ×3, first 2 shown]
	v_mul_f32_e32 v65, v64, v33
	v_mul_f32_e32 v34, v55, v65
	v_fma_f32 v50, v65, v55, -v34
	v_fmac_f32_e32 v50, v65, v31
	v_sub_f32_e32 v31, v35, v33
	v_add_f32_e32 v31, v32, v31
	v_add_f32_e32 v32, v34, v50
	v_sub_f32_e32 v35, v33, v32
	v_pk_add_f32 v[52:53], v[32:33], v[34:35] neg_lo:[0,1] neg_hi:[0,1]
	v_mov_b32_e32 v51, v32
	v_pk_add_f32 v[32:33], v[52:53], v[50:51] neg_lo:[0,1] neg_hi:[0,1]
	v_add_f32_e32 v31, v31, v33
	v_add_f32_e32 v31, v32, v31
	;; [unrolled: 1-line block ×4, first 2 shown]
	v_sub_f32_e32 v33, v32, v66
	v_mul_f32_e32 v31, v64, v31
	v_sub_f32_e32 v33, v65, v33
	v_add_f32_e32 v31, v33, v31
	v_add_f32_e32 v35, v32, v31
	v_mul_f32_e32 v50, v35, v35
	v_mov_b32_e32 v34, 0x3ecc95a3
	v_fmac_f32_e32 v34, 0x3e9b6dac, v50
	v_mov_b32_e32 v33, 0x3f2aaada
	v_fmac_f32_e32 v33, v50, v34
	v_cvt_f32_i32_e32 v34, v54
	v_sub_f32_e32 v32, v35, v32
	v_sub_f32_e32 v31, v31, v32
	v_ldexp_f32 v51, v35, 1
	v_mul_f32_e32 v35, v35, v50
	v_mov_b32_e32 v32, 0x3f317218
	s_mov_b32 s18, 0x3f317218
	v_pk_mul_f32 v[32:33], v[34:35], v[32:33]
	v_fma_f32 v50, v34, s18, -v32
	v_fmac_f32_e32 v50, 0xb102e308, v34
	v_pk_add_f32 v[34:35], v[32:33], v[50:51]
	v_sub_f32_e32 v51, v35, v51
	v_ldexp_f32 v31, v31, 1
	v_sub_f32_e32 v51, v33, v51
	v_add_f32_e32 v53, v31, v51
	v_mov_b32_e32 v52, v32
	v_pk_add_f32 v[32:33], v[34:35], v[32:33] neg_lo:[0,1] neg_hi:[0,1]
	v_pk_add_f32 v[54:55], v[34:35], v[52:53]
	v_mov_b32_e32 v33, v55
	v_mov_b32_e32 v51, v34
	v_pk_add_f32 v[64:65], v[50:51], v[32:33] neg_lo:[0,1] neg_hi:[0,1]
	v_pk_add_f32 v[32:33], v[50:51], v[32:33]
	v_mov_b32_e32 v50, v33
	v_pk_add_f32 v[66:67], v[50:51], v[34:35] neg_lo:[0,1] neg_hi:[0,1]
	v_mov_b32_e32 v31, v66
	v_pk_add_f32 v[68:69], v[54:55], v[30:31] neg_lo:[0,1] neg_hi:[0,1]
	v_mov_b32_e32 v32, v55
	v_mov_b32_e32 v54, v35
	;; [unrolled: 1-line block ×4, first 2 shown]
	v_pk_add_f32 v[32:33], v[32:33], v[54:55] neg_lo:[0,1] neg_hi:[0,1]
	v_mov_b32_e32 v52, v53
	v_mov_b32_e32 v53, v34
	v_pk_add_f32 v[32:33], v[52:53], v[32:33] neg_lo:[0,1] neg_hi:[0,1]
	v_mov_b32_e32 v68, v64
	v_pk_add_f32 v[34:35], v[68:69], v[32:33]
	v_mov_b32_e32 v52, v35
	v_pk_add_f32 v[52:53], v[34:35], v[52:53]
	v_pk_add_f32 v[50:51], v[50:51], v[52:53]
	v_mov_b32_e32 v35, v50
	v_pk_add_f32 v[54:55], v[34:35], v[64:65] neg_lo:[0,1] neg_hi:[0,1]
	v_mov_b32_e32 v33, v52
	v_sub_f32_e32 v31, v34, v54
	v_pk_add_f32 v[32:33], v[32:33], v[54:55] neg_lo:[0,1] neg_hi:[0,1]
	v_sub_f32_e32 v31, v64, v31
	v_add_f32_e32 v31, v32, v31
	v_cmp_eq_f32_e64 s[18:19], s22, v49
	s_mov_b32 s22, 0x33800000
	v_add_f32_e32 v31, v31, v33
	v_cmp_lt_f32_e64 s[22:23], |v49|, s22
	v_add_f32_e32 v31, v50, v31
	s_or_b64 s[18:19], s[18:19], s[22:23]
	v_cndmask_b32_e64 v31, v31, v49, s[18:19]
	v_add_f32_e32 v22, v22, v31
	v_cvt_f16_f32_e32 v31, v22
	v_cvt_f32_f16_e32 v32, v31
.LBB401_270:
	s_or_b64 exec, exec, s[20:21]
	v_cvt_f32_f16_sdwa v22, v23 dst_sel:DWORD dst_unused:UNUSED_PAD src0_sel:WORD_1
	v_max_f32_e32 v34, v32, v32
	v_cmp_u_f16_e64 s[20:21], v31, v31
	v_cmp_u_f16_sdwa s[18:19], v23, v23 src0_sel:WORD_1 src1_sel:WORD_1
	v_min_f32_e32 v33, v34, v22
	v_max_f32_e32 v23, v34, v22
	v_cndmask_b32_e64 v33, v33, v32, s[20:21]
	v_cndmask_b32_e64 v23, v23, v32, s[20:21]
	;; [unrolled: 1-line block ×4, first 2 shown]
	s_movk_i32 s24, 0x1f8
	v_cmp_neq_f32_e64 s[20:21], v33, v23
	v_cmp_class_f32_e64 s[22:23], v33, s24
	s_or_b64 s[20:21], s[20:21], s[22:23]
	s_and_saveexec_b64 s[22:23], s[20:21]
	s_cbranch_execz .LBB401_272
; %bb.271:
	v_sub_f32_e32 v31, v33, v23
	s_mov_b32 s20, 0x3fb8aa3b
	v_mul_f32_e32 v32, 0x3fb8aa3b, v31
	v_fma_f32 v33, v31, s20, -v32
	v_rndne_f32_e32 v34, v32
	v_fmac_f32_e32 v33, 0x32a5705f, v31
	v_sub_f32_e32 v32, v32, v34
	v_add_f32_e32 v32, v32, v33
	v_exp_f32_e32 v32, v32
	v_cvt_i32_f32_e32 v33, v34
	s_mov_b32 s20, 0xc2ce8ed0
	v_cmp_ngt_f32_e64 s[20:21], s20, v31
	s_mov_b32 s25, 0x7f800000
	v_ldexp_f32 v32, v32, v33
	v_cndmask_b32_e64 v32, 0, v32, s[20:21]
	s_mov_b32 s20, 0x42b17218
	v_mov_b32_e32 v33, 0x7f800000
	v_cmp_nlt_f32_e64 s[20:21], s20, v31
	v_cndmask_b32_e64 v49, v33, v32, s[20:21]
	v_add_f32_e32 v31, 1.0, v49
	v_add_f32_e32 v32, -1.0, v31
	v_sub_f32_e32 v33, v32, v31
	v_add_f32_e32 v33, 1.0, v33
	v_sub_f32_e32 v32, v49, v32
	v_add_f32_e32 v34, v32, v33
	v_frexp_mant_f32_e32 v35, v31
	s_mov_b32 s20, 0x3f2aaaab
	v_cvt_f64_f32_e32 v[32:33], v31
	v_frexp_exp_i32_f64_e32 v32, v[32:33]
	v_cmp_gt_f32_e64 s[20:21], s20, v35
	v_subbrev_co_u32_e64 v54, s[20:21], 0, v32, s[20:21]
	v_sub_u32_e32 v32, 0, v54
	v_ldexp_f32 v31, v31, v32
	v_ldexp_f32 v32, v34, v32
	v_add_f32_e32 v34, -1.0, v31
	v_add_f32_e32 v33, 1.0, v34
	v_sub_f32_e32 v33, v31, v33
	v_add_f32_e32 v35, v32, v33
	v_add_f32_e32 v33, 1.0, v31
	v_add_f32_e32 v50, -1.0, v33
	v_sub_f32_e32 v31, v31, v50
	v_add_f32_e32 v31, v32, v31
	v_add_f32_e32 v55, v33, v31
	v_rcp_f32_e32 v64, v55
	v_sub_f32_e32 v32, v33, v55
	v_add_f32_e32 v33, v34, v35
	v_add_f32_e32 v31, v31, v32
	v_mul_f32_e32 v66, v33, v64
	v_sub_f32_e32 v32, v34, v33
	v_mul_f32_e32 v34, v55, v66
	v_fma_f32 v50, v66, v55, -v34
	v_fmac_f32_e32 v50, v66, v31
	v_add_f32_e32 v65, v35, v32
	v_add_f32_e32 v32, v34, v50
	v_sub_f32_e32 v35, v33, v32
	v_pk_add_f32 v[52:53], v[32:33], v[34:35] neg_lo:[0,1] neg_hi:[0,1]
	v_mov_b32_e32 v51, v32
	v_pk_add_f32 v[32:33], v[52:53], v[50:51] neg_lo:[0,1] neg_hi:[0,1]
	v_add_f32_e32 v33, v65, v33
	v_add_f32_e32 v32, v32, v33
	;; [unrolled: 1-line block ×3, first 2 shown]
	v_mul_f32_e32 v65, v64, v33
	v_mul_f32_e32 v34, v55, v65
	v_fma_f32 v50, v65, v55, -v34
	v_fmac_f32_e32 v50, v65, v31
	v_sub_f32_e32 v31, v35, v33
	v_add_f32_e32 v31, v32, v31
	v_add_f32_e32 v32, v34, v50
	v_sub_f32_e32 v35, v33, v32
	v_pk_add_f32 v[52:53], v[32:33], v[34:35] neg_lo:[0,1] neg_hi:[0,1]
	v_mov_b32_e32 v51, v32
	v_pk_add_f32 v[32:33], v[52:53], v[50:51] neg_lo:[0,1] neg_hi:[0,1]
	v_add_f32_e32 v31, v31, v33
	v_add_f32_e32 v31, v32, v31
	;; [unrolled: 1-line block ×4, first 2 shown]
	v_sub_f32_e32 v33, v32, v66
	v_mul_f32_e32 v31, v64, v31
	v_sub_f32_e32 v33, v65, v33
	v_add_f32_e32 v31, v33, v31
	v_add_f32_e32 v35, v32, v31
	v_mul_f32_e32 v50, v35, v35
	v_mov_b32_e32 v34, 0x3ecc95a3
	v_fmac_f32_e32 v34, 0x3e9b6dac, v50
	v_mov_b32_e32 v33, 0x3f2aaada
	v_fmac_f32_e32 v33, v50, v34
	v_cvt_f32_i32_e32 v34, v54
	v_sub_f32_e32 v32, v35, v32
	v_sub_f32_e32 v31, v31, v32
	v_ldexp_f32 v51, v35, 1
	v_mul_f32_e32 v35, v35, v50
	v_mov_b32_e32 v32, 0x3f317218
	s_mov_b32 s20, 0x3f317218
	v_pk_mul_f32 v[32:33], v[34:35], v[32:33]
	v_fma_f32 v50, v34, s20, -v32
	v_fmac_f32_e32 v50, 0xb102e308, v34
	v_pk_add_f32 v[34:35], v[32:33], v[50:51]
	v_sub_f32_e32 v51, v35, v51
	v_ldexp_f32 v31, v31, 1
	v_sub_f32_e32 v51, v33, v51
	v_add_f32_e32 v53, v31, v51
	v_mov_b32_e32 v52, v32
	v_pk_add_f32 v[32:33], v[34:35], v[32:33] neg_lo:[0,1] neg_hi:[0,1]
	v_pk_add_f32 v[54:55], v[34:35], v[52:53]
	v_mov_b32_e32 v33, v55
	v_mov_b32_e32 v51, v34
	v_pk_add_f32 v[64:65], v[50:51], v[32:33] neg_lo:[0,1] neg_hi:[0,1]
	v_pk_add_f32 v[32:33], v[50:51], v[32:33]
	v_mov_b32_e32 v50, v33
	v_pk_add_f32 v[66:67], v[50:51], v[34:35] neg_lo:[0,1] neg_hi:[0,1]
	v_mov_b32_e32 v31, v66
	v_pk_add_f32 v[68:69], v[54:55], v[30:31] neg_lo:[0,1] neg_hi:[0,1]
	v_mov_b32_e32 v32, v55
	v_mov_b32_e32 v54, v35
	;; [unrolled: 1-line block ×4, first 2 shown]
	v_pk_add_f32 v[32:33], v[32:33], v[54:55] neg_lo:[0,1] neg_hi:[0,1]
	v_mov_b32_e32 v52, v53
	v_mov_b32_e32 v53, v34
	v_pk_add_f32 v[32:33], v[52:53], v[32:33] neg_lo:[0,1] neg_hi:[0,1]
	v_mov_b32_e32 v68, v64
	v_pk_add_f32 v[34:35], v[68:69], v[32:33]
	v_mov_b32_e32 v52, v35
	v_pk_add_f32 v[52:53], v[34:35], v[52:53]
	v_pk_add_f32 v[50:51], v[50:51], v[52:53]
	v_mov_b32_e32 v35, v50
	v_pk_add_f32 v[54:55], v[34:35], v[64:65] neg_lo:[0,1] neg_hi:[0,1]
	v_mov_b32_e32 v33, v52
	v_sub_f32_e32 v31, v34, v54
	v_pk_add_f32 v[32:33], v[32:33], v[54:55] neg_lo:[0,1] neg_hi:[0,1]
	v_sub_f32_e32 v31, v64, v31
	v_add_f32_e32 v31, v32, v31
	v_cmp_eq_f32_e64 s[20:21], s25, v49
	s_mov_b32 s25, 0x33800000
	v_add_f32_e32 v31, v31, v33
	v_cmp_lt_f32_e64 s[26:27], |v49|, s25
	v_add_f32_e32 v31, v50, v31
	s_or_b64 s[20:21], s[20:21], s[26:27]
	v_cndmask_b32_e64 v31, v31, v49, s[20:21]
	v_add_f32_e32 v23, v23, v31
	v_cvt_f16_f32_e32 v31, v23
	v_cvt_f32_f16_e32 v32, v31
.LBB401_272:
	s_or_b64 exec, exec, s[22:23]
	v_cvt_f32_f16_e32 v23, v16
	v_max_f32_e32 v33, v32, v32
	v_cmp_u_f16_e64 s[22:23], v31, v31
	v_cmp_u_f16_e64 s[20:21], v16, v16
	v_min_f32_e32 v34, v33, v23
	v_max_f32_e32 v33, v33, v23
	v_cndmask_b32_e64 v34, v34, v32, s[22:23]
	v_cndmask_b32_e64 v33, v33, v32, s[22:23]
	;; [unrolled: 1-line block ×4, first 2 shown]
	v_cmp_neq_f32_e64 s[22:23], v34, v33
	v_cmp_class_f32_e64 s[24:25], v34, s24
	s_or_b64 s[22:23], s[22:23], s[24:25]
	s_and_saveexec_b64 s[24:25], s[22:23]
	s_cbranch_execz .LBB401_274
; %bb.273:
	v_sub_f32_e32 v31, v34, v33
	s_mov_b32 s22, 0x3fb8aa3b
	v_mul_f32_e32 v32, 0x3fb8aa3b, v31
	v_fma_f32 v34, v31, s22, -v32
	v_rndne_f32_e32 v35, v32
	v_fmac_f32_e32 v34, 0x32a5705f, v31
	v_sub_f32_e32 v32, v32, v35
	v_add_f32_e32 v32, v32, v34
	v_exp_f32_e32 v32, v32
	v_cvt_i32_f32_e32 v34, v35
	s_mov_b32 s22, 0xc2ce8ed0
	v_cmp_ngt_f32_e64 s[22:23], s22, v31
	s_mov_b32 s26, 0x7f800000
	v_ldexp_f32 v32, v32, v34
	v_cndmask_b32_e64 v32, 0, v32, s[22:23]
	s_mov_b32 s22, 0x42b17218
	v_mov_b32_e32 v34, 0x7f800000
	v_cmp_nlt_f32_e64 s[22:23], s22, v31
	v_cndmask_b32_e64 v49, v34, v32, s[22:23]
	v_add_f32_e32 v31, 1.0, v49
	v_add_f32_e32 v32, -1.0, v31
	v_sub_f32_e32 v34, v32, v31
	v_add_f32_e32 v34, 1.0, v34
	v_sub_f32_e32 v32, v49, v32
	v_add_f32_e32 v32, v32, v34
	v_frexp_mant_f32_e32 v50, v31
	s_mov_b32 s22, 0x3f2aaaab
	v_cvt_f64_f32_e32 v[34:35], v31
	v_frexp_exp_i32_f64_e32 v34, v[34:35]
	v_cmp_gt_f32_e64 s[22:23], s22, v50
	v_subbrev_co_u32_e64 v64, s[22:23], 0, v34, s[22:23]
	v_sub_u32_e32 v34, 0, v64
	v_ldexp_f32 v31, v31, v34
	v_ldexp_f32 v32, v32, v34
	v_add_f32_e32 v34, -1.0, v31
	v_add_f32_e32 v35, 1.0, v34
	v_sub_f32_e32 v35, v31, v35
	v_add_f32_e32 v50, v32, v35
	v_add_f32_e32 v35, 1.0, v31
	v_add_f32_e32 v51, -1.0, v35
	v_sub_f32_e32 v31, v31, v51
	v_add_f32_e32 v31, v32, v31
	v_add_f32_e32 v32, v35, v31
	v_rcp_f32_e32 v65, v32
	v_sub_f32_e32 v35, v35, v32
	v_add_f32_e32 v31, v31, v35
	v_add_f32_e32 v35, v34, v50
	v_sub_f32_e32 v34, v34, v35
	v_mul_f32_e32 v67, v35, v65
	v_add_f32_e32 v66, v50, v34
	v_mul_f32_e32 v50, v32, v67
	v_fma_f32 v52, v67, v32, -v50
	v_fmac_f32_e32 v52, v67, v31
	v_add_f32_e32 v34, v50, v52
	v_sub_f32_e32 v51, v35, v34
	v_pk_add_f32 v[54:55], v[34:35], v[50:51] neg_lo:[0,1] neg_hi:[0,1]
	v_mov_b32_e32 v53, v34
	v_pk_add_f32 v[34:35], v[54:55], v[52:53] neg_lo:[0,1] neg_hi:[0,1]
	v_add_f32_e32 v35, v66, v35
	v_add_f32_e32 v34, v34, v35
	;; [unrolled: 1-line block ×3, first 2 shown]
	v_mul_f32_e32 v66, v65, v35
	v_mul_f32_e32 v50, v32, v66
	v_fma_f32 v52, v66, v32, -v50
	v_fmac_f32_e32 v52, v66, v31
	v_sub_f32_e32 v31, v51, v35
	v_add_f32_e32 v31, v34, v31
	v_add_f32_e32 v34, v50, v52
	v_sub_f32_e32 v51, v35, v34
	v_pk_add_f32 v[54:55], v[34:35], v[50:51] neg_lo:[0,1] neg_hi:[0,1]
	v_mov_b32_e32 v53, v34
	v_pk_add_f32 v[34:35], v[54:55], v[52:53] neg_lo:[0,1] neg_hi:[0,1]
	v_add_f32_e32 v31, v31, v35
	v_add_f32_e32 v31, v34, v31
	v_add_f32_e32 v32, v67, v66
	v_add_f32_e32 v31, v51, v31
	v_sub_f32_e32 v34, v32, v67
	v_mul_f32_e32 v31, v65, v31
	v_sub_f32_e32 v34, v66, v34
	v_add_f32_e32 v31, v34, v31
	v_add_f32_e32 v34, v32, v31
	v_mul_f32_e32 v51, v34, v34
	v_mov_b32_e32 v50, 0x3ecc95a3
	v_fmac_f32_e32 v50, 0x3e9b6dac, v51
	v_mov_b32_e32 v35, 0x3f2aaada
	v_fmac_f32_e32 v35, v51, v50
	v_cvt_f32_i32_e32 v50, v64
	v_sub_f32_e32 v32, v34, v32
	v_ldexp_f32 v53, v34, 1
	v_mul_f32_e32 v51, v34, v51
	v_mov_b32_e32 v34, 0x3f317218
	s_mov_b32 s22, 0x3f317218
	v_pk_mul_f32 v[34:35], v[50:51], v[34:35]
	v_fma_f32 v52, v50, s22, -v34
	v_fmac_f32_e32 v52, 0xb102e308, v50
	v_pk_add_f32 v[50:51], v[34:35], v[52:53]
	v_sub_f32_e32 v31, v31, v32
	v_sub_f32_e32 v32, v51, v53
	v_ldexp_f32 v31, v31, 1
	v_sub_f32_e32 v32, v35, v32
	v_add_f32_e32 v55, v31, v32
	v_mov_b32_e32 v54, v34
	v_pk_add_f32 v[34:35], v[50:51], v[34:35] neg_lo:[0,1] neg_hi:[0,1]
	v_pk_add_f32 v[64:65], v[50:51], v[54:55]
	v_mov_b32_e32 v35, v65
	v_mov_b32_e32 v53, v50
	v_pk_add_f32 v[66:67], v[52:53], v[34:35] neg_lo:[0,1] neg_hi:[0,1]
	v_pk_add_f32 v[34:35], v[52:53], v[34:35]
	v_mov_b32_e32 v32, v35
	v_pk_add_f32 v[52:53], v[32:33], v[50:51] neg_lo:[0,1] neg_hi:[0,1]
	v_mov_b32_e32 v31, v52
	v_pk_add_f32 v[68:69], v[64:65], v[30:31] neg_lo:[0,1] neg_hi:[0,1]
	v_mov_b32_e32 v34, v65
	v_mov_b32_e32 v64, v51
	;; [unrolled: 1-line block ×4, first 2 shown]
	v_pk_add_f32 v[34:35], v[34:35], v[64:65] neg_lo:[0,1] neg_hi:[0,1]
	v_mov_b32_e32 v52, v55
	v_mov_b32_e32 v53, v50
	v_pk_add_f32 v[34:35], v[52:53], v[34:35] neg_lo:[0,1] neg_hi:[0,1]
	v_mov_b32_e32 v68, v66
	v_pk_add_f32 v[50:51], v[68:69], v[34:35]
	v_mov_b32_e32 v52, v51
	v_pk_add_f32 v[52:53], v[50:51], v[52:53]
	v_pk_add_f32 v[54:55], v[32:33], v[52:53]
	v_mov_b32_e32 v51, v54
	v_pk_add_f32 v[64:65], v[50:51], v[66:67] neg_lo:[0,1] neg_hi:[0,1]
	v_mov_b32_e32 v35, v52
	v_sub_f32_e32 v31, v50, v64
	v_pk_add_f32 v[34:35], v[34:35], v[64:65] neg_lo:[0,1] neg_hi:[0,1]
	v_sub_f32_e32 v31, v66, v31
	v_add_f32_e32 v31, v34, v31
	v_cmp_eq_f32_e64 s[22:23], s26, v49
	s_mov_b32 s26, 0x33800000
	v_add_f32_e32 v31, v31, v35
	v_cmp_lt_f32_e64 s[26:27], |v49|, s26
	v_add_f32_e32 v31, v54, v31
	s_or_b64 s[22:23], s[22:23], s[26:27]
	v_cndmask_b32_e64 v31, v31, v49, s[22:23]
	v_add_f32_e32 v31, v33, v31
	v_cvt_f16_f32_e32 v31, v31
	v_cvt_f32_f16_e32 v32, v31
.LBB401_274:
	s_or_b64 exec, exec, s[24:25]
	v_cvt_f32_f16_sdwa v50, v16 dst_sel:DWORD dst_unused:UNUSED_PAD src0_sel:WORD_1
	v_max_f32_e32 v34, v32, v32
	v_cmp_u_f16_e64 s[24:25], v31, v31
	v_cmp_u_f16_sdwa s[22:23], v16, v16 src0_sel:WORD_1 src1_sel:WORD_1
	v_min_f32_e32 v33, v34, v50
	v_max_f32_e32 v16, v34, v50
	v_cndmask_b32_e64 v33, v33, v32, s[24:25]
	v_cndmask_b32_e64 v16, v16, v32, s[24:25]
	v_cndmask_b32_e64 v33, v33, v50, s[22:23]
	v_cndmask_b32_e64 v16, v16, v50, s[22:23]
	s_movk_i32 s28, 0x1f8
	v_cmp_neq_f32_e64 s[24:25], v33, v16
	v_cmp_class_f32_e64 s[26:27], v33, s28
	s_or_b64 s[24:25], s[24:25], s[26:27]
	s_and_saveexec_b64 s[26:27], s[24:25]
	s_cbranch_execz .LBB401_276
; %bb.275:
	v_sub_f32_e32 v31, v33, v16
	s_mov_b32 s24, 0x3fb8aa3b
	v_mul_f32_e32 v32, 0x3fb8aa3b, v31
	v_fma_f32 v33, v31, s24, -v32
	v_rndne_f32_e32 v34, v32
	v_fmac_f32_e32 v33, 0x32a5705f, v31
	v_sub_f32_e32 v32, v32, v34
	v_add_f32_e32 v32, v32, v33
	v_exp_f32_e32 v32, v32
	v_cvt_i32_f32_e32 v33, v34
	s_mov_b32 s24, 0xc2ce8ed0
	v_cmp_ngt_f32_e64 s[24:25], s24, v31
	s_mov_b32 s29, 0x7f800000
	v_ldexp_f32 v32, v32, v33
	v_cndmask_b32_e64 v32, 0, v32, s[24:25]
	s_mov_b32 s24, 0x42b17218
	v_mov_b32_e32 v33, 0x7f800000
	v_cmp_nlt_f32_e64 s[24:25], s24, v31
	v_cndmask_b32_e64 v49, v33, v32, s[24:25]
	v_add_f32_e32 v31, 1.0, v49
	v_add_f32_e32 v32, -1.0, v31
	v_sub_f32_e32 v33, v32, v31
	v_add_f32_e32 v33, 1.0, v33
	v_sub_f32_e32 v32, v49, v32
	v_add_f32_e32 v34, v32, v33
	v_frexp_mant_f32_e32 v35, v31
	s_mov_b32 s24, 0x3f2aaaab
	v_cvt_f64_f32_e32 v[32:33], v31
	v_frexp_exp_i32_f64_e32 v32, v[32:33]
	v_cmp_gt_f32_e64 s[24:25], s24, v35
	v_subbrev_co_u32_e64 v51, s[24:25], 0, v32, s[24:25]
	v_sub_u32_e32 v32, 0, v51
	v_ldexp_f32 v31, v31, v32
	v_ldexp_f32 v32, v34, v32
	v_add_f32_e32 v34, -1.0, v31
	v_add_f32_e32 v33, 1.0, v34
	v_sub_f32_e32 v33, v31, v33
	v_add_f32_e32 v35, v32, v33
	v_add_f32_e32 v33, 1.0, v31
	v_add_f32_e32 v52, -1.0, v33
	v_sub_f32_e32 v31, v31, v52
	v_add_f32_e32 v31, v32, v31
	v_add_f32_e32 v64, v33, v31
	v_rcp_f32_e32 v65, v64
	v_sub_f32_e32 v32, v33, v64
	v_add_f32_e32 v33, v34, v35
	v_add_f32_e32 v31, v31, v32
	v_mul_f32_e32 v67, v33, v65
	v_sub_f32_e32 v32, v34, v33
	v_mul_f32_e32 v34, v64, v67
	v_fma_f32 v52, v67, v64, -v34
	v_fmac_f32_e32 v52, v67, v31
	v_add_f32_e32 v66, v35, v32
	v_add_f32_e32 v32, v34, v52
	v_sub_f32_e32 v35, v33, v32
	v_pk_add_f32 v[54:55], v[32:33], v[34:35] neg_lo:[0,1] neg_hi:[0,1]
	v_mov_b32_e32 v53, v32
	v_pk_add_f32 v[32:33], v[54:55], v[52:53] neg_lo:[0,1] neg_hi:[0,1]
	v_add_f32_e32 v33, v66, v33
	v_add_f32_e32 v32, v32, v33
	;; [unrolled: 1-line block ×3, first 2 shown]
	v_mul_f32_e32 v66, v65, v33
	v_mul_f32_e32 v34, v64, v66
	v_fma_f32 v52, v66, v64, -v34
	v_fmac_f32_e32 v52, v66, v31
	v_sub_f32_e32 v31, v35, v33
	v_add_f32_e32 v31, v32, v31
	v_add_f32_e32 v32, v34, v52
	v_sub_f32_e32 v35, v33, v32
	v_pk_add_f32 v[54:55], v[32:33], v[34:35] neg_lo:[0,1] neg_hi:[0,1]
	v_mov_b32_e32 v53, v32
	v_pk_add_f32 v[32:33], v[54:55], v[52:53] neg_lo:[0,1] neg_hi:[0,1]
	v_add_f32_e32 v31, v31, v33
	v_add_f32_e32 v31, v32, v31
	;; [unrolled: 1-line block ×4, first 2 shown]
	v_sub_f32_e32 v33, v32, v67
	v_mul_f32_e32 v31, v65, v31
	v_sub_f32_e32 v33, v66, v33
	v_add_f32_e32 v31, v33, v31
	v_add_f32_e32 v35, v32, v31
	v_mul_f32_e32 v52, v35, v35
	v_mov_b32_e32 v34, 0x3ecc95a3
	v_fmac_f32_e32 v34, 0x3e9b6dac, v52
	v_mov_b32_e32 v33, 0x3f2aaada
	v_fmac_f32_e32 v33, v52, v34
	v_cvt_f32_i32_e32 v34, v51
	v_sub_f32_e32 v32, v35, v32
	v_sub_f32_e32 v31, v31, v32
	v_ldexp_f32 v53, v35, 1
	v_mul_f32_e32 v35, v35, v52
	v_mov_b32_e32 v32, 0x3f317218
	s_mov_b32 s24, 0x3f317218
	v_pk_mul_f32 v[32:33], v[34:35], v[32:33]
	v_fma_f32 v52, v34, s24, -v32
	v_fmac_f32_e32 v52, 0xb102e308, v34
	v_pk_add_f32 v[34:35], v[32:33], v[52:53]
	v_sub_f32_e32 v51, v35, v53
	v_ldexp_f32 v31, v31, 1
	v_sub_f32_e32 v51, v33, v51
	v_add_f32_e32 v55, v31, v51
	v_mov_b32_e32 v54, v32
	v_pk_add_f32 v[32:33], v[34:35], v[32:33] neg_lo:[0,1] neg_hi:[0,1]
	v_pk_add_f32 v[64:65], v[34:35], v[54:55]
	v_mov_b32_e32 v33, v65
	v_mov_b32_e32 v53, v34
	v_pk_add_f32 v[66:67], v[52:53], v[32:33] neg_lo:[0,1] neg_hi:[0,1]
	v_pk_add_f32 v[32:33], v[52:53], v[32:33]
	v_mov_b32_e32 v52, v33
	v_pk_add_f32 v[68:69], v[52:53], v[34:35] neg_lo:[0,1] neg_hi:[0,1]
	v_mov_b32_e32 v31, v68
	v_pk_add_f32 v[70:71], v[64:65], v[30:31] neg_lo:[0,1] neg_hi:[0,1]
	v_mov_b32_e32 v32, v65
	v_mov_b32_e32 v64, v35
	;; [unrolled: 1-line block ×4, first 2 shown]
	v_pk_add_f32 v[32:33], v[32:33], v[64:65] neg_lo:[0,1] neg_hi:[0,1]
	v_mov_b32_e32 v54, v55
	v_mov_b32_e32 v55, v34
	v_pk_add_f32 v[32:33], v[54:55], v[32:33] neg_lo:[0,1] neg_hi:[0,1]
	v_mov_b32_e32 v70, v66
	v_pk_add_f32 v[34:35], v[70:71], v[32:33]
	v_mov_b32_e32 v54, v35
	v_pk_add_f32 v[54:55], v[34:35], v[54:55]
	v_pk_add_f32 v[52:53], v[52:53], v[54:55]
	v_mov_b32_e32 v35, v52
	v_pk_add_f32 v[64:65], v[34:35], v[66:67] neg_lo:[0,1] neg_hi:[0,1]
	v_mov_b32_e32 v33, v54
	v_sub_f32_e32 v31, v34, v64
	v_pk_add_f32 v[32:33], v[32:33], v[64:65] neg_lo:[0,1] neg_hi:[0,1]
	v_sub_f32_e32 v31, v66, v31
	v_add_f32_e32 v31, v32, v31
	v_cmp_eq_f32_e64 s[24:25], s29, v49
	s_mov_b32 s29, 0x33800000
	v_add_f32_e32 v31, v31, v33
	v_cmp_lt_f32_e64 s[30:31], |v49|, s29
	v_add_f32_e32 v31, v52, v31
	s_or_b64 s[24:25], s[24:25], s[30:31]
	v_cndmask_b32_e64 v31, v31, v49, s[24:25]
	v_add_f32_e32 v16, v16, v31
	v_cvt_f16_f32_e32 v31, v16
	v_cvt_f32_f16_e32 v32, v31
.LBB401_276:
	s_or_b64 exec, exec, s[26:27]
	v_cvt_f32_f16_e32 v16, v17
	v_max_f32_e32 v33, v32, v32
	v_cmp_u_f16_e64 s[26:27], v31, v31
	v_cmp_u_f16_e64 s[24:25], v17, v17
	v_min_f32_e32 v34, v33, v16
	v_max_f32_e32 v33, v33, v16
	v_cndmask_b32_e64 v34, v34, v32, s[26:27]
	v_cndmask_b32_e64 v33, v33, v32, s[26:27]
	;; [unrolled: 1-line block ×4, first 2 shown]
	v_cmp_neq_f32_e64 s[26:27], v34, v33
	v_cmp_class_f32_e64 s[28:29], v34, s28
	s_or_b64 s[26:27], s[26:27], s[28:29]
	s_and_saveexec_b64 s[28:29], s[26:27]
	s_cbranch_execz .LBB401_278
; %bb.277:
	v_sub_f32_e32 v31, v34, v33
	s_mov_b32 s26, 0x3fb8aa3b
	v_mul_f32_e32 v32, 0x3fb8aa3b, v31
	v_fma_f32 v34, v31, s26, -v32
	v_rndne_f32_e32 v35, v32
	v_fmac_f32_e32 v34, 0x32a5705f, v31
	v_sub_f32_e32 v32, v32, v35
	v_add_f32_e32 v32, v32, v34
	v_exp_f32_e32 v32, v32
	v_cvt_i32_f32_e32 v34, v35
	s_mov_b32 s26, 0xc2ce8ed0
	v_cmp_ngt_f32_e64 s[26:27], s26, v31
	s_mov_b32 s30, 0x7f800000
	v_ldexp_f32 v32, v32, v34
	v_cndmask_b32_e64 v32, 0, v32, s[26:27]
	s_mov_b32 s26, 0x42b17218
	v_mov_b32_e32 v34, 0x7f800000
	v_cmp_nlt_f32_e64 s[26:27], s26, v31
	v_cndmask_b32_e64 v49, v34, v32, s[26:27]
	v_add_f32_e32 v31, 1.0, v49
	v_add_f32_e32 v32, -1.0, v31
	v_sub_f32_e32 v34, v32, v31
	v_add_f32_e32 v34, 1.0, v34
	v_sub_f32_e32 v32, v49, v32
	v_add_f32_e32 v32, v32, v34
	v_frexp_mant_f32_e32 v51, v31
	s_mov_b32 s26, 0x3f2aaaab
	v_cvt_f64_f32_e32 v[34:35], v31
	v_frexp_exp_i32_f64_e32 v34, v[34:35]
	v_cmp_gt_f32_e64 s[26:27], s26, v51
	v_subbrev_co_u32_e64 v51, s[26:27], 0, v34, s[26:27]
	v_sub_u32_e32 v34, 0, v51
	v_ldexp_f32 v31, v31, v34
	v_ldexp_f32 v32, v32, v34
	v_add_f32_e32 v34, -1.0, v31
	v_add_f32_e32 v35, 1.0, v34
	v_sub_f32_e32 v35, v31, v35
	v_add_f32_e32 v52, v32, v35
	v_add_f32_e32 v35, 1.0, v31
	v_add_f32_e32 v53, -1.0, v35
	v_sub_f32_e32 v31, v31, v53
	v_add_f32_e32 v31, v32, v31
	v_add_f32_e32 v32, v35, v31
	v_rcp_f32_e32 v66, v32
	v_sub_f32_e32 v35, v35, v32
	v_add_f32_e32 v31, v31, v35
	v_add_f32_e32 v35, v34, v52
	v_sub_f32_e32 v34, v34, v35
	v_mul_f32_e32 v68, v35, v66
	v_add_f32_e32 v67, v52, v34
	v_mul_f32_e32 v52, v32, v68
	v_fma_f32 v54, v68, v32, -v52
	v_fmac_f32_e32 v54, v68, v31
	v_add_f32_e32 v34, v52, v54
	v_sub_f32_e32 v53, v35, v34
	v_pk_add_f32 v[64:65], v[34:35], v[52:53] neg_lo:[0,1] neg_hi:[0,1]
	v_mov_b32_e32 v55, v34
	v_pk_add_f32 v[34:35], v[64:65], v[54:55] neg_lo:[0,1] neg_hi:[0,1]
	v_add_f32_e32 v35, v67, v35
	v_add_f32_e32 v34, v34, v35
	;; [unrolled: 1-line block ×3, first 2 shown]
	v_mul_f32_e32 v67, v66, v35
	v_mul_f32_e32 v52, v32, v67
	v_fma_f32 v54, v67, v32, -v52
	v_fmac_f32_e32 v54, v67, v31
	v_sub_f32_e32 v31, v53, v35
	v_add_f32_e32 v31, v34, v31
	v_add_f32_e32 v34, v52, v54
	v_sub_f32_e32 v53, v35, v34
	v_pk_add_f32 v[64:65], v[34:35], v[52:53] neg_lo:[0,1] neg_hi:[0,1]
	v_mov_b32_e32 v55, v34
	v_pk_add_f32 v[34:35], v[64:65], v[54:55] neg_lo:[0,1] neg_hi:[0,1]
	v_add_f32_e32 v31, v31, v35
	v_add_f32_e32 v31, v34, v31
	;; [unrolled: 1-line block ×4, first 2 shown]
	v_sub_f32_e32 v34, v32, v68
	v_mul_f32_e32 v31, v66, v31
	v_sub_f32_e32 v34, v67, v34
	v_add_f32_e32 v31, v34, v31
	v_add_f32_e32 v34, v32, v31
	v_mul_f32_e32 v53, v34, v34
	v_mov_b32_e32 v52, 0x3ecc95a3
	v_fmac_f32_e32 v52, 0x3e9b6dac, v53
	v_mov_b32_e32 v35, 0x3f2aaada
	v_fmac_f32_e32 v35, v53, v52
	v_cvt_f32_i32_e32 v52, v51
	v_sub_f32_e32 v32, v34, v32
	v_ldexp_f32 v55, v34, 1
	v_mul_f32_e32 v53, v34, v53
	v_mov_b32_e32 v34, 0x3f317218
	s_mov_b32 s26, 0x3f317218
	v_pk_mul_f32 v[34:35], v[52:53], v[34:35]
	v_fma_f32 v54, v52, s26, -v34
	v_fmac_f32_e32 v54, 0xb102e308, v52
	v_pk_add_f32 v[52:53], v[34:35], v[54:55]
	v_sub_f32_e32 v31, v31, v32
	v_sub_f32_e32 v32, v53, v55
	v_ldexp_f32 v31, v31, 1
	v_sub_f32_e32 v32, v35, v32
	v_add_f32_e32 v65, v31, v32
	v_mov_b32_e32 v64, v34
	v_pk_add_f32 v[34:35], v[52:53], v[34:35] neg_lo:[0,1] neg_hi:[0,1]
	v_pk_add_f32 v[66:67], v[52:53], v[64:65]
	v_mov_b32_e32 v35, v67
	v_mov_b32_e32 v55, v52
	v_pk_add_f32 v[68:69], v[54:55], v[34:35] neg_lo:[0,1] neg_hi:[0,1]
	v_pk_add_f32 v[34:35], v[54:55], v[34:35]
	v_mov_b32_e32 v32, v35
	v_pk_add_f32 v[54:55], v[32:33], v[52:53] neg_lo:[0,1] neg_hi:[0,1]
	v_mov_b32_e32 v31, v54
	v_pk_add_f32 v[70:71], v[66:67], v[30:31] neg_lo:[0,1] neg_hi:[0,1]
	v_mov_b32_e32 v34, v67
	v_mov_b32_e32 v66, v53
	;; [unrolled: 1-line block ×4, first 2 shown]
	v_pk_add_f32 v[34:35], v[34:35], v[66:67] neg_lo:[0,1] neg_hi:[0,1]
	v_mov_b32_e32 v54, v65
	v_mov_b32_e32 v55, v52
	v_pk_add_f32 v[34:35], v[54:55], v[34:35] neg_lo:[0,1] neg_hi:[0,1]
	v_mov_b32_e32 v70, v68
	v_pk_add_f32 v[52:53], v[70:71], v[34:35]
	v_mov_b32_e32 v54, v53
	v_pk_add_f32 v[54:55], v[52:53], v[54:55]
	v_pk_add_f32 v[64:65], v[32:33], v[54:55]
	v_mov_b32_e32 v53, v64
	v_pk_add_f32 v[66:67], v[52:53], v[68:69] neg_lo:[0,1] neg_hi:[0,1]
	v_mov_b32_e32 v35, v54
	v_sub_f32_e32 v31, v52, v66
	v_pk_add_f32 v[34:35], v[34:35], v[66:67] neg_lo:[0,1] neg_hi:[0,1]
	v_sub_f32_e32 v31, v68, v31
	v_add_f32_e32 v31, v34, v31
	v_cmp_eq_f32_e64 s[26:27], s30, v49
	s_mov_b32 s30, 0x33800000
	v_add_f32_e32 v31, v31, v35
	v_cmp_lt_f32_e64 s[30:31], |v49|, s30
	v_add_f32_e32 v31, v64, v31
	s_or_b64 s[26:27], s[26:27], s[30:31]
	v_cndmask_b32_e64 v31, v31, v49, s[26:27]
	v_add_f32_e32 v31, v33, v31
	v_cvt_f16_f32_e32 v31, v31
	v_cvt_f32_f16_e32 v32, v31
.LBB401_278:
	s_or_b64 exec, exec, s[28:29]
	v_cvt_f32_f16_sdwa v51, v17 dst_sel:DWORD dst_unused:UNUSED_PAD src0_sel:WORD_1
	v_max_f32_e32 v34, v32, v32
	v_cmp_u_f16_e64 s[28:29], v31, v31
	v_cmp_u_f16_sdwa s[26:27], v17, v17 src0_sel:WORD_1 src1_sel:WORD_1
	v_min_f32_e32 v33, v34, v51
	v_max_f32_e32 v17, v34, v51
	v_cndmask_b32_e64 v33, v33, v32, s[28:29]
	v_cndmask_b32_e64 v17, v17, v32, s[28:29]
	;; [unrolled: 1-line block ×4, first 2 shown]
	s_movk_i32 s34, 0x1f8
	v_cmp_neq_f32_e64 s[28:29], v33, v17
	v_cmp_class_f32_e64 s[30:31], v33, s34
	s_or_b64 s[28:29], s[28:29], s[30:31]
	s_and_saveexec_b64 s[30:31], s[28:29]
	s_cbranch_execz .LBB401_280
; %bb.279:
	v_sub_f32_e32 v31, v33, v17
	s_mov_b32 s28, 0x3fb8aa3b
	v_mul_f32_e32 v32, 0x3fb8aa3b, v31
	v_fma_f32 v33, v31, s28, -v32
	v_rndne_f32_e32 v34, v32
	v_fmac_f32_e32 v33, 0x32a5705f, v31
	v_sub_f32_e32 v32, v32, v34
	v_add_f32_e32 v32, v32, v33
	v_exp_f32_e32 v32, v32
	v_cvt_i32_f32_e32 v33, v34
	s_mov_b32 s28, 0xc2ce8ed0
	v_cmp_ngt_f32_e64 s[28:29], s28, v31
	s_mov_b32 s35, 0x7f800000
	v_ldexp_f32 v32, v32, v33
	v_cndmask_b32_e64 v32, 0, v32, s[28:29]
	s_mov_b32 s28, 0x42b17218
	v_mov_b32_e32 v33, 0x7f800000
	v_cmp_nlt_f32_e64 s[28:29], s28, v31
	v_cndmask_b32_e64 v49, v33, v32, s[28:29]
	v_add_f32_e32 v31, 1.0, v49
	v_add_f32_e32 v32, -1.0, v31
	v_sub_f32_e32 v33, v32, v31
	v_add_f32_e32 v33, 1.0, v33
	v_sub_f32_e32 v32, v49, v32
	v_add_f32_e32 v34, v32, v33
	v_frexp_mant_f32_e32 v35, v31
	s_mov_b32 s28, 0x3f2aaaab
	v_cvt_f64_f32_e32 v[32:33], v31
	v_frexp_exp_i32_f64_e32 v32, v[32:33]
	v_cmp_gt_f32_e64 s[28:29], s28, v35
	v_subbrev_co_u32_e64 v64, s[28:29], 0, v32, s[28:29]
	v_sub_u32_e32 v32, 0, v64
	v_ldexp_f32 v31, v31, v32
	v_ldexp_f32 v32, v34, v32
	v_add_f32_e32 v34, -1.0, v31
	v_add_f32_e32 v33, 1.0, v34
	v_sub_f32_e32 v33, v31, v33
	v_add_f32_e32 v35, v32, v33
	v_add_f32_e32 v33, 1.0, v31
	v_add_f32_e32 v52, -1.0, v33
	v_sub_f32_e32 v31, v31, v52
	v_add_f32_e32 v31, v32, v31
	v_add_f32_e32 v65, v33, v31
	v_rcp_f32_e32 v66, v65
	v_sub_f32_e32 v32, v33, v65
	v_add_f32_e32 v33, v34, v35
	v_add_f32_e32 v31, v31, v32
	v_mul_f32_e32 v68, v33, v66
	v_sub_f32_e32 v32, v34, v33
	v_mul_f32_e32 v34, v65, v68
	v_fma_f32 v52, v68, v65, -v34
	v_fmac_f32_e32 v52, v68, v31
	v_add_f32_e32 v67, v35, v32
	v_add_f32_e32 v32, v34, v52
	v_sub_f32_e32 v35, v33, v32
	v_pk_add_f32 v[54:55], v[32:33], v[34:35] neg_lo:[0,1] neg_hi:[0,1]
	v_mov_b32_e32 v53, v32
	v_pk_add_f32 v[32:33], v[54:55], v[52:53] neg_lo:[0,1] neg_hi:[0,1]
	v_add_f32_e32 v33, v67, v33
	v_add_f32_e32 v32, v32, v33
	;; [unrolled: 1-line block ×3, first 2 shown]
	v_mul_f32_e32 v67, v66, v33
	v_mul_f32_e32 v34, v65, v67
	v_fma_f32 v52, v67, v65, -v34
	v_fmac_f32_e32 v52, v67, v31
	v_sub_f32_e32 v31, v35, v33
	v_add_f32_e32 v31, v32, v31
	v_add_f32_e32 v32, v34, v52
	v_sub_f32_e32 v35, v33, v32
	v_pk_add_f32 v[54:55], v[32:33], v[34:35] neg_lo:[0,1] neg_hi:[0,1]
	v_mov_b32_e32 v53, v32
	v_pk_add_f32 v[32:33], v[54:55], v[52:53] neg_lo:[0,1] neg_hi:[0,1]
	v_add_f32_e32 v31, v31, v33
	v_add_f32_e32 v31, v32, v31
	;; [unrolled: 1-line block ×4, first 2 shown]
	v_sub_f32_e32 v33, v32, v68
	v_mul_f32_e32 v31, v66, v31
	v_sub_f32_e32 v33, v67, v33
	v_add_f32_e32 v31, v33, v31
	v_add_f32_e32 v35, v32, v31
	v_mul_f32_e32 v52, v35, v35
	v_mov_b32_e32 v34, 0x3ecc95a3
	v_fmac_f32_e32 v34, 0x3e9b6dac, v52
	v_mov_b32_e32 v33, 0x3f2aaada
	v_fmac_f32_e32 v33, v52, v34
	v_cvt_f32_i32_e32 v34, v64
	v_sub_f32_e32 v32, v35, v32
	v_sub_f32_e32 v31, v31, v32
	v_ldexp_f32 v53, v35, 1
	v_mul_f32_e32 v35, v35, v52
	v_mov_b32_e32 v32, 0x3f317218
	s_mov_b32 s28, 0x3f317218
	v_pk_mul_f32 v[32:33], v[34:35], v[32:33]
	v_fma_f32 v52, v34, s28, -v32
	v_fmac_f32_e32 v52, 0xb102e308, v34
	v_pk_add_f32 v[34:35], v[32:33], v[52:53]
	v_sub_f32_e32 v53, v35, v53
	v_ldexp_f32 v31, v31, 1
	v_sub_f32_e32 v53, v33, v53
	v_add_f32_e32 v55, v31, v53
	v_mov_b32_e32 v54, v32
	v_pk_add_f32 v[32:33], v[34:35], v[32:33] neg_lo:[0,1] neg_hi:[0,1]
	v_pk_add_f32 v[64:65], v[34:35], v[54:55]
	v_mov_b32_e32 v33, v65
	v_mov_b32_e32 v53, v34
	v_pk_add_f32 v[66:67], v[52:53], v[32:33] neg_lo:[0,1] neg_hi:[0,1]
	v_pk_add_f32 v[32:33], v[52:53], v[32:33]
	v_mov_b32_e32 v52, v33
	v_pk_add_f32 v[68:69], v[52:53], v[34:35] neg_lo:[0,1] neg_hi:[0,1]
	v_mov_b32_e32 v31, v68
	v_pk_add_f32 v[70:71], v[64:65], v[30:31] neg_lo:[0,1] neg_hi:[0,1]
	v_mov_b32_e32 v32, v65
	v_mov_b32_e32 v64, v35
	;; [unrolled: 1-line block ×4, first 2 shown]
	v_pk_add_f32 v[32:33], v[32:33], v[64:65] neg_lo:[0,1] neg_hi:[0,1]
	v_mov_b32_e32 v54, v55
	v_mov_b32_e32 v55, v34
	v_pk_add_f32 v[32:33], v[54:55], v[32:33] neg_lo:[0,1] neg_hi:[0,1]
	v_mov_b32_e32 v70, v66
	v_pk_add_f32 v[34:35], v[70:71], v[32:33]
	v_mov_b32_e32 v54, v35
	v_pk_add_f32 v[54:55], v[34:35], v[54:55]
	v_pk_add_f32 v[52:53], v[52:53], v[54:55]
	v_mov_b32_e32 v35, v52
	v_pk_add_f32 v[64:65], v[34:35], v[66:67] neg_lo:[0,1] neg_hi:[0,1]
	v_mov_b32_e32 v33, v54
	v_sub_f32_e32 v31, v34, v64
	v_pk_add_f32 v[32:33], v[32:33], v[64:65] neg_lo:[0,1] neg_hi:[0,1]
	v_sub_f32_e32 v31, v66, v31
	v_add_f32_e32 v31, v32, v31
	v_cmp_eq_f32_e64 s[28:29], s35, v49
	s_mov_b32 s35, 0x33800000
	v_add_f32_e32 v31, v31, v33
	v_cmp_lt_f32_e64 s[36:37], |v49|, s35
	v_add_f32_e32 v31, v52, v31
	s_or_b64 s[28:29], s[28:29], s[36:37]
	v_cndmask_b32_e64 v31, v31, v49, s[28:29]
	v_add_f32_e32 v17, v17, v31
	v_cvt_f16_f32_e32 v31, v17
	v_cvt_f32_f16_e32 v32, v31
.LBB401_280:
	s_or_b64 exec, exec, s[30:31]
	v_cvt_f32_f16_e32 v17, v18
	v_max_f32_e32 v33, v32, v32
	v_cmp_u_f16_e64 s[30:31], v31, v31
	v_cmp_u_f16_e64 s[28:29], v18, v18
	v_min_f32_e32 v34, v33, v17
	v_max_f32_e32 v33, v33, v17
	v_cndmask_b32_e64 v34, v34, v32, s[30:31]
	v_cndmask_b32_e64 v33, v33, v32, s[30:31]
	;; [unrolled: 1-line block ×4, first 2 shown]
	v_cmp_neq_f32_e64 s[30:31], v34, v33
	v_cmp_class_f32_e64 s[34:35], v34, s34
	s_or_b64 s[30:31], s[30:31], s[34:35]
	s_and_saveexec_b64 s[34:35], s[30:31]
	s_cbranch_execz .LBB401_282
; %bb.281:
	v_sub_f32_e32 v31, v34, v33
	s_mov_b32 s30, 0x3fb8aa3b
	v_mul_f32_e32 v32, 0x3fb8aa3b, v31
	v_fma_f32 v34, v31, s30, -v32
	v_rndne_f32_e32 v35, v32
	v_fmac_f32_e32 v34, 0x32a5705f, v31
	v_sub_f32_e32 v32, v32, v35
	v_add_f32_e32 v32, v32, v34
	v_exp_f32_e32 v32, v32
	v_cvt_i32_f32_e32 v34, v35
	s_mov_b32 s30, 0xc2ce8ed0
	v_cmp_ngt_f32_e64 s[30:31], s30, v31
	s_mov_b32 s36, 0x7f800000
	v_ldexp_f32 v32, v32, v34
	v_cndmask_b32_e64 v32, 0, v32, s[30:31]
	s_mov_b32 s30, 0x42b17218
	v_mov_b32_e32 v34, 0x7f800000
	v_cmp_nlt_f32_e64 s[30:31], s30, v31
	v_cndmask_b32_e64 v49, v34, v32, s[30:31]
	v_add_f32_e32 v31, 1.0, v49
	v_add_f32_e32 v32, -1.0, v31
	v_sub_f32_e32 v34, v32, v31
	v_add_f32_e32 v34, 1.0, v34
	v_sub_f32_e32 v32, v49, v32
	v_add_f32_e32 v32, v32, v34
	v_frexp_mant_f32_e32 v52, v31
	s_mov_b32 s30, 0x3f2aaaab
	v_cvt_f64_f32_e32 v[34:35], v31
	v_frexp_exp_i32_f64_e32 v34, v[34:35]
	v_cmp_gt_f32_e64 s[30:31], s30, v52
	v_subbrev_co_u32_e64 v66, s[30:31], 0, v34, s[30:31]
	v_sub_u32_e32 v34, 0, v66
	v_ldexp_f32 v31, v31, v34
	v_ldexp_f32 v32, v32, v34
	v_add_f32_e32 v34, -1.0, v31
	v_add_f32_e32 v35, 1.0, v34
	v_sub_f32_e32 v35, v31, v35
	v_add_f32_e32 v52, v32, v35
	v_add_f32_e32 v35, 1.0, v31
	v_add_f32_e32 v53, -1.0, v35
	v_sub_f32_e32 v31, v31, v53
	v_add_f32_e32 v31, v32, v31
	v_add_f32_e32 v32, v35, v31
	v_rcp_f32_e32 v67, v32
	v_sub_f32_e32 v35, v35, v32
	v_add_f32_e32 v31, v31, v35
	v_add_f32_e32 v35, v34, v52
	v_sub_f32_e32 v34, v34, v35
	v_mul_f32_e32 v69, v35, v67
	v_add_f32_e32 v68, v52, v34
	v_mul_f32_e32 v52, v32, v69
	v_fma_f32 v54, v69, v32, -v52
	v_fmac_f32_e32 v54, v69, v31
	v_add_f32_e32 v34, v52, v54
	v_sub_f32_e32 v53, v35, v34
	v_pk_add_f32 v[64:65], v[34:35], v[52:53] neg_lo:[0,1] neg_hi:[0,1]
	v_mov_b32_e32 v55, v34
	v_pk_add_f32 v[34:35], v[64:65], v[54:55] neg_lo:[0,1] neg_hi:[0,1]
	v_add_f32_e32 v35, v68, v35
	v_add_f32_e32 v34, v34, v35
	;; [unrolled: 1-line block ×3, first 2 shown]
	v_mul_f32_e32 v68, v67, v35
	v_mul_f32_e32 v52, v32, v68
	v_fma_f32 v54, v68, v32, -v52
	v_fmac_f32_e32 v54, v68, v31
	v_sub_f32_e32 v31, v53, v35
	v_add_f32_e32 v31, v34, v31
	v_add_f32_e32 v34, v52, v54
	v_sub_f32_e32 v53, v35, v34
	v_pk_add_f32 v[64:65], v[34:35], v[52:53] neg_lo:[0,1] neg_hi:[0,1]
	v_mov_b32_e32 v55, v34
	v_pk_add_f32 v[34:35], v[64:65], v[54:55] neg_lo:[0,1] neg_hi:[0,1]
	v_add_f32_e32 v31, v31, v35
	v_add_f32_e32 v31, v34, v31
	;; [unrolled: 1-line block ×4, first 2 shown]
	v_sub_f32_e32 v34, v32, v69
	v_mul_f32_e32 v31, v67, v31
	v_sub_f32_e32 v34, v68, v34
	v_add_f32_e32 v31, v34, v31
	v_add_f32_e32 v34, v32, v31
	v_mul_f32_e32 v53, v34, v34
	v_mov_b32_e32 v52, 0x3ecc95a3
	v_fmac_f32_e32 v52, 0x3e9b6dac, v53
	v_mov_b32_e32 v35, 0x3f2aaada
	v_fmac_f32_e32 v35, v53, v52
	v_cvt_f32_i32_e32 v52, v66
	v_sub_f32_e32 v32, v34, v32
	v_ldexp_f32 v55, v34, 1
	v_mul_f32_e32 v53, v34, v53
	v_mov_b32_e32 v34, 0x3f317218
	s_mov_b32 s30, 0x3f317218
	v_pk_mul_f32 v[34:35], v[52:53], v[34:35]
	v_fma_f32 v54, v52, s30, -v34
	v_fmac_f32_e32 v54, 0xb102e308, v52
	v_pk_add_f32 v[52:53], v[34:35], v[54:55]
	v_sub_f32_e32 v31, v31, v32
	v_sub_f32_e32 v32, v53, v55
	v_ldexp_f32 v31, v31, 1
	v_sub_f32_e32 v32, v35, v32
	v_add_f32_e32 v65, v31, v32
	v_mov_b32_e32 v64, v34
	v_pk_add_f32 v[34:35], v[52:53], v[34:35] neg_lo:[0,1] neg_hi:[0,1]
	v_pk_add_f32 v[66:67], v[52:53], v[64:65]
	v_mov_b32_e32 v35, v67
	v_mov_b32_e32 v55, v52
	v_pk_add_f32 v[68:69], v[54:55], v[34:35] neg_lo:[0,1] neg_hi:[0,1]
	v_pk_add_f32 v[34:35], v[54:55], v[34:35]
	v_mov_b32_e32 v32, v35
	v_pk_add_f32 v[54:55], v[32:33], v[52:53] neg_lo:[0,1] neg_hi:[0,1]
	v_mov_b32_e32 v31, v54
	v_pk_add_f32 v[70:71], v[66:67], v[30:31] neg_lo:[0,1] neg_hi:[0,1]
	v_mov_b32_e32 v34, v67
	v_mov_b32_e32 v66, v53
	;; [unrolled: 1-line block ×4, first 2 shown]
	v_pk_add_f32 v[34:35], v[34:35], v[66:67] neg_lo:[0,1] neg_hi:[0,1]
	v_mov_b32_e32 v54, v65
	v_mov_b32_e32 v55, v52
	v_pk_add_f32 v[34:35], v[54:55], v[34:35] neg_lo:[0,1] neg_hi:[0,1]
	v_mov_b32_e32 v70, v68
	v_pk_add_f32 v[52:53], v[70:71], v[34:35]
	v_mov_b32_e32 v54, v53
	v_pk_add_f32 v[54:55], v[52:53], v[54:55]
	v_pk_add_f32 v[64:65], v[32:33], v[54:55]
	v_mov_b32_e32 v53, v64
	v_pk_add_f32 v[66:67], v[52:53], v[68:69] neg_lo:[0,1] neg_hi:[0,1]
	v_mov_b32_e32 v35, v54
	v_sub_f32_e32 v31, v52, v66
	v_pk_add_f32 v[34:35], v[34:35], v[66:67] neg_lo:[0,1] neg_hi:[0,1]
	v_sub_f32_e32 v31, v68, v31
	v_add_f32_e32 v31, v34, v31
	v_cmp_eq_f32_e64 s[30:31], s36, v49
	s_mov_b32 s36, 0x33800000
	v_add_f32_e32 v31, v31, v35
	v_cmp_lt_f32_e64 s[36:37], |v49|, s36
	v_add_f32_e32 v31, v64, v31
	s_or_b64 s[30:31], s[30:31], s[36:37]
	v_cndmask_b32_e64 v31, v31, v49, s[30:31]
	v_add_f32_e32 v31, v33, v31
	v_cvt_f16_f32_e32 v31, v31
	v_cvt_f32_f16_e32 v32, v31
.LBB401_282:
	s_or_b64 exec, exec, s[34:35]
	v_cvt_f32_f16_sdwa v52, v18 dst_sel:DWORD dst_unused:UNUSED_PAD src0_sel:WORD_1
	v_max_f32_e32 v34, v32, v32
	v_cmp_u_f16_e64 s[34:35], v31, v31
	v_cmp_u_f16_sdwa s[30:31], v18, v18 src0_sel:WORD_1 src1_sel:WORD_1
	v_min_f32_e32 v33, v34, v52
	v_max_f32_e32 v18, v34, v52
	v_cndmask_b32_e64 v33, v33, v32, s[34:35]
	v_cndmask_b32_e64 v18, v18, v32, s[34:35]
	;; [unrolled: 1-line block ×4, first 2 shown]
	s_movk_i32 s38, 0x1f8
	v_cmp_neq_f32_e64 s[34:35], v33, v18
	v_cmp_class_f32_e64 s[36:37], v33, s38
	s_or_b64 s[34:35], s[34:35], s[36:37]
	s_and_saveexec_b64 s[36:37], s[34:35]
	s_cbranch_execz .LBB401_284
; %bb.283:
	v_sub_f32_e32 v31, v33, v18
	s_mov_b32 s34, 0x3fb8aa3b
	v_mul_f32_e32 v32, 0x3fb8aa3b, v31
	v_fma_f32 v33, v31, s34, -v32
	v_rndne_f32_e32 v34, v32
	v_fmac_f32_e32 v33, 0x32a5705f, v31
	v_sub_f32_e32 v32, v32, v34
	v_add_f32_e32 v32, v32, v33
	v_exp_f32_e32 v32, v32
	v_cvt_i32_f32_e32 v33, v34
	s_mov_b32 s34, 0xc2ce8ed0
	v_cmp_ngt_f32_e64 s[34:35], s34, v31
	s_mov_b32 s39, 0x7f800000
	v_ldexp_f32 v32, v32, v33
	v_cndmask_b32_e64 v32, 0, v32, s[34:35]
	s_mov_b32 s34, 0x42b17218
	v_mov_b32_e32 v33, 0x7f800000
	v_cmp_nlt_f32_e64 s[34:35], s34, v31
	v_cndmask_b32_e64 v49, v33, v32, s[34:35]
	v_add_f32_e32 v31, 1.0, v49
	v_add_f32_e32 v32, -1.0, v31
	v_sub_f32_e32 v33, v32, v31
	v_add_f32_e32 v33, 1.0, v33
	v_sub_f32_e32 v32, v49, v32
	v_add_f32_e32 v34, v32, v33
	v_frexp_mant_f32_e32 v35, v31
	s_mov_b32 s34, 0x3f2aaaab
	v_cvt_f64_f32_e32 v[32:33], v31
	v_frexp_exp_i32_f64_e32 v32, v[32:33]
	v_cmp_gt_f32_e64 s[34:35], s34, v35
	v_subbrev_co_u32_e64 v53, s[34:35], 0, v32, s[34:35]
	v_sub_u32_e32 v32, 0, v53
	v_ldexp_f32 v31, v31, v32
	v_ldexp_f32 v32, v34, v32
	v_add_f32_e32 v34, -1.0, v31
	v_add_f32_e32 v33, 1.0, v34
	v_sub_f32_e32 v33, v31, v33
	v_add_f32_e32 v35, v32, v33
	v_add_f32_e32 v33, 1.0, v31
	v_add_f32_e32 v54, -1.0, v33
	v_sub_f32_e32 v31, v31, v54
	v_add_f32_e32 v31, v32, v31
	v_add_f32_e32 v66, v33, v31
	v_rcp_f32_e32 v67, v66
	v_sub_f32_e32 v32, v33, v66
	v_add_f32_e32 v33, v34, v35
	v_add_f32_e32 v31, v31, v32
	v_mul_f32_e32 v69, v33, v67
	v_sub_f32_e32 v32, v34, v33
	v_mul_f32_e32 v34, v66, v69
	v_fma_f32 v54, v69, v66, -v34
	v_fmac_f32_e32 v54, v69, v31
	v_add_f32_e32 v68, v35, v32
	v_add_f32_e32 v32, v34, v54
	v_sub_f32_e32 v35, v33, v32
	v_pk_add_f32 v[64:65], v[32:33], v[34:35] neg_lo:[0,1] neg_hi:[0,1]
	v_mov_b32_e32 v55, v32
	v_pk_add_f32 v[32:33], v[64:65], v[54:55] neg_lo:[0,1] neg_hi:[0,1]
	v_add_f32_e32 v33, v68, v33
	v_add_f32_e32 v32, v32, v33
	;; [unrolled: 1-line block ×3, first 2 shown]
	v_mul_f32_e32 v68, v67, v33
	v_mul_f32_e32 v34, v66, v68
	v_fma_f32 v54, v68, v66, -v34
	v_fmac_f32_e32 v54, v68, v31
	v_sub_f32_e32 v31, v35, v33
	v_add_f32_e32 v31, v32, v31
	v_add_f32_e32 v32, v34, v54
	v_sub_f32_e32 v35, v33, v32
	v_pk_add_f32 v[64:65], v[32:33], v[34:35] neg_lo:[0,1] neg_hi:[0,1]
	v_mov_b32_e32 v55, v32
	v_pk_add_f32 v[32:33], v[64:65], v[54:55] neg_lo:[0,1] neg_hi:[0,1]
	v_add_f32_e32 v31, v31, v33
	v_add_f32_e32 v31, v32, v31
	;; [unrolled: 1-line block ×4, first 2 shown]
	v_sub_f32_e32 v33, v32, v69
	v_mul_f32_e32 v31, v67, v31
	v_sub_f32_e32 v33, v68, v33
	v_add_f32_e32 v31, v33, v31
	v_add_f32_e32 v35, v32, v31
	v_mul_f32_e32 v54, v35, v35
	v_mov_b32_e32 v34, 0x3ecc95a3
	v_fmac_f32_e32 v34, 0x3e9b6dac, v54
	v_mov_b32_e32 v33, 0x3f2aaada
	v_fmac_f32_e32 v33, v54, v34
	v_cvt_f32_i32_e32 v34, v53
	v_sub_f32_e32 v32, v35, v32
	v_sub_f32_e32 v31, v31, v32
	v_ldexp_f32 v55, v35, 1
	v_mul_f32_e32 v35, v35, v54
	v_mov_b32_e32 v32, 0x3f317218
	s_mov_b32 s34, 0x3f317218
	v_pk_mul_f32 v[32:33], v[34:35], v[32:33]
	v_fma_f32 v54, v34, s34, -v32
	v_fmac_f32_e32 v54, 0xb102e308, v34
	v_pk_add_f32 v[34:35], v[32:33], v[54:55]
	v_sub_f32_e32 v53, v35, v55
	v_ldexp_f32 v31, v31, 1
	v_sub_f32_e32 v53, v33, v53
	v_add_f32_e32 v65, v31, v53
	v_mov_b32_e32 v64, v32
	v_pk_add_f32 v[32:33], v[34:35], v[32:33] neg_lo:[0,1] neg_hi:[0,1]
	v_pk_add_f32 v[66:67], v[34:35], v[64:65]
	v_mov_b32_e32 v33, v67
	v_mov_b32_e32 v55, v34
	v_pk_add_f32 v[68:69], v[54:55], v[32:33] neg_lo:[0,1] neg_hi:[0,1]
	v_pk_add_f32 v[32:33], v[54:55], v[32:33]
	v_mov_b32_e32 v54, v33
	v_pk_add_f32 v[70:71], v[54:55], v[34:35] neg_lo:[0,1] neg_hi:[0,1]
	v_mov_b32_e32 v31, v70
	v_pk_add_f32 v[80:81], v[66:67], v[30:31] neg_lo:[0,1] neg_hi:[0,1]
	v_mov_b32_e32 v32, v67
	v_mov_b32_e32 v66, v35
	;; [unrolled: 1-line block ×4, first 2 shown]
	v_pk_add_f32 v[32:33], v[32:33], v[66:67] neg_lo:[0,1] neg_hi:[0,1]
	v_mov_b32_e32 v64, v65
	v_mov_b32_e32 v65, v34
	v_pk_add_f32 v[32:33], v[64:65], v[32:33] neg_lo:[0,1] neg_hi:[0,1]
	v_mov_b32_e32 v80, v68
	v_pk_add_f32 v[34:35], v[80:81], v[32:33]
	v_mov_b32_e32 v64, v35
	v_pk_add_f32 v[64:65], v[34:35], v[64:65]
	v_pk_add_f32 v[54:55], v[54:55], v[64:65]
	v_mov_b32_e32 v35, v54
	v_pk_add_f32 v[66:67], v[34:35], v[68:69] neg_lo:[0,1] neg_hi:[0,1]
	v_mov_b32_e32 v33, v64
	v_sub_f32_e32 v31, v34, v66
	v_pk_add_f32 v[32:33], v[32:33], v[66:67] neg_lo:[0,1] neg_hi:[0,1]
	v_sub_f32_e32 v31, v68, v31
	v_add_f32_e32 v31, v32, v31
	v_cmp_eq_f32_e64 s[34:35], s39, v49
	s_mov_b32 s39, 0x33800000
	v_add_f32_e32 v31, v31, v33
	v_cmp_lt_f32_e64 s[40:41], |v49|, s39
	v_add_f32_e32 v31, v54, v31
	s_or_b64 s[34:35], s[34:35], s[40:41]
	v_cndmask_b32_e64 v31, v31, v49, s[34:35]
	v_add_f32_e32 v18, v18, v31
	v_cvt_f16_f32_e32 v31, v18
	v_cvt_f32_f16_e32 v32, v31
.LBB401_284:
	s_or_b64 exec, exec, s[36:37]
	v_cvt_f32_f16_e32 v18, v19
	v_max_f32_e32 v33, v32, v32
	v_cmp_u_f16_e64 s[36:37], v31, v31
	v_cmp_u_f16_e64 s[34:35], v19, v19
	v_min_f32_e32 v34, v33, v18
	v_max_f32_e32 v33, v33, v18
	v_cndmask_b32_e64 v34, v34, v32, s[36:37]
	v_cndmask_b32_e64 v33, v33, v32, s[36:37]
	;; [unrolled: 1-line block ×4, first 2 shown]
	v_cmp_neq_f32_e64 s[36:37], v34, v33
	v_cmp_class_f32_e64 s[38:39], v34, s38
	s_or_b64 s[36:37], s[36:37], s[38:39]
	s_and_saveexec_b64 s[38:39], s[36:37]
	s_cbranch_execz .LBB401_286
; %bb.285:
	v_sub_f32_e32 v31, v34, v33
	s_mov_b32 s36, 0x3fb8aa3b
	v_mul_f32_e32 v32, 0x3fb8aa3b, v31
	v_fma_f32 v34, v31, s36, -v32
	v_rndne_f32_e32 v35, v32
	v_fmac_f32_e32 v34, 0x32a5705f, v31
	v_sub_f32_e32 v32, v32, v35
	v_add_f32_e32 v32, v32, v34
	v_exp_f32_e32 v32, v32
	v_cvt_i32_f32_e32 v34, v35
	s_mov_b32 s36, 0xc2ce8ed0
	v_cmp_ngt_f32_e64 s[36:37], s36, v31
	s_mov_b32 s40, 0x7f800000
	v_ldexp_f32 v32, v32, v34
	v_cndmask_b32_e64 v32, 0, v32, s[36:37]
	s_mov_b32 s36, 0x42b17218
	v_mov_b32_e32 v34, 0x7f800000
	v_cmp_nlt_f32_e64 s[36:37], s36, v31
	v_cndmask_b32_e64 v49, v34, v32, s[36:37]
	v_add_f32_e32 v31, 1.0, v49
	v_add_f32_e32 v32, -1.0, v31
	v_sub_f32_e32 v34, v32, v31
	v_add_f32_e32 v34, 1.0, v34
	v_sub_f32_e32 v32, v49, v32
	v_add_f32_e32 v32, v32, v34
	v_frexp_mant_f32_e32 v53, v31
	s_mov_b32 s36, 0x3f2aaaab
	v_cvt_f64_f32_e32 v[34:35], v31
	v_frexp_exp_i32_f64_e32 v34, v[34:35]
	v_cmp_gt_f32_e64 s[36:37], s36, v53
	v_subbrev_co_u32_e64 v53, s[36:37], 0, v34, s[36:37]
	v_sub_u32_e32 v34, 0, v53
	v_ldexp_f32 v31, v31, v34
	v_ldexp_f32 v32, v32, v34
	v_add_f32_e32 v34, -1.0, v31
	v_add_f32_e32 v35, 1.0, v34
	v_sub_f32_e32 v35, v31, v35
	v_add_f32_e32 v54, v32, v35
	v_add_f32_e32 v35, 1.0, v31
	v_add_f32_e32 v55, -1.0, v35
	v_sub_f32_e32 v31, v31, v55
	v_add_f32_e32 v31, v32, v31
	v_add_f32_e32 v32, v35, v31
	v_rcp_f32_e32 v68, v32
	v_sub_f32_e32 v35, v35, v32
	v_add_f32_e32 v31, v31, v35
	v_add_f32_e32 v35, v34, v54
	v_sub_f32_e32 v34, v34, v35
	v_mul_f32_e32 v70, v35, v68
	v_add_f32_e32 v69, v54, v34
	v_mul_f32_e32 v54, v32, v70
	v_fma_f32 v64, v70, v32, -v54
	v_fmac_f32_e32 v64, v70, v31
	v_add_f32_e32 v34, v54, v64
	v_sub_f32_e32 v55, v35, v34
	v_pk_add_f32 v[66:67], v[34:35], v[54:55] neg_lo:[0,1] neg_hi:[0,1]
	v_mov_b32_e32 v65, v34
	v_pk_add_f32 v[34:35], v[66:67], v[64:65] neg_lo:[0,1] neg_hi:[0,1]
	v_add_f32_e32 v35, v69, v35
	v_add_f32_e32 v34, v34, v35
	;; [unrolled: 1-line block ×3, first 2 shown]
	v_mul_f32_e32 v69, v68, v35
	v_mul_f32_e32 v54, v32, v69
	v_fma_f32 v64, v69, v32, -v54
	v_fmac_f32_e32 v64, v69, v31
	v_sub_f32_e32 v31, v55, v35
	v_add_f32_e32 v31, v34, v31
	v_add_f32_e32 v34, v54, v64
	v_sub_f32_e32 v55, v35, v34
	v_pk_add_f32 v[66:67], v[34:35], v[54:55] neg_lo:[0,1] neg_hi:[0,1]
	v_mov_b32_e32 v65, v34
	v_pk_add_f32 v[34:35], v[66:67], v[64:65] neg_lo:[0,1] neg_hi:[0,1]
	v_add_f32_e32 v31, v31, v35
	v_add_f32_e32 v31, v34, v31
	;; [unrolled: 1-line block ×4, first 2 shown]
	v_sub_f32_e32 v34, v32, v70
	v_mul_f32_e32 v31, v68, v31
	v_sub_f32_e32 v34, v69, v34
	v_add_f32_e32 v31, v34, v31
	v_add_f32_e32 v34, v32, v31
	v_mul_f32_e32 v55, v34, v34
	v_mov_b32_e32 v54, 0x3ecc95a3
	v_fmac_f32_e32 v54, 0x3e9b6dac, v55
	v_mov_b32_e32 v35, 0x3f2aaada
	v_fmac_f32_e32 v35, v55, v54
	v_cvt_f32_i32_e32 v54, v53
	v_sub_f32_e32 v32, v34, v32
	v_ldexp_f32 v65, v34, 1
	v_mul_f32_e32 v55, v34, v55
	v_mov_b32_e32 v34, 0x3f317218
	s_mov_b32 s36, 0x3f317218
	v_pk_mul_f32 v[34:35], v[54:55], v[34:35]
	v_fma_f32 v64, v54, s36, -v34
	v_fmac_f32_e32 v64, 0xb102e308, v54
	v_pk_add_f32 v[54:55], v[34:35], v[64:65]
	v_sub_f32_e32 v31, v31, v32
	v_sub_f32_e32 v32, v55, v65
	v_ldexp_f32 v31, v31, 1
	v_sub_f32_e32 v32, v35, v32
	v_add_f32_e32 v67, v31, v32
	v_mov_b32_e32 v66, v34
	v_pk_add_f32 v[34:35], v[54:55], v[34:35] neg_lo:[0,1] neg_hi:[0,1]
	v_pk_add_f32 v[68:69], v[54:55], v[66:67]
	v_mov_b32_e32 v35, v69
	v_mov_b32_e32 v65, v54
	v_pk_add_f32 v[70:71], v[64:65], v[34:35] neg_lo:[0,1] neg_hi:[0,1]
	v_pk_add_f32 v[34:35], v[64:65], v[34:35]
	v_mov_b32_e32 v32, v35
	v_pk_add_f32 v[64:65], v[32:33], v[54:55] neg_lo:[0,1] neg_hi:[0,1]
	v_mov_b32_e32 v31, v64
	v_pk_add_f32 v[80:81], v[68:69], v[30:31] neg_lo:[0,1] neg_hi:[0,1]
	v_mov_b32_e32 v34, v69
	v_mov_b32_e32 v68, v55
	;; [unrolled: 1-line block ×4, first 2 shown]
	v_pk_add_f32 v[34:35], v[34:35], v[68:69] neg_lo:[0,1] neg_hi:[0,1]
	v_mov_b32_e32 v64, v67
	v_mov_b32_e32 v65, v54
	v_pk_add_f32 v[34:35], v[64:65], v[34:35] neg_lo:[0,1] neg_hi:[0,1]
	v_mov_b32_e32 v80, v70
	v_pk_add_f32 v[54:55], v[80:81], v[34:35]
	v_mov_b32_e32 v64, v55
	v_pk_add_f32 v[64:65], v[54:55], v[64:65]
	v_pk_add_f32 v[66:67], v[32:33], v[64:65]
	v_mov_b32_e32 v55, v66
	v_pk_add_f32 v[68:69], v[54:55], v[70:71] neg_lo:[0,1] neg_hi:[0,1]
	v_mov_b32_e32 v35, v64
	v_sub_f32_e32 v31, v54, v68
	v_pk_add_f32 v[34:35], v[34:35], v[68:69] neg_lo:[0,1] neg_hi:[0,1]
	v_sub_f32_e32 v31, v70, v31
	v_add_f32_e32 v31, v34, v31
	v_cmp_eq_f32_e64 s[36:37], s40, v49
	s_mov_b32 s40, 0x33800000
	v_add_f32_e32 v31, v31, v35
	v_cmp_lt_f32_e64 s[40:41], |v49|, s40
	v_add_f32_e32 v31, v66, v31
	s_or_b64 s[36:37], s[36:37], s[40:41]
	v_cndmask_b32_e64 v31, v31, v49, s[36:37]
	v_add_f32_e32 v31, v33, v31
	v_cvt_f16_f32_e32 v31, v31
	v_cvt_f32_f16_e32 v32, v31
.LBB401_286:
	s_or_b64 exec, exec, s[38:39]
	v_cvt_f32_f16_sdwa v53, v19 dst_sel:DWORD dst_unused:UNUSED_PAD src0_sel:WORD_1
	v_max_f32_e32 v34, v32, v32
	v_cmp_u_f16_e64 s[38:39], v31, v31
	v_cmp_u_f16_sdwa s[36:37], v19, v19 src0_sel:WORD_1 src1_sel:WORD_1
	v_min_f32_e32 v33, v34, v53
	v_max_f32_e32 v19, v34, v53
	v_cndmask_b32_e64 v33, v33, v32, s[38:39]
	v_cndmask_b32_e64 v19, v19, v32, s[38:39]
	;; [unrolled: 1-line block ×4, first 2 shown]
	s_movk_i32 s42, 0x1f8
	v_cmp_neq_f32_e64 s[38:39], v33, v19
	v_cmp_class_f32_e64 s[40:41], v33, s42
	s_or_b64 s[38:39], s[38:39], s[40:41]
	s_and_saveexec_b64 s[40:41], s[38:39]
	s_cbranch_execz .LBB401_288
; %bb.287:
	v_sub_f32_e32 v31, v33, v19
	s_mov_b32 s38, 0x3fb8aa3b
	v_mul_f32_e32 v32, 0x3fb8aa3b, v31
	v_fma_f32 v33, v31, s38, -v32
	v_rndne_f32_e32 v34, v32
	v_fmac_f32_e32 v33, 0x32a5705f, v31
	v_sub_f32_e32 v32, v32, v34
	v_add_f32_e32 v32, v32, v33
	v_exp_f32_e32 v32, v32
	v_cvt_i32_f32_e32 v33, v34
	s_mov_b32 s38, 0xc2ce8ed0
	v_cmp_ngt_f32_e64 s[38:39], s38, v31
	s_mov_b32 s43, 0x7f800000
	v_ldexp_f32 v32, v32, v33
	v_cndmask_b32_e64 v32, 0, v32, s[38:39]
	s_mov_b32 s38, 0x42b17218
	v_mov_b32_e32 v33, 0x7f800000
	v_cmp_nlt_f32_e64 s[38:39], s38, v31
	v_cndmask_b32_e64 v49, v33, v32, s[38:39]
	v_add_f32_e32 v31, 1.0, v49
	v_add_f32_e32 v32, -1.0, v31
	v_sub_f32_e32 v33, v32, v31
	v_add_f32_e32 v33, 1.0, v33
	v_sub_f32_e32 v32, v49, v32
	v_add_f32_e32 v34, v32, v33
	v_frexp_mant_f32_e32 v35, v31
	s_mov_b32 s38, 0x3f2aaaab
	v_cvt_f64_f32_e32 v[32:33], v31
	v_frexp_exp_i32_f64_e32 v32, v[32:33]
	v_cmp_gt_f32_e64 s[38:39], s38, v35
	v_subbrev_co_u32_e64 v66, s[38:39], 0, v32, s[38:39]
	v_sub_u32_e32 v32, 0, v66
	v_ldexp_f32 v31, v31, v32
	v_ldexp_f32 v32, v34, v32
	v_add_f32_e32 v34, -1.0, v31
	v_add_f32_e32 v33, 1.0, v34
	v_sub_f32_e32 v33, v31, v33
	v_add_f32_e32 v35, v32, v33
	v_add_f32_e32 v33, 1.0, v31
	v_add_f32_e32 v54, -1.0, v33
	v_sub_f32_e32 v31, v31, v54
	v_add_f32_e32 v31, v32, v31
	v_add_f32_e32 v67, v33, v31
	v_rcp_f32_e32 v68, v67
	v_sub_f32_e32 v32, v33, v67
	v_add_f32_e32 v33, v34, v35
	v_add_f32_e32 v31, v31, v32
	v_mul_f32_e32 v70, v33, v68
	v_sub_f32_e32 v32, v34, v33
	v_mul_f32_e32 v34, v67, v70
	v_fma_f32 v54, v70, v67, -v34
	v_fmac_f32_e32 v54, v70, v31
	v_add_f32_e32 v69, v35, v32
	v_add_f32_e32 v32, v34, v54
	v_sub_f32_e32 v35, v33, v32
	v_pk_add_f32 v[64:65], v[32:33], v[34:35] neg_lo:[0,1] neg_hi:[0,1]
	v_mov_b32_e32 v55, v32
	v_pk_add_f32 v[32:33], v[64:65], v[54:55] neg_lo:[0,1] neg_hi:[0,1]
	v_add_f32_e32 v33, v69, v33
	v_add_f32_e32 v32, v32, v33
	v_add_f32_e32 v33, v35, v32
	v_mul_f32_e32 v69, v68, v33
	v_mul_f32_e32 v34, v67, v69
	v_fma_f32 v54, v69, v67, -v34
	v_fmac_f32_e32 v54, v69, v31
	v_sub_f32_e32 v31, v35, v33
	v_add_f32_e32 v31, v32, v31
	v_add_f32_e32 v32, v34, v54
	v_sub_f32_e32 v35, v33, v32
	v_pk_add_f32 v[64:65], v[32:33], v[34:35] neg_lo:[0,1] neg_hi:[0,1]
	v_mov_b32_e32 v55, v32
	v_pk_add_f32 v[32:33], v[64:65], v[54:55] neg_lo:[0,1] neg_hi:[0,1]
	v_add_f32_e32 v31, v31, v33
	v_add_f32_e32 v31, v32, v31
	;; [unrolled: 1-line block ×4, first 2 shown]
	v_sub_f32_e32 v33, v32, v70
	v_mul_f32_e32 v31, v68, v31
	v_sub_f32_e32 v33, v69, v33
	v_add_f32_e32 v31, v33, v31
	v_add_f32_e32 v35, v32, v31
	v_mul_f32_e32 v54, v35, v35
	v_mov_b32_e32 v34, 0x3ecc95a3
	v_fmac_f32_e32 v34, 0x3e9b6dac, v54
	v_mov_b32_e32 v33, 0x3f2aaada
	v_fmac_f32_e32 v33, v54, v34
	v_cvt_f32_i32_e32 v34, v66
	v_sub_f32_e32 v32, v35, v32
	v_sub_f32_e32 v31, v31, v32
	v_ldexp_f32 v55, v35, 1
	v_mul_f32_e32 v35, v35, v54
	v_mov_b32_e32 v32, 0x3f317218
	s_mov_b32 s38, 0x3f317218
	v_pk_mul_f32 v[32:33], v[34:35], v[32:33]
	v_fma_f32 v54, v34, s38, -v32
	v_fmac_f32_e32 v54, 0xb102e308, v34
	v_pk_add_f32 v[34:35], v[32:33], v[54:55]
	v_sub_f32_e32 v55, v35, v55
	v_ldexp_f32 v31, v31, 1
	v_sub_f32_e32 v55, v33, v55
	v_add_f32_e32 v65, v31, v55
	v_mov_b32_e32 v64, v32
	v_pk_add_f32 v[32:33], v[34:35], v[32:33] neg_lo:[0,1] neg_hi:[0,1]
	v_pk_add_f32 v[66:67], v[34:35], v[64:65]
	v_mov_b32_e32 v33, v67
	v_mov_b32_e32 v55, v34
	v_pk_add_f32 v[68:69], v[54:55], v[32:33] neg_lo:[0,1] neg_hi:[0,1]
	v_pk_add_f32 v[32:33], v[54:55], v[32:33]
	v_mov_b32_e32 v54, v33
	v_pk_add_f32 v[70:71], v[54:55], v[34:35] neg_lo:[0,1] neg_hi:[0,1]
	v_mov_b32_e32 v31, v70
	v_pk_add_f32 v[80:81], v[66:67], v[30:31] neg_lo:[0,1] neg_hi:[0,1]
	v_mov_b32_e32 v32, v67
	v_mov_b32_e32 v66, v35
	;; [unrolled: 1-line block ×4, first 2 shown]
	v_pk_add_f32 v[32:33], v[32:33], v[66:67] neg_lo:[0,1] neg_hi:[0,1]
	v_mov_b32_e32 v64, v65
	v_mov_b32_e32 v65, v34
	v_pk_add_f32 v[32:33], v[64:65], v[32:33] neg_lo:[0,1] neg_hi:[0,1]
	v_mov_b32_e32 v80, v68
	v_pk_add_f32 v[34:35], v[80:81], v[32:33]
	v_mov_b32_e32 v64, v35
	v_pk_add_f32 v[64:65], v[34:35], v[64:65]
	v_pk_add_f32 v[54:55], v[54:55], v[64:65]
	v_mov_b32_e32 v35, v54
	v_pk_add_f32 v[66:67], v[34:35], v[68:69] neg_lo:[0,1] neg_hi:[0,1]
	v_mov_b32_e32 v33, v64
	v_sub_f32_e32 v31, v34, v66
	v_pk_add_f32 v[32:33], v[32:33], v[66:67] neg_lo:[0,1] neg_hi:[0,1]
	v_sub_f32_e32 v31, v68, v31
	v_add_f32_e32 v31, v32, v31
	v_cmp_eq_f32_e64 s[38:39], s43, v49
	s_mov_b32 s43, 0x33800000
	v_add_f32_e32 v31, v31, v33
	v_cmp_lt_f32_e64 s[44:45], |v49|, s43
	v_add_f32_e32 v31, v54, v31
	s_or_b64 s[38:39], s[38:39], s[44:45]
	v_cndmask_b32_e64 v31, v31, v49, s[38:39]
	v_add_f32_e32 v19, v19, v31
	v_cvt_f16_f32_e32 v31, v19
	v_cvt_f32_f16_e32 v32, v31
.LBB401_288:
	s_or_b64 exec, exec, s[40:41]
	v_cvt_f32_f16_e32 v19, v12
	v_max_f32_e32 v33, v32, v32
	v_cmp_u_f16_e64 s[40:41], v31, v31
	v_cmp_u_f16_e64 s[38:39], v12, v12
	v_min_f32_e32 v34, v33, v19
	v_max_f32_e32 v33, v33, v19
	v_cndmask_b32_e64 v34, v34, v32, s[40:41]
	v_cndmask_b32_e64 v33, v33, v32, s[40:41]
	;; [unrolled: 1-line block ×4, first 2 shown]
	v_cmp_neq_f32_e64 s[40:41], v34, v33
	v_cmp_class_f32_e64 s[42:43], v34, s42
	s_or_b64 s[40:41], s[40:41], s[42:43]
	s_and_saveexec_b64 s[42:43], s[40:41]
	s_cbranch_execz .LBB401_290
; %bb.289:
	v_sub_f32_e32 v31, v34, v33
	s_mov_b32 s40, 0x3fb8aa3b
	v_mul_f32_e32 v32, 0x3fb8aa3b, v31
	v_fma_f32 v34, v31, s40, -v32
	v_rndne_f32_e32 v35, v32
	v_fmac_f32_e32 v34, 0x32a5705f, v31
	v_sub_f32_e32 v32, v32, v35
	v_add_f32_e32 v32, v32, v34
	v_exp_f32_e32 v32, v32
	v_cvt_i32_f32_e32 v34, v35
	s_mov_b32 s40, 0xc2ce8ed0
	v_cmp_ngt_f32_e64 s[40:41], s40, v31
	s_mov_b32 s44, 0x7f800000
	v_ldexp_f32 v32, v32, v34
	v_cndmask_b32_e64 v32, 0, v32, s[40:41]
	s_mov_b32 s40, 0x42b17218
	v_mov_b32_e32 v34, 0x7f800000
	v_cmp_nlt_f32_e64 s[40:41], s40, v31
	v_cndmask_b32_e64 v49, v34, v32, s[40:41]
	v_add_f32_e32 v31, 1.0, v49
	v_add_f32_e32 v32, -1.0, v31
	v_sub_f32_e32 v34, v32, v31
	v_add_f32_e32 v34, 1.0, v34
	v_sub_f32_e32 v32, v49, v32
	v_add_f32_e32 v32, v32, v34
	v_frexp_mant_f32_e32 v54, v31
	s_mov_b32 s40, 0x3f2aaaab
	v_cvt_f64_f32_e32 v[34:35], v31
	v_frexp_exp_i32_f64_e32 v34, v[34:35]
	v_cmp_gt_f32_e64 s[40:41], s40, v54
	v_subbrev_co_u32_e64 v68, s[40:41], 0, v34, s[40:41]
	v_sub_u32_e32 v34, 0, v68
	v_ldexp_f32 v31, v31, v34
	v_ldexp_f32 v32, v32, v34
	v_add_f32_e32 v34, -1.0, v31
	v_add_f32_e32 v35, 1.0, v34
	v_sub_f32_e32 v35, v31, v35
	v_add_f32_e32 v54, v32, v35
	v_add_f32_e32 v35, 1.0, v31
	v_add_f32_e32 v55, -1.0, v35
	v_sub_f32_e32 v31, v31, v55
	v_add_f32_e32 v31, v32, v31
	v_add_f32_e32 v32, v35, v31
	v_rcp_f32_e32 v69, v32
	v_sub_f32_e32 v35, v35, v32
	v_add_f32_e32 v31, v31, v35
	v_add_f32_e32 v35, v34, v54
	v_sub_f32_e32 v34, v34, v35
	v_mul_f32_e32 v71, v35, v69
	v_add_f32_e32 v70, v54, v34
	v_mul_f32_e32 v54, v32, v71
	v_fma_f32 v64, v71, v32, -v54
	v_fmac_f32_e32 v64, v71, v31
	v_add_f32_e32 v34, v54, v64
	v_sub_f32_e32 v55, v35, v34
	v_pk_add_f32 v[66:67], v[34:35], v[54:55] neg_lo:[0,1] neg_hi:[0,1]
	v_mov_b32_e32 v65, v34
	v_pk_add_f32 v[34:35], v[66:67], v[64:65] neg_lo:[0,1] neg_hi:[0,1]
	v_add_f32_e32 v35, v70, v35
	v_add_f32_e32 v34, v34, v35
	;; [unrolled: 1-line block ×3, first 2 shown]
	v_mul_f32_e32 v70, v69, v35
	v_mul_f32_e32 v54, v32, v70
	v_fma_f32 v64, v70, v32, -v54
	v_fmac_f32_e32 v64, v70, v31
	v_sub_f32_e32 v31, v55, v35
	v_add_f32_e32 v31, v34, v31
	v_add_f32_e32 v34, v54, v64
	v_sub_f32_e32 v55, v35, v34
	v_pk_add_f32 v[66:67], v[34:35], v[54:55] neg_lo:[0,1] neg_hi:[0,1]
	v_mov_b32_e32 v65, v34
	v_pk_add_f32 v[34:35], v[66:67], v[64:65] neg_lo:[0,1] neg_hi:[0,1]
	v_add_f32_e32 v31, v31, v35
	v_add_f32_e32 v31, v34, v31
	v_add_f32_e32 v32, v71, v70
	v_add_f32_e32 v31, v55, v31
	v_sub_f32_e32 v34, v32, v71
	v_mul_f32_e32 v31, v69, v31
	v_sub_f32_e32 v34, v70, v34
	v_add_f32_e32 v31, v34, v31
	v_add_f32_e32 v34, v32, v31
	v_mul_f32_e32 v55, v34, v34
	v_mov_b32_e32 v54, 0x3ecc95a3
	v_fmac_f32_e32 v54, 0x3e9b6dac, v55
	v_mov_b32_e32 v35, 0x3f2aaada
	v_fmac_f32_e32 v35, v55, v54
	v_cvt_f32_i32_e32 v54, v68
	v_sub_f32_e32 v32, v34, v32
	v_ldexp_f32 v65, v34, 1
	v_mul_f32_e32 v55, v34, v55
	v_mov_b32_e32 v34, 0x3f317218
	s_mov_b32 s40, 0x3f317218
	v_pk_mul_f32 v[34:35], v[54:55], v[34:35]
	v_fma_f32 v64, v54, s40, -v34
	v_fmac_f32_e32 v64, 0xb102e308, v54
	v_pk_add_f32 v[54:55], v[34:35], v[64:65]
	v_sub_f32_e32 v31, v31, v32
	v_sub_f32_e32 v32, v55, v65
	v_ldexp_f32 v31, v31, 1
	v_sub_f32_e32 v32, v35, v32
	v_add_f32_e32 v67, v31, v32
	v_mov_b32_e32 v66, v34
	v_pk_add_f32 v[34:35], v[54:55], v[34:35] neg_lo:[0,1] neg_hi:[0,1]
	v_pk_add_f32 v[68:69], v[54:55], v[66:67]
	v_mov_b32_e32 v35, v69
	v_mov_b32_e32 v65, v54
	v_pk_add_f32 v[70:71], v[64:65], v[34:35] neg_lo:[0,1] neg_hi:[0,1]
	v_pk_add_f32 v[34:35], v[64:65], v[34:35]
	v_mov_b32_e32 v32, v35
	v_pk_add_f32 v[64:65], v[32:33], v[54:55] neg_lo:[0,1] neg_hi:[0,1]
	v_mov_b32_e32 v31, v64
	v_pk_add_f32 v[80:81], v[68:69], v[30:31] neg_lo:[0,1] neg_hi:[0,1]
	v_mov_b32_e32 v34, v69
	v_mov_b32_e32 v68, v55
	;; [unrolled: 1-line block ×4, first 2 shown]
	v_pk_add_f32 v[34:35], v[34:35], v[68:69] neg_lo:[0,1] neg_hi:[0,1]
	v_mov_b32_e32 v64, v67
	v_mov_b32_e32 v65, v54
	v_pk_add_f32 v[34:35], v[64:65], v[34:35] neg_lo:[0,1] neg_hi:[0,1]
	v_mov_b32_e32 v80, v70
	v_pk_add_f32 v[54:55], v[80:81], v[34:35]
	v_mov_b32_e32 v64, v55
	v_pk_add_f32 v[64:65], v[54:55], v[64:65]
	v_pk_add_f32 v[66:67], v[32:33], v[64:65]
	v_mov_b32_e32 v55, v66
	v_pk_add_f32 v[68:69], v[54:55], v[70:71] neg_lo:[0,1] neg_hi:[0,1]
	v_mov_b32_e32 v35, v64
	v_sub_f32_e32 v31, v54, v68
	v_pk_add_f32 v[34:35], v[34:35], v[68:69] neg_lo:[0,1] neg_hi:[0,1]
	v_sub_f32_e32 v31, v70, v31
	v_add_f32_e32 v31, v34, v31
	v_cmp_eq_f32_e64 s[40:41], s44, v49
	s_mov_b32 s44, 0x33800000
	v_add_f32_e32 v31, v31, v35
	v_cmp_lt_f32_e64 s[44:45], |v49|, s44
	v_add_f32_e32 v31, v66, v31
	s_or_b64 s[40:41], s[40:41], s[44:45]
	v_cndmask_b32_e64 v31, v31, v49, s[40:41]
	v_add_f32_e32 v31, v33, v31
	v_cvt_f16_f32_e32 v31, v31
	v_cvt_f32_f16_e32 v32, v31
.LBB401_290:
	s_or_b64 exec, exec, s[42:43]
	v_cvt_f32_f16_sdwa v54, v12 dst_sel:DWORD dst_unused:UNUSED_PAD src0_sel:WORD_1
	v_max_f32_e32 v34, v32, v32
	v_cmp_u_f16_e64 s[42:43], v31, v31
	v_cmp_u_f16_sdwa s[40:41], v12, v12 src0_sel:WORD_1 src1_sel:WORD_1
	v_min_f32_e32 v33, v34, v54
	v_max_f32_e32 v12, v34, v54
	v_cndmask_b32_e64 v33, v33, v32, s[42:43]
	v_cndmask_b32_e64 v12, v12, v32, s[42:43]
	;; [unrolled: 1-line block ×4, first 2 shown]
	s_movk_i32 s46, 0x1f8
	v_cmp_neq_f32_e64 s[42:43], v33, v12
	v_cmp_class_f32_e64 s[44:45], v33, s46
	s_or_b64 s[42:43], s[42:43], s[44:45]
	s_and_saveexec_b64 s[44:45], s[42:43]
	s_cbranch_execz .LBB401_292
; %bb.291:
	v_sub_f32_e32 v31, v33, v12
	s_mov_b32 s42, 0x3fb8aa3b
	v_mul_f32_e32 v32, 0x3fb8aa3b, v31
	v_fma_f32 v33, v31, s42, -v32
	v_rndne_f32_e32 v34, v32
	v_fmac_f32_e32 v33, 0x32a5705f, v31
	v_sub_f32_e32 v32, v32, v34
	v_add_f32_e32 v32, v32, v33
	v_exp_f32_e32 v32, v32
	v_cvt_i32_f32_e32 v33, v34
	s_mov_b32 s42, 0xc2ce8ed0
	v_cmp_ngt_f32_e64 s[42:43], s42, v31
	s_mov_b32 s47, 0x7f800000
	v_ldexp_f32 v32, v32, v33
	v_cndmask_b32_e64 v32, 0, v32, s[42:43]
	s_mov_b32 s42, 0x42b17218
	v_mov_b32_e32 v33, 0x7f800000
	v_cmp_nlt_f32_e64 s[42:43], s42, v31
	v_cndmask_b32_e64 v49, v33, v32, s[42:43]
	v_add_f32_e32 v31, 1.0, v49
	v_add_f32_e32 v32, -1.0, v31
	v_sub_f32_e32 v33, v32, v31
	v_add_f32_e32 v33, 1.0, v33
	v_sub_f32_e32 v32, v49, v32
	v_add_f32_e32 v34, v32, v33
	v_frexp_mant_f32_e32 v35, v31
	s_mov_b32 s42, 0x3f2aaaab
	v_cvt_f64_f32_e32 v[32:33], v31
	v_frexp_exp_i32_f64_e32 v32, v[32:33]
	v_cmp_gt_f32_e64 s[42:43], s42, v35
	v_subbrev_co_u32_e64 v55, s[42:43], 0, v32, s[42:43]
	v_sub_u32_e32 v32, 0, v55
	v_ldexp_f32 v31, v31, v32
	v_ldexp_f32 v32, v34, v32
	v_add_f32_e32 v34, -1.0, v31
	v_add_f32_e32 v33, 1.0, v34
	v_sub_f32_e32 v33, v31, v33
	v_add_f32_e32 v35, v32, v33
	v_add_f32_e32 v33, 1.0, v31
	v_add_f32_e32 v64, -1.0, v33
	v_sub_f32_e32 v31, v31, v64
	v_add_f32_e32 v31, v32, v31
	v_add_f32_e32 v68, v33, v31
	v_rcp_f32_e32 v69, v68
	v_sub_f32_e32 v32, v33, v68
	v_add_f32_e32 v33, v34, v35
	v_add_f32_e32 v31, v31, v32
	v_mul_f32_e32 v71, v33, v69
	v_sub_f32_e32 v32, v34, v33
	v_mul_f32_e32 v34, v68, v71
	v_fma_f32 v64, v71, v68, -v34
	v_fmac_f32_e32 v64, v71, v31
	v_add_f32_e32 v70, v35, v32
	v_add_f32_e32 v32, v34, v64
	v_sub_f32_e32 v35, v33, v32
	v_pk_add_f32 v[66:67], v[32:33], v[34:35] neg_lo:[0,1] neg_hi:[0,1]
	v_mov_b32_e32 v65, v32
	v_pk_add_f32 v[32:33], v[66:67], v[64:65] neg_lo:[0,1] neg_hi:[0,1]
	v_add_f32_e32 v33, v70, v33
	v_add_f32_e32 v32, v32, v33
	;; [unrolled: 1-line block ×3, first 2 shown]
	v_mul_f32_e32 v70, v69, v33
	v_mul_f32_e32 v34, v68, v70
	v_fma_f32 v64, v70, v68, -v34
	v_fmac_f32_e32 v64, v70, v31
	v_sub_f32_e32 v31, v35, v33
	v_add_f32_e32 v31, v32, v31
	v_add_f32_e32 v32, v34, v64
	v_sub_f32_e32 v35, v33, v32
	v_pk_add_f32 v[66:67], v[32:33], v[34:35] neg_lo:[0,1] neg_hi:[0,1]
	v_mov_b32_e32 v65, v32
	v_pk_add_f32 v[32:33], v[66:67], v[64:65] neg_lo:[0,1] neg_hi:[0,1]
	v_add_f32_e32 v31, v31, v33
	v_add_f32_e32 v31, v32, v31
	;; [unrolled: 1-line block ×4, first 2 shown]
	v_sub_f32_e32 v33, v32, v71
	v_mul_f32_e32 v31, v69, v31
	v_sub_f32_e32 v33, v70, v33
	v_add_f32_e32 v31, v33, v31
	v_add_f32_e32 v35, v32, v31
	v_mul_f32_e32 v64, v35, v35
	v_mov_b32_e32 v34, 0x3ecc95a3
	v_fmac_f32_e32 v34, 0x3e9b6dac, v64
	v_mov_b32_e32 v33, 0x3f2aaada
	v_fmac_f32_e32 v33, v64, v34
	v_cvt_f32_i32_e32 v34, v55
	v_sub_f32_e32 v32, v35, v32
	v_sub_f32_e32 v31, v31, v32
	v_ldexp_f32 v65, v35, 1
	v_mul_f32_e32 v35, v35, v64
	v_mov_b32_e32 v32, 0x3f317218
	s_mov_b32 s42, 0x3f317218
	v_pk_mul_f32 v[32:33], v[34:35], v[32:33]
	v_fma_f32 v64, v34, s42, -v32
	v_fmac_f32_e32 v64, 0xb102e308, v34
	v_pk_add_f32 v[34:35], v[32:33], v[64:65]
	v_sub_f32_e32 v55, v35, v65
	v_ldexp_f32 v31, v31, 1
	v_sub_f32_e32 v55, v33, v55
	v_add_f32_e32 v67, v31, v55
	v_mov_b32_e32 v66, v32
	v_pk_add_f32 v[32:33], v[34:35], v[32:33] neg_lo:[0,1] neg_hi:[0,1]
	v_pk_add_f32 v[68:69], v[34:35], v[66:67]
	v_mov_b32_e32 v33, v69
	v_mov_b32_e32 v65, v34
	v_pk_add_f32 v[70:71], v[64:65], v[32:33] neg_lo:[0,1] neg_hi:[0,1]
	v_pk_add_f32 v[32:33], v[64:65], v[32:33]
	v_mov_b32_e32 v64, v33
	v_pk_add_f32 v[80:81], v[64:65], v[34:35] neg_lo:[0,1] neg_hi:[0,1]
	v_mov_b32_e32 v31, v80
	v_pk_add_f32 v[82:83], v[68:69], v[30:31] neg_lo:[0,1] neg_hi:[0,1]
	v_mov_b32_e32 v32, v69
	v_mov_b32_e32 v68, v35
	;; [unrolled: 1-line block ×4, first 2 shown]
	v_pk_add_f32 v[32:33], v[32:33], v[68:69] neg_lo:[0,1] neg_hi:[0,1]
	v_mov_b32_e32 v66, v67
	v_mov_b32_e32 v67, v34
	v_pk_add_f32 v[32:33], v[66:67], v[32:33] neg_lo:[0,1] neg_hi:[0,1]
	v_mov_b32_e32 v82, v70
	v_pk_add_f32 v[34:35], v[82:83], v[32:33]
	v_mov_b32_e32 v66, v35
	v_pk_add_f32 v[66:67], v[34:35], v[66:67]
	v_pk_add_f32 v[64:65], v[64:65], v[66:67]
	v_mov_b32_e32 v35, v64
	v_pk_add_f32 v[68:69], v[34:35], v[70:71] neg_lo:[0,1] neg_hi:[0,1]
	v_mov_b32_e32 v33, v66
	v_sub_f32_e32 v31, v34, v68
	v_pk_add_f32 v[32:33], v[32:33], v[68:69] neg_lo:[0,1] neg_hi:[0,1]
	v_sub_f32_e32 v31, v70, v31
	v_add_f32_e32 v31, v32, v31
	v_cmp_eq_f32_e64 s[42:43], s47, v49
	s_mov_b32 s47, 0x33800000
	v_add_f32_e32 v31, v31, v33
	v_cmp_lt_f32_e64 s[48:49], |v49|, s47
	v_add_f32_e32 v31, v64, v31
	s_or_b64 s[42:43], s[42:43], s[48:49]
	v_cndmask_b32_e64 v31, v31, v49, s[42:43]
	v_add_f32_e32 v12, v12, v31
	v_cvt_f16_f32_e32 v31, v12
	v_cvt_f32_f16_e32 v32, v31
.LBB401_292:
	s_or_b64 exec, exec, s[44:45]
	v_cvt_f32_f16_e32 v12, v13
	v_max_f32_e32 v33, v32, v32
	v_cmp_u_f16_e64 s[44:45], v31, v31
	v_cmp_u_f16_e64 s[42:43], v13, v13
	v_min_f32_e32 v34, v33, v12
	v_max_f32_e32 v33, v33, v12
	v_cndmask_b32_e64 v34, v34, v32, s[44:45]
	v_cndmask_b32_e64 v33, v33, v32, s[44:45]
	;; [unrolled: 1-line block ×4, first 2 shown]
	v_cmp_neq_f32_e64 s[44:45], v34, v33
	v_cmp_class_f32_e64 s[46:47], v34, s46
	s_or_b64 s[44:45], s[44:45], s[46:47]
	s_and_saveexec_b64 s[46:47], s[44:45]
	s_cbranch_execz .LBB401_294
; %bb.293:
	v_sub_f32_e32 v31, v34, v33
	s_mov_b32 s44, 0x3fb8aa3b
	v_mul_f32_e32 v32, 0x3fb8aa3b, v31
	v_fma_f32 v34, v31, s44, -v32
	v_rndne_f32_e32 v35, v32
	v_fmac_f32_e32 v34, 0x32a5705f, v31
	v_sub_f32_e32 v32, v32, v35
	v_add_f32_e32 v32, v32, v34
	v_exp_f32_e32 v32, v32
	v_cvt_i32_f32_e32 v34, v35
	s_mov_b32 s44, 0xc2ce8ed0
	v_cmp_ngt_f32_e64 s[44:45], s44, v31
	s_mov_b32 s48, 0x7f800000
	v_ldexp_f32 v32, v32, v34
	v_cndmask_b32_e64 v32, 0, v32, s[44:45]
	s_mov_b32 s44, 0x42b17218
	v_mov_b32_e32 v34, 0x7f800000
	v_cmp_nlt_f32_e64 s[44:45], s44, v31
	v_cndmask_b32_e64 v49, v34, v32, s[44:45]
	v_add_f32_e32 v31, 1.0, v49
	v_add_f32_e32 v32, -1.0, v31
	v_sub_f32_e32 v34, v32, v31
	v_add_f32_e32 v34, 1.0, v34
	v_sub_f32_e32 v32, v49, v32
	v_add_f32_e32 v32, v32, v34
	v_frexp_mant_f32_e32 v55, v31
	s_mov_b32 s44, 0x3f2aaaab
	v_cvt_f64_f32_e32 v[34:35], v31
	v_frexp_exp_i32_f64_e32 v34, v[34:35]
	v_cmp_gt_f32_e64 s[44:45], s44, v55
	v_subbrev_co_u32_e64 v55, s[44:45], 0, v34, s[44:45]
	v_sub_u32_e32 v34, 0, v55
	v_ldexp_f32 v31, v31, v34
	v_ldexp_f32 v32, v32, v34
	v_add_f32_e32 v34, -1.0, v31
	v_add_f32_e32 v35, 1.0, v34
	v_sub_f32_e32 v35, v31, v35
	v_add_f32_e32 v64, v32, v35
	v_add_f32_e32 v35, 1.0, v31
	v_add_f32_e32 v65, -1.0, v35
	v_sub_f32_e32 v31, v31, v65
	v_add_f32_e32 v31, v32, v31
	v_add_f32_e32 v32, v35, v31
	v_rcp_f32_e32 v70, v32
	v_sub_f32_e32 v35, v35, v32
	v_add_f32_e32 v31, v31, v35
	v_add_f32_e32 v35, v34, v64
	v_sub_f32_e32 v34, v34, v35
	v_mul_f32_e32 v80, v35, v70
	v_add_f32_e32 v71, v64, v34
	v_mul_f32_e32 v64, v32, v80
	v_fma_f32 v66, v80, v32, -v64
	v_fmac_f32_e32 v66, v80, v31
	v_add_f32_e32 v34, v64, v66
	v_sub_f32_e32 v65, v35, v34
	v_pk_add_f32 v[68:69], v[34:35], v[64:65] neg_lo:[0,1] neg_hi:[0,1]
	v_mov_b32_e32 v67, v34
	v_pk_add_f32 v[34:35], v[68:69], v[66:67] neg_lo:[0,1] neg_hi:[0,1]
	v_add_f32_e32 v35, v71, v35
	v_add_f32_e32 v34, v34, v35
	;; [unrolled: 1-line block ×3, first 2 shown]
	v_mul_f32_e32 v71, v70, v35
	v_mul_f32_e32 v64, v32, v71
	v_fma_f32 v66, v71, v32, -v64
	v_fmac_f32_e32 v66, v71, v31
	v_sub_f32_e32 v31, v65, v35
	v_add_f32_e32 v31, v34, v31
	v_add_f32_e32 v34, v64, v66
	v_sub_f32_e32 v65, v35, v34
	v_pk_add_f32 v[68:69], v[34:35], v[64:65] neg_lo:[0,1] neg_hi:[0,1]
	v_mov_b32_e32 v67, v34
	v_pk_add_f32 v[34:35], v[68:69], v[66:67] neg_lo:[0,1] neg_hi:[0,1]
	v_add_f32_e32 v31, v31, v35
	v_add_f32_e32 v31, v34, v31
	;; [unrolled: 1-line block ×4, first 2 shown]
	v_sub_f32_e32 v34, v32, v80
	v_mul_f32_e32 v31, v70, v31
	v_sub_f32_e32 v34, v71, v34
	v_add_f32_e32 v31, v34, v31
	v_add_f32_e32 v34, v32, v31
	v_mul_f32_e32 v65, v34, v34
	v_mov_b32_e32 v64, 0x3ecc95a3
	v_fmac_f32_e32 v64, 0x3e9b6dac, v65
	v_mov_b32_e32 v35, 0x3f2aaada
	v_fmac_f32_e32 v35, v65, v64
	v_cvt_f32_i32_e32 v64, v55
	v_sub_f32_e32 v32, v34, v32
	v_ldexp_f32 v67, v34, 1
	v_mul_f32_e32 v65, v34, v65
	v_mov_b32_e32 v34, 0x3f317218
	s_mov_b32 s44, 0x3f317218
	v_pk_mul_f32 v[34:35], v[64:65], v[34:35]
	v_fma_f32 v66, v64, s44, -v34
	v_fmac_f32_e32 v66, 0xb102e308, v64
	v_pk_add_f32 v[64:65], v[34:35], v[66:67]
	v_sub_f32_e32 v31, v31, v32
	v_sub_f32_e32 v32, v65, v67
	v_ldexp_f32 v31, v31, 1
	v_sub_f32_e32 v32, v35, v32
	v_add_f32_e32 v69, v31, v32
	v_mov_b32_e32 v68, v34
	v_pk_add_f32 v[34:35], v[64:65], v[34:35] neg_lo:[0,1] neg_hi:[0,1]
	v_pk_add_f32 v[70:71], v[64:65], v[68:69]
	v_mov_b32_e32 v35, v71
	v_mov_b32_e32 v67, v64
	v_pk_add_f32 v[80:81], v[66:67], v[34:35] neg_lo:[0,1] neg_hi:[0,1]
	v_pk_add_f32 v[34:35], v[66:67], v[34:35]
	v_mov_b32_e32 v32, v35
	v_pk_add_f32 v[66:67], v[32:33], v[64:65] neg_lo:[0,1] neg_hi:[0,1]
	v_mov_b32_e32 v31, v66
	v_pk_add_f32 v[82:83], v[70:71], v[30:31] neg_lo:[0,1] neg_hi:[0,1]
	v_mov_b32_e32 v34, v71
	v_mov_b32_e32 v70, v65
	;; [unrolled: 1-line block ×4, first 2 shown]
	v_pk_add_f32 v[34:35], v[34:35], v[70:71] neg_lo:[0,1] neg_hi:[0,1]
	v_mov_b32_e32 v66, v69
	v_mov_b32_e32 v67, v64
	v_pk_add_f32 v[34:35], v[66:67], v[34:35] neg_lo:[0,1] neg_hi:[0,1]
	v_mov_b32_e32 v82, v80
	v_pk_add_f32 v[64:65], v[82:83], v[34:35]
	v_mov_b32_e32 v66, v65
	v_pk_add_f32 v[66:67], v[64:65], v[66:67]
	v_pk_add_f32 v[68:69], v[32:33], v[66:67]
	v_mov_b32_e32 v65, v68
	v_pk_add_f32 v[70:71], v[64:65], v[80:81] neg_lo:[0,1] neg_hi:[0,1]
	v_mov_b32_e32 v35, v66
	v_sub_f32_e32 v31, v64, v70
	v_pk_add_f32 v[34:35], v[34:35], v[70:71] neg_lo:[0,1] neg_hi:[0,1]
	v_sub_f32_e32 v31, v80, v31
	v_add_f32_e32 v31, v34, v31
	v_cmp_eq_f32_e64 s[44:45], s48, v49
	s_mov_b32 s48, 0x33800000
	v_add_f32_e32 v31, v31, v35
	v_cmp_lt_f32_e64 s[48:49], |v49|, s48
	v_add_f32_e32 v31, v68, v31
	s_or_b64 s[44:45], s[44:45], s[48:49]
	v_cndmask_b32_e64 v31, v31, v49, s[44:45]
	v_add_f32_e32 v31, v33, v31
	v_cvt_f16_f32_e32 v31, v31
	v_cvt_f32_f16_e32 v32, v31
.LBB401_294:
	s_or_b64 exec, exec, s[46:47]
	v_cvt_f32_f16_sdwa v55, v13 dst_sel:DWORD dst_unused:UNUSED_PAD src0_sel:WORD_1
	v_max_f32_e32 v34, v32, v32
	v_cmp_u_f16_e64 s[46:47], v31, v31
	v_cmp_u_f16_sdwa s[44:45], v13, v13 src0_sel:WORD_1 src1_sel:WORD_1
	v_min_f32_e32 v33, v34, v55
	v_max_f32_e32 v13, v34, v55
	v_cndmask_b32_e64 v33, v33, v32, s[46:47]
	v_cndmask_b32_e64 v13, v13, v32, s[46:47]
	;; [unrolled: 1-line block ×4, first 2 shown]
	s_movk_i32 s50, 0x1f8
	v_cmp_neq_f32_e64 s[46:47], v33, v13
	v_cmp_class_f32_e64 s[48:49], v33, s50
	s_or_b64 s[46:47], s[46:47], s[48:49]
	s_and_saveexec_b64 s[48:49], s[46:47]
	s_cbranch_execz .LBB401_296
; %bb.295:
	v_sub_f32_e32 v31, v33, v13
	s_mov_b32 s46, 0x3fb8aa3b
	v_mul_f32_e32 v32, 0x3fb8aa3b, v31
	v_fma_f32 v33, v31, s46, -v32
	v_rndne_f32_e32 v34, v32
	v_fmac_f32_e32 v33, 0x32a5705f, v31
	v_sub_f32_e32 v32, v32, v34
	v_add_f32_e32 v32, v32, v33
	v_exp_f32_e32 v32, v32
	v_cvt_i32_f32_e32 v33, v34
	s_mov_b32 s46, 0xc2ce8ed0
	v_cmp_ngt_f32_e64 s[46:47], s46, v31
	s_mov_b32 s51, 0x7f800000
	v_ldexp_f32 v32, v32, v33
	v_cndmask_b32_e64 v32, 0, v32, s[46:47]
	s_mov_b32 s46, 0x42b17218
	v_mov_b32_e32 v33, 0x7f800000
	v_cmp_nlt_f32_e64 s[46:47], s46, v31
	v_cndmask_b32_e64 v49, v33, v32, s[46:47]
	v_add_f32_e32 v31, 1.0, v49
	v_add_f32_e32 v32, -1.0, v31
	v_sub_f32_e32 v33, v32, v31
	v_add_f32_e32 v33, 1.0, v33
	v_sub_f32_e32 v32, v49, v32
	v_add_f32_e32 v34, v32, v33
	v_frexp_mant_f32_e32 v35, v31
	s_mov_b32 s46, 0x3f2aaaab
	v_cvt_f64_f32_e32 v[32:33], v31
	v_frexp_exp_i32_f64_e32 v32, v[32:33]
	v_cmp_gt_f32_e64 s[46:47], s46, v35
	v_subbrev_co_u32_e64 v68, s[46:47], 0, v32, s[46:47]
	v_sub_u32_e32 v32, 0, v68
	v_ldexp_f32 v31, v31, v32
	v_ldexp_f32 v32, v34, v32
	v_add_f32_e32 v34, -1.0, v31
	v_add_f32_e32 v33, 1.0, v34
	v_sub_f32_e32 v33, v31, v33
	v_add_f32_e32 v35, v32, v33
	v_add_f32_e32 v33, 1.0, v31
	v_add_f32_e32 v64, -1.0, v33
	v_sub_f32_e32 v31, v31, v64
	v_add_f32_e32 v31, v32, v31
	v_add_f32_e32 v69, v33, v31
	v_rcp_f32_e32 v70, v69
	v_sub_f32_e32 v32, v33, v69
	v_add_f32_e32 v33, v34, v35
	v_add_f32_e32 v31, v31, v32
	v_mul_f32_e32 v80, v33, v70
	v_sub_f32_e32 v32, v34, v33
	v_mul_f32_e32 v34, v69, v80
	v_fma_f32 v64, v80, v69, -v34
	v_fmac_f32_e32 v64, v80, v31
	v_add_f32_e32 v71, v35, v32
	v_add_f32_e32 v32, v34, v64
	v_sub_f32_e32 v35, v33, v32
	v_pk_add_f32 v[66:67], v[32:33], v[34:35] neg_lo:[0,1] neg_hi:[0,1]
	v_mov_b32_e32 v65, v32
	v_pk_add_f32 v[32:33], v[66:67], v[64:65] neg_lo:[0,1] neg_hi:[0,1]
	v_add_f32_e32 v33, v71, v33
	v_add_f32_e32 v32, v32, v33
	;; [unrolled: 1-line block ×3, first 2 shown]
	v_mul_f32_e32 v71, v70, v33
	v_mul_f32_e32 v34, v69, v71
	v_fma_f32 v64, v71, v69, -v34
	v_fmac_f32_e32 v64, v71, v31
	v_sub_f32_e32 v31, v35, v33
	v_add_f32_e32 v31, v32, v31
	v_add_f32_e32 v32, v34, v64
	v_sub_f32_e32 v35, v33, v32
	v_pk_add_f32 v[66:67], v[32:33], v[34:35] neg_lo:[0,1] neg_hi:[0,1]
	v_mov_b32_e32 v65, v32
	v_pk_add_f32 v[32:33], v[66:67], v[64:65] neg_lo:[0,1] neg_hi:[0,1]
	v_add_f32_e32 v31, v31, v33
	v_add_f32_e32 v31, v32, v31
	;; [unrolled: 1-line block ×4, first 2 shown]
	v_sub_f32_e32 v33, v32, v80
	v_mul_f32_e32 v31, v70, v31
	v_sub_f32_e32 v33, v71, v33
	v_add_f32_e32 v31, v33, v31
	v_add_f32_e32 v35, v32, v31
	v_mul_f32_e32 v64, v35, v35
	v_mov_b32_e32 v34, 0x3ecc95a3
	v_fmac_f32_e32 v34, 0x3e9b6dac, v64
	v_mov_b32_e32 v33, 0x3f2aaada
	v_fmac_f32_e32 v33, v64, v34
	v_cvt_f32_i32_e32 v34, v68
	v_sub_f32_e32 v32, v35, v32
	v_sub_f32_e32 v31, v31, v32
	v_ldexp_f32 v65, v35, 1
	v_mul_f32_e32 v35, v35, v64
	v_mov_b32_e32 v32, 0x3f317218
	s_mov_b32 s46, 0x3f317218
	v_pk_mul_f32 v[32:33], v[34:35], v[32:33]
	v_fma_f32 v64, v34, s46, -v32
	v_fmac_f32_e32 v64, 0xb102e308, v34
	v_pk_add_f32 v[34:35], v[32:33], v[64:65]
	v_sub_f32_e32 v65, v35, v65
	v_ldexp_f32 v31, v31, 1
	v_sub_f32_e32 v65, v33, v65
	v_add_f32_e32 v67, v31, v65
	v_mov_b32_e32 v66, v32
	v_pk_add_f32 v[32:33], v[34:35], v[32:33] neg_lo:[0,1] neg_hi:[0,1]
	v_pk_add_f32 v[68:69], v[34:35], v[66:67]
	v_mov_b32_e32 v33, v69
	v_mov_b32_e32 v65, v34
	v_pk_add_f32 v[70:71], v[64:65], v[32:33] neg_lo:[0,1] neg_hi:[0,1]
	v_pk_add_f32 v[32:33], v[64:65], v[32:33]
	v_mov_b32_e32 v64, v33
	v_pk_add_f32 v[80:81], v[64:65], v[34:35] neg_lo:[0,1] neg_hi:[0,1]
	v_mov_b32_e32 v31, v80
	v_pk_add_f32 v[82:83], v[68:69], v[30:31] neg_lo:[0,1] neg_hi:[0,1]
	v_mov_b32_e32 v32, v69
	v_mov_b32_e32 v68, v35
	v_mov_b32_e32 v69, v80
	v_mov_b32_e32 v71, v33
	v_pk_add_f32 v[32:33], v[32:33], v[68:69] neg_lo:[0,1] neg_hi:[0,1]
	v_mov_b32_e32 v66, v67
	v_mov_b32_e32 v67, v34
	v_pk_add_f32 v[32:33], v[66:67], v[32:33] neg_lo:[0,1] neg_hi:[0,1]
	v_mov_b32_e32 v82, v70
	v_pk_add_f32 v[34:35], v[82:83], v[32:33]
	v_mov_b32_e32 v66, v35
	v_pk_add_f32 v[66:67], v[34:35], v[66:67]
	v_pk_add_f32 v[64:65], v[64:65], v[66:67]
	v_mov_b32_e32 v35, v64
	v_pk_add_f32 v[68:69], v[34:35], v[70:71] neg_lo:[0,1] neg_hi:[0,1]
	v_mov_b32_e32 v33, v66
	v_sub_f32_e32 v31, v34, v68
	v_pk_add_f32 v[32:33], v[32:33], v[68:69] neg_lo:[0,1] neg_hi:[0,1]
	v_sub_f32_e32 v31, v70, v31
	v_add_f32_e32 v31, v32, v31
	v_cmp_eq_f32_e64 s[46:47], s51, v49
	s_mov_b32 s51, 0x33800000
	v_add_f32_e32 v31, v31, v33
	v_cmp_lt_f32_e64 s[52:53], |v49|, s51
	v_add_f32_e32 v31, v64, v31
	s_or_b64 s[46:47], s[46:47], s[52:53]
	v_cndmask_b32_e64 v31, v31, v49, s[46:47]
	v_add_f32_e32 v13, v13, v31
	v_cvt_f16_f32_e32 v31, v13
	v_cvt_f32_f16_e32 v32, v31
.LBB401_296:
	s_or_b64 exec, exec, s[48:49]
	v_cvt_f32_f16_e32 v13, v14
	v_max_f32_e32 v33, v32, v32
	v_cmp_u_f16_e64 s[48:49], v31, v31
	v_cmp_u_f16_e64 s[46:47], v14, v14
	v_min_f32_e32 v34, v33, v13
	v_max_f32_e32 v33, v33, v13
	v_cndmask_b32_e64 v34, v34, v32, s[48:49]
	v_cndmask_b32_e64 v33, v33, v32, s[48:49]
	;; [unrolled: 1-line block ×4, first 2 shown]
	v_cmp_neq_f32_e64 s[48:49], v34, v33
	v_cmp_class_f32_e64 s[50:51], v34, s50
	s_or_b64 s[48:49], s[48:49], s[50:51]
	s_and_saveexec_b64 s[50:51], s[48:49]
	s_cbranch_execz .LBB401_298
; %bb.297:
	v_sub_f32_e32 v31, v34, v33
	s_mov_b32 s48, 0x3fb8aa3b
	v_mul_f32_e32 v32, 0x3fb8aa3b, v31
	v_fma_f32 v34, v31, s48, -v32
	v_rndne_f32_e32 v35, v32
	v_fmac_f32_e32 v34, 0x32a5705f, v31
	v_sub_f32_e32 v32, v32, v35
	v_add_f32_e32 v32, v32, v34
	v_exp_f32_e32 v32, v32
	v_cvt_i32_f32_e32 v34, v35
	s_mov_b32 s48, 0xc2ce8ed0
	v_cmp_ngt_f32_e64 s[48:49], s48, v31
	s_mov_b32 s52, 0x7f800000
	v_ldexp_f32 v32, v32, v34
	v_cndmask_b32_e64 v32, 0, v32, s[48:49]
	s_mov_b32 s48, 0x42b17218
	v_mov_b32_e32 v34, 0x7f800000
	v_cmp_nlt_f32_e64 s[48:49], s48, v31
	v_cndmask_b32_e64 v49, v34, v32, s[48:49]
	v_add_f32_e32 v31, 1.0, v49
	v_add_f32_e32 v32, -1.0, v31
	v_sub_f32_e32 v34, v32, v31
	v_add_f32_e32 v34, 1.0, v34
	v_sub_f32_e32 v32, v49, v32
	v_add_f32_e32 v32, v32, v34
	v_frexp_mant_f32_e32 v64, v31
	s_mov_b32 s48, 0x3f2aaaab
	v_cvt_f64_f32_e32 v[34:35], v31
	v_frexp_exp_i32_f64_e32 v34, v[34:35]
	v_cmp_gt_f32_e64 s[48:49], s48, v64
	v_subbrev_co_u32_e64 v70, s[48:49], 0, v34, s[48:49]
	v_sub_u32_e32 v34, 0, v70
	v_ldexp_f32 v31, v31, v34
	v_ldexp_f32 v32, v32, v34
	v_add_f32_e32 v34, -1.0, v31
	v_add_f32_e32 v35, 1.0, v34
	v_sub_f32_e32 v35, v31, v35
	v_add_f32_e32 v64, v32, v35
	v_add_f32_e32 v35, 1.0, v31
	v_add_f32_e32 v65, -1.0, v35
	v_sub_f32_e32 v31, v31, v65
	v_add_f32_e32 v31, v32, v31
	v_add_f32_e32 v32, v35, v31
	v_rcp_f32_e32 v71, v32
	v_sub_f32_e32 v35, v35, v32
	v_add_f32_e32 v31, v31, v35
	v_add_f32_e32 v35, v34, v64
	v_sub_f32_e32 v34, v34, v35
	v_mul_f32_e32 v81, v35, v71
	v_add_f32_e32 v80, v64, v34
	v_mul_f32_e32 v64, v32, v81
	v_fma_f32 v66, v81, v32, -v64
	v_fmac_f32_e32 v66, v81, v31
	v_add_f32_e32 v34, v64, v66
	v_sub_f32_e32 v65, v35, v34
	v_pk_add_f32 v[68:69], v[34:35], v[64:65] neg_lo:[0,1] neg_hi:[0,1]
	v_mov_b32_e32 v67, v34
	v_pk_add_f32 v[34:35], v[68:69], v[66:67] neg_lo:[0,1] neg_hi:[0,1]
	v_add_f32_e32 v35, v80, v35
	v_add_f32_e32 v34, v34, v35
	;; [unrolled: 1-line block ×3, first 2 shown]
	v_mul_f32_e32 v80, v71, v35
	v_mul_f32_e32 v64, v32, v80
	v_fma_f32 v66, v80, v32, -v64
	v_fmac_f32_e32 v66, v80, v31
	v_sub_f32_e32 v31, v65, v35
	v_add_f32_e32 v31, v34, v31
	v_add_f32_e32 v34, v64, v66
	v_sub_f32_e32 v65, v35, v34
	v_pk_add_f32 v[68:69], v[34:35], v[64:65] neg_lo:[0,1] neg_hi:[0,1]
	v_mov_b32_e32 v67, v34
	v_pk_add_f32 v[34:35], v[68:69], v[66:67] neg_lo:[0,1] neg_hi:[0,1]
	v_add_f32_e32 v31, v31, v35
	v_add_f32_e32 v31, v34, v31
	;; [unrolled: 1-line block ×4, first 2 shown]
	v_sub_f32_e32 v34, v32, v81
	v_mul_f32_e32 v31, v71, v31
	v_sub_f32_e32 v34, v80, v34
	v_add_f32_e32 v31, v34, v31
	v_add_f32_e32 v34, v32, v31
	v_mul_f32_e32 v65, v34, v34
	v_mov_b32_e32 v64, 0x3ecc95a3
	v_fmac_f32_e32 v64, 0x3e9b6dac, v65
	v_mov_b32_e32 v35, 0x3f2aaada
	v_fmac_f32_e32 v35, v65, v64
	v_cvt_f32_i32_e32 v64, v70
	v_sub_f32_e32 v32, v34, v32
	v_ldexp_f32 v67, v34, 1
	v_mul_f32_e32 v65, v34, v65
	v_mov_b32_e32 v34, 0x3f317218
	s_mov_b32 s48, 0x3f317218
	v_pk_mul_f32 v[34:35], v[64:65], v[34:35]
	v_fma_f32 v66, v64, s48, -v34
	v_fmac_f32_e32 v66, 0xb102e308, v64
	v_pk_add_f32 v[64:65], v[34:35], v[66:67]
	v_sub_f32_e32 v31, v31, v32
	v_sub_f32_e32 v32, v65, v67
	v_ldexp_f32 v31, v31, 1
	v_sub_f32_e32 v32, v35, v32
	v_add_f32_e32 v69, v31, v32
	v_mov_b32_e32 v68, v34
	v_pk_add_f32 v[34:35], v[64:65], v[34:35] neg_lo:[0,1] neg_hi:[0,1]
	v_pk_add_f32 v[70:71], v[64:65], v[68:69]
	v_mov_b32_e32 v35, v71
	v_mov_b32_e32 v67, v64
	v_pk_add_f32 v[80:81], v[66:67], v[34:35] neg_lo:[0,1] neg_hi:[0,1]
	v_pk_add_f32 v[34:35], v[66:67], v[34:35]
	v_mov_b32_e32 v32, v35
	v_pk_add_f32 v[66:67], v[32:33], v[64:65] neg_lo:[0,1] neg_hi:[0,1]
	v_mov_b32_e32 v31, v66
	v_pk_add_f32 v[82:83], v[70:71], v[30:31] neg_lo:[0,1] neg_hi:[0,1]
	v_mov_b32_e32 v34, v71
	v_mov_b32_e32 v70, v65
	;; [unrolled: 1-line block ×4, first 2 shown]
	v_pk_add_f32 v[34:35], v[34:35], v[70:71] neg_lo:[0,1] neg_hi:[0,1]
	v_mov_b32_e32 v66, v69
	v_mov_b32_e32 v67, v64
	v_pk_add_f32 v[34:35], v[66:67], v[34:35] neg_lo:[0,1] neg_hi:[0,1]
	v_mov_b32_e32 v82, v80
	v_pk_add_f32 v[64:65], v[82:83], v[34:35]
	v_mov_b32_e32 v66, v65
	v_pk_add_f32 v[66:67], v[64:65], v[66:67]
	v_pk_add_f32 v[68:69], v[32:33], v[66:67]
	v_mov_b32_e32 v65, v68
	v_pk_add_f32 v[70:71], v[64:65], v[80:81] neg_lo:[0,1] neg_hi:[0,1]
	v_mov_b32_e32 v35, v66
	v_sub_f32_e32 v31, v64, v70
	v_pk_add_f32 v[34:35], v[34:35], v[70:71] neg_lo:[0,1] neg_hi:[0,1]
	v_sub_f32_e32 v31, v80, v31
	v_add_f32_e32 v31, v34, v31
	v_cmp_eq_f32_e64 s[48:49], s52, v49
	s_mov_b32 s52, 0x33800000
	v_add_f32_e32 v31, v31, v35
	v_cmp_lt_f32_e64 s[52:53], |v49|, s52
	v_add_f32_e32 v31, v68, v31
	s_or_b64 s[48:49], s[48:49], s[52:53]
	v_cndmask_b32_e64 v31, v31, v49, s[48:49]
	v_add_f32_e32 v31, v33, v31
	v_cvt_f16_f32_e32 v31, v31
	v_cvt_f32_f16_e32 v32, v31
.LBB401_298:
	s_or_b64 exec, exec, s[50:51]
	v_cvt_f32_f16_sdwa v64, v14 dst_sel:DWORD dst_unused:UNUSED_PAD src0_sel:WORD_1
	v_max_f32_e32 v34, v32, v32
	v_cmp_u_f16_e64 s[50:51], v31, v31
	v_cmp_u_f16_sdwa s[48:49], v14, v14 src0_sel:WORD_1 src1_sel:WORD_1
	v_min_f32_e32 v33, v34, v64
	v_max_f32_e32 v14, v34, v64
	v_cndmask_b32_e64 v33, v33, v32, s[50:51]
	v_cndmask_b32_e64 v14, v14, v32, s[50:51]
	;; [unrolled: 1-line block ×4, first 2 shown]
	s_movk_i32 s56, 0x1f8
	v_cmp_neq_f32_e64 s[50:51], v33, v14
	v_cmp_class_f32_e64 s[52:53], v33, s56
	s_or_b64 s[50:51], s[50:51], s[52:53]
	s_and_saveexec_b64 s[52:53], s[50:51]
	s_cbranch_execz .LBB401_300
; %bb.299:
	v_sub_f32_e32 v31, v33, v14
	s_mov_b32 s50, 0x3fb8aa3b
	v_mul_f32_e32 v32, 0x3fb8aa3b, v31
	v_fma_f32 v33, v31, s50, -v32
	v_rndne_f32_e32 v34, v32
	v_fmac_f32_e32 v33, 0x32a5705f, v31
	v_sub_f32_e32 v32, v32, v34
	v_add_f32_e32 v32, v32, v33
	v_exp_f32_e32 v32, v32
	v_cvt_i32_f32_e32 v33, v34
	s_mov_b32 s50, 0xc2ce8ed0
	v_cmp_ngt_f32_e64 s[50:51], s50, v31
	s_mov_b32 s57, 0x7f800000
	v_ldexp_f32 v32, v32, v33
	v_cndmask_b32_e64 v32, 0, v32, s[50:51]
	s_mov_b32 s50, 0x42b17218
	v_mov_b32_e32 v33, 0x7f800000
	v_cmp_nlt_f32_e64 s[50:51], s50, v31
	v_cndmask_b32_e64 v49, v33, v32, s[50:51]
	v_add_f32_e32 v31, 1.0, v49
	v_add_f32_e32 v32, -1.0, v31
	v_sub_f32_e32 v33, v32, v31
	v_add_f32_e32 v33, 1.0, v33
	v_sub_f32_e32 v32, v49, v32
	v_add_f32_e32 v34, v32, v33
	v_frexp_mant_f32_e32 v35, v31
	s_mov_b32 s50, 0x3f2aaaab
	v_cvt_f64_f32_e32 v[32:33], v31
	v_frexp_exp_i32_f64_e32 v32, v[32:33]
	v_cmp_gt_f32_e64 s[50:51], s50, v35
	v_subbrev_co_u32_e64 v65, s[50:51], 0, v32, s[50:51]
	v_sub_u32_e32 v32, 0, v65
	v_ldexp_f32 v31, v31, v32
	v_ldexp_f32 v32, v34, v32
	v_add_f32_e32 v34, -1.0, v31
	v_add_f32_e32 v33, 1.0, v34
	v_sub_f32_e32 v33, v31, v33
	v_add_f32_e32 v35, v32, v33
	v_add_f32_e32 v33, 1.0, v31
	v_add_f32_e32 v66, -1.0, v33
	v_sub_f32_e32 v31, v31, v66
	v_add_f32_e32 v31, v32, v31
	v_add_f32_e32 v70, v33, v31
	v_rcp_f32_e32 v71, v70
	v_sub_f32_e32 v32, v33, v70
	v_add_f32_e32 v33, v34, v35
	v_add_f32_e32 v31, v31, v32
	v_mul_f32_e32 v81, v33, v71
	v_sub_f32_e32 v32, v34, v33
	v_mul_f32_e32 v34, v70, v81
	v_fma_f32 v66, v81, v70, -v34
	v_fmac_f32_e32 v66, v81, v31
	v_add_f32_e32 v80, v35, v32
	v_add_f32_e32 v32, v34, v66
	v_sub_f32_e32 v35, v33, v32
	v_pk_add_f32 v[68:69], v[32:33], v[34:35] neg_lo:[0,1] neg_hi:[0,1]
	v_mov_b32_e32 v67, v32
	v_pk_add_f32 v[32:33], v[68:69], v[66:67] neg_lo:[0,1] neg_hi:[0,1]
	v_add_f32_e32 v33, v80, v33
	v_add_f32_e32 v32, v32, v33
	;; [unrolled: 1-line block ×3, first 2 shown]
	v_mul_f32_e32 v80, v71, v33
	v_mul_f32_e32 v34, v70, v80
	v_fma_f32 v66, v80, v70, -v34
	v_fmac_f32_e32 v66, v80, v31
	v_sub_f32_e32 v31, v35, v33
	v_add_f32_e32 v31, v32, v31
	v_add_f32_e32 v32, v34, v66
	v_sub_f32_e32 v35, v33, v32
	v_pk_add_f32 v[68:69], v[32:33], v[34:35] neg_lo:[0,1] neg_hi:[0,1]
	v_mov_b32_e32 v67, v32
	v_pk_add_f32 v[32:33], v[68:69], v[66:67] neg_lo:[0,1] neg_hi:[0,1]
	v_add_f32_e32 v31, v31, v33
	v_add_f32_e32 v31, v32, v31
	v_add_f32_e32 v32, v81, v80
	v_add_f32_e32 v31, v35, v31
	v_sub_f32_e32 v33, v32, v81
	v_mul_f32_e32 v31, v71, v31
	v_sub_f32_e32 v33, v80, v33
	v_add_f32_e32 v31, v33, v31
	v_add_f32_e32 v35, v32, v31
	v_mul_f32_e32 v66, v35, v35
	v_mov_b32_e32 v34, 0x3ecc95a3
	v_fmac_f32_e32 v34, 0x3e9b6dac, v66
	v_mov_b32_e32 v33, 0x3f2aaada
	v_fmac_f32_e32 v33, v66, v34
	v_cvt_f32_i32_e32 v34, v65
	v_sub_f32_e32 v32, v35, v32
	v_sub_f32_e32 v31, v31, v32
	v_ldexp_f32 v67, v35, 1
	v_mul_f32_e32 v35, v35, v66
	v_mov_b32_e32 v32, 0x3f317218
	s_mov_b32 s50, 0x3f317218
	v_pk_mul_f32 v[32:33], v[34:35], v[32:33]
	v_fma_f32 v66, v34, s50, -v32
	v_fmac_f32_e32 v66, 0xb102e308, v34
	v_pk_add_f32 v[34:35], v[32:33], v[66:67]
	v_sub_f32_e32 v65, v35, v67
	v_ldexp_f32 v31, v31, 1
	v_sub_f32_e32 v65, v33, v65
	v_add_f32_e32 v69, v31, v65
	v_mov_b32_e32 v68, v32
	v_pk_add_f32 v[32:33], v[34:35], v[32:33] neg_lo:[0,1] neg_hi:[0,1]
	v_pk_add_f32 v[70:71], v[34:35], v[68:69]
	v_mov_b32_e32 v33, v71
	v_mov_b32_e32 v67, v34
	v_pk_add_f32 v[80:81], v[66:67], v[32:33] neg_lo:[0,1] neg_hi:[0,1]
	v_pk_add_f32 v[32:33], v[66:67], v[32:33]
	v_mov_b32_e32 v66, v33
	v_pk_add_f32 v[82:83], v[66:67], v[34:35] neg_lo:[0,1] neg_hi:[0,1]
	v_mov_b32_e32 v31, v82
	v_pk_add_f32 v[84:85], v[70:71], v[30:31] neg_lo:[0,1] neg_hi:[0,1]
	v_mov_b32_e32 v32, v71
	v_mov_b32_e32 v70, v35
	;; [unrolled: 1-line block ×4, first 2 shown]
	v_pk_add_f32 v[32:33], v[32:33], v[70:71] neg_lo:[0,1] neg_hi:[0,1]
	v_mov_b32_e32 v68, v69
	v_mov_b32_e32 v69, v34
	v_pk_add_f32 v[32:33], v[68:69], v[32:33] neg_lo:[0,1] neg_hi:[0,1]
	v_mov_b32_e32 v84, v80
	v_pk_add_f32 v[34:35], v[84:85], v[32:33]
	v_mov_b32_e32 v68, v35
	v_pk_add_f32 v[68:69], v[34:35], v[68:69]
	v_pk_add_f32 v[66:67], v[66:67], v[68:69]
	v_mov_b32_e32 v35, v66
	v_pk_add_f32 v[70:71], v[34:35], v[80:81] neg_lo:[0,1] neg_hi:[0,1]
	v_mov_b32_e32 v33, v68
	v_sub_f32_e32 v31, v34, v70
	v_pk_add_f32 v[32:33], v[32:33], v[70:71] neg_lo:[0,1] neg_hi:[0,1]
	v_sub_f32_e32 v31, v80, v31
	v_add_f32_e32 v31, v32, v31
	v_cmp_eq_f32_e64 s[50:51], s57, v49
	s_mov_b32 s57, 0x33800000
	v_add_f32_e32 v31, v31, v33
	v_cmp_lt_f32_e64 s[58:59], |v49|, s57
	v_add_f32_e32 v31, v66, v31
	s_or_b64 s[50:51], s[50:51], s[58:59]
	v_cndmask_b32_e64 v31, v31, v49, s[50:51]
	v_add_f32_e32 v14, v14, v31
	v_cvt_f16_f32_e32 v31, v14
	v_cvt_f32_f16_e32 v32, v31
.LBB401_300:
	s_or_b64 exec, exec, s[52:53]
	v_cvt_f32_f16_e32 v14, v15
	v_max_f32_e32 v33, v32, v32
	v_cmp_u_f16_e64 s[52:53], v31, v31
	v_cmp_u_f16_e64 s[50:51], v15, v15
	v_min_f32_e32 v34, v33, v14
	v_max_f32_e32 v33, v33, v14
	v_cndmask_b32_e64 v34, v34, v32, s[52:53]
	v_cndmask_b32_e64 v33, v33, v32, s[52:53]
	;; [unrolled: 1-line block ×4, first 2 shown]
	v_cmp_neq_f32_e64 s[52:53], v34, v33
	v_cmp_class_f32_e64 s[56:57], v34, s56
	s_or_b64 s[52:53], s[52:53], s[56:57]
	s_and_saveexec_b64 s[56:57], s[52:53]
	s_cbranch_execz .LBB401_302
; %bb.301:
	v_sub_f32_e32 v31, v34, v33
	s_mov_b32 s52, 0x3fb8aa3b
	v_mul_f32_e32 v32, 0x3fb8aa3b, v31
	v_fma_f32 v34, v31, s52, -v32
	v_rndne_f32_e32 v35, v32
	v_fmac_f32_e32 v34, 0x32a5705f, v31
	v_sub_f32_e32 v32, v32, v35
	v_add_f32_e32 v32, v32, v34
	v_exp_f32_e32 v32, v32
	v_cvt_i32_f32_e32 v34, v35
	s_mov_b32 s52, 0xc2ce8ed0
	v_cmp_ngt_f32_e64 s[52:53], s52, v31
	s_mov_b32 s58, 0x7f800000
	v_ldexp_f32 v32, v32, v34
	v_cndmask_b32_e64 v32, 0, v32, s[52:53]
	s_mov_b32 s52, 0x42b17218
	v_mov_b32_e32 v34, 0x7f800000
	v_cmp_nlt_f32_e64 s[52:53], s52, v31
	v_cndmask_b32_e64 v49, v34, v32, s[52:53]
	v_add_f32_e32 v31, 1.0, v49
	v_add_f32_e32 v32, -1.0, v31
	v_sub_f32_e32 v34, v32, v31
	v_add_f32_e32 v34, 1.0, v34
	v_sub_f32_e32 v32, v49, v32
	v_add_f32_e32 v32, v32, v34
	v_frexp_mant_f32_e32 v65, v31
	s_mov_b32 s52, 0x3f2aaaab
	v_cvt_f64_f32_e32 v[34:35], v31
	v_frexp_exp_i32_f64_e32 v34, v[34:35]
	v_cmp_gt_f32_e64 s[52:53], s52, v65
	v_subbrev_co_u32_e64 v65, s[52:53], 0, v34, s[52:53]
	v_sub_u32_e32 v34, 0, v65
	v_ldexp_f32 v31, v31, v34
	v_ldexp_f32 v32, v32, v34
	v_add_f32_e32 v34, -1.0, v31
	v_add_f32_e32 v35, 1.0, v34
	v_sub_f32_e32 v35, v31, v35
	v_add_f32_e32 v66, v32, v35
	v_add_f32_e32 v35, 1.0, v31
	v_add_f32_e32 v67, -1.0, v35
	v_sub_f32_e32 v31, v31, v67
	v_add_f32_e32 v31, v32, v31
	v_add_f32_e32 v32, v35, v31
	v_rcp_f32_e32 v80, v32
	v_sub_f32_e32 v35, v35, v32
	v_add_f32_e32 v31, v31, v35
	v_add_f32_e32 v35, v34, v66
	v_sub_f32_e32 v34, v34, v35
	v_mul_f32_e32 v82, v35, v80
	v_add_f32_e32 v81, v66, v34
	v_mul_f32_e32 v66, v32, v82
	v_fma_f32 v68, v82, v32, -v66
	v_fmac_f32_e32 v68, v82, v31
	v_add_f32_e32 v34, v66, v68
	v_sub_f32_e32 v67, v35, v34
	v_pk_add_f32 v[70:71], v[34:35], v[66:67] neg_lo:[0,1] neg_hi:[0,1]
	v_mov_b32_e32 v69, v34
	v_pk_add_f32 v[34:35], v[70:71], v[68:69] neg_lo:[0,1] neg_hi:[0,1]
	v_add_f32_e32 v35, v81, v35
	v_add_f32_e32 v34, v34, v35
	;; [unrolled: 1-line block ×3, first 2 shown]
	v_mul_f32_e32 v81, v80, v35
	v_mul_f32_e32 v66, v32, v81
	v_fma_f32 v68, v81, v32, -v66
	v_fmac_f32_e32 v68, v81, v31
	v_sub_f32_e32 v31, v67, v35
	v_add_f32_e32 v31, v34, v31
	v_add_f32_e32 v34, v66, v68
	v_sub_f32_e32 v67, v35, v34
	v_pk_add_f32 v[70:71], v[34:35], v[66:67] neg_lo:[0,1] neg_hi:[0,1]
	v_mov_b32_e32 v69, v34
	v_pk_add_f32 v[34:35], v[70:71], v[68:69] neg_lo:[0,1] neg_hi:[0,1]
	v_add_f32_e32 v31, v31, v35
	v_add_f32_e32 v31, v34, v31
	;; [unrolled: 1-line block ×4, first 2 shown]
	v_sub_f32_e32 v34, v32, v82
	v_mul_f32_e32 v31, v80, v31
	v_sub_f32_e32 v34, v81, v34
	v_add_f32_e32 v31, v34, v31
	v_add_f32_e32 v34, v32, v31
	v_mul_f32_e32 v67, v34, v34
	v_mov_b32_e32 v66, 0x3ecc95a3
	v_fmac_f32_e32 v66, 0x3e9b6dac, v67
	v_mov_b32_e32 v35, 0x3f2aaada
	v_fmac_f32_e32 v35, v67, v66
	v_cvt_f32_i32_e32 v66, v65
	v_sub_f32_e32 v32, v34, v32
	v_ldexp_f32 v69, v34, 1
	v_mul_f32_e32 v67, v34, v67
	v_mov_b32_e32 v34, 0x3f317218
	s_mov_b32 s52, 0x3f317218
	v_pk_mul_f32 v[34:35], v[66:67], v[34:35]
	v_fma_f32 v68, v66, s52, -v34
	v_fmac_f32_e32 v68, 0xb102e308, v66
	v_pk_add_f32 v[66:67], v[34:35], v[68:69]
	v_sub_f32_e32 v31, v31, v32
	v_sub_f32_e32 v32, v67, v69
	v_ldexp_f32 v31, v31, 1
	v_sub_f32_e32 v32, v35, v32
	v_add_f32_e32 v71, v31, v32
	v_mov_b32_e32 v70, v34
	v_pk_add_f32 v[34:35], v[66:67], v[34:35] neg_lo:[0,1] neg_hi:[0,1]
	v_pk_add_f32 v[80:81], v[66:67], v[70:71]
	v_mov_b32_e32 v35, v81
	v_mov_b32_e32 v69, v66
	v_pk_add_f32 v[82:83], v[68:69], v[34:35] neg_lo:[0,1] neg_hi:[0,1]
	v_pk_add_f32 v[34:35], v[68:69], v[34:35]
	v_mov_b32_e32 v32, v35
	v_pk_add_f32 v[68:69], v[32:33], v[66:67] neg_lo:[0,1] neg_hi:[0,1]
	v_mov_b32_e32 v31, v68
	v_pk_add_f32 v[84:85], v[80:81], v[30:31] neg_lo:[0,1] neg_hi:[0,1]
	v_mov_b32_e32 v34, v81
	v_mov_b32_e32 v80, v67
	;; [unrolled: 1-line block ×4, first 2 shown]
	v_pk_add_f32 v[34:35], v[34:35], v[80:81] neg_lo:[0,1] neg_hi:[0,1]
	v_mov_b32_e32 v68, v71
	v_mov_b32_e32 v69, v66
	v_pk_add_f32 v[34:35], v[68:69], v[34:35] neg_lo:[0,1] neg_hi:[0,1]
	v_mov_b32_e32 v84, v82
	v_pk_add_f32 v[66:67], v[84:85], v[34:35]
	v_mov_b32_e32 v68, v67
	v_pk_add_f32 v[68:69], v[66:67], v[68:69]
	v_pk_add_f32 v[70:71], v[32:33], v[68:69]
	v_mov_b32_e32 v67, v70
	v_pk_add_f32 v[80:81], v[66:67], v[82:83] neg_lo:[0,1] neg_hi:[0,1]
	v_mov_b32_e32 v35, v68
	v_sub_f32_e32 v31, v66, v80
	v_pk_add_f32 v[34:35], v[34:35], v[80:81] neg_lo:[0,1] neg_hi:[0,1]
	v_sub_f32_e32 v31, v82, v31
	v_add_f32_e32 v31, v34, v31
	v_cmp_eq_f32_e64 s[52:53], s58, v49
	s_mov_b32 s58, 0x33800000
	v_add_f32_e32 v31, v31, v35
	v_cmp_lt_f32_e64 s[58:59], |v49|, s58
	v_add_f32_e32 v31, v70, v31
	s_or_b64 s[52:53], s[52:53], s[58:59]
	v_cndmask_b32_e64 v31, v31, v49, s[52:53]
	v_add_f32_e32 v31, v33, v31
	v_cvt_f16_f32_e32 v31, v31
	v_cvt_f32_f16_e32 v32, v31
.LBB401_302:
	s_or_b64 exec, exec, s[56:57]
	v_cvt_f32_f16_sdwa v65, v15 dst_sel:DWORD dst_unused:UNUSED_PAD src0_sel:WORD_1
	v_max_f32_e32 v34, v32, v32
	v_cmp_u_f16_e64 s[56:57], v31, v31
	v_cmp_u_f16_sdwa s[52:53], v15, v15 src0_sel:WORD_1 src1_sel:WORD_1
	v_min_f32_e32 v33, v34, v65
	v_max_f32_e32 v15, v34, v65
	v_cndmask_b32_e64 v33, v33, v32, s[56:57]
	v_cndmask_b32_e64 v15, v15, v32, s[56:57]
	;; [unrolled: 1-line block ×4, first 2 shown]
	s_movk_i32 s58, 0x1f8
	v_cmp_neq_f32_e64 s[56:57], v33, v15
	v_cmp_class_f32_e64 s[58:59], v33, s58
	s_or_b64 s[56:57], s[56:57], s[58:59]
	s_and_saveexec_b64 s[58:59], s[56:57]
	s_cbranch_execz .LBB401_304
; %bb.303:
	v_sub_f32_e32 v31, v33, v15
	s_mov_b32 s56, 0x3fb8aa3b
	v_mul_f32_e32 v32, 0x3fb8aa3b, v31
	v_fma_f32 v33, v31, s56, -v32
	v_rndne_f32_e32 v34, v32
	v_fmac_f32_e32 v33, 0x32a5705f, v31
	v_sub_f32_e32 v32, v32, v34
	v_add_f32_e32 v32, v32, v33
	v_exp_f32_e32 v32, v32
	v_cvt_i32_f32_e32 v33, v34
	s_mov_b32 s56, 0xc2ce8ed0
	v_cmp_ngt_f32_e64 s[56:57], s56, v31
	s_mov_b32 s60, 0x7f800000
	v_ldexp_f32 v32, v32, v33
	v_cndmask_b32_e64 v32, 0, v32, s[56:57]
	s_mov_b32 s56, 0x42b17218
	v_mov_b32_e32 v33, 0x7f800000
	v_cmp_nlt_f32_e64 s[56:57], s56, v31
	v_cndmask_b32_e64 v49, v33, v32, s[56:57]
	v_add_f32_e32 v31, 1.0, v49
	v_add_f32_e32 v32, -1.0, v31
	v_sub_f32_e32 v33, v32, v31
	v_add_f32_e32 v33, 1.0, v33
	v_sub_f32_e32 v32, v49, v32
	v_add_f32_e32 v34, v32, v33
	v_frexp_mant_f32_e32 v35, v31
	s_mov_b32 s56, 0x3f2aaaab
	v_cvt_f64_f32_e32 v[32:33], v31
	v_frexp_exp_i32_f64_e32 v32, v[32:33]
	v_cmp_gt_f32_e64 s[56:57], s56, v35
	v_subbrev_co_u32_e64 v70, s[56:57], 0, v32, s[56:57]
	v_sub_u32_e32 v32, 0, v70
	v_ldexp_f32 v31, v31, v32
	v_ldexp_f32 v32, v34, v32
	v_add_f32_e32 v34, -1.0, v31
	v_add_f32_e32 v33, 1.0, v34
	v_sub_f32_e32 v33, v31, v33
	v_add_f32_e32 v35, v32, v33
	v_add_f32_e32 v33, 1.0, v31
	v_add_f32_e32 v66, -1.0, v33
	v_sub_f32_e32 v31, v31, v66
	v_add_f32_e32 v31, v32, v31
	v_add_f32_e32 v71, v33, v31
	v_rcp_f32_e32 v80, v71
	v_sub_f32_e32 v32, v33, v71
	v_add_f32_e32 v33, v34, v35
	v_add_f32_e32 v31, v31, v32
	v_mul_f32_e32 v82, v33, v80
	v_sub_f32_e32 v32, v34, v33
	v_mul_f32_e32 v34, v71, v82
	v_fma_f32 v66, v82, v71, -v34
	v_fmac_f32_e32 v66, v82, v31
	v_add_f32_e32 v81, v35, v32
	v_add_f32_e32 v32, v34, v66
	v_sub_f32_e32 v35, v33, v32
	v_pk_add_f32 v[68:69], v[32:33], v[34:35] neg_lo:[0,1] neg_hi:[0,1]
	v_mov_b32_e32 v67, v32
	v_pk_add_f32 v[32:33], v[68:69], v[66:67] neg_lo:[0,1] neg_hi:[0,1]
	v_add_f32_e32 v33, v81, v33
	v_add_f32_e32 v32, v32, v33
	;; [unrolled: 1-line block ×3, first 2 shown]
	v_mul_f32_e32 v81, v80, v33
	v_mul_f32_e32 v34, v71, v81
	v_fma_f32 v66, v81, v71, -v34
	v_fmac_f32_e32 v66, v81, v31
	v_sub_f32_e32 v31, v35, v33
	v_add_f32_e32 v31, v32, v31
	v_add_f32_e32 v32, v34, v66
	v_sub_f32_e32 v35, v33, v32
	v_pk_add_f32 v[68:69], v[32:33], v[34:35] neg_lo:[0,1] neg_hi:[0,1]
	v_mov_b32_e32 v67, v32
	v_pk_add_f32 v[32:33], v[68:69], v[66:67] neg_lo:[0,1] neg_hi:[0,1]
	v_add_f32_e32 v31, v31, v33
	v_add_f32_e32 v31, v32, v31
	;; [unrolled: 1-line block ×4, first 2 shown]
	v_sub_f32_e32 v33, v32, v82
	v_mul_f32_e32 v31, v80, v31
	v_sub_f32_e32 v33, v81, v33
	v_add_f32_e32 v31, v33, v31
	v_add_f32_e32 v35, v32, v31
	v_mul_f32_e32 v66, v35, v35
	v_mov_b32_e32 v34, 0x3ecc95a3
	v_fmac_f32_e32 v34, 0x3e9b6dac, v66
	v_mov_b32_e32 v33, 0x3f2aaada
	v_fmac_f32_e32 v33, v66, v34
	v_cvt_f32_i32_e32 v34, v70
	v_sub_f32_e32 v32, v35, v32
	v_sub_f32_e32 v31, v31, v32
	v_ldexp_f32 v67, v35, 1
	v_mul_f32_e32 v35, v35, v66
	v_mov_b32_e32 v32, 0x3f317218
	s_mov_b32 s56, 0x3f317218
	v_pk_mul_f32 v[32:33], v[34:35], v[32:33]
	v_fma_f32 v66, v34, s56, -v32
	v_fmac_f32_e32 v66, 0xb102e308, v34
	v_pk_add_f32 v[34:35], v[32:33], v[66:67]
	v_sub_f32_e32 v67, v35, v67
	v_ldexp_f32 v31, v31, 1
	v_sub_f32_e32 v67, v33, v67
	v_add_f32_e32 v69, v31, v67
	v_mov_b32_e32 v68, v32
	v_pk_add_f32 v[32:33], v[34:35], v[32:33] neg_lo:[0,1] neg_hi:[0,1]
	v_pk_add_f32 v[70:71], v[34:35], v[68:69]
	v_mov_b32_e32 v33, v71
	v_mov_b32_e32 v67, v34
	v_pk_add_f32 v[80:81], v[66:67], v[32:33] neg_lo:[0,1] neg_hi:[0,1]
	v_pk_add_f32 v[32:33], v[66:67], v[32:33]
	v_mov_b32_e32 v66, v33
	v_pk_add_f32 v[82:83], v[66:67], v[34:35] neg_lo:[0,1] neg_hi:[0,1]
	v_mov_b32_e32 v31, v82
	v_pk_add_f32 v[84:85], v[70:71], v[30:31] neg_lo:[0,1] neg_hi:[0,1]
	v_mov_b32_e32 v32, v71
	v_mov_b32_e32 v70, v35
	;; [unrolled: 1-line block ×4, first 2 shown]
	v_pk_add_f32 v[32:33], v[32:33], v[70:71] neg_lo:[0,1] neg_hi:[0,1]
	v_mov_b32_e32 v68, v69
	v_mov_b32_e32 v69, v34
	v_pk_add_f32 v[32:33], v[68:69], v[32:33] neg_lo:[0,1] neg_hi:[0,1]
	v_mov_b32_e32 v84, v80
	v_pk_add_f32 v[34:35], v[84:85], v[32:33]
	v_mov_b32_e32 v68, v35
	v_pk_add_f32 v[68:69], v[34:35], v[68:69]
	v_pk_add_f32 v[66:67], v[66:67], v[68:69]
	v_mov_b32_e32 v35, v66
	v_pk_add_f32 v[70:71], v[34:35], v[80:81] neg_lo:[0,1] neg_hi:[0,1]
	v_mov_b32_e32 v33, v68
	v_sub_f32_e32 v31, v34, v70
	v_pk_add_f32 v[32:33], v[32:33], v[70:71] neg_lo:[0,1] neg_hi:[0,1]
	v_sub_f32_e32 v31, v80, v31
	v_add_f32_e32 v31, v32, v31
	v_cmp_eq_f32_e64 s[56:57], s60, v49
	s_mov_b32 s60, 0x33800000
	v_add_f32_e32 v31, v31, v33
	v_cmp_lt_f32_e64 s[60:61], |v49|, s60
	v_add_f32_e32 v31, v66, v31
	s_or_b64 s[56:57], s[56:57], s[60:61]
	v_cndmask_b32_e64 v31, v31, v49, s[56:57]
	v_add_f32_e32 v15, v15, v31
	v_cvt_f16_f32_e32 v31, v15
.LBB401_304:
	s_or_b64 exec, exec, s[58:59]
	v_mbcnt_lo_u32_b32 v15, -1, 0
	v_mbcnt_hi_u32_b32 v15, -1, v15
	v_and_b32_e32 v32, 15, v15
	v_and_b32_e32 v33, 0xffff, v31
	v_cmp_ne_u32_e64 s[56:57], 0, v32
	s_nop 0
	v_mov_b32_dpp v34, v33 row_shr:1 row_mask:0xf bank_mask:0xf
	s_and_saveexec_b64 s[60:61], s[56:57]
	s_cbranch_execz .LBB401_308
; %bb.305:
	v_cvt_f32_f16_e32 v35, v34
	v_cvt_f32_f16_e32 v49, v31
	v_cmp_u_f16_e64 s[56:57], v34, v34
	v_cmp_u_f16_e64 s[58:59], v31, v31
	v_min_f32_e32 v33, v35, v49
	v_max_f32_e32 v31, v35, v49
	v_cndmask_b32_e64 v33, v33, v35, s[56:57]
	v_cndmask_b32_e64 v31, v31, v35, s[56:57]
	;; [unrolled: 1-line block ×4, first 2 shown]
	s_movk_i32 s58, 0x1f8
	v_cmp_neq_f32_e64 s[56:57], v33, v31
	v_cmp_class_f32_e64 s[58:59], v33, s58
	s_or_b64 s[56:57], s[56:57], s[58:59]
	s_and_saveexec_b64 s[58:59], s[56:57]
	s_cbranch_execz .LBB401_307
; %bb.306:
	v_sub_f32_e32 v33, v33, v31
	s_mov_b32 s56, 0x3fb8aa3b
	v_mul_f32_e32 v34, 0x3fb8aa3b, v33
	v_fma_f32 v35, v33, s56, -v34
	v_rndne_f32_e32 v49, v34
	v_fmac_f32_e32 v35, 0x32a5705f, v33
	v_sub_f32_e32 v34, v34, v49
	v_add_f32_e32 v34, v34, v35
	v_exp_f32_e32 v34, v34
	v_cvt_i32_f32_e32 v35, v49
	s_mov_b32 s56, 0xc2ce8ed0
	v_cmp_ngt_f32_e64 s[56:57], s56, v33
	s_mov_b32 s64, 0x7f800000
	v_ldexp_f32 v34, v34, v35
	v_cndmask_b32_e64 v34, 0, v34, s[56:57]
	s_mov_b32 s56, 0x42b17218
	v_mov_b32_e32 v35, 0x7f800000
	v_cmp_nlt_f32_e64 s[56:57], s56, v33
	v_cndmask_b32_e64 v49, v35, v34, s[56:57]
	v_add_f32_e32 v33, 1.0, v49
	v_add_f32_e32 v34, -1.0, v33
	v_sub_f32_e32 v35, v34, v33
	v_add_f32_e32 v35, 1.0, v35
	v_sub_f32_e32 v34, v49, v34
	v_add_f32_e32 v66, v34, v35
	v_frexp_mant_f32_e32 v67, v33
	s_mov_b32 s56, 0x3f2aaaab
	v_cvt_f64_f32_e32 v[34:35], v33
	v_frexp_exp_i32_f64_e32 v34, v[34:35]
	v_cmp_gt_f32_e64 s[56:57], s56, v67
	v_subbrev_co_u32_e64 v80, s[56:57], 0, v34, s[56:57]
	v_sub_u32_e32 v34, 0, v80
	v_ldexp_f32 v33, v33, v34
	v_ldexp_f32 v34, v66, v34
	v_add_f32_e32 v66, -1.0, v33
	v_add_f32_e32 v35, 1.0, v66
	v_sub_f32_e32 v35, v33, v35
	v_add_f32_e32 v67, v34, v35
	v_add_f32_e32 v35, 1.0, v33
	v_add_f32_e32 v68, -1.0, v35
	v_sub_f32_e32 v33, v33, v68
	v_add_f32_e32 v33, v34, v33
	v_add_f32_e32 v81, v35, v33
	v_rcp_f32_e32 v82, v81
	v_sub_f32_e32 v34, v35, v81
	v_add_f32_e32 v35, v66, v67
	v_add_f32_e32 v33, v33, v34
	v_mul_f32_e32 v84, v35, v82
	v_sub_f32_e32 v34, v66, v35
	v_mul_f32_e32 v66, v81, v84
	v_fma_f32 v68, v84, v81, -v66
	v_fmac_f32_e32 v68, v84, v33
	v_add_f32_e32 v83, v67, v34
	v_add_f32_e32 v34, v66, v68
	v_sub_f32_e32 v67, v35, v34
	v_pk_add_f32 v[70:71], v[34:35], v[66:67] neg_lo:[0,1] neg_hi:[0,1]
	v_mov_b32_e32 v69, v34
	v_pk_add_f32 v[34:35], v[70:71], v[68:69] neg_lo:[0,1] neg_hi:[0,1]
	v_add_f32_e32 v35, v83, v35
	v_add_f32_e32 v34, v34, v35
	v_add_f32_e32 v35, v67, v34
	v_mul_f32_e32 v83, v82, v35
	v_mul_f32_e32 v66, v81, v83
	v_fma_f32 v68, v83, v81, -v66
	v_fmac_f32_e32 v68, v83, v33
	v_sub_f32_e32 v33, v67, v35
	v_add_f32_e32 v33, v34, v33
	v_add_f32_e32 v34, v66, v68
	v_sub_f32_e32 v67, v35, v34
	v_pk_add_f32 v[70:71], v[34:35], v[66:67] neg_lo:[0,1] neg_hi:[0,1]
	v_mov_b32_e32 v69, v34
	v_pk_add_f32 v[34:35], v[70:71], v[68:69] neg_lo:[0,1] neg_hi:[0,1]
	v_add_f32_e32 v33, v33, v35
	v_add_f32_e32 v33, v34, v33
	;; [unrolled: 1-line block ×4, first 2 shown]
	v_sub_f32_e32 v35, v34, v84
	v_mul_f32_e32 v33, v82, v33
	v_sub_f32_e32 v35, v83, v35
	v_add_f32_e32 v33, v35, v33
	v_add_f32_e32 v67, v34, v33
	v_mul_f32_e32 v68, v67, v67
	v_mov_b32_e32 v66, 0x3ecc95a3
	v_fmac_f32_e32 v66, 0x3e9b6dac, v68
	v_mov_b32_e32 v35, 0x3f2aaada
	v_fmac_f32_e32 v35, v68, v66
	v_cvt_f32_i32_e32 v66, v80
	v_sub_f32_e32 v34, v67, v34
	v_sub_f32_e32 v33, v33, v34
	v_ldexp_f32 v69, v67, 1
	v_mul_f32_e32 v67, v67, v68
	v_mov_b32_e32 v34, 0x3f317218
	s_mov_b32 s56, 0x3f317218
	v_pk_mul_f32 v[34:35], v[66:67], v[34:35]
	v_fma_f32 v68, v66, s56, -v34
	v_fmac_f32_e32 v68, 0xb102e308, v66
	v_pk_add_f32 v[66:67], v[34:35], v[68:69]
	v_sub_f32_e32 v69, v67, v69
	v_ldexp_f32 v33, v33, 1
	v_sub_f32_e32 v69, v35, v69
	v_add_f32_e32 v71, v33, v69
	v_mov_b32_e32 v70, v34
	v_pk_add_f32 v[34:35], v[66:67], v[34:35] neg_lo:[0,1] neg_hi:[0,1]
	v_pk_add_f32 v[80:81], v[66:67], v[70:71]
	v_mov_b32_e32 v35, v81
	v_mov_b32_e32 v69, v66
	v_pk_add_f32 v[82:83], v[68:69], v[34:35] neg_lo:[0,1] neg_hi:[0,1]
	v_pk_add_f32 v[34:35], v[68:69], v[34:35]
	v_mov_b32_e32 v68, v35
	v_pk_add_f32 v[84:85], v[68:69], v[66:67] neg_lo:[0,1] neg_hi:[0,1]
	v_mov_b32_e32 v33, v84
	v_pk_add_f32 v[86:87], v[80:81], v[32:33] neg_lo:[0,1] neg_hi:[0,1]
	v_mov_b32_e32 v34, v81
	v_mov_b32_e32 v80, v67
	v_mov_b32_e32 v81, v84
	v_mov_b32_e32 v83, v35
	v_pk_add_f32 v[34:35], v[34:35], v[80:81] neg_lo:[0,1] neg_hi:[0,1]
	v_mov_b32_e32 v70, v71
	v_mov_b32_e32 v71, v66
	v_pk_add_f32 v[34:35], v[70:71], v[34:35] neg_lo:[0,1] neg_hi:[0,1]
	v_mov_b32_e32 v86, v82
	v_pk_add_f32 v[66:67], v[86:87], v[34:35]
	v_mov_b32_e32 v70, v67
	v_pk_add_f32 v[70:71], v[66:67], v[70:71]
	v_pk_add_f32 v[68:69], v[68:69], v[70:71]
	v_mov_b32_e32 v67, v68
	v_pk_add_f32 v[80:81], v[66:67], v[82:83] neg_lo:[0,1] neg_hi:[0,1]
	v_mov_b32_e32 v35, v70
	v_sub_f32_e32 v33, v66, v80
	v_pk_add_f32 v[34:35], v[34:35], v[80:81] neg_lo:[0,1] neg_hi:[0,1]
	v_sub_f32_e32 v33, v82, v33
	v_add_f32_e32 v33, v34, v33
	v_cmp_eq_f32_e64 s[56:57], s64, v49
	s_mov_b32 s64, 0x33800000
	v_add_f32_e32 v33, v33, v35
	v_cmp_lt_f32_e64 s[64:65], |v49|, s64
	v_add_f32_e32 v33, v68, v33
	s_or_b64 s[56:57], s[56:57], s[64:65]
	v_cndmask_b32_e64 v33, v33, v49, s[56:57]
	v_add_f32_e32 v31, v31, v33
	v_cvt_f16_f32_e32 v34, v31
.LBB401_307:
	s_or_b64 exec, exec, s[58:59]
	v_and_b32_e32 v33, 0xffff, v34
	v_mov_b32_e32 v31, v34
.LBB401_308:
	s_or_b64 exec, exec, s[60:61]
	v_mov_b32_dpp v34, v33 row_shr:2 row_mask:0xf bank_mask:0xf
	v_cmp_lt_u32_e64 s[56:57], 1, v32
	s_and_saveexec_b64 s[60:61], s[56:57]
	s_cbranch_execz .LBB401_312
; %bb.309:
	v_cvt_f32_f16_e32 v35, v34
	v_cvt_f32_f16_e32 v49, v31
	v_cmp_u_f16_e64 s[56:57], v34, v34
	v_cmp_u_f16_e64 s[58:59], v31, v31
	v_min_f32_e32 v33, v35, v49
	v_max_f32_e32 v31, v35, v49
	v_cndmask_b32_e64 v33, v33, v35, s[56:57]
	v_cndmask_b32_e64 v31, v31, v35, s[56:57]
	v_cndmask_b32_e64 v33, v33, v49, s[58:59]
	v_cndmask_b32_e64 v31, v31, v49, s[58:59]
	s_movk_i32 s58, 0x1f8
	v_cmp_neq_f32_e64 s[56:57], v33, v31
	v_cmp_class_f32_e64 s[58:59], v33, s58
	s_or_b64 s[56:57], s[56:57], s[58:59]
	s_and_saveexec_b64 s[58:59], s[56:57]
	s_cbranch_execz .LBB401_311
; %bb.310:
	v_sub_f32_e32 v33, v33, v31
	s_mov_b32 s56, 0x3fb8aa3b
	v_mul_f32_e32 v34, 0x3fb8aa3b, v33
	v_fma_f32 v35, v33, s56, -v34
	v_rndne_f32_e32 v49, v34
	v_fmac_f32_e32 v35, 0x32a5705f, v33
	v_sub_f32_e32 v34, v34, v49
	v_add_f32_e32 v34, v34, v35
	v_exp_f32_e32 v34, v34
	v_cvt_i32_f32_e32 v35, v49
	s_mov_b32 s56, 0xc2ce8ed0
	v_cmp_ngt_f32_e64 s[56:57], s56, v33
	s_mov_b32 s64, 0x7f800000
	v_ldexp_f32 v34, v34, v35
	v_cndmask_b32_e64 v34, 0, v34, s[56:57]
	s_mov_b32 s56, 0x42b17218
	v_mov_b32_e32 v35, 0x7f800000
	v_cmp_nlt_f32_e64 s[56:57], s56, v33
	v_cndmask_b32_e64 v49, v35, v34, s[56:57]
	v_add_f32_e32 v33, 1.0, v49
	v_add_f32_e32 v34, -1.0, v33
	v_sub_f32_e32 v35, v34, v33
	v_add_f32_e32 v35, 1.0, v35
	v_sub_f32_e32 v34, v49, v34
	v_add_f32_e32 v66, v34, v35
	v_frexp_mant_f32_e32 v67, v33
	s_mov_b32 s56, 0x3f2aaaab
	v_cvt_f64_f32_e32 v[34:35], v33
	v_frexp_exp_i32_f64_e32 v34, v[34:35]
	v_cmp_gt_f32_e64 s[56:57], s56, v67
	v_subbrev_co_u32_e64 v80, s[56:57], 0, v34, s[56:57]
	v_sub_u32_e32 v34, 0, v80
	v_ldexp_f32 v33, v33, v34
	v_ldexp_f32 v34, v66, v34
	v_add_f32_e32 v66, -1.0, v33
	v_add_f32_e32 v35, 1.0, v66
	v_sub_f32_e32 v35, v33, v35
	v_add_f32_e32 v67, v34, v35
	v_add_f32_e32 v35, 1.0, v33
	v_add_f32_e32 v68, -1.0, v35
	v_sub_f32_e32 v33, v33, v68
	v_add_f32_e32 v33, v34, v33
	v_add_f32_e32 v81, v35, v33
	v_rcp_f32_e32 v82, v81
	v_sub_f32_e32 v34, v35, v81
	v_add_f32_e32 v35, v66, v67
	v_add_f32_e32 v33, v33, v34
	v_mul_f32_e32 v84, v35, v82
	v_sub_f32_e32 v34, v66, v35
	v_mul_f32_e32 v66, v81, v84
	v_fma_f32 v68, v84, v81, -v66
	v_fmac_f32_e32 v68, v84, v33
	v_add_f32_e32 v83, v67, v34
	v_add_f32_e32 v34, v66, v68
	v_sub_f32_e32 v67, v35, v34
	v_pk_add_f32 v[70:71], v[34:35], v[66:67] neg_lo:[0,1] neg_hi:[0,1]
	v_mov_b32_e32 v69, v34
	v_pk_add_f32 v[34:35], v[70:71], v[68:69] neg_lo:[0,1] neg_hi:[0,1]
	v_add_f32_e32 v35, v83, v35
	v_add_f32_e32 v34, v34, v35
	;; [unrolled: 1-line block ×3, first 2 shown]
	v_mul_f32_e32 v83, v82, v35
	v_mul_f32_e32 v66, v81, v83
	v_fma_f32 v68, v83, v81, -v66
	v_fmac_f32_e32 v68, v83, v33
	v_sub_f32_e32 v33, v67, v35
	v_add_f32_e32 v33, v34, v33
	v_add_f32_e32 v34, v66, v68
	v_sub_f32_e32 v67, v35, v34
	v_pk_add_f32 v[70:71], v[34:35], v[66:67] neg_lo:[0,1] neg_hi:[0,1]
	v_mov_b32_e32 v69, v34
	v_pk_add_f32 v[34:35], v[70:71], v[68:69] neg_lo:[0,1] neg_hi:[0,1]
	v_add_f32_e32 v33, v33, v35
	v_add_f32_e32 v33, v34, v33
	;; [unrolled: 1-line block ×4, first 2 shown]
	v_sub_f32_e32 v35, v34, v84
	v_mul_f32_e32 v33, v82, v33
	v_sub_f32_e32 v35, v83, v35
	v_add_f32_e32 v33, v35, v33
	v_add_f32_e32 v67, v34, v33
	v_mul_f32_e32 v68, v67, v67
	v_mov_b32_e32 v66, 0x3ecc95a3
	v_fmac_f32_e32 v66, 0x3e9b6dac, v68
	v_mov_b32_e32 v35, 0x3f2aaada
	v_fmac_f32_e32 v35, v68, v66
	v_cvt_f32_i32_e32 v66, v80
	v_sub_f32_e32 v34, v67, v34
	v_sub_f32_e32 v33, v33, v34
	v_ldexp_f32 v69, v67, 1
	v_mul_f32_e32 v67, v67, v68
	v_mov_b32_e32 v34, 0x3f317218
	s_mov_b32 s56, 0x3f317218
	v_pk_mul_f32 v[34:35], v[66:67], v[34:35]
	v_fma_f32 v68, v66, s56, -v34
	v_fmac_f32_e32 v68, 0xb102e308, v66
	v_pk_add_f32 v[66:67], v[34:35], v[68:69]
	v_sub_f32_e32 v69, v67, v69
	v_ldexp_f32 v33, v33, 1
	v_sub_f32_e32 v69, v35, v69
	v_add_f32_e32 v71, v33, v69
	v_mov_b32_e32 v70, v34
	v_pk_add_f32 v[34:35], v[66:67], v[34:35] neg_lo:[0,1] neg_hi:[0,1]
	v_pk_add_f32 v[80:81], v[66:67], v[70:71]
	v_mov_b32_e32 v35, v81
	v_mov_b32_e32 v69, v66
	v_pk_add_f32 v[82:83], v[68:69], v[34:35] neg_lo:[0,1] neg_hi:[0,1]
	v_pk_add_f32 v[34:35], v[68:69], v[34:35]
	v_mov_b32_e32 v68, v35
	v_pk_add_f32 v[84:85], v[68:69], v[66:67] neg_lo:[0,1] neg_hi:[0,1]
	v_mov_b32_e32 v33, v84
	v_pk_add_f32 v[86:87], v[80:81], v[32:33] neg_lo:[0,1] neg_hi:[0,1]
	v_mov_b32_e32 v34, v81
	v_mov_b32_e32 v80, v67
	;; [unrolled: 1-line block ×4, first 2 shown]
	v_pk_add_f32 v[34:35], v[34:35], v[80:81] neg_lo:[0,1] neg_hi:[0,1]
	v_mov_b32_e32 v70, v71
	v_mov_b32_e32 v71, v66
	v_pk_add_f32 v[34:35], v[70:71], v[34:35] neg_lo:[0,1] neg_hi:[0,1]
	v_mov_b32_e32 v86, v82
	v_pk_add_f32 v[66:67], v[86:87], v[34:35]
	v_mov_b32_e32 v70, v67
	v_pk_add_f32 v[70:71], v[66:67], v[70:71]
	v_pk_add_f32 v[68:69], v[68:69], v[70:71]
	v_mov_b32_e32 v67, v68
	v_pk_add_f32 v[80:81], v[66:67], v[82:83] neg_lo:[0,1] neg_hi:[0,1]
	v_mov_b32_e32 v35, v70
	v_sub_f32_e32 v33, v66, v80
	v_pk_add_f32 v[34:35], v[34:35], v[80:81] neg_lo:[0,1] neg_hi:[0,1]
	v_sub_f32_e32 v33, v82, v33
	v_add_f32_e32 v33, v34, v33
	v_cmp_eq_f32_e64 s[56:57], s64, v49
	s_mov_b32 s64, 0x33800000
	v_add_f32_e32 v33, v33, v35
	v_cmp_lt_f32_e64 s[64:65], |v49|, s64
	v_add_f32_e32 v33, v68, v33
	s_or_b64 s[56:57], s[56:57], s[64:65]
	v_cndmask_b32_e64 v33, v33, v49, s[56:57]
	v_add_f32_e32 v31, v31, v33
	v_cvt_f16_f32_e32 v34, v31
.LBB401_311:
	s_or_b64 exec, exec, s[58:59]
	v_and_b32_e32 v33, 0xffff, v34
	v_mov_b32_e32 v31, v34
.LBB401_312:
	s_or_b64 exec, exec, s[60:61]
	v_mov_b32_dpp v34, v33 row_shr:4 row_mask:0xf bank_mask:0xf
	v_cmp_lt_u32_e64 s[56:57], 3, v32
	s_and_saveexec_b64 s[60:61], s[56:57]
	s_cbranch_execz .LBB401_316
; %bb.313:
	v_cvt_f32_f16_e32 v35, v34
	v_cvt_f32_f16_e32 v49, v31
	v_cmp_u_f16_e64 s[56:57], v34, v34
	v_cmp_u_f16_e64 s[58:59], v31, v31
	v_min_f32_e32 v33, v35, v49
	v_max_f32_e32 v31, v35, v49
	v_cndmask_b32_e64 v33, v33, v35, s[56:57]
	v_cndmask_b32_e64 v31, v31, v35, s[56:57]
	;; [unrolled: 1-line block ×4, first 2 shown]
	s_movk_i32 s58, 0x1f8
	v_cmp_neq_f32_e64 s[56:57], v33, v31
	v_cmp_class_f32_e64 s[58:59], v33, s58
	s_or_b64 s[56:57], s[56:57], s[58:59]
	s_and_saveexec_b64 s[58:59], s[56:57]
	s_cbranch_execz .LBB401_315
; %bb.314:
	v_sub_f32_e32 v33, v33, v31
	s_mov_b32 s56, 0x3fb8aa3b
	v_mul_f32_e32 v34, 0x3fb8aa3b, v33
	v_fma_f32 v35, v33, s56, -v34
	v_rndne_f32_e32 v49, v34
	v_fmac_f32_e32 v35, 0x32a5705f, v33
	v_sub_f32_e32 v34, v34, v49
	v_add_f32_e32 v34, v34, v35
	v_exp_f32_e32 v34, v34
	v_cvt_i32_f32_e32 v35, v49
	s_mov_b32 s56, 0xc2ce8ed0
	v_cmp_ngt_f32_e64 s[56:57], s56, v33
	s_mov_b32 s64, 0x7f800000
	v_ldexp_f32 v34, v34, v35
	v_cndmask_b32_e64 v34, 0, v34, s[56:57]
	s_mov_b32 s56, 0x42b17218
	v_mov_b32_e32 v35, 0x7f800000
	v_cmp_nlt_f32_e64 s[56:57], s56, v33
	v_cndmask_b32_e64 v49, v35, v34, s[56:57]
	v_add_f32_e32 v33, 1.0, v49
	v_add_f32_e32 v34, -1.0, v33
	v_sub_f32_e32 v35, v34, v33
	v_add_f32_e32 v35, 1.0, v35
	v_sub_f32_e32 v34, v49, v34
	v_add_f32_e32 v66, v34, v35
	v_frexp_mant_f32_e32 v67, v33
	s_mov_b32 s56, 0x3f2aaaab
	v_cvt_f64_f32_e32 v[34:35], v33
	v_frexp_exp_i32_f64_e32 v34, v[34:35]
	v_cmp_gt_f32_e64 s[56:57], s56, v67
	v_subbrev_co_u32_e64 v80, s[56:57], 0, v34, s[56:57]
	v_sub_u32_e32 v34, 0, v80
	v_ldexp_f32 v33, v33, v34
	v_ldexp_f32 v34, v66, v34
	v_add_f32_e32 v66, -1.0, v33
	v_add_f32_e32 v35, 1.0, v66
	v_sub_f32_e32 v35, v33, v35
	v_add_f32_e32 v67, v34, v35
	v_add_f32_e32 v35, 1.0, v33
	v_add_f32_e32 v68, -1.0, v35
	v_sub_f32_e32 v33, v33, v68
	v_add_f32_e32 v33, v34, v33
	v_add_f32_e32 v81, v35, v33
	v_rcp_f32_e32 v82, v81
	v_sub_f32_e32 v34, v35, v81
	v_add_f32_e32 v35, v66, v67
	v_add_f32_e32 v33, v33, v34
	v_mul_f32_e32 v84, v35, v82
	v_sub_f32_e32 v34, v66, v35
	v_mul_f32_e32 v66, v81, v84
	v_fma_f32 v68, v84, v81, -v66
	v_fmac_f32_e32 v68, v84, v33
	v_add_f32_e32 v83, v67, v34
	v_add_f32_e32 v34, v66, v68
	v_sub_f32_e32 v67, v35, v34
	v_pk_add_f32 v[70:71], v[34:35], v[66:67] neg_lo:[0,1] neg_hi:[0,1]
	v_mov_b32_e32 v69, v34
	v_pk_add_f32 v[34:35], v[70:71], v[68:69] neg_lo:[0,1] neg_hi:[0,1]
	v_add_f32_e32 v35, v83, v35
	v_add_f32_e32 v34, v34, v35
	v_add_f32_e32 v35, v67, v34
	v_mul_f32_e32 v83, v82, v35
	v_mul_f32_e32 v66, v81, v83
	v_fma_f32 v68, v83, v81, -v66
	v_fmac_f32_e32 v68, v83, v33
	v_sub_f32_e32 v33, v67, v35
	v_add_f32_e32 v33, v34, v33
	v_add_f32_e32 v34, v66, v68
	v_sub_f32_e32 v67, v35, v34
	v_pk_add_f32 v[70:71], v[34:35], v[66:67] neg_lo:[0,1] neg_hi:[0,1]
	v_mov_b32_e32 v69, v34
	v_pk_add_f32 v[34:35], v[70:71], v[68:69] neg_lo:[0,1] neg_hi:[0,1]
	v_add_f32_e32 v33, v33, v35
	v_add_f32_e32 v33, v34, v33
	;; [unrolled: 1-line block ×4, first 2 shown]
	v_sub_f32_e32 v35, v34, v84
	v_mul_f32_e32 v33, v82, v33
	v_sub_f32_e32 v35, v83, v35
	v_add_f32_e32 v33, v35, v33
	v_add_f32_e32 v67, v34, v33
	v_mul_f32_e32 v68, v67, v67
	v_mov_b32_e32 v66, 0x3ecc95a3
	v_fmac_f32_e32 v66, 0x3e9b6dac, v68
	v_mov_b32_e32 v35, 0x3f2aaada
	v_fmac_f32_e32 v35, v68, v66
	v_cvt_f32_i32_e32 v66, v80
	v_sub_f32_e32 v34, v67, v34
	v_sub_f32_e32 v33, v33, v34
	v_ldexp_f32 v69, v67, 1
	v_mul_f32_e32 v67, v67, v68
	v_mov_b32_e32 v34, 0x3f317218
	s_mov_b32 s56, 0x3f317218
	v_pk_mul_f32 v[34:35], v[66:67], v[34:35]
	v_fma_f32 v68, v66, s56, -v34
	v_fmac_f32_e32 v68, 0xb102e308, v66
	v_pk_add_f32 v[66:67], v[34:35], v[68:69]
	v_sub_f32_e32 v69, v67, v69
	v_ldexp_f32 v33, v33, 1
	v_sub_f32_e32 v69, v35, v69
	v_add_f32_e32 v71, v33, v69
	v_mov_b32_e32 v70, v34
	v_pk_add_f32 v[34:35], v[66:67], v[34:35] neg_lo:[0,1] neg_hi:[0,1]
	v_pk_add_f32 v[80:81], v[66:67], v[70:71]
	v_mov_b32_e32 v35, v81
	v_mov_b32_e32 v69, v66
	v_pk_add_f32 v[82:83], v[68:69], v[34:35] neg_lo:[0,1] neg_hi:[0,1]
	v_pk_add_f32 v[34:35], v[68:69], v[34:35]
	v_mov_b32_e32 v68, v35
	v_pk_add_f32 v[84:85], v[68:69], v[66:67] neg_lo:[0,1] neg_hi:[0,1]
	v_mov_b32_e32 v33, v84
	v_pk_add_f32 v[86:87], v[80:81], v[32:33] neg_lo:[0,1] neg_hi:[0,1]
	v_mov_b32_e32 v34, v81
	v_mov_b32_e32 v80, v67
	v_mov_b32_e32 v81, v84
	v_mov_b32_e32 v83, v35
	v_pk_add_f32 v[34:35], v[34:35], v[80:81] neg_lo:[0,1] neg_hi:[0,1]
	v_mov_b32_e32 v70, v71
	v_mov_b32_e32 v71, v66
	v_pk_add_f32 v[34:35], v[70:71], v[34:35] neg_lo:[0,1] neg_hi:[0,1]
	v_mov_b32_e32 v86, v82
	v_pk_add_f32 v[66:67], v[86:87], v[34:35]
	v_mov_b32_e32 v70, v67
	v_pk_add_f32 v[70:71], v[66:67], v[70:71]
	v_pk_add_f32 v[68:69], v[68:69], v[70:71]
	v_mov_b32_e32 v67, v68
	v_pk_add_f32 v[80:81], v[66:67], v[82:83] neg_lo:[0,1] neg_hi:[0,1]
	v_mov_b32_e32 v35, v70
	v_sub_f32_e32 v33, v66, v80
	v_pk_add_f32 v[34:35], v[34:35], v[80:81] neg_lo:[0,1] neg_hi:[0,1]
	v_sub_f32_e32 v33, v82, v33
	v_add_f32_e32 v33, v34, v33
	v_cmp_eq_f32_e64 s[56:57], s64, v49
	s_mov_b32 s64, 0x33800000
	v_add_f32_e32 v33, v33, v35
	v_cmp_lt_f32_e64 s[64:65], |v49|, s64
	v_add_f32_e32 v33, v68, v33
	s_or_b64 s[56:57], s[56:57], s[64:65]
	v_cndmask_b32_e64 v33, v33, v49, s[56:57]
	v_add_f32_e32 v31, v31, v33
	v_cvt_f16_f32_e32 v34, v31
.LBB401_315:
	s_or_b64 exec, exec, s[58:59]
	v_and_b32_e32 v33, 0xffff, v34
	v_mov_b32_e32 v31, v34
.LBB401_316:
	s_or_b64 exec, exec, s[60:61]
	v_mov_b32_dpp v34, v33 row_shr:8 row_mask:0xf bank_mask:0xf
	v_cmp_lt_u32_e64 s[56:57], 7, v32
	s_and_saveexec_b64 s[60:61], s[56:57]
	s_cbranch_execz .LBB401_320
; %bb.317:
	v_cvt_f32_f16_e32 v33, v34
	v_cvt_f32_f16_e32 v35, v31
	v_cmp_u_f16_e64 s[56:57], v34, v34
	v_cmp_u_f16_e64 s[58:59], v31, v31
	v_min_f32_e32 v32, v33, v35
	v_max_f32_e32 v31, v33, v35
	v_cndmask_b32_e64 v32, v32, v33, s[56:57]
	v_cndmask_b32_e64 v31, v31, v33, s[56:57]
	;; [unrolled: 1-line block ×4, first 2 shown]
	s_movk_i32 s58, 0x1f8
	v_cmp_neq_f32_e64 s[56:57], v32, v31
	v_cmp_class_f32_e64 s[58:59], v32, s58
	s_or_b64 s[56:57], s[56:57], s[58:59]
	s_and_saveexec_b64 s[58:59], s[56:57]
	s_cbranch_execz .LBB401_319
; %bb.318:
	v_sub_f32_e32 v32, v32, v31
	s_mov_b32 s56, 0x3fb8aa3b
	v_mul_f32_e32 v33, 0x3fb8aa3b, v32
	v_fma_f32 v34, v32, s56, -v33
	v_rndne_f32_e32 v35, v33
	v_fmac_f32_e32 v34, 0x32a5705f, v32
	v_sub_f32_e32 v33, v33, v35
	v_add_f32_e32 v33, v33, v34
	v_exp_f32_e32 v33, v33
	v_cvt_i32_f32_e32 v34, v35
	s_mov_b32 s56, 0xc2ce8ed0
	v_cmp_ngt_f32_e64 s[56:57], s56, v32
	s_mov_b32 s64, 0x7f800000
	v_ldexp_f32 v33, v33, v34
	v_cndmask_b32_e64 v33, 0, v33, s[56:57]
	s_mov_b32 s56, 0x42b17218
	v_mov_b32_e32 v34, 0x7f800000
	v_cmp_nlt_f32_e64 s[56:57], s56, v32
	v_cndmask_b32_e64 v86, v34, v33, s[56:57]
	v_add_f32_e32 v34, 1.0, v86
	v_add_f32_e32 v32, -1.0, v34
	v_sub_f32_e32 v33, v32, v34
	v_add_f32_e32 v33, 1.0, v33
	v_sub_f32_e32 v32, v86, v32
	v_add_f32_e32 v35, v32, v33
	v_frexp_mant_f32_e32 v49, v34
	s_mov_b32 s56, 0x3f2aaaab
	v_cvt_f64_f32_e32 v[32:33], v34
	v_frexp_exp_i32_f64_e32 v32, v[32:33]
	v_cmp_gt_f32_e64 s[56:57], s56, v49
	v_subbrev_co_u32_e64 v49, s[56:57], 0, v32, s[56:57]
	v_sub_u32_e32 v32, 0, v49
	v_ldexp_f32 v33, v34, v32
	v_add_f32_e32 v34, -1.0, v33
	v_add_f32_e32 v66, 1.0, v33
	v_ldexp_f32 v32, v35, v32
	v_add_f32_e32 v35, 1.0, v34
	v_add_f32_e32 v67, -1.0, v66
	v_sub_f32_e32 v35, v33, v35
	v_sub_f32_e32 v33, v33, v67
	v_add_f32_e32 v35, v32, v35
	v_add_f32_e32 v32, v32, v33
	;; [unrolled: 1-line block ×3, first 2 shown]
	v_rcp_f32_e32 v80, v70
	v_sub_f32_e32 v33, v66, v70
	v_add_f32_e32 v71, v32, v33
	v_add_f32_e32 v33, v34, v35
	v_mul_f32_e32 v82, v33, v80
	v_sub_f32_e32 v32, v34, v33
	v_mul_f32_e32 v34, v70, v82
	v_fma_f32 v66, v82, v70, -v34
	v_fmac_f32_e32 v66, v82, v71
	v_add_f32_e32 v81, v35, v32
	v_add_f32_e32 v32, v34, v66
	v_sub_f32_e32 v35, v33, v32
	v_pk_add_f32 v[68:69], v[32:33], v[34:35] neg_lo:[0,1] neg_hi:[0,1]
	v_mov_b32_e32 v67, v32
	v_pk_add_f32 v[32:33], v[68:69], v[66:67] neg_lo:[0,1] neg_hi:[0,1]
	v_add_f32_e32 v33, v81, v33
	v_add_f32_e32 v32, v32, v33
	;; [unrolled: 1-line block ×3, first 2 shown]
	v_mul_f32_e32 v81, v80, v33
	v_mul_f32_e32 v34, v70, v81
	v_fma_f32 v66, v81, v70, -v34
	v_fmac_f32_e32 v66, v81, v71
	v_sub_f32_e32 v35, v35, v33
	v_add_f32_e32 v70, v32, v35
	v_add_f32_e32 v32, v34, v66
	v_sub_f32_e32 v35, v33, v32
	v_pk_add_f32 v[68:69], v[32:33], v[34:35] neg_lo:[0,1] neg_hi:[0,1]
	v_mov_b32_e32 v67, v32
	v_pk_add_f32 v[32:33], v[68:69], v[66:67] neg_lo:[0,1] neg_hi:[0,1]
	v_add_f32_e32 v33, v70, v33
	v_add_f32_e32 v32, v32, v33
	;; [unrolled: 1-line block ×4, first 2 shown]
	v_sub_f32_e32 v33, v35, v82
	v_mul_f32_e32 v32, v80, v32
	v_sub_f32_e32 v33, v81, v33
	v_add_f32_e32 v32, v33, v32
	v_add_f32_e32 v66, v35, v32
	v_mul_f32_e32 v68, v66, v66
	v_mov_b32_e32 v34, 0x3ecc95a3
	v_fmac_f32_e32 v34, 0x3e9b6dac, v68
	v_mov_b32_e32 v33, 0x3f2aaada
	v_fmac_f32_e32 v33, v68, v34
	v_cvt_f32_i32_e32 v34, v49
	v_sub_f32_e32 v35, v66, v35
	v_sub_f32_e32 v32, v32, v35
	v_ldexp_f32 v49, v32, 1
	v_mul_f32_e32 v35, v66, v68
	v_mov_b32_e32 v32, 0x3f317218
	s_mov_b32 s56, 0x3f317218
	v_pk_mul_f32 v[32:33], v[34:35], v[32:33]
	v_ldexp_f32 v67, v66, 1
	v_fma_f32 v66, v34, s56, -v32
	v_fmac_f32_e32 v66, 0xb102e308, v34
	v_pk_add_f32 v[34:35], v[32:33], v[66:67]
	v_sub_f32_e32 v67, v35, v67
	v_sub_f32_e32 v67, v33, v67
	v_add_f32_e32 v69, v49, v67
	v_mov_b32_e32 v68, v32
	v_pk_add_f32 v[32:33], v[34:35], v[32:33] neg_lo:[0,1] neg_hi:[0,1]
	v_pk_add_f32 v[70:71], v[34:35], v[68:69]
	v_mov_b32_e32 v33, v71
	v_mov_b32_e32 v67, v34
	v_pk_add_f32 v[80:81], v[66:67], v[32:33] neg_lo:[0,1] neg_hi:[0,1]
	v_pk_add_f32 v[32:33], v[66:67], v[32:33]
	v_mov_b32_e32 v66, v33
	v_pk_add_f32 v[82:83], v[66:67], v[34:35] neg_lo:[0,1] neg_hi:[0,1]
	v_mov_b32_e32 v49, v82
	v_pk_add_f32 v[84:85], v[70:71], v[48:49] neg_lo:[0,1] neg_hi:[0,1]
	v_mov_b32_e32 v32, v71
	v_mov_b32_e32 v70, v35
	;; [unrolled: 1-line block ×4, first 2 shown]
	v_pk_add_f32 v[32:33], v[32:33], v[70:71] neg_lo:[0,1] neg_hi:[0,1]
	v_mov_b32_e32 v68, v69
	v_mov_b32_e32 v69, v34
	v_pk_add_f32 v[32:33], v[68:69], v[32:33] neg_lo:[0,1] neg_hi:[0,1]
	v_mov_b32_e32 v84, v80
	v_pk_add_f32 v[34:35], v[84:85], v[32:33]
	v_mov_b32_e32 v68, v35
	v_pk_add_f32 v[68:69], v[34:35], v[68:69]
	v_pk_add_f32 v[66:67], v[66:67], v[68:69]
	v_mov_b32_e32 v35, v66
	v_pk_add_f32 v[70:71], v[34:35], v[80:81] neg_lo:[0,1] neg_hi:[0,1]
	v_mov_b32_e32 v33, v68
	v_sub_f32_e32 v34, v34, v70
	v_pk_add_f32 v[32:33], v[32:33], v[70:71] neg_lo:[0,1] neg_hi:[0,1]
	v_sub_f32_e32 v34, v80, v34
	v_add_f32_e32 v32, v32, v34
	v_cmp_eq_f32_e64 s[56:57], s64, v86
	s_mov_b32 s64, 0x33800000
	v_add_f32_e32 v32, v32, v33
	v_cmp_lt_f32_e64 s[64:65], |v86|, s64
	v_add_f32_e32 v32, v66, v32
	s_or_b64 s[56:57], s[56:57], s[64:65]
	v_cndmask_b32_e64 v32, v32, v86, s[56:57]
	v_add_f32_e32 v31, v31, v32
	v_cvt_f16_f32_e32 v34, v31
.LBB401_319:
	s_or_b64 exec, exec, s[58:59]
	v_and_b32_e32 v33, 0xffff, v34
	v_mov_b32_e32 v31, v34
.LBB401_320:
	s_or_b64 exec, exec, s[60:61]
	v_and_b32_e32 v34, 16, v15
	v_mov_b32_dpp v32, v33 row_bcast:15 row_mask:0xf bank_mask:0xf
	v_cmp_ne_u32_e64 s[56:57], 0, v34
	s_and_saveexec_b64 s[60:61], s[56:57]
	s_cbranch_execz .LBB401_324
; %bb.321:
	v_cvt_f32_f16_e32 v34, v32
	v_cvt_f32_f16_e32 v35, v31
	v_cmp_u_f16_e64 s[56:57], v32, v32
	v_cmp_u_f16_e64 s[58:59], v31, v31
	v_min_f32_e32 v33, v34, v35
	v_max_f32_e32 v31, v34, v35
	v_cndmask_b32_e64 v33, v33, v34, s[56:57]
	v_cndmask_b32_e64 v31, v31, v34, s[56:57]
	;; [unrolled: 1-line block ×4, first 2 shown]
	s_movk_i32 s58, 0x1f8
	v_cmp_neq_f32_e64 s[56:57], v33, v31
	v_cmp_class_f32_e64 s[58:59], v33, s58
	s_or_b64 s[56:57], s[56:57], s[58:59]
	s_and_saveexec_b64 s[58:59], s[56:57]
	s_cbranch_execz .LBB401_323
; %bb.322:
	v_sub_f32_e32 v32, v33, v31
	s_mov_b32 s56, 0x3fb8aa3b
	v_mul_f32_e32 v33, 0x3fb8aa3b, v32
	v_fma_f32 v34, v32, s56, -v33
	v_rndne_f32_e32 v35, v33
	v_fmac_f32_e32 v34, 0x32a5705f, v32
	v_sub_f32_e32 v33, v33, v35
	v_add_f32_e32 v33, v33, v34
	v_exp_f32_e32 v33, v33
	v_cvt_i32_f32_e32 v34, v35
	s_mov_b32 s56, 0xc2ce8ed0
	v_cmp_ngt_f32_e64 s[56:57], s56, v32
	s_mov_b32 s64, 0x7f800000
	v_ldexp_f32 v33, v33, v34
	v_cndmask_b32_e64 v33, 0, v33, s[56:57]
	s_mov_b32 s56, 0x42b17218
	v_mov_b32_e32 v34, 0x7f800000
	v_cmp_nlt_f32_e64 s[56:57], s56, v32
	v_cndmask_b32_e64 v86, v34, v33, s[56:57]
	v_add_f32_e32 v34, 1.0, v86
	v_add_f32_e32 v32, -1.0, v34
	v_sub_f32_e32 v33, v32, v34
	v_add_f32_e32 v33, 1.0, v33
	v_sub_f32_e32 v32, v86, v32
	v_add_f32_e32 v35, v32, v33
	v_frexp_mant_f32_e32 v49, v34
	s_mov_b32 s56, 0x3f2aaaab
	v_cvt_f64_f32_e32 v[32:33], v34
	v_frexp_exp_i32_f64_e32 v32, v[32:33]
	v_cmp_gt_f32_e64 s[56:57], s56, v49
	v_subbrev_co_u32_e64 v49, s[56:57], 0, v32, s[56:57]
	v_sub_u32_e32 v32, 0, v49
	v_ldexp_f32 v33, v34, v32
	v_add_f32_e32 v34, -1.0, v33
	v_add_f32_e32 v66, 1.0, v33
	v_ldexp_f32 v32, v35, v32
	v_add_f32_e32 v35, 1.0, v34
	v_add_f32_e32 v67, -1.0, v66
	v_sub_f32_e32 v35, v33, v35
	v_sub_f32_e32 v33, v33, v67
	v_add_f32_e32 v35, v32, v35
	v_add_f32_e32 v32, v32, v33
	v_add_f32_e32 v70, v66, v32
	v_rcp_f32_e32 v80, v70
	v_sub_f32_e32 v33, v66, v70
	v_add_f32_e32 v71, v32, v33
	v_add_f32_e32 v33, v34, v35
	v_mul_f32_e32 v82, v33, v80
	v_sub_f32_e32 v32, v34, v33
	v_mul_f32_e32 v34, v70, v82
	v_fma_f32 v66, v82, v70, -v34
	v_fmac_f32_e32 v66, v82, v71
	v_add_f32_e32 v81, v35, v32
	v_add_f32_e32 v32, v34, v66
	v_sub_f32_e32 v35, v33, v32
	v_pk_add_f32 v[68:69], v[32:33], v[34:35] neg_lo:[0,1] neg_hi:[0,1]
	v_mov_b32_e32 v67, v32
	v_pk_add_f32 v[32:33], v[68:69], v[66:67] neg_lo:[0,1] neg_hi:[0,1]
	v_add_f32_e32 v33, v81, v33
	v_add_f32_e32 v32, v32, v33
	;; [unrolled: 1-line block ×3, first 2 shown]
	v_mul_f32_e32 v81, v80, v33
	v_mul_f32_e32 v34, v70, v81
	v_fma_f32 v66, v81, v70, -v34
	v_fmac_f32_e32 v66, v81, v71
	v_sub_f32_e32 v35, v35, v33
	v_add_f32_e32 v70, v32, v35
	v_add_f32_e32 v32, v34, v66
	v_sub_f32_e32 v35, v33, v32
	v_pk_add_f32 v[68:69], v[32:33], v[34:35] neg_lo:[0,1] neg_hi:[0,1]
	v_mov_b32_e32 v67, v32
	v_pk_add_f32 v[32:33], v[68:69], v[66:67] neg_lo:[0,1] neg_hi:[0,1]
	v_add_f32_e32 v33, v70, v33
	v_add_f32_e32 v32, v32, v33
	;; [unrolled: 1-line block ×4, first 2 shown]
	v_sub_f32_e32 v33, v35, v82
	v_mul_f32_e32 v32, v80, v32
	v_sub_f32_e32 v33, v81, v33
	v_add_f32_e32 v32, v33, v32
	v_add_f32_e32 v66, v35, v32
	v_mul_f32_e32 v68, v66, v66
	v_mov_b32_e32 v34, 0x3ecc95a3
	v_fmac_f32_e32 v34, 0x3e9b6dac, v68
	v_mov_b32_e32 v33, 0x3f2aaada
	v_fmac_f32_e32 v33, v68, v34
	v_cvt_f32_i32_e32 v34, v49
	v_sub_f32_e32 v35, v66, v35
	v_sub_f32_e32 v32, v32, v35
	v_ldexp_f32 v49, v32, 1
	v_mul_f32_e32 v35, v66, v68
	v_mov_b32_e32 v32, 0x3f317218
	s_mov_b32 s56, 0x3f317218
	v_pk_mul_f32 v[32:33], v[34:35], v[32:33]
	v_ldexp_f32 v67, v66, 1
	v_fma_f32 v66, v34, s56, -v32
	v_fmac_f32_e32 v66, 0xb102e308, v34
	v_pk_add_f32 v[34:35], v[32:33], v[66:67]
	v_sub_f32_e32 v67, v35, v67
	v_sub_f32_e32 v67, v33, v67
	v_add_f32_e32 v69, v49, v67
	v_mov_b32_e32 v68, v32
	v_pk_add_f32 v[32:33], v[34:35], v[32:33] neg_lo:[0,1] neg_hi:[0,1]
	v_pk_add_f32 v[70:71], v[34:35], v[68:69]
	v_mov_b32_e32 v33, v71
	v_mov_b32_e32 v67, v34
	v_pk_add_f32 v[80:81], v[66:67], v[32:33] neg_lo:[0,1] neg_hi:[0,1]
	v_pk_add_f32 v[32:33], v[66:67], v[32:33]
	v_mov_b32_e32 v66, v33
	v_pk_add_f32 v[82:83], v[66:67], v[34:35] neg_lo:[0,1] neg_hi:[0,1]
	v_mov_b32_e32 v49, v82
	v_pk_add_f32 v[84:85], v[70:71], v[48:49] neg_lo:[0,1] neg_hi:[0,1]
	v_mov_b32_e32 v32, v71
	v_mov_b32_e32 v70, v35
	;; [unrolled: 1-line block ×4, first 2 shown]
	v_pk_add_f32 v[32:33], v[32:33], v[70:71] neg_lo:[0,1] neg_hi:[0,1]
	v_mov_b32_e32 v68, v69
	v_mov_b32_e32 v69, v34
	v_pk_add_f32 v[32:33], v[68:69], v[32:33] neg_lo:[0,1] neg_hi:[0,1]
	v_mov_b32_e32 v84, v80
	v_pk_add_f32 v[34:35], v[84:85], v[32:33]
	v_mov_b32_e32 v68, v35
	v_pk_add_f32 v[68:69], v[34:35], v[68:69]
	v_pk_add_f32 v[66:67], v[66:67], v[68:69]
	v_mov_b32_e32 v35, v66
	v_pk_add_f32 v[70:71], v[34:35], v[80:81] neg_lo:[0,1] neg_hi:[0,1]
	v_mov_b32_e32 v33, v68
	v_sub_f32_e32 v34, v34, v70
	v_pk_add_f32 v[32:33], v[32:33], v[70:71] neg_lo:[0,1] neg_hi:[0,1]
	v_sub_f32_e32 v34, v80, v34
	v_add_f32_e32 v32, v32, v34
	v_cmp_eq_f32_e64 s[56:57], s64, v86
	s_mov_b32 s64, 0x33800000
	v_add_f32_e32 v32, v32, v33
	v_cmp_lt_f32_e64 s[64:65], |v86|, s64
	v_add_f32_e32 v32, v66, v32
	s_or_b64 s[56:57], s[56:57], s[64:65]
	v_cndmask_b32_e64 v32, v32, v86, s[56:57]
	v_add_f32_e32 v31, v31, v32
	v_cvt_f16_f32_e32 v32, v31
.LBB401_323:
	s_or_b64 exec, exec, s[58:59]
	v_and_b32_e32 v33, 0xffff, v32
	v_mov_b32_e32 v31, v32
.LBB401_324:
	s_or_b64 exec, exec, s[60:61]
	v_mov_b32_dpp v32, v33 row_bcast:31 row_mask:0xf bank_mask:0xf
	v_cmp_lt_u32_e64 s[56:57], 31, v15
	s_and_saveexec_b64 s[60:61], s[56:57]
	s_cbranch_execz .LBB401_328
; %bb.325:
	v_cvt_f32_f16_e32 v34, v32
	v_cvt_f32_f16_e32 v35, v31
	v_cmp_u_f16_e64 s[56:57], v32, v32
	v_cmp_u_f16_e64 s[58:59], v31, v31
	v_min_f32_e32 v33, v34, v35
	v_max_f32_e32 v31, v34, v35
	v_cndmask_b32_e64 v33, v33, v34, s[56:57]
	v_cndmask_b32_e64 v31, v31, v34, s[56:57]
	;; [unrolled: 1-line block ×4, first 2 shown]
	s_movk_i32 s58, 0x1f8
	v_cmp_neq_f32_e64 s[56:57], v33, v31
	v_cmp_class_f32_e64 s[58:59], v33, s58
	s_or_b64 s[56:57], s[56:57], s[58:59]
	s_and_saveexec_b64 s[58:59], s[56:57]
	s_cbranch_execz .LBB401_327
; %bb.326:
	v_sub_f32_e32 v32, v33, v31
	s_mov_b32 s56, 0x3fb8aa3b
	v_mul_f32_e32 v33, 0x3fb8aa3b, v32
	v_fma_f32 v34, v32, s56, -v33
	v_rndne_f32_e32 v35, v33
	v_fmac_f32_e32 v34, 0x32a5705f, v32
	v_sub_f32_e32 v33, v33, v35
	v_add_f32_e32 v33, v33, v34
	v_exp_f32_e32 v33, v33
	v_cvt_i32_f32_e32 v34, v35
	s_mov_b32 s56, 0xc2ce8ed0
	v_cmp_ngt_f32_e64 s[56:57], s56, v32
	s_mov_b32 s64, 0x7f800000
	v_ldexp_f32 v33, v33, v34
	v_cndmask_b32_e64 v33, 0, v33, s[56:57]
	s_mov_b32 s56, 0x42b17218
	v_mov_b32_e32 v34, 0x7f800000
	v_cmp_nlt_f32_e64 s[56:57], s56, v32
	v_cndmask_b32_e64 v86, v34, v33, s[56:57]
	v_add_f32_e32 v34, 1.0, v86
	v_add_f32_e32 v32, -1.0, v34
	v_sub_f32_e32 v33, v32, v34
	v_add_f32_e32 v33, 1.0, v33
	v_sub_f32_e32 v32, v86, v32
	v_add_f32_e32 v35, v32, v33
	v_frexp_mant_f32_e32 v49, v34
	s_mov_b32 s56, 0x3f2aaaab
	v_cvt_f64_f32_e32 v[32:33], v34
	v_frexp_exp_i32_f64_e32 v32, v[32:33]
	v_cmp_gt_f32_e64 s[56:57], s56, v49
	v_subbrev_co_u32_e64 v49, s[56:57], 0, v32, s[56:57]
	v_sub_u32_e32 v32, 0, v49
	v_ldexp_f32 v33, v34, v32
	v_add_f32_e32 v34, -1.0, v33
	v_add_f32_e32 v66, 1.0, v33
	v_ldexp_f32 v32, v35, v32
	v_add_f32_e32 v35, 1.0, v34
	v_add_f32_e32 v67, -1.0, v66
	v_sub_f32_e32 v35, v33, v35
	v_sub_f32_e32 v33, v33, v67
	v_add_f32_e32 v35, v32, v35
	v_add_f32_e32 v32, v32, v33
	v_add_f32_e32 v70, v66, v32
	v_rcp_f32_e32 v80, v70
	v_sub_f32_e32 v33, v66, v70
	v_add_f32_e32 v71, v32, v33
	v_add_f32_e32 v33, v34, v35
	v_mul_f32_e32 v82, v33, v80
	v_sub_f32_e32 v32, v34, v33
	v_mul_f32_e32 v34, v70, v82
	v_fma_f32 v66, v82, v70, -v34
	v_fmac_f32_e32 v66, v82, v71
	v_add_f32_e32 v81, v35, v32
	v_add_f32_e32 v32, v34, v66
	v_sub_f32_e32 v35, v33, v32
	v_pk_add_f32 v[68:69], v[32:33], v[34:35] neg_lo:[0,1] neg_hi:[0,1]
	v_mov_b32_e32 v67, v32
	v_pk_add_f32 v[32:33], v[68:69], v[66:67] neg_lo:[0,1] neg_hi:[0,1]
	v_add_f32_e32 v33, v81, v33
	v_add_f32_e32 v32, v32, v33
	;; [unrolled: 1-line block ×3, first 2 shown]
	v_mul_f32_e32 v81, v80, v33
	v_mul_f32_e32 v34, v70, v81
	v_fma_f32 v66, v81, v70, -v34
	v_fmac_f32_e32 v66, v81, v71
	v_sub_f32_e32 v35, v35, v33
	v_add_f32_e32 v70, v32, v35
	v_add_f32_e32 v32, v34, v66
	v_sub_f32_e32 v35, v33, v32
	v_pk_add_f32 v[68:69], v[32:33], v[34:35] neg_lo:[0,1] neg_hi:[0,1]
	v_mov_b32_e32 v67, v32
	v_pk_add_f32 v[32:33], v[68:69], v[66:67] neg_lo:[0,1] neg_hi:[0,1]
	v_add_f32_e32 v33, v70, v33
	v_add_f32_e32 v32, v32, v33
	;; [unrolled: 1-line block ×4, first 2 shown]
	v_sub_f32_e32 v33, v35, v82
	v_mul_f32_e32 v32, v80, v32
	v_sub_f32_e32 v33, v81, v33
	v_add_f32_e32 v32, v33, v32
	v_add_f32_e32 v66, v35, v32
	v_mul_f32_e32 v68, v66, v66
	v_mov_b32_e32 v34, 0x3ecc95a3
	v_fmac_f32_e32 v34, 0x3e9b6dac, v68
	v_mov_b32_e32 v33, 0x3f2aaada
	v_fmac_f32_e32 v33, v68, v34
	v_cvt_f32_i32_e32 v34, v49
	v_sub_f32_e32 v35, v66, v35
	v_sub_f32_e32 v32, v32, v35
	v_ldexp_f32 v49, v32, 1
	v_mul_f32_e32 v35, v66, v68
	v_mov_b32_e32 v32, 0x3f317218
	s_mov_b32 s56, 0x3f317218
	v_pk_mul_f32 v[32:33], v[34:35], v[32:33]
	v_ldexp_f32 v67, v66, 1
	v_fma_f32 v66, v34, s56, -v32
	v_fmac_f32_e32 v66, 0xb102e308, v34
	v_pk_add_f32 v[34:35], v[32:33], v[66:67]
	v_sub_f32_e32 v67, v35, v67
	v_sub_f32_e32 v67, v33, v67
	v_add_f32_e32 v69, v49, v67
	v_mov_b32_e32 v68, v32
	v_pk_add_f32 v[32:33], v[34:35], v[32:33] neg_lo:[0,1] neg_hi:[0,1]
	v_pk_add_f32 v[70:71], v[34:35], v[68:69]
	v_mov_b32_e32 v33, v71
	v_mov_b32_e32 v67, v34
	v_pk_add_f32 v[80:81], v[66:67], v[32:33] neg_lo:[0,1] neg_hi:[0,1]
	v_pk_add_f32 v[32:33], v[66:67], v[32:33]
	v_mov_b32_e32 v66, v33
	v_pk_add_f32 v[82:83], v[66:67], v[34:35] neg_lo:[0,1] neg_hi:[0,1]
	v_mov_b32_e32 v49, v82
	v_pk_add_f32 v[84:85], v[70:71], v[48:49] neg_lo:[0,1] neg_hi:[0,1]
	v_mov_b32_e32 v32, v71
	v_mov_b32_e32 v70, v35
	;; [unrolled: 1-line block ×4, first 2 shown]
	v_pk_add_f32 v[32:33], v[32:33], v[70:71] neg_lo:[0,1] neg_hi:[0,1]
	v_mov_b32_e32 v68, v69
	v_mov_b32_e32 v69, v34
	v_pk_add_f32 v[32:33], v[68:69], v[32:33] neg_lo:[0,1] neg_hi:[0,1]
	v_mov_b32_e32 v84, v80
	v_pk_add_f32 v[34:35], v[84:85], v[32:33]
	v_mov_b32_e32 v68, v35
	v_pk_add_f32 v[68:69], v[34:35], v[68:69]
	v_pk_add_f32 v[66:67], v[66:67], v[68:69]
	v_mov_b32_e32 v35, v66
	v_pk_add_f32 v[70:71], v[34:35], v[80:81] neg_lo:[0,1] neg_hi:[0,1]
	v_mov_b32_e32 v33, v68
	v_sub_f32_e32 v34, v34, v70
	v_pk_add_f32 v[32:33], v[32:33], v[70:71] neg_lo:[0,1] neg_hi:[0,1]
	v_sub_f32_e32 v34, v80, v34
	v_add_f32_e32 v32, v32, v34
	v_cmp_eq_f32_e64 s[56:57], s64, v86
	s_mov_b32 s64, 0x33800000
	v_add_f32_e32 v32, v32, v33
	v_cmp_lt_f32_e64 s[64:65], |v86|, s64
	v_add_f32_e32 v32, v66, v32
	s_or_b64 s[56:57], s[56:57], s[64:65]
	v_cndmask_b32_e64 v32, v32, v86, s[56:57]
	v_add_f32_e32 v31, v31, v32
	v_cvt_f16_f32_e32 v32, v31
.LBB401_327:
	s_or_b64 exec, exec, s[58:59]
	v_mov_b32_e32 v31, v32
.LBB401_328:
	s_or_b64 exec, exec, s[60:61]
	v_cmp_eq_u32_e64 s[56:57], 63, v0
	s_and_saveexec_b64 s[58:59], s[56:57]
	s_cbranch_execz .LBB401_330
; %bb.329:
	v_mov_b32_e32 v32, 0
	ds_write_b16 v32, v31
.LBB401_330:
	s_or_b64 exec, exec, s[58:59]
	v_add_u32_e32 v32, -1, v15
	v_and_b32_e32 v33, 64, v15
	v_cmp_lt_i32_e64 s[58:59], v32, v33
	v_cndmask_b32_e64 v15, v32, v15, s[58:59]
	v_and_b32_e32 v31, 0xffff, v31
	v_lshlrev_b32_e32 v15, 2, v15
	ds_bpermute_b32 v31, v15, v31
	v_mov_b32_e32 v15, v26
	s_waitcnt lgkmcnt(0)
	; wave barrier
	s_waitcnt lgkmcnt(0)
	s_and_saveexec_b64 s[58:59], s[8:9]
	s_cbranch_execz .LBB401_334
; %bb.331:
	v_cvt_f32_f16_e32 v32, v31
	v_max_f32_e32 v15, v2, v2
	v_cmp_u_f16_e64 s[8:9], v31, v31
	v_min_f32_e32 v26, v32, v15
	v_max_f32_e32 v27, v32, v15
	v_cndmask_b32_e64 v15, v26, v32, s[8:9]
	v_cndmask_b32_e64 v26, v27, v32, s[8:9]
	v_cndmask_b32_e64 v15, v15, v2, s[54:55]
	v_cndmask_b32_e64 v2, v26, v2, s[54:55]
	s_movk_i32 s54, 0x1f8
	v_cmp_neq_f32_e64 s[8:9], v15, v2
	v_cmp_class_f32_e64 s[54:55], v15, s54
	s_or_b64 s[8:9], s[8:9], s[54:55]
	s_and_saveexec_b64 s[54:55], s[8:9]
	s_cbranch_execz .LBB401_333
; %bb.332:
	v_sub_f32_e32 v15, v15, v2
	s_mov_b32 s8, 0x3fb8aa3b
	v_mul_f32_e32 v26, 0x3fb8aa3b, v15
	v_fma_f32 v27, v15, s8, -v26
	v_rndne_f32_e32 v30, v26
	v_fmac_f32_e32 v27, 0x32a5705f, v15
	v_sub_f32_e32 v26, v26, v30
	v_add_f32_e32 v26, v26, v27
	v_exp_f32_e32 v26, v26
	v_cvt_i32_f32_e32 v27, v30
	s_mov_b32 s8, 0xc2ce8ed0
	v_cmp_ngt_f32_e64 s[8:9], s8, v15
	s_mov_b32 s60, 0x7f800000
	v_ldexp_f32 v26, v26, v27
	v_cndmask_b32_e64 v26, 0, v26, s[8:9]
	s_mov_b32 s8, 0x42b17218
	v_mov_b32_e32 v27, 0x7f800000
	v_cmp_nlt_f32_e64 s[8:9], s8, v15
	v_cndmask_b32_e64 v49, v27, v26, s[8:9]
	v_add_f32_e32 v15, 1.0, v49
	v_add_f32_e32 v26, -1.0, v15
	v_sub_f32_e32 v27, v26, v15
	v_add_f32_e32 v27, 1.0, v27
	v_sub_f32_e32 v26, v49, v26
	v_add_f32_e32 v30, v26, v27
	v_frexp_mant_f32_e32 v31, v15
	s_mov_b32 s8, 0x3f2aaaab
	v_cvt_f64_f32_e32 v[26:27], v15
	v_frexp_exp_i32_f64_e32 v26, v[26:27]
	v_cmp_gt_f32_e64 s[8:9], s8, v31
	v_subbrev_co_u32_e64 v66, s[8:9], 0, v26, s[8:9]
	v_sub_u32_e32 v26, 0, v66
	v_ldexp_f32 v15, v15, v26
	v_ldexp_f32 v26, v30, v26
	v_add_f32_e32 v30, -1.0, v15
	v_add_f32_e32 v27, 1.0, v30
	v_sub_f32_e32 v27, v15, v27
	v_add_f32_e32 v31, v26, v27
	v_add_f32_e32 v27, 1.0, v15
	v_add_f32_e32 v32, -1.0, v27
	v_sub_f32_e32 v15, v15, v32
	v_add_f32_e32 v15, v26, v15
	v_add_f32_e32 v67, v27, v15
	v_rcp_f32_e32 v68, v67
	v_sub_f32_e32 v26, v27, v67
	v_add_f32_e32 v27, v30, v31
	v_add_f32_e32 v15, v15, v26
	v_mul_f32_e32 v70, v27, v68
	v_sub_f32_e32 v26, v30, v27
	v_mul_f32_e32 v30, v67, v70
	v_fma_f32 v32, v70, v67, -v30
	v_fmac_f32_e32 v32, v70, v15
	v_add_f32_e32 v69, v31, v26
	v_add_f32_e32 v26, v30, v32
	v_sub_f32_e32 v31, v27, v26
	v_pk_add_f32 v[34:35], v[26:27], v[30:31] neg_lo:[0,1] neg_hi:[0,1]
	v_mov_b32_e32 v33, v26
	v_pk_add_f32 v[26:27], v[34:35], v[32:33] neg_lo:[0,1] neg_hi:[0,1]
	v_add_f32_e32 v27, v69, v27
	v_add_f32_e32 v26, v26, v27
	;; [unrolled: 1-line block ×3, first 2 shown]
	v_mul_f32_e32 v69, v68, v27
	v_mul_f32_e32 v30, v67, v69
	v_fma_f32 v32, v69, v67, -v30
	v_fmac_f32_e32 v32, v69, v15
	v_sub_f32_e32 v15, v31, v27
	v_add_f32_e32 v15, v26, v15
	v_add_f32_e32 v26, v30, v32
	v_sub_f32_e32 v31, v27, v26
	v_pk_add_f32 v[34:35], v[26:27], v[30:31] neg_lo:[0,1] neg_hi:[0,1]
	v_mov_b32_e32 v33, v26
	v_pk_add_f32 v[26:27], v[34:35], v[32:33] neg_lo:[0,1] neg_hi:[0,1]
	v_add_f32_e32 v15, v15, v27
	v_add_f32_e32 v15, v26, v15
	;; [unrolled: 1-line block ×4, first 2 shown]
	v_sub_f32_e32 v27, v26, v70
	v_mul_f32_e32 v15, v68, v15
	v_sub_f32_e32 v27, v69, v27
	v_add_f32_e32 v15, v27, v15
	v_add_f32_e32 v31, v26, v15
	v_mul_f32_e32 v32, v31, v31
	v_mov_b32_e32 v30, 0x3ecc95a3
	v_fmac_f32_e32 v30, 0x3e9b6dac, v32
	v_mov_b32_e32 v27, 0x3f2aaada
	v_fmac_f32_e32 v27, v32, v30
	v_cvt_f32_i32_e32 v30, v66
	v_sub_f32_e32 v26, v31, v26
	v_sub_f32_e32 v15, v15, v26
	v_ldexp_f32 v33, v31, 1
	v_mul_f32_e32 v31, v31, v32
	v_mov_b32_e32 v26, 0x3f317218
	s_mov_b32 s8, 0x3f317218
	v_pk_mul_f32 v[26:27], v[30:31], v[26:27]
	v_fma_f32 v32, v30, s8, -v26
	v_fmac_f32_e32 v32, 0xb102e308, v30
	v_pk_add_f32 v[30:31], v[26:27], v[32:33]
	v_sub_f32_e32 v33, v31, v33
	v_ldexp_f32 v15, v15, 1
	v_sub_f32_e32 v33, v27, v33
	v_add_f32_e32 v35, v15, v33
	v_mov_b32_e32 v34, v26
	v_pk_add_f32 v[26:27], v[30:31], v[26:27] neg_lo:[0,1] neg_hi:[0,1]
	v_pk_add_f32 v[66:67], v[30:31], v[34:35]
	v_mov_b32_e32 v27, v67
	v_mov_b32_e32 v33, v30
	v_pk_add_f32 v[68:69], v[32:33], v[26:27] neg_lo:[0,1] neg_hi:[0,1]
	v_pk_add_f32 v[26:27], v[32:33], v[26:27]
	v_mov_b32_e32 v32, v27
	v_pk_add_f32 v[70:71], v[32:33], v[30:31] neg_lo:[0,1] neg_hi:[0,1]
	v_mov_b32_e32 v15, v70
	v_pk_add_f32 v[80:81], v[66:67], v[14:15] neg_lo:[0,1] neg_hi:[0,1]
	v_mov_b32_e32 v26, v67
	v_mov_b32_e32 v66, v31
	;; [unrolled: 1-line block ×4, first 2 shown]
	v_pk_add_f32 v[26:27], v[26:27], v[66:67] neg_lo:[0,1] neg_hi:[0,1]
	v_mov_b32_e32 v34, v35
	v_mov_b32_e32 v35, v30
	v_pk_add_f32 v[26:27], v[34:35], v[26:27] neg_lo:[0,1] neg_hi:[0,1]
	v_mov_b32_e32 v80, v68
	v_pk_add_f32 v[30:31], v[80:81], v[26:27]
	v_mov_b32_e32 v34, v31
	v_pk_add_f32 v[34:35], v[30:31], v[34:35]
	v_pk_add_f32 v[32:33], v[32:33], v[34:35]
	v_mov_b32_e32 v31, v32
	v_pk_add_f32 v[66:67], v[30:31], v[68:69] neg_lo:[0,1] neg_hi:[0,1]
	v_mov_b32_e32 v27, v34
	v_sub_f32_e32 v15, v30, v66
	v_pk_add_f32 v[26:27], v[26:27], v[66:67] neg_lo:[0,1] neg_hi:[0,1]
	v_sub_f32_e32 v15, v68, v15
	v_add_f32_e32 v15, v26, v15
	v_cmp_eq_f32_e64 s[8:9], s60, v49
	s_mov_b32 s60, 0x33800000
	v_add_f32_e32 v15, v15, v27
	v_cmp_lt_f32_e64 s[60:61], |v49|, s60
	v_add_f32_e32 v15, v32, v15
	s_or_b64 s[8:9], s[8:9], s[60:61]
	v_cndmask_b32_e64 v15, v15, v49, s[8:9]
	v_add_f32_e32 v2, v2, v15
	v_cvt_f16_f32_e32 v31, v2
	v_cvt_f32_f16_e32 v32, v31
.LBB401_333:
	s_or_b64 exec, exec, s[54:55]
	v_max_f32_e32 v2, v48, v48
	v_max_f32_e32 v15, v32, v32
	v_min_f32_e32 v27, v15, v2
	v_max_f32_e32 v30, v15, v2
	v_mov_b32_e32 v26, v31
	v_mov_b32_e32 v15, v31
	;; [unrolled: 1-line block ×3, first 2 shown]
	;;#ASMSTART
	;;#ASMEND
.LBB401_334:
	s_or_b64 exec, exec, s[58:59]
	v_cmp_u_f16_e64 s[8:9], v15, v15
	v_cndmask_b32_e64 v27, v27, v2, s[8:9]
	v_cndmask_b32_e32 v31, v27, v48, vcc
	v_cndmask_b32_e64 v27, v30, v2, s[8:9]
	v_cndmask_b32_e32 v30, v27, v48, vcc
	s_movk_i32 s54, 0x1f8
	v_cmp_neq_f32_e32 vcc, v31, v30
	v_cmp_class_f32_e64 s[8:9], v31, s54
	s_or_b64 vcc, vcc, s[8:9]
	v_mov_b32_e32 v27, v26
	s_and_saveexec_b64 s[8:9], vcc
	s_cbranch_execz .LBB401_336
; %bb.335:
	v_sub_f32_e32 v2, v31, v30
	s_mov_b32 s55, 0x3fb8aa3b
	v_mul_f32_e32 v15, 0x3fb8aa3b, v2
	v_fma_f32 v27, v2, s55, -v15
	v_rndne_f32_e32 v31, v15
	v_fmac_f32_e32 v27, 0x32a5705f, v2
	v_sub_f32_e32 v15, v15, v31
	v_add_f32_e32 v15, v15, v27
	v_exp_f32_e32 v15, v15
	v_cvt_i32_f32_e32 v27, v31
	s_mov_b32 s55, 0xc2ce8ed0
	v_cmp_ngt_f32_e32 vcc, s55, v2
	s_mov_b32 s55, 0x42b17218
	v_ldexp_f32 v15, v15, v27
	v_cndmask_b32_e32 v15, 0, v15, vcc
	v_mov_b32_e32 v27, 0x7f800000
	v_cmp_nlt_f32_e32 vcc, s55, v2
	v_cndmask_b32_e32 v27, v27, v15, vcc
	v_add_f32_e32 v2, 1.0, v27
	v_add_f32_e32 v15, -1.0, v2
	v_sub_f32_e32 v31, v15, v2
	v_add_f32_e32 v31, 1.0, v31
	v_sub_f32_e32 v15, v27, v15
	v_add_f32_e32 v15, v15, v31
	v_frexp_mant_f32_e32 v31, v2
	s_mov_b32 s55, 0x3f2aaaab
	v_cvt_f64_f32_e32 v[32:33], v2
	v_frexp_exp_i32_f64_e32 v32, v[32:33]
	v_cmp_gt_f32_e32 vcc, s55, v31
	v_subbrev_co_u32_e32 v31, vcc, 0, v32, vcc
	v_sub_u32_e32 v32, 0, v31
	v_ldexp_f32 v2, v2, v32
	v_ldexp_f32 v15, v15, v32
	v_add_f32_e32 v32, -1.0, v2
	v_add_f32_e32 v33, 1.0, v32
	v_sub_f32_e32 v33, v2, v33
	v_add_f32_e32 v34, v15, v33
	v_add_f32_e32 v33, 1.0, v2
	v_add_f32_e32 v35, -1.0, v33
	v_sub_f32_e32 v2, v2, v35
	v_add_f32_e32 v2, v15, v2
	v_add_f32_e32 v15, v33, v2
	v_rcp_f32_e32 v68, v15
	v_sub_f32_e32 v33, v33, v15
	v_add_f32_e32 v2, v2, v33
	v_add_f32_e32 v33, v32, v34
	v_sub_f32_e32 v32, v32, v33
	v_mul_f32_e32 v70, v33, v68
	v_add_f32_e32 v69, v34, v32
	v_mul_f32_e32 v34, v15, v70
	v_fma_f32 v48, v70, v15, -v34
	v_fmac_f32_e32 v48, v70, v2
	v_add_f32_e32 v32, v34, v48
	v_sub_f32_e32 v35, v33, v32
	v_pk_add_f32 v[66:67], v[32:33], v[34:35] neg_lo:[0,1] neg_hi:[0,1]
	v_mov_b32_e32 v49, v32
	v_pk_add_f32 v[32:33], v[66:67], v[48:49] neg_lo:[0,1] neg_hi:[0,1]
	v_add_f32_e32 v33, v69, v33
	v_add_f32_e32 v32, v32, v33
	;; [unrolled: 1-line block ×3, first 2 shown]
	v_mul_f32_e32 v69, v68, v33
	v_mul_f32_e32 v34, v15, v69
	v_fma_f32 v48, v69, v15, -v34
	v_fmac_f32_e32 v48, v69, v2
	v_sub_f32_e32 v2, v35, v33
	v_add_f32_e32 v2, v32, v2
	v_add_f32_e32 v32, v34, v48
	v_sub_f32_e32 v35, v33, v32
	v_pk_add_f32 v[66:67], v[32:33], v[34:35] neg_lo:[0,1] neg_hi:[0,1]
	v_mov_b32_e32 v49, v32
	v_pk_add_f32 v[32:33], v[66:67], v[48:49] neg_lo:[0,1] neg_hi:[0,1]
	v_add_f32_e32 v2, v2, v33
	v_add_f32_e32 v2, v32, v2
	v_add_f32_e32 v15, v70, v69
	v_add_f32_e32 v2, v35, v2
	v_sub_f32_e32 v32, v15, v70
	v_mul_f32_e32 v2, v68, v2
	v_sub_f32_e32 v32, v69, v32
	v_add_f32_e32 v2, v32, v2
	v_add_f32_e32 v32, v15, v2
	v_mul_f32_e32 v35, v32, v32
	v_mov_b32_e32 v34, 0x3ecc95a3
	v_fmac_f32_e32 v34, 0x3e9b6dac, v35
	v_mov_b32_e32 v33, 0x3f2aaada
	v_fmac_f32_e32 v33, v35, v34
	v_cvt_f32_i32_e32 v34, v31
	v_sub_f32_e32 v15, v32, v15
	v_ldexp_f32 v49, v32, 1
	v_mul_f32_e32 v35, v32, v35
	v_mov_b32_e32 v32, 0x3f317218
	s_mov_b32 s55, 0x3f317218
	v_pk_mul_f32 v[32:33], v[34:35], v[32:33]
	v_fma_f32 v48, v34, s55, -v32
	v_fmac_f32_e32 v48, 0xb102e308, v34
	v_pk_add_f32 v[34:35], v[32:33], v[48:49]
	v_sub_f32_e32 v2, v2, v15
	v_sub_f32_e32 v15, v35, v49
	v_ldexp_f32 v2, v2, 1
	v_sub_f32_e32 v15, v33, v15
	v_add_f32_e32 v67, v2, v15
	v_mov_b32_e32 v66, v32
	v_pk_add_f32 v[32:33], v[34:35], v[32:33] neg_lo:[0,1] neg_hi:[0,1]
	v_pk_add_f32 v[68:69], v[34:35], v[66:67]
	v_mov_b32_e32 v33, v69
	v_mov_b32_e32 v49, v34
	v_pk_add_f32 v[70:71], v[48:49], v[32:33] neg_lo:[0,1] neg_hi:[0,1]
	v_pk_add_f32 v[32:33], v[48:49], v[32:33]
	v_mov_b32_e32 v2, v33
	v_pk_add_f32 v[48:49], v[2:3], v[34:35] neg_lo:[0,1] neg_hi:[0,1]
	v_mov_b32_e32 v15, v48
	v_pk_add_f32 v[80:81], v[68:69], v[14:15] neg_lo:[0,1] neg_hi:[0,1]
	v_mov_b32_e32 v32, v69
	v_mov_b32_e32 v68, v35
	;; [unrolled: 1-line block ×4, first 2 shown]
	v_pk_add_f32 v[32:33], v[32:33], v[68:69] neg_lo:[0,1] neg_hi:[0,1]
	v_mov_b32_e32 v48, v67
	v_mov_b32_e32 v49, v34
	v_pk_add_f32 v[32:33], v[48:49], v[32:33] neg_lo:[0,1] neg_hi:[0,1]
	v_mov_b32_e32 v80, v70
	v_pk_add_f32 v[34:35], v[80:81], v[32:33]
	v_mov_b32_e32 v48, v35
	v_pk_add_f32 v[48:49], v[34:35], v[48:49]
	v_pk_add_f32 v[66:67], v[2:3], v[48:49]
	v_mov_b32_e32 v35, v66
	v_pk_add_f32 v[68:69], v[34:35], v[70:71] neg_lo:[0,1] neg_hi:[0,1]
	v_mov_b32_e32 v33, v48
	v_sub_f32_e32 v2, v34, v68
	v_pk_add_f32 v[32:33], v[32:33], v[68:69] neg_lo:[0,1] neg_hi:[0,1]
	v_sub_f32_e32 v2, v70, v2
	s_mov_b32 s58, 0x7f800000
	v_add_f32_e32 v2, v32, v2
	s_mov_b32 s55, 0x33800000
	v_add_f32_e32 v2, v2, v33
	v_cmp_eq_f32_e32 vcc, s58, v27
	v_cmp_lt_f32_e64 s[58:59], |v27|, s55
	v_add_f32_e32 v2, v66, v2
	s_or_b64 vcc, vcc, s[58:59]
	v_cndmask_b32_e32 v2, v2, v27, vcc
	v_add_f32_e32 v2, v30, v2
	v_cvt_f16_f32_e32 v15, v2
	v_cvt_f32_f16_e32 v2, v15
	v_mov_b32_e32 v27, v15
.LBB401_336:
	s_or_b64 exec, exec, s[8:9]
	v_max_f32_e32 v30, v3, v3
	v_max_f32_e32 v32, v2, v2
	v_min_f32_e32 v31, v32, v30
	v_cmp_u_f16_e32 vcc, v15, v15
	v_max_f32_e32 v30, v32, v30
	v_cndmask_b32_e32 v31, v31, v2, vcc
	v_cndmask_b32_e32 v30, v30, v2, vcc
	v_cndmask_b32_e64 v31, v31, v3, s[6:7]
	v_cndmask_b32_e64 v3, v30, v3, s[6:7]
	v_cmp_neq_f32_e32 vcc, v31, v3
	v_cmp_class_f32_e64 s[6:7], v31, s54
	s_or_b64 s[8:9], vcc, s[6:7]
	v_mov_b32_e32 v30, v27
	s_and_saveexec_b64 s[6:7], s[8:9]
	s_cbranch_execz .LBB401_338
; %bb.337:
	v_sub_f32_e32 v2, v31, v3
	s_mov_b32 s8, 0x3fb8aa3b
	v_mul_f32_e32 v15, 0x3fb8aa3b, v2
	v_fma_f32 v30, v2, s8, -v15
	v_rndne_f32_e32 v31, v15
	v_fmac_f32_e32 v30, 0x32a5705f, v2
	v_sub_f32_e32 v15, v15, v31
	v_add_f32_e32 v15, v15, v30
	v_exp_f32_e32 v15, v15
	v_cvt_i32_f32_e32 v30, v31
	s_mov_b32 s8, 0xc2ce8ed0
	v_cmp_ngt_f32_e32 vcc, s8, v2
	s_mov_b32 s8, 0x42b17218
	v_ldexp_f32 v15, v15, v30
	v_cndmask_b32_e32 v15, 0, v15, vcc
	v_mov_b32_e32 v30, 0x7f800000
	v_cmp_nlt_f32_e32 vcc, s8, v2
	v_cndmask_b32_e32 v80, v30, v15, vcc
	v_add_f32_e32 v2, 1.0, v80
	v_add_f32_e32 v15, -1.0, v2
	v_sub_f32_e32 v30, v15, v2
	v_add_f32_e32 v30, 1.0, v30
	v_sub_f32_e32 v15, v80, v15
	v_add_f32_e32 v15, v15, v30
	v_frexp_mant_f32_e32 v32, v2
	s_mov_b32 s8, 0x3f2aaaab
	v_cvt_f64_f32_e32 v[30:31], v2
	v_frexp_exp_i32_f64_e32 v30, v[30:31]
	v_cmp_gt_f32_e32 vcc, s8, v32
	v_subbrev_co_u32_e32 v66, vcc, 0, v30, vcc
	v_sub_u32_e32 v30, 0, v66
	v_ldexp_f32 v2, v2, v30
	v_ldexp_f32 v15, v15, v30
	v_add_f32_e32 v30, -1.0, v2
	v_add_f32_e32 v31, 1.0, v30
	v_sub_f32_e32 v31, v2, v31
	v_add_f32_e32 v32, v15, v31
	v_add_f32_e32 v31, 1.0, v2
	v_add_f32_e32 v33, -1.0, v31
	v_sub_f32_e32 v2, v2, v33
	v_add_f32_e32 v2, v15, v2
	v_add_f32_e32 v15, v31, v2
	v_rcp_f32_e32 v67, v15
	v_sub_f32_e32 v31, v31, v15
	v_add_f32_e32 v2, v2, v31
	v_add_f32_e32 v31, v30, v32
	v_sub_f32_e32 v30, v30, v31
	v_mul_f32_e32 v69, v31, v67
	v_add_f32_e32 v68, v32, v30
	v_mul_f32_e32 v32, v15, v69
	v_fma_f32 v34, v69, v15, -v32
	v_fmac_f32_e32 v34, v69, v2
	v_add_f32_e32 v30, v32, v34
	v_sub_f32_e32 v33, v31, v30
	v_pk_add_f32 v[48:49], v[30:31], v[32:33] neg_lo:[0,1] neg_hi:[0,1]
	v_mov_b32_e32 v35, v30
	v_pk_add_f32 v[30:31], v[48:49], v[34:35] neg_lo:[0,1] neg_hi:[0,1]
	v_add_f32_e32 v31, v68, v31
	v_add_f32_e32 v30, v30, v31
	;; [unrolled: 1-line block ×3, first 2 shown]
	v_mul_f32_e32 v68, v67, v31
	v_mul_f32_e32 v32, v15, v68
	v_fma_f32 v34, v68, v15, -v32
	v_fmac_f32_e32 v34, v68, v2
	v_sub_f32_e32 v2, v33, v31
	v_add_f32_e32 v2, v30, v2
	v_add_f32_e32 v30, v32, v34
	v_sub_f32_e32 v33, v31, v30
	v_pk_add_f32 v[48:49], v[30:31], v[32:33] neg_lo:[0,1] neg_hi:[0,1]
	v_mov_b32_e32 v35, v30
	v_pk_add_f32 v[30:31], v[48:49], v[34:35] neg_lo:[0,1] neg_hi:[0,1]
	v_add_f32_e32 v2, v2, v31
	v_add_f32_e32 v2, v30, v2
	;; [unrolled: 1-line block ×4, first 2 shown]
	v_sub_f32_e32 v30, v15, v69
	v_mul_f32_e32 v2, v67, v2
	v_sub_f32_e32 v30, v68, v30
	v_add_f32_e32 v2, v30, v2
	v_add_f32_e32 v30, v15, v2
	v_mul_f32_e32 v33, v30, v30
	v_mov_b32_e32 v32, 0x3ecc95a3
	v_fmac_f32_e32 v32, 0x3e9b6dac, v33
	v_mov_b32_e32 v31, 0x3f2aaada
	v_fmac_f32_e32 v31, v33, v32
	v_cvt_f32_i32_e32 v32, v66
	v_sub_f32_e32 v15, v30, v15
	v_ldexp_f32 v35, v30, 1
	v_mul_f32_e32 v33, v30, v33
	v_mov_b32_e32 v30, 0x3f317218
	s_mov_b32 s8, 0x3f317218
	v_pk_mul_f32 v[30:31], v[32:33], v[30:31]
	v_fma_f32 v34, v32, s8, -v30
	v_fmac_f32_e32 v34, 0xb102e308, v32
	v_pk_add_f32 v[32:33], v[30:31], v[34:35]
	v_sub_f32_e32 v2, v2, v15
	v_sub_f32_e32 v15, v33, v35
	v_ldexp_f32 v2, v2, 1
	v_sub_f32_e32 v15, v31, v15
	v_add_f32_e32 v49, v2, v15
	v_mov_b32_e32 v48, v30
	v_pk_add_f32 v[30:31], v[32:33], v[30:31] neg_lo:[0,1] neg_hi:[0,1]
	v_pk_add_f32 v[66:67], v[32:33], v[48:49]
	v_mov_b32_e32 v31, v67
	v_mov_b32_e32 v35, v32
	v_pk_add_f32 v[68:69], v[34:35], v[30:31] neg_lo:[0,1] neg_hi:[0,1]
	v_pk_add_f32 v[30:31], v[34:35], v[30:31]
	v_mov_b32_e32 v2, v31
	v_pk_add_f32 v[34:35], v[2:3], v[32:33] neg_lo:[0,1] neg_hi:[0,1]
	v_mov_b32_e32 v15, v34
	v_pk_add_f32 v[70:71], v[66:67], v[14:15] neg_lo:[0,1] neg_hi:[0,1]
	v_mov_b32_e32 v30, v67
	v_mov_b32_e32 v66, v33
	;; [unrolled: 1-line block ×4, first 2 shown]
	v_pk_add_f32 v[30:31], v[30:31], v[66:67] neg_lo:[0,1] neg_hi:[0,1]
	v_mov_b32_e32 v34, v49
	v_mov_b32_e32 v35, v32
	v_pk_add_f32 v[30:31], v[34:35], v[30:31] neg_lo:[0,1] neg_hi:[0,1]
	v_mov_b32_e32 v70, v68
	v_pk_add_f32 v[32:33], v[70:71], v[30:31]
	v_mov_b32_e32 v34, v33
	v_pk_add_f32 v[34:35], v[32:33], v[34:35]
	v_pk_add_f32 v[48:49], v[2:3], v[34:35]
	v_mov_b32_e32 v33, v48
	v_pk_add_f32 v[66:67], v[32:33], v[68:69] neg_lo:[0,1] neg_hi:[0,1]
	v_mov_b32_e32 v31, v34
	v_sub_f32_e32 v2, v32, v66
	v_pk_add_f32 v[30:31], v[30:31], v[66:67] neg_lo:[0,1] neg_hi:[0,1]
	v_sub_f32_e32 v2, v68, v2
	s_mov_b32 s9, 0x7f800000
	v_add_f32_e32 v2, v30, v2
	s_mov_b32 s8, 0x33800000
	v_add_f32_e32 v2, v2, v31
	v_cmp_eq_f32_e32 vcc, s9, v80
	v_cmp_lt_f32_e64 s[8:9], |v80|, s8
	v_add_f32_e32 v2, v48, v2
	s_or_b64 vcc, vcc, s[8:9]
	v_cndmask_b32_e32 v2, v2, v80, vcc
	v_add_f32_e32 v2, v3, v2
	v_cvt_f16_f32_e32 v15, v2
	v_cvt_f32_f16_e32 v2, v15
	v_mov_b32_e32 v30, v15
.LBB401_338:
	s_or_b64 exec, exec, s[6:7]
	v_max_f32_e32 v3, v6, v6
	v_max_f32_e32 v31, v2, v2
	v_min_f32_e32 v32, v31, v3
	v_cmp_u_f16_e32 vcc, v15, v15
	v_max_f32_e32 v3, v31, v3
	v_cndmask_b32_e32 v32, v32, v2, vcc
	v_cndmask_b32_e32 v3, v3, v2, vcc
	v_cndmask_b32_e64 v32, v32, v6, s[10:11]
	v_cndmask_b32_e64 v3, v3, v6, s[10:11]
	s_movk_i32 s8, 0x1f8
	v_cmp_neq_f32_e32 vcc, v32, v3
	v_cmp_class_f32_e64 s[6:7], v32, s8
	s_or_b64 s[10:11], vcc, s[6:7]
	v_mov_b32_e32 v31, v30
	s_and_saveexec_b64 s[6:7], s[10:11]
	s_cbranch_execz .LBB401_340
; %bb.339:
	v_sub_f32_e32 v2, v32, v3
	s_mov_b32 s9, 0x3fb8aa3b
	v_mul_f32_e32 v6, 0x3fb8aa3b, v2
	v_fma_f32 v15, v2, s9, -v6
	v_rndne_f32_e32 v31, v6
	v_fmac_f32_e32 v15, 0x32a5705f, v2
	v_sub_f32_e32 v6, v6, v31
	v_add_f32_e32 v6, v6, v15
	v_exp_f32_e32 v6, v6
	v_cvt_i32_f32_e32 v15, v31
	s_mov_b32 s9, 0xc2ce8ed0
	v_cmp_ngt_f32_e32 vcc, s9, v2
	s_mov_b32 s9, 0x42b17218
	v_ldexp_f32 v6, v6, v15
	v_cndmask_b32_e32 v6, 0, v6, vcc
	v_mov_b32_e32 v15, 0x7f800000
	v_cmp_nlt_f32_e32 vcc, s9, v2
	v_cndmask_b32_e32 v31, v15, v6, vcc
	v_add_f32_e32 v2, 1.0, v31
	v_add_f32_e32 v6, -1.0, v2
	v_sub_f32_e32 v15, v6, v2
	v_add_f32_e32 v15, 1.0, v15
	v_sub_f32_e32 v6, v31, v6
	v_add_f32_e32 v6, v6, v15
	v_frexp_mant_f32_e32 v15, v2
	s_mov_b32 s9, 0x3f2aaaab
	v_cvt_f64_f32_e32 v[32:33], v2
	v_frexp_exp_i32_f64_e32 v32, v[32:33]
	v_cmp_gt_f32_e32 vcc, s9, v15
	v_subbrev_co_u32_e32 v15, vcc, 0, v32, vcc
	v_sub_u32_e32 v32, 0, v15
	v_ldexp_f32 v2, v2, v32
	v_ldexp_f32 v6, v6, v32
	v_add_f32_e32 v32, -1.0, v2
	v_add_f32_e32 v33, 1.0, v32
	v_sub_f32_e32 v33, v2, v33
	v_add_f32_e32 v34, v6, v33
	v_add_f32_e32 v33, 1.0, v2
	v_add_f32_e32 v35, -1.0, v33
	v_sub_f32_e32 v2, v2, v35
	v_add_f32_e32 v2, v6, v2
	v_add_f32_e32 v6, v33, v2
	v_rcp_f32_e32 v68, v6
	v_sub_f32_e32 v33, v33, v6
	v_add_f32_e32 v2, v2, v33
	v_add_f32_e32 v33, v32, v34
	v_sub_f32_e32 v32, v32, v33
	v_mul_f32_e32 v70, v33, v68
	v_add_f32_e32 v69, v34, v32
	v_mul_f32_e32 v34, v6, v70
	v_fma_f32 v48, v70, v6, -v34
	v_fmac_f32_e32 v48, v70, v2
	v_add_f32_e32 v32, v34, v48
	v_sub_f32_e32 v35, v33, v32
	v_pk_add_f32 v[66:67], v[32:33], v[34:35] neg_lo:[0,1] neg_hi:[0,1]
	v_mov_b32_e32 v49, v32
	v_pk_add_f32 v[32:33], v[66:67], v[48:49] neg_lo:[0,1] neg_hi:[0,1]
	v_add_f32_e32 v33, v69, v33
	v_add_f32_e32 v32, v32, v33
	;; [unrolled: 1-line block ×3, first 2 shown]
	v_mul_f32_e32 v69, v68, v33
	v_mul_f32_e32 v34, v6, v69
	v_fma_f32 v48, v69, v6, -v34
	v_fmac_f32_e32 v48, v69, v2
	v_sub_f32_e32 v2, v35, v33
	v_add_f32_e32 v2, v32, v2
	v_add_f32_e32 v32, v34, v48
	v_sub_f32_e32 v35, v33, v32
	v_pk_add_f32 v[66:67], v[32:33], v[34:35] neg_lo:[0,1] neg_hi:[0,1]
	v_mov_b32_e32 v49, v32
	v_pk_add_f32 v[32:33], v[66:67], v[48:49] neg_lo:[0,1] neg_hi:[0,1]
	v_add_f32_e32 v2, v2, v33
	v_add_f32_e32 v2, v32, v2
	;; [unrolled: 1-line block ×4, first 2 shown]
	v_sub_f32_e32 v32, v6, v70
	v_mul_f32_e32 v2, v68, v2
	v_sub_f32_e32 v32, v69, v32
	v_add_f32_e32 v2, v32, v2
	v_add_f32_e32 v32, v6, v2
	v_mul_f32_e32 v35, v32, v32
	v_mov_b32_e32 v34, 0x3ecc95a3
	v_fmac_f32_e32 v34, 0x3e9b6dac, v35
	v_mov_b32_e32 v33, 0x3f2aaada
	v_fmac_f32_e32 v33, v35, v34
	v_cvt_f32_i32_e32 v34, v15
	v_sub_f32_e32 v6, v32, v6
	v_ldexp_f32 v49, v32, 1
	v_mul_f32_e32 v35, v32, v35
	v_mov_b32_e32 v32, 0x3f317218
	s_mov_b32 s9, 0x3f317218
	v_pk_mul_f32 v[32:33], v[34:35], v[32:33]
	v_fma_f32 v48, v34, s9, -v32
	v_fmac_f32_e32 v48, 0xb102e308, v34
	v_pk_add_f32 v[34:35], v[32:33], v[48:49]
	v_sub_f32_e32 v2, v2, v6
	v_sub_f32_e32 v6, v35, v49
	v_ldexp_f32 v2, v2, 1
	v_sub_f32_e32 v6, v33, v6
	v_add_f32_e32 v67, v2, v6
	v_mov_b32_e32 v66, v32
	v_pk_add_f32 v[32:33], v[34:35], v[32:33] neg_lo:[0,1] neg_hi:[0,1]
	v_pk_add_f32 v[68:69], v[34:35], v[66:67]
	v_mov_b32_e32 v33, v69
	v_mov_b32_e32 v49, v34
	v_pk_add_f32 v[70:71], v[48:49], v[32:33] neg_lo:[0,1] neg_hi:[0,1]
	v_pk_add_f32 v[32:33], v[48:49], v[32:33]
	v_mov_b32_e32 v2, v33
	v_pk_add_f32 v[48:49], v[2:3], v[34:35] neg_lo:[0,1] neg_hi:[0,1]
	v_mov_b32_e32 v15, v48
	v_pk_add_f32 v[80:81], v[68:69], v[14:15] neg_lo:[0,1] neg_hi:[0,1]
	v_mov_b32_e32 v32, v69
	v_mov_b32_e32 v68, v35
	;; [unrolled: 1-line block ×4, first 2 shown]
	v_pk_add_f32 v[32:33], v[32:33], v[68:69] neg_lo:[0,1] neg_hi:[0,1]
	v_mov_b32_e32 v48, v67
	v_mov_b32_e32 v49, v34
	v_pk_add_f32 v[32:33], v[48:49], v[32:33] neg_lo:[0,1] neg_hi:[0,1]
	v_mov_b32_e32 v80, v70
	v_pk_add_f32 v[34:35], v[80:81], v[32:33]
	v_mov_b32_e32 v6, v35
	v_pk_add_f32 v[48:49], v[34:35], v[6:7]
	v_pk_add_f32 v[66:67], v[2:3], v[48:49]
	v_mov_b32_e32 v35, v66
	v_pk_add_f32 v[68:69], v[34:35], v[70:71] neg_lo:[0,1] neg_hi:[0,1]
	v_mov_b32_e32 v33, v48
	v_sub_f32_e32 v2, v34, v68
	v_pk_add_f32 v[32:33], v[32:33], v[68:69] neg_lo:[0,1] neg_hi:[0,1]
	v_sub_f32_e32 v2, v70, v2
	s_mov_b32 s10, 0x7f800000
	v_add_f32_e32 v2, v32, v2
	s_mov_b32 s9, 0x33800000
	v_add_f32_e32 v2, v2, v33
	v_cmp_eq_f32_e32 vcc, s10, v31
	v_cmp_lt_f32_e64 s[10:11], |v31|, s9
	v_add_f32_e32 v2, v66, v2
	s_or_b64 vcc, vcc, s[10:11]
	v_cndmask_b32_e32 v2, v2, v31, vcc
	v_add_f32_e32 v2, v3, v2
	v_cvt_f16_f32_e32 v15, v2
	v_cvt_f32_f16_e32 v2, v15
	v_mov_b32_e32 v31, v15
.LBB401_340:
	s_or_b64 exec, exec, s[6:7]
	v_max_f32_e32 v3, v7, v7
	v_max_f32_e32 v32, v2, v2
	v_min_f32_e32 v6, v32, v3
	v_cmp_u_f16_e32 vcc, v15, v15
	v_max_f32_e32 v3, v32, v3
	v_cndmask_b32_e32 v6, v6, v2, vcc
	v_cndmask_b32_e32 v3, v3, v2, vcc
	v_cndmask_b32_e64 v6, v6, v7, s[12:13]
	v_cndmask_b32_e64 v3, v3, v7, s[12:13]
	v_cmp_neq_f32_e32 vcc, v6, v3
	v_cmp_class_f32_e64 s[6:7], v6, s8
	s_or_b64 s[8:9], vcc, s[6:7]
	v_mov_b32_e32 v32, v31
	s_and_saveexec_b64 s[6:7], s[8:9]
	s_cbranch_execz .LBB401_342
; %bb.341:
	v_sub_f32_e32 v2, v6, v3
	s_mov_b32 s8, 0x3fb8aa3b
	v_mul_f32_e32 v6, 0x3fb8aa3b, v2
	v_fma_f32 v7, v2, s8, -v6
	v_rndne_f32_e32 v15, v6
	v_fmac_f32_e32 v7, 0x32a5705f, v2
	v_sub_f32_e32 v6, v6, v15
	v_add_f32_e32 v6, v6, v7
	v_exp_f32_e32 v6, v6
	v_cvt_i32_f32_e32 v7, v15
	s_mov_b32 s8, 0xc2ce8ed0
	v_cmp_ngt_f32_e32 vcc, s8, v2
	s_mov_b32 s8, 0x42b17218
	v_ldexp_f32 v6, v6, v7
	v_cndmask_b32_e32 v6, 0, v6, vcc
	v_mov_b32_e32 v7, 0x7f800000
	v_cmp_nlt_f32_e32 vcc, s8, v2
	v_cndmask_b32_e32 v80, v7, v6, vcc
	v_add_f32_e32 v2, 1.0, v80
	v_add_f32_e32 v6, -1.0, v2
	v_sub_f32_e32 v7, v6, v2
	v_add_f32_e32 v7, 1.0, v7
	v_sub_f32_e32 v6, v80, v6
	v_add_f32_e32 v15, v6, v7
	v_frexp_mant_f32_e32 v32, v2
	s_mov_b32 s8, 0x3f2aaaab
	v_cvt_f64_f32_e32 v[6:7], v2
	v_frexp_exp_i32_f64_e32 v6, v[6:7]
	v_cmp_gt_f32_e32 vcc, s8, v32
	v_subbrev_co_u32_e32 v66, vcc, 0, v6, vcc
	v_sub_u32_e32 v6, 0, v66
	v_ldexp_f32 v2, v2, v6
	v_ldexp_f32 v6, v15, v6
	v_add_f32_e32 v15, -1.0, v2
	v_add_f32_e32 v7, 1.0, v15
	v_sub_f32_e32 v7, v2, v7
	v_add_f32_e32 v32, v6, v7
	v_add_f32_e32 v7, 1.0, v2
	v_add_f32_e32 v33, -1.0, v7
	v_sub_f32_e32 v2, v2, v33
	v_add_f32_e32 v2, v6, v2
	v_add_f32_e32 v67, v7, v2
	v_rcp_f32_e32 v68, v67
	v_sub_f32_e32 v6, v7, v67
	v_add_f32_e32 v7, v15, v32
	v_add_f32_e32 v2, v2, v6
	v_sub_f32_e32 v6, v15, v7
	v_mul_f32_e32 v69, v7, v68
	v_add_f32_e32 v15, v32, v6
	v_mul_f32_e32 v32, v67, v69
	v_fma_f32 v34, v69, v67, -v32
	v_fmac_f32_e32 v34, v69, v2
	v_add_f32_e32 v6, v32, v34
	v_sub_f32_e32 v33, v7, v6
	v_pk_add_f32 v[48:49], v[6:7], v[32:33] neg_lo:[0,1] neg_hi:[0,1]
	v_mov_b32_e32 v35, v6
	v_pk_add_f32 v[6:7], v[48:49], v[34:35] neg_lo:[0,1] neg_hi:[0,1]
	v_add_f32_e32 v7, v15, v7
	v_add_f32_e32 v6, v6, v7
	;; [unrolled: 1-line block ×3, first 2 shown]
	v_mul_f32_e32 v15, v68, v7
	v_mul_f32_e32 v32, v67, v15
	v_fma_f32 v34, v15, v67, -v32
	v_fmac_f32_e32 v34, v15, v2
	v_sub_f32_e32 v2, v33, v7
	v_add_f32_e32 v2, v6, v2
	v_add_f32_e32 v6, v32, v34
	v_sub_f32_e32 v33, v7, v6
	v_pk_add_f32 v[48:49], v[6:7], v[32:33] neg_lo:[0,1] neg_hi:[0,1]
	v_mov_b32_e32 v35, v6
	v_pk_add_f32 v[6:7], v[48:49], v[34:35] neg_lo:[0,1] neg_hi:[0,1]
	v_add_f32_e32 v2, v2, v7
	v_add_f32_e32 v2, v6, v2
	;; [unrolled: 1-line block ×4, first 2 shown]
	v_sub_f32_e32 v7, v6, v69
	v_mul_f32_e32 v2, v68, v2
	v_sub_f32_e32 v7, v15, v7
	v_add_f32_e32 v2, v7, v2
	v_add_f32_e32 v15, v6, v2
	v_mul_f32_e32 v33, v15, v15
	v_mov_b32_e32 v32, 0x3ecc95a3
	v_fmac_f32_e32 v32, 0x3e9b6dac, v33
	v_mov_b32_e32 v7, 0x3f2aaada
	v_fmac_f32_e32 v7, v33, v32
	v_cvt_f32_i32_e32 v32, v66
	v_sub_f32_e32 v6, v15, v6
	v_sub_f32_e32 v2, v2, v6
	v_mul_f32_e32 v33, v15, v33
	v_mov_b32_e32 v6, 0x3f317218
	s_mov_b32 s8, 0x3f317218
	v_pk_mul_f32 v[6:7], v[32:33], v[6:7]
	v_fma_f32 v34, v32, s8, -v6
	v_ldexp_f32 v35, v15, 1
	v_fmac_f32_e32 v34, 0xb102e308, v32
	v_pk_add_f32 v[32:33], v[6:7], v[34:35]
	v_sub_f32_e32 v15, v33, v35
	v_ldexp_f32 v2, v2, 1
	v_sub_f32_e32 v15, v7, v15
	v_add_f32_e32 v49, v2, v15
	v_mov_b32_e32 v48, v6
	v_pk_add_f32 v[6:7], v[32:33], v[6:7] neg_lo:[0,1] neg_hi:[0,1]
	v_pk_add_f32 v[66:67], v[32:33], v[48:49]
	v_mov_b32_e32 v7, v67
	v_mov_b32_e32 v35, v32
	v_pk_add_f32 v[68:69], v[34:35], v[6:7] neg_lo:[0,1] neg_hi:[0,1]
	v_pk_add_f32 v[6:7], v[34:35], v[6:7]
	v_mov_b32_e32 v2, v7
	v_pk_add_f32 v[34:35], v[2:3], v[32:33] neg_lo:[0,1] neg_hi:[0,1]
	v_mov_b32_e32 v15, v34
	v_pk_add_f32 v[70:71], v[66:67], v[14:15] neg_lo:[0,1] neg_hi:[0,1]
	v_mov_b32_e32 v6, v67
	v_mov_b32_e32 v66, v33
	;; [unrolled: 1-line block ×4, first 2 shown]
	v_pk_add_f32 v[6:7], v[6:7], v[66:67] neg_lo:[0,1] neg_hi:[0,1]
	v_mov_b32_e32 v34, v49
	v_mov_b32_e32 v35, v32
	v_pk_add_f32 v[6:7], v[34:35], v[6:7] neg_lo:[0,1] neg_hi:[0,1]
	v_mov_b32_e32 v70, v68
	v_pk_add_f32 v[32:33], v[70:71], v[6:7]
	v_mov_b32_e32 v34, v33
	v_pk_add_f32 v[34:35], v[32:33], v[34:35]
	v_pk_add_f32 v[48:49], v[2:3], v[34:35]
	v_mov_b32_e32 v33, v48
	v_pk_add_f32 v[66:67], v[32:33], v[68:69] neg_lo:[0,1] neg_hi:[0,1]
	v_mov_b32_e32 v7, v34
	v_sub_f32_e32 v2, v32, v66
	v_pk_add_f32 v[6:7], v[6:7], v[66:67] neg_lo:[0,1] neg_hi:[0,1]
	v_sub_f32_e32 v2, v68, v2
	s_mov_b32 s9, 0x7f800000
	v_add_f32_e32 v2, v6, v2
	s_mov_b32 s8, 0x33800000
	v_add_f32_e32 v2, v2, v7
	v_cmp_eq_f32_e32 vcc, s9, v80
	v_cmp_lt_f32_e64 s[8:9], |v80|, s8
	v_add_f32_e32 v2, v48, v2
	s_or_b64 vcc, vcc, s[8:9]
	v_cndmask_b32_e32 v2, v2, v80, vcc
	v_add_f32_e32 v2, v3, v2
	v_cvt_f16_f32_e32 v15, v2
	v_cvt_f32_f16_e32 v2, v15
	v_mov_b32_e32 v32, v15
.LBB401_342:
	s_or_b64 exec, exec, s[6:7]
	v_max_f32_e32 v3, v20, v20
	v_max_f32_e32 v7, v2, v2
	v_min_f32_e32 v6, v7, v3
	v_cmp_u_f16_e32 vcc, v15, v15
	v_max_f32_e32 v3, v7, v3
	v_cndmask_b32_e32 v6, v6, v2, vcc
	v_cndmask_b32_e32 v3, v3, v2, vcc
	v_cndmask_b32_e64 v6, v6, v20, s[14:15]
	v_cndmask_b32_e64 v3, v3, v20, s[14:15]
	s_movk_i32 s8, 0x1f8
	v_cmp_neq_f32_e32 vcc, v6, v3
	v_cmp_class_f32_e64 s[6:7], v6, s8
	s_or_b64 s[10:11], vcc, s[6:7]
	v_mov_b32_e32 v33, v32
	s_and_saveexec_b64 s[6:7], s[10:11]
	s_cbranch_execz .LBB401_344
; %bb.343:
	v_sub_f32_e32 v2, v6, v3
	s_mov_b32 s9, 0x3fb8aa3b
	v_mul_f32_e32 v6, 0x3fb8aa3b, v2
	v_fma_f32 v7, v2, s9, -v6
	v_rndne_f32_e32 v15, v6
	v_fmac_f32_e32 v7, 0x32a5705f, v2
	v_sub_f32_e32 v6, v6, v15
	v_add_f32_e32 v6, v6, v7
	v_exp_f32_e32 v6, v6
	v_cvt_i32_f32_e32 v7, v15
	s_mov_b32 s9, 0xc2ce8ed0
	v_cmp_ngt_f32_e32 vcc, s9, v2
	s_mov_b32 s9, 0x42b17218
	v_ldexp_f32 v6, v6, v7
	v_cndmask_b32_e32 v6, 0, v6, vcc
	v_mov_b32_e32 v7, 0x7f800000
	v_cmp_nlt_f32_e32 vcc, s9, v2
	v_cndmask_b32_e32 v33, v7, v6, vcc
	v_add_f32_e32 v2, 1.0, v33
	v_add_f32_e32 v6, -1.0, v2
	v_sub_f32_e32 v7, v6, v2
	v_add_f32_e32 v7, 1.0, v7
	v_sub_f32_e32 v6, v33, v6
	v_add_f32_e32 v15, v6, v7
	v_frexp_mant_f32_e32 v20, v2
	s_mov_b32 s9, 0x3f2aaaab
	v_cvt_f64_f32_e32 v[6:7], v2
	v_frexp_exp_i32_f64_e32 v6, v[6:7]
	v_cmp_gt_f32_e32 vcc, s9, v20
	v_subbrev_co_u32_e32 v20, vcc, 0, v6, vcc
	v_sub_u32_e32 v6, 0, v20
	v_ldexp_f32 v2, v2, v6
	v_ldexp_f32 v6, v15, v6
	v_add_f32_e32 v15, -1.0, v2
	v_add_f32_e32 v7, 1.0, v15
	v_sub_f32_e32 v7, v2, v7
	v_add_f32_e32 v34, v6, v7
	v_add_f32_e32 v7, 1.0, v2
	v_add_f32_e32 v35, -1.0, v7
	v_sub_f32_e32 v2, v2, v35
	v_add_f32_e32 v2, v6, v2
	v_add_f32_e32 v68, v7, v2
	v_rcp_f32_e32 v69, v68
	v_sub_f32_e32 v6, v7, v68
	v_add_f32_e32 v7, v15, v34
	v_add_f32_e32 v2, v2, v6
	v_sub_f32_e32 v6, v15, v7
	v_mul_f32_e32 v70, v7, v69
	v_add_f32_e32 v15, v34, v6
	v_mul_f32_e32 v34, v68, v70
	v_fma_f32 v48, v70, v68, -v34
	v_fmac_f32_e32 v48, v70, v2
	v_add_f32_e32 v6, v34, v48
	v_sub_f32_e32 v35, v7, v6
	v_pk_add_f32 v[66:67], v[6:7], v[34:35] neg_lo:[0,1] neg_hi:[0,1]
	v_mov_b32_e32 v49, v6
	v_pk_add_f32 v[6:7], v[66:67], v[48:49] neg_lo:[0,1] neg_hi:[0,1]
	v_add_f32_e32 v7, v15, v7
	v_add_f32_e32 v6, v6, v7
	;; [unrolled: 1-line block ×3, first 2 shown]
	v_mul_f32_e32 v15, v69, v7
	v_mul_f32_e32 v34, v68, v15
	v_fma_f32 v48, v15, v68, -v34
	v_fmac_f32_e32 v48, v15, v2
	v_sub_f32_e32 v2, v35, v7
	v_add_f32_e32 v2, v6, v2
	v_add_f32_e32 v6, v34, v48
	v_sub_f32_e32 v35, v7, v6
	v_pk_add_f32 v[66:67], v[6:7], v[34:35] neg_lo:[0,1] neg_hi:[0,1]
	v_mov_b32_e32 v49, v6
	v_pk_add_f32 v[6:7], v[66:67], v[48:49] neg_lo:[0,1] neg_hi:[0,1]
	v_add_f32_e32 v2, v2, v7
	v_add_f32_e32 v2, v6, v2
	;; [unrolled: 1-line block ×4, first 2 shown]
	v_sub_f32_e32 v7, v6, v70
	v_mul_f32_e32 v2, v69, v2
	v_sub_f32_e32 v7, v15, v7
	v_add_f32_e32 v2, v7, v2
	v_add_f32_e32 v15, v6, v2
	v_mul_f32_e32 v35, v15, v15
	v_mov_b32_e32 v34, 0x3ecc95a3
	v_fmac_f32_e32 v34, 0x3e9b6dac, v35
	v_mov_b32_e32 v7, 0x3f2aaada
	v_fmac_f32_e32 v7, v35, v34
	v_cvt_f32_i32_e32 v34, v20
	v_sub_f32_e32 v6, v15, v6
	v_sub_f32_e32 v2, v2, v6
	v_mul_f32_e32 v35, v15, v35
	v_mov_b32_e32 v6, 0x3f317218
	s_mov_b32 s9, 0x3f317218
	v_pk_mul_f32 v[6:7], v[34:35], v[6:7]
	v_fma_f32 v48, v34, s9, -v6
	v_ldexp_f32 v49, v15, 1
	v_fmac_f32_e32 v48, 0xb102e308, v34
	v_pk_add_f32 v[34:35], v[6:7], v[48:49]
	v_sub_f32_e32 v15, v35, v49
	v_ldexp_f32 v2, v2, 1
	v_sub_f32_e32 v15, v7, v15
	v_add_f32_e32 v67, v2, v15
	v_mov_b32_e32 v66, v6
	v_pk_add_f32 v[6:7], v[34:35], v[6:7] neg_lo:[0,1] neg_hi:[0,1]
	v_pk_add_f32 v[68:69], v[34:35], v[66:67]
	v_mov_b32_e32 v7, v69
	v_mov_b32_e32 v49, v34
	v_pk_add_f32 v[70:71], v[48:49], v[6:7] neg_lo:[0,1] neg_hi:[0,1]
	v_pk_add_f32 v[6:7], v[48:49], v[6:7]
	v_mov_b32_e32 v2, v7
	v_pk_add_f32 v[48:49], v[2:3], v[34:35] neg_lo:[0,1] neg_hi:[0,1]
	v_mov_b32_e32 v15, v48
	v_pk_add_f32 v[80:81], v[68:69], v[14:15] neg_lo:[0,1] neg_hi:[0,1]
	v_mov_b32_e32 v6, v69
	v_mov_b32_e32 v68, v35
	;; [unrolled: 1-line block ×4, first 2 shown]
	v_pk_add_f32 v[6:7], v[6:7], v[68:69] neg_lo:[0,1] neg_hi:[0,1]
	v_mov_b32_e32 v48, v67
	v_mov_b32_e32 v49, v34
	v_pk_add_f32 v[6:7], v[48:49], v[6:7] neg_lo:[0,1] neg_hi:[0,1]
	v_mov_b32_e32 v80, v70
	v_pk_add_f32 v[34:35], v[80:81], v[6:7]
	v_mov_b32_e32 v20, v35
	v_pk_add_f32 v[48:49], v[34:35], v[20:21]
	v_pk_add_f32 v[66:67], v[2:3], v[48:49]
	v_mov_b32_e32 v35, v66
	v_pk_add_f32 v[68:69], v[34:35], v[70:71] neg_lo:[0,1] neg_hi:[0,1]
	v_mov_b32_e32 v7, v48
	v_sub_f32_e32 v2, v34, v68
	v_pk_add_f32 v[6:7], v[6:7], v[68:69] neg_lo:[0,1] neg_hi:[0,1]
	v_sub_f32_e32 v2, v70, v2
	s_mov_b32 s10, 0x7f800000
	v_add_f32_e32 v2, v6, v2
	s_mov_b32 s9, 0x33800000
	v_add_f32_e32 v2, v2, v7
	v_cmp_eq_f32_e32 vcc, s10, v33
	v_cmp_lt_f32_e64 s[10:11], |v33|, s9
	v_add_f32_e32 v2, v66, v2
	s_or_b64 vcc, vcc, s[10:11]
	v_cndmask_b32_e32 v2, v2, v33, vcc
	v_add_f32_e32 v2, v3, v2
	v_cvt_f16_f32_e32 v15, v2
	v_cvt_f32_f16_e32 v2, v15
	v_mov_b32_e32 v33, v15
.LBB401_344:
	s_or_b64 exec, exec, s[6:7]
	v_max_f32_e32 v3, v21, v21
	v_max_f32_e32 v7, v2, v2
	v_min_f32_e32 v6, v7, v3
	v_cmp_u_f16_e32 vcc, v15, v15
	v_max_f32_e32 v3, v7, v3
	v_cndmask_b32_e32 v6, v6, v2, vcc
	v_cndmask_b32_e32 v3, v3, v2, vcc
	v_cndmask_b32_e64 v6, v6, v21, s[16:17]
	v_cndmask_b32_e64 v3, v3, v21, s[16:17]
	v_cmp_neq_f32_e32 vcc, v6, v3
	v_cmp_class_f32_e64 s[6:7], v6, s8
	s_or_b64 s[8:9], vcc, s[6:7]
	v_mov_b32_e32 v34, v33
	s_and_saveexec_b64 s[6:7], s[8:9]
	s_cbranch_execz .LBB401_346
; %bb.345:
	v_sub_f32_e32 v2, v6, v3
	s_mov_b32 s8, 0x3fb8aa3b
	v_mul_f32_e32 v6, 0x3fb8aa3b, v2
	v_fma_f32 v7, v2, s8, -v6
	v_rndne_f32_e32 v15, v6
	v_fmac_f32_e32 v7, 0x32a5705f, v2
	v_sub_f32_e32 v6, v6, v15
	v_add_f32_e32 v6, v6, v7
	v_exp_f32_e32 v6, v6
	v_cvt_i32_f32_e32 v7, v15
	s_mov_b32 s8, 0xc2ce8ed0
	v_cmp_ngt_f32_e32 vcc, s8, v2
	s_mov_b32 s8, 0x42b17218
	v_ldexp_f32 v6, v6, v7
	v_cndmask_b32_e32 v6, 0, v6, vcc
	v_mov_b32_e32 v7, 0x7f800000
	v_cmp_nlt_f32_e32 vcc, s8, v2
	v_cndmask_b32_e32 v80, v7, v6, vcc
	v_add_f32_e32 v2, 1.0, v80
	v_add_f32_e32 v6, -1.0, v2
	v_sub_f32_e32 v7, v6, v2
	v_add_f32_e32 v7, 1.0, v7
	v_sub_f32_e32 v6, v80, v6
	v_add_f32_e32 v15, v6, v7
	v_frexp_mant_f32_e32 v20, v2
	s_mov_b32 s8, 0x3f2aaaab
	v_cvt_f64_f32_e32 v[6:7], v2
	v_frexp_exp_i32_f64_e32 v6, v[6:7]
	v_cmp_gt_f32_e32 vcc, s8, v20
	v_subbrev_co_u32_e32 v66, vcc, 0, v6, vcc
	v_sub_u32_e32 v6, 0, v66
	v_ldexp_f32 v2, v2, v6
	v_ldexp_f32 v6, v15, v6
	v_add_f32_e32 v15, -1.0, v2
	v_add_f32_e32 v7, 1.0, v15
	v_sub_f32_e32 v7, v2, v7
	v_add_f32_e32 v20, v6, v7
	v_add_f32_e32 v7, 1.0, v2
	v_add_f32_e32 v21, -1.0, v7
	v_sub_f32_e32 v2, v2, v21
	v_add_f32_e32 v2, v6, v2
	v_add_f32_e32 v67, v7, v2
	v_rcp_f32_e32 v68, v67
	v_sub_f32_e32 v6, v7, v67
	v_add_f32_e32 v7, v15, v20
	v_add_f32_e32 v2, v2, v6
	v_sub_f32_e32 v6, v15, v7
	v_mul_f32_e32 v69, v7, v68
	v_add_f32_e32 v15, v20, v6
	v_mul_f32_e32 v20, v67, v69
	v_fma_f32 v34, v69, v67, -v20
	v_fmac_f32_e32 v34, v69, v2
	v_add_f32_e32 v6, v20, v34
	v_sub_f32_e32 v21, v7, v6
	v_pk_add_f32 v[48:49], v[6:7], v[20:21] neg_lo:[0,1] neg_hi:[0,1]
	v_mov_b32_e32 v35, v6
	v_pk_add_f32 v[6:7], v[48:49], v[34:35] neg_lo:[0,1] neg_hi:[0,1]
	v_add_f32_e32 v7, v15, v7
	v_add_f32_e32 v6, v6, v7
	;; [unrolled: 1-line block ×3, first 2 shown]
	v_mul_f32_e32 v15, v68, v7
	v_mul_f32_e32 v20, v67, v15
	v_fma_f32 v34, v15, v67, -v20
	v_fmac_f32_e32 v34, v15, v2
	v_sub_f32_e32 v2, v21, v7
	v_add_f32_e32 v2, v6, v2
	v_add_f32_e32 v6, v20, v34
	v_sub_f32_e32 v21, v7, v6
	v_pk_add_f32 v[48:49], v[6:7], v[20:21] neg_lo:[0,1] neg_hi:[0,1]
	v_mov_b32_e32 v35, v6
	v_pk_add_f32 v[6:7], v[48:49], v[34:35] neg_lo:[0,1] neg_hi:[0,1]
	v_add_f32_e32 v2, v2, v7
	v_add_f32_e32 v2, v6, v2
	v_add_f32_e32 v6, v69, v15
	v_add_f32_e32 v2, v21, v2
	v_sub_f32_e32 v7, v6, v69
	v_mul_f32_e32 v2, v68, v2
	v_sub_f32_e32 v7, v15, v7
	v_add_f32_e32 v2, v7, v2
	v_add_f32_e32 v15, v6, v2
	v_mul_f32_e32 v21, v15, v15
	v_mov_b32_e32 v20, 0x3ecc95a3
	v_fmac_f32_e32 v20, 0x3e9b6dac, v21
	v_mov_b32_e32 v7, 0x3f2aaada
	v_fmac_f32_e32 v7, v21, v20
	v_cvt_f32_i32_e32 v20, v66
	v_sub_f32_e32 v6, v15, v6
	v_sub_f32_e32 v2, v2, v6
	v_mul_f32_e32 v21, v15, v21
	v_mov_b32_e32 v6, 0x3f317218
	s_mov_b32 s8, 0x3f317218
	v_pk_mul_f32 v[6:7], v[20:21], v[6:7]
	v_fma_f32 v34, v20, s8, -v6
	v_ldexp_f32 v35, v15, 1
	v_fmac_f32_e32 v34, 0xb102e308, v20
	v_pk_add_f32 v[20:21], v[6:7], v[34:35]
	v_sub_f32_e32 v15, v21, v35
	v_ldexp_f32 v2, v2, 1
	v_sub_f32_e32 v15, v7, v15
	v_add_f32_e32 v49, v2, v15
	v_mov_b32_e32 v48, v6
	v_pk_add_f32 v[6:7], v[20:21], v[6:7] neg_lo:[0,1] neg_hi:[0,1]
	v_pk_add_f32 v[66:67], v[20:21], v[48:49]
	v_mov_b32_e32 v7, v67
	v_mov_b32_e32 v35, v20
	v_pk_add_f32 v[68:69], v[34:35], v[6:7] neg_lo:[0,1] neg_hi:[0,1]
	v_pk_add_f32 v[6:7], v[34:35], v[6:7]
	v_mov_b32_e32 v2, v7
	v_pk_add_f32 v[34:35], v[2:3], v[20:21] neg_lo:[0,1] neg_hi:[0,1]
	v_mov_b32_e32 v15, v34
	v_pk_add_f32 v[70:71], v[66:67], v[14:15] neg_lo:[0,1] neg_hi:[0,1]
	v_mov_b32_e32 v6, v67
	v_mov_b32_e32 v66, v21
	;; [unrolled: 1-line block ×4, first 2 shown]
	v_pk_add_f32 v[6:7], v[6:7], v[66:67] neg_lo:[0,1] neg_hi:[0,1]
	v_mov_b32_e32 v34, v49
	v_mov_b32_e32 v35, v20
	v_pk_add_f32 v[6:7], v[34:35], v[6:7] neg_lo:[0,1] neg_hi:[0,1]
	v_mov_b32_e32 v70, v68
	v_pk_add_f32 v[20:21], v[70:71], v[6:7]
	v_mov_b32_e32 v34, v21
	v_pk_add_f32 v[34:35], v[20:21], v[34:35]
	v_pk_add_f32 v[48:49], v[2:3], v[34:35]
	v_mov_b32_e32 v21, v48
	v_pk_add_f32 v[66:67], v[20:21], v[68:69] neg_lo:[0,1] neg_hi:[0,1]
	v_mov_b32_e32 v7, v34
	v_sub_f32_e32 v2, v20, v66
	v_pk_add_f32 v[6:7], v[6:7], v[66:67] neg_lo:[0,1] neg_hi:[0,1]
	v_sub_f32_e32 v2, v68, v2
	s_mov_b32 s9, 0x7f800000
	v_add_f32_e32 v2, v6, v2
	s_mov_b32 s8, 0x33800000
	v_add_f32_e32 v2, v2, v7
	v_cmp_eq_f32_e32 vcc, s9, v80
	v_cmp_lt_f32_e64 s[8:9], |v80|, s8
	v_add_f32_e32 v2, v48, v2
	s_or_b64 vcc, vcc, s[8:9]
	v_cndmask_b32_e32 v2, v2, v80, vcc
	v_add_f32_e32 v2, v3, v2
	v_cvt_f16_f32_e32 v15, v2
	v_cvt_f32_f16_e32 v2, v15
	v_mov_b32_e32 v34, v15
.LBB401_346:
	s_or_b64 exec, exec, s[6:7]
	v_max_f32_e32 v3, v22, v22
	v_max_f32_e32 v7, v2, v2
	v_min_f32_e32 v6, v7, v3
	v_cmp_u_f16_e32 vcc, v15, v15
	v_max_f32_e32 v3, v7, v3
	v_cndmask_b32_e32 v6, v6, v2, vcc
	v_cndmask_b32_e32 v3, v3, v2, vcc
	v_cndmask_b32_e64 v6, v6, v22, s[18:19]
	v_cndmask_b32_e64 v3, v3, v22, s[18:19]
	s_movk_i32 s8, 0x1f8
	v_cmp_neq_f32_e32 vcc, v6, v3
	v_cmp_class_f32_e64 s[6:7], v6, s8
	s_or_b64 s[10:11], vcc, s[6:7]
	v_mov_b32_e32 v35, v34
	s_and_saveexec_b64 s[6:7], s[10:11]
	s_cbranch_execz .LBB401_348
; %bb.347:
	v_sub_f32_e32 v2, v6, v3
	s_mov_b32 s9, 0x3fb8aa3b
	v_mul_f32_e32 v6, 0x3fb8aa3b, v2
	v_fma_f32 v7, v2, s9, -v6
	v_rndne_f32_e32 v15, v6
	v_fmac_f32_e32 v7, 0x32a5705f, v2
	v_sub_f32_e32 v6, v6, v15
	v_add_f32_e32 v6, v6, v7
	v_exp_f32_e32 v6, v6
	v_cvt_i32_f32_e32 v7, v15
	s_mov_b32 s9, 0xc2ce8ed0
	v_cmp_ngt_f32_e32 vcc, s9, v2
	s_mov_b32 s9, 0x42b17218
	v_ldexp_f32 v6, v6, v7
	v_cndmask_b32_e32 v6, 0, v6, vcc
	v_mov_b32_e32 v7, 0x7f800000
	v_cmp_nlt_f32_e32 vcc, s9, v2
	v_cndmask_b32_e32 v35, v7, v6, vcc
	v_add_f32_e32 v2, 1.0, v35
	v_add_f32_e32 v6, -1.0, v2
	v_sub_f32_e32 v7, v6, v2
	v_add_f32_e32 v7, 1.0, v7
	v_sub_f32_e32 v6, v35, v6
	v_add_f32_e32 v15, v6, v7
	v_frexp_mant_f32_e32 v20, v2
	s_mov_b32 s9, 0x3f2aaaab
	v_cvt_f64_f32_e32 v[6:7], v2
	v_frexp_exp_i32_f64_e32 v6, v[6:7]
	v_cmp_gt_f32_e32 vcc, s9, v20
	v_subbrev_co_u32_e32 v22, vcc, 0, v6, vcc
	v_sub_u32_e32 v6, 0, v22
	v_ldexp_f32 v2, v2, v6
	v_ldexp_f32 v6, v15, v6
	v_add_f32_e32 v15, -1.0, v2
	v_add_f32_e32 v7, 1.0, v15
	v_sub_f32_e32 v7, v2, v7
	v_add_f32_e32 v20, v6, v7
	v_add_f32_e32 v7, 1.0, v2
	v_add_f32_e32 v21, -1.0, v7
	v_sub_f32_e32 v2, v2, v21
	v_add_f32_e32 v2, v6, v2
	v_add_f32_e32 v68, v7, v2
	v_rcp_f32_e32 v69, v68
	v_sub_f32_e32 v6, v7, v68
	v_add_f32_e32 v7, v15, v20
	v_add_f32_e32 v2, v2, v6
	v_sub_f32_e32 v6, v15, v7
	v_mul_f32_e32 v70, v7, v69
	v_add_f32_e32 v15, v20, v6
	v_mul_f32_e32 v20, v68, v70
	v_fma_f32 v48, v70, v68, -v20
	v_fmac_f32_e32 v48, v70, v2
	v_add_f32_e32 v6, v20, v48
	v_sub_f32_e32 v21, v7, v6
	v_pk_add_f32 v[66:67], v[6:7], v[20:21] neg_lo:[0,1] neg_hi:[0,1]
	v_mov_b32_e32 v49, v6
	v_pk_add_f32 v[6:7], v[66:67], v[48:49] neg_lo:[0,1] neg_hi:[0,1]
	v_add_f32_e32 v7, v15, v7
	v_add_f32_e32 v6, v6, v7
	;; [unrolled: 1-line block ×3, first 2 shown]
	v_mul_f32_e32 v15, v69, v7
	v_mul_f32_e32 v20, v68, v15
	v_fma_f32 v48, v15, v68, -v20
	v_fmac_f32_e32 v48, v15, v2
	v_sub_f32_e32 v2, v21, v7
	v_add_f32_e32 v2, v6, v2
	v_add_f32_e32 v6, v20, v48
	v_sub_f32_e32 v21, v7, v6
	v_pk_add_f32 v[66:67], v[6:7], v[20:21] neg_lo:[0,1] neg_hi:[0,1]
	v_mov_b32_e32 v49, v6
	v_pk_add_f32 v[6:7], v[66:67], v[48:49] neg_lo:[0,1] neg_hi:[0,1]
	v_add_f32_e32 v2, v2, v7
	v_add_f32_e32 v2, v6, v2
	;; [unrolled: 1-line block ×4, first 2 shown]
	v_sub_f32_e32 v7, v6, v70
	v_mul_f32_e32 v2, v69, v2
	v_sub_f32_e32 v7, v15, v7
	v_add_f32_e32 v2, v7, v2
	v_add_f32_e32 v15, v6, v2
	v_mul_f32_e32 v21, v15, v15
	v_mov_b32_e32 v20, 0x3ecc95a3
	v_fmac_f32_e32 v20, 0x3e9b6dac, v21
	v_mov_b32_e32 v7, 0x3f2aaada
	v_fmac_f32_e32 v7, v21, v20
	v_cvt_f32_i32_e32 v20, v22
	v_sub_f32_e32 v6, v15, v6
	v_sub_f32_e32 v2, v2, v6
	v_mul_f32_e32 v21, v15, v21
	v_mov_b32_e32 v6, 0x3f317218
	s_mov_b32 s9, 0x3f317218
	v_pk_mul_f32 v[6:7], v[20:21], v[6:7]
	v_fma_f32 v48, v20, s9, -v6
	v_ldexp_f32 v49, v15, 1
	v_fmac_f32_e32 v48, 0xb102e308, v20
	v_pk_add_f32 v[20:21], v[6:7], v[48:49]
	v_sub_f32_e32 v15, v21, v49
	v_ldexp_f32 v2, v2, 1
	v_sub_f32_e32 v15, v7, v15
	v_add_f32_e32 v67, v2, v15
	v_mov_b32_e32 v66, v6
	v_pk_add_f32 v[6:7], v[20:21], v[6:7] neg_lo:[0,1] neg_hi:[0,1]
	v_pk_add_f32 v[68:69], v[20:21], v[66:67]
	v_mov_b32_e32 v7, v69
	v_mov_b32_e32 v49, v20
	v_pk_add_f32 v[70:71], v[48:49], v[6:7] neg_lo:[0,1] neg_hi:[0,1]
	v_pk_add_f32 v[6:7], v[48:49], v[6:7]
	v_mov_b32_e32 v2, v7
	v_pk_add_f32 v[48:49], v[2:3], v[20:21] neg_lo:[0,1] neg_hi:[0,1]
	v_mov_b32_e32 v15, v48
	v_pk_add_f32 v[80:81], v[68:69], v[14:15] neg_lo:[0,1] neg_hi:[0,1]
	v_mov_b32_e32 v6, v69
	v_mov_b32_e32 v68, v21
	v_mov_b32_e32 v69, v48
	v_mov_b32_e32 v71, v7
	v_pk_add_f32 v[6:7], v[6:7], v[68:69] neg_lo:[0,1] neg_hi:[0,1]
	v_mov_b32_e32 v48, v67
	v_mov_b32_e32 v49, v20
	v_pk_add_f32 v[6:7], v[48:49], v[6:7] neg_lo:[0,1] neg_hi:[0,1]
	v_mov_b32_e32 v80, v70
	v_pk_add_f32 v[20:21], v[80:81], v[6:7]
	v_mov_b32_e32 v22, v21
	v_pk_add_f32 v[48:49], v[20:21], v[22:23]
	v_pk_add_f32 v[66:67], v[2:3], v[48:49]
	v_mov_b32_e32 v21, v66
	v_pk_add_f32 v[68:69], v[20:21], v[70:71] neg_lo:[0,1] neg_hi:[0,1]
	v_mov_b32_e32 v7, v48
	v_sub_f32_e32 v2, v20, v68
	v_pk_add_f32 v[6:7], v[6:7], v[68:69] neg_lo:[0,1] neg_hi:[0,1]
	v_sub_f32_e32 v2, v70, v2
	s_mov_b32 s10, 0x7f800000
	v_add_f32_e32 v2, v6, v2
	s_mov_b32 s9, 0x33800000
	v_add_f32_e32 v2, v2, v7
	v_cmp_eq_f32_e32 vcc, s10, v35
	v_cmp_lt_f32_e64 s[10:11], |v35|, s9
	v_add_f32_e32 v2, v66, v2
	s_or_b64 vcc, vcc, s[10:11]
	v_cndmask_b32_e32 v2, v2, v35, vcc
	v_add_f32_e32 v2, v3, v2
	v_cvt_f16_f32_e32 v15, v2
	v_cvt_f32_f16_e32 v2, v15
	v_mov_b32_e32 v35, v15
.LBB401_348:
	s_or_b64 exec, exec, s[6:7]
	v_max_f32_e32 v3, v23, v23
	v_max_f32_e32 v7, v2, v2
	v_min_f32_e32 v6, v7, v3
	v_cmp_u_f16_e32 vcc, v15, v15
	v_max_f32_e32 v3, v7, v3
	v_cndmask_b32_e32 v6, v6, v2, vcc
	v_cndmask_b32_e32 v3, v3, v2, vcc
	v_cndmask_b32_e64 v6, v6, v23, s[20:21]
	v_cndmask_b32_e64 v3, v3, v23, s[20:21]
	v_cmp_neq_f32_e32 vcc, v6, v3
	v_cmp_class_f32_e64 s[6:7], v6, s8
	s_or_b64 s[8:9], vcc, s[6:7]
	v_mov_b32_e32 v49, v35
	s_and_saveexec_b64 s[6:7], s[8:9]
	s_cbranch_execz .LBB401_350
; %bb.349:
	v_sub_f32_e32 v2, v6, v3
	s_mov_b32 s8, 0x3fb8aa3b
	v_mul_f32_e32 v6, 0x3fb8aa3b, v2
	v_fma_f32 v7, v2, s8, -v6
	v_rndne_f32_e32 v15, v6
	v_fmac_f32_e32 v7, 0x32a5705f, v2
	v_sub_f32_e32 v6, v6, v15
	v_add_f32_e32 v6, v6, v7
	v_exp_f32_e32 v6, v6
	v_cvt_i32_f32_e32 v7, v15
	s_mov_b32 s8, 0xc2ce8ed0
	v_cmp_ngt_f32_e32 vcc, s8, v2
	s_mov_b32 s8, 0x42b17218
	v_ldexp_f32 v6, v6, v7
	v_cndmask_b32_e32 v6, 0, v6, vcc
	v_mov_b32_e32 v7, 0x7f800000
	v_cmp_nlt_f32_e32 vcc, s8, v2
	v_cndmask_b32_e32 v80, v7, v6, vcc
	v_add_f32_e32 v2, 1.0, v80
	v_add_f32_e32 v6, -1.0, v2
	v_sub_f32_e32 v7, v6, v2
	v_add_f32_e32 v7, 1.0, v7
	v_sub_f32_e32 v6, v80, v6
	v_add_f32_e32 v15, v6, v7
	v_frexp_mant_f32_e32 v20, v2
	s_mov_b32 s8, 0x3f2aaaab
	v_cvt_f64_f32_e32 v[6:7], v2
	v_frexp_exp_i32_f64_e32 v6, v[6:7]
	v_cmp_gt_f32_e32 vcc, s8, v20
	v_subbrev_co_u32_e32 v66, vcc, 0, v6, vcc
	v_sub_u32_e32 v6, 0, v66
	v_ldexp_f32 v2, v2, v6
	v_ldexp_f32 v6, v15, v6
	v_add_f32_e32 v15, -1.0, v2
	v_add_f32_e32 v7, 1.0, v15
	v_sub_f32_e32 v7, v2, v7
	v_add_f32_e32 v20, v6, v7
	v_add_f32_e32 v7, 1.0, v2
	v_add_f32_e32 v21, -1.0, v7
	v_sub_f32_e32 v2, v2, v21
	v_add_f32_e32 v2, v6, v2
	v_add_f32_e32 v67, v7, v2
	v_rcp_f32_e32 v68, v67
	v_sub_f32_e32 v6, v7, v67
	v_add_f32_e32 v7, v15, v20
	v_add_f32_e32 v2, v2, v6
	v_sub_f32_e32 v6, v15, v7
	v_mul_f32_e32 v69, v7, v68
	v_add_f32_e32 v15, v20, v6
	v_mul_f32_e32 v20, v67, v69
	v_fma_f32 v22, v69, v67, -v20
	v_fmac_f32_e32 v22, v69, v2
	v_add_f32_e32 v6, v20, v22
	v_sub_f32_e32 v21, v7, v6
	v_pk_add_f32 v[48:49], v[6:7], v[20:21] neg_lo:[0,1] neg_hi:[0,1]
	v_mov_b32_e32 v23, v6
	v_pk_add_f32 v[6:7], v[48:49], v[22:23] neg_lo:[0,1] neg_hi:[0,1]
	v_add_f32_e32 v7, v15, v7
	v_add_f32_e32 v6, v6, v7
	;; [unrolled: 1-line block ×3, first 2 shown]
	v_mul_f32_e32 v15, v68, v7
	v_mul_f32_e32 v20, v67, v15
	v_fma_f32 v22, v15, v67, -v20
	v_fmac_f32_e32 v22, v15, v2
	v_sub_f32_e32 v2, v21, v7
	v_add_f32_e32 v2, v6, v2
	v_add_f32_e32 v6, v20, v22
	v_sub_f32_e32 v21, v7, v6
	v_pk_add_f32 v[48:49], v[6:7], v[20:21] neg_lo:[0,1] neg_hi:[0,1]
	v_mov_b32_e32 v23, v6
	v_pk_add_f32 v[6:7], v[48:49], v[22:23] neg_lo:[0,1] neg_hi:[0,1]
	v_add_f32_e32 v2, v2, v7
	v_add_f32_e32 v2, v6, v2
	;; [unrolled: 1-line block ×4, first 2 shown]
	v_sub_f32_e32 v7, v6, v69
	v_mul_f32_e32 v2, v68, v2
	v_sub_f32_e32 v7, v15, v7
	v_add_f32_e32 v2, v7, v2
	v_add_f32_e32 v15, v6, v2
	v_mul_f32_e32 v21, v15, v15
	v_mov_b32_e32 v20, 0x3ecc95a3
	v_fmac_f32_e32 v20, 0x3e9b6dac, v21
	v_mov_b32_e32 v7, 0x3f2aaada
	v_fmac_f32_e32 v7, v21, v20
	v_cvt_f32_i32_e32 v20, v66
	v_sub_f32_e32 v6, v15, v6
	v_sub_f32_e32 v2, v2, v6
	v_mul_f32_e32 v21, v15, v21
	v_mov_b32_e32 v6, 0x3f317218
	s_mov_b32 s8, 0x3f317218
	v_pk_mul_f32 v[6:7], v[20:21], v[6:7]
	v_fma_f32 v22, v20, s8, -v6
	v_ldexp_f32 v23, v15, 1
	v_fmac_f32_e32 v22, 0xb102e308, v20
	v_pk_add_f32 v[20:21], v[6:7], v[22:23]
	v_sub_f32_e32 v15, v21, v23
	v_ldexp_f32 v2, v2, 1
	v_sub_f32_e32 v15, v7, v15
	v_add_f32_e32 v49, v2, v15
	v_mov_b32_e32 v48, v6
	v_pk_add_f32 v[6:7], v[20:21], v[6:7] neg_lo:[0,1] neg_hi:[0,1]
	v_pk_add_f32 v[66:67], v[20:21], v[48:49]
	v_mov_b32_e32 v7, v67
	v_mov_b32_e32 v23, v20
	v_pk_add_f32 v[68:69], v[22:23], v[6:7] neg_lo:[0,1] neg_hi:[0,1]
	v_pk_add_f32 v[6:7], v[22:23], v[6:7]
	v_mov_b32_e32 v2, v7
	v_pk_add_f32 v[22:23], v[2:3], v[20:21] neg_lo:[0,1] neg_hi:[0,1]
	v_mov_b32_e32 v15, v22
	v_pk_add_f32 v[70:71], v[66:67], v[14:15] neg_lo:[0,1] neg_hi:[0,1]
	v_mov_b32_e32 v6, v67
	v_mov_b32_e32 v66, v21
	;; [unrolled: 1-line block ×4, first 2 shown]
	v_pk_add_f32 v[6:7], v[6:7], v[66:67] neg_lo:[0,1] neg_hi:[0,1]
	v_mov_b32_e32 v22, v49
	v_mov_b32_e32 v23, v20
	v_pk_add_f32 v[6:7], v[22:23], v[6:7] neg_lo:[0,1] neg_hi:[0,1]
	v_mov_b32_e32 v70, v68
	v_pk_add_f32 v[20:21], v[70:71], v[6:7]
	v_mov_b32_e32 v22, v21
	v_pk_add_f32 v[22:23], v[20:21], v[22:23]
	v_pk_add_f32 v[48:49], v[2:3], v[22:23]
	v_mov_b32_e32 v21, v48
	v_pk_add_f32 v[66:67], v[20:21], v[68:69] neg_lo:[0,1] neg_hi:[0,1]
	v_mov_b32_e32 v7, v22
	v_sub_f32_e32 v2, v20, v66
	v_pk_add_f32 v[6:7], v[6:7], v[66:67] neg_lo:[0,1] neg_hi:[0,1]
	v_sub_f32_e32 v2, v68, v2
	s_mov_b32 s9, 0x7f800000
	v_add_f32_e32 v2, v6, v2
	s_mov_b32 s8, 0x33800000
	v_add_f32_e32 v2, v2, v7
	v_cmp_eq_f32_e32 vcc, s9, v80
	v_cmp_lt_f32_e64 s[8:9], |v80|, s8
	v_add_f32_e32 v2, v48, v2
	s_or_b64 vcc, vcc, s[8:9]
	v_cndmask_b32_e32 v2, v2, v80, vcc
	v_add_f32_e32 v2, v3, v2
	v_cvt_f16_f32_e32 v15, v2
	v_cvt_f32_f16_e32 v2, v15
	v_mov_b32_e32 v49, v15
.LBB401_350:
	s_or_b64 exec, exec, s[6:7]
	v_max_f32_e32 v3, v50, v50
	v_max_f32_e32 v7, v2, v2
	v_min_f32_e32 v6, v7, v3
	v_cmp_u_f16_e32 vcc, v15, v15
	v_max_f32_e32 v3, v7, v3
	v_cndmask_b32_e32 v6, v6, v2, vcc
	v_cndmask_b32_e32 v3, v3, v2, vcc
	v_cndmask_b32_e64 v6, v6, v50, s[22:23]
	v_cndmask_b32_e64 v3, v3, v50, s[22:23]
	s_movk_i32 s8, 0x1f8
	v_cmp_neq_f32_e32 vcc, v6, v3
	v_cmp_class_f32_e64 s[6:7], v6, s8
	s_or_b64 s[10:11], vcc, s[6:7]
	v_mov_b32_e32 v50, v49
	s_and_saveexec_b64 s[6:7], s[10:11]
	s_cbranch_execz .LBB401_352
; %bb.351:
	v_sub_f32_e32 v2, v6, v3
	s_mov_b32 s9, 0x3fb8aa3b
	v_mul_f32_e32 v6, 0x3fb8aa3b, v2
	v_fma_f32 v7, v2, s9, -v6
	v_rndne_f32_e32 v15, v6
	v_fmac_f32_e32 v7, 0x32a5705f, v2
	v_sub_f32_e32 v6, v6, v15
	v_add_f32_e32 v6, v6, v7
	v_exp_f32_e32 v6, v6
	v_cvt_i32_f32_e32 v7, v15
	s_mov_b32 s9, 0xc2ce8ed0
	v_cmp_ngt_f32_e32 vcc, s9, v2
	s_mov_b32 s9, 0x42b17218
	v_ldexp_f32 v6, v6, v7
	v_cndmask_b32_e32 v6, 0, v6, vcc
	v_mov_b32_e32 v7, 0x7f800000
	v_cmp_nlt_f32_e32 vcc, s9, v2
	v_cndmask_b32_e32 v48, v7, v6, vcc
	v_add_f32_e32 v2, 1.0, v48
	v_add_f32_e32 v6, -1.0, v2
	v_sub_f32_e32 v7, v6, v2
	v_add_f32_e32 v7, 1.0, v7
	v_sub_f32_e32 v6, v48, v6
	v_add_f32_e32 v15, v6, v7
	v_frexp_mant_f32_e32 v20, v2
	s_mov_b32 s9, 0x3f2aaaab
	v_cvt_f64_f32_e32 v[6:7], v2
	v_frexp_exp_i32_f64_e32 v6, v[6:7]
	v_cmp_gt_f32_e32 vcc, s9, v20
	v_subbrev_co_u32_e32 v50, vcc, 0, v6, vcc
	v_sub_u32_e32 v6, 0, v50
	v_ldexp_f32 v2, v2, v6
	v_ldexp_f32 v6, v15, v6
	v_add_f32_e32 v15, -1.0, v2
	v_add_f32_e32 v7, 1.0, v15
	v_sub_f32_e32 v7, v2, v7
	v_add_f32_e32 v20, v6, v7
	v_add_f32_e32 v7, 1.0, v2
	v_add_f32_e32 v21, -1.0, v7
	v_sub_f32_e32 v2, v2, v21
	v_add_f32_e32 v2, v6, v2
	v_add_f32_e32 v68, v7, v2
	v_rcp_f32_e32 v69, v68
	v_sub_f32_e32 v6, v7, v68
	v_add_f32_e32 v7, v15, v20
	v_add_f32_e32 v2, v2, v6
	v_sub_f32_e32 v6, v15, v7
	v_mul_f32_e32 v70, v7, v69
	v_add_f32_e32 v15, v20, v6
	v_mul_f32_e32 v20, v68, v70
	v_fma_f32 v22, v70, v68, -v20
	v_fmac_f32_e32 v22, v70, v2
	v_add_f32_e32 v6, v20, v22
	v_sub_f32_e32 v21, v7, v6
	v_pk_add_f32 v[66:67], v[6:7], v[20:21] neg_lo:[0,1] neg_hi:[0,1]
	v_mov_b32_e32 v23, v6
	v_pk_add_f32 v[6:7], v[66:67], v[22:23] neg_lo:[0,1] neg_hi:[0,1]
	v_add_f32_e32 v7, v15, v7
	v_add_f32_e32 v6, v6, v7
	;; [unrolled: 1-line block ×3, first 2 shown]
	v_mul_f32_e32 v15, v69, v7
	v_mul_f32_e32 v20, v68, v15
	v_fma_f32 v22, v15, v68, -v20
	v_fmac_f32_e32 v22, v15, v2
	v_sub_f32_e32 v2, v21, v7
	v_add_f32_e32 v2, v6, v2
	v_add_f32_e32 v6, v20, v22
	v_sub_f32_e32 v21, v7, v6
	v_pk_add_f32 v[66:67], v[6:7], v[20:21] neg_lo:[0,1] neg_hi:[0,1]
	v_mov_b32_e32 v23, v6
	v_pk_add_f32 v[6:7], v[66:67], v[22:23] neg_lo:[0,1] neg_hi:[0,1]
	v_add_f32_e32 v2, v2, v7
	v_add_f32_e32 v2, v6, v2
	;; [unrolled: 1-line block ×4, first 2 shown]
	v_sub_f32_e32 v7, v6, v70
	v_mul_f32_e32 v2, v69, v2
	v_sub_f32_e32 v7, v15, v7
	v_add_f32_e32 v2, v7, v2
	v_add_f32_e32 v15, v6, v2
	v_mul_f32_e32 v21, v15, v15
	v_mov_b32_e32 v20, 0x3ecc95a3
	v_fmac_f32_e32 v20, 0x3e9b6dac, v21
	v_mov_b32_e32 v7, 0x3f2aaada
	v_fmac_f32_e32 v7, v21, v20
	v_cvt_f32_i32_e32 v20, v50
	v_sub_f32_e32 v6, v15, v6
	v_sub_f32_e32 v2, v2, v6
	v_mul_f32_e32 v21, v15, v21
	v_mov_b32_e32 v6, 0x3f317218
	s_mov_b32 s9, 0x3f317218
	v_pk_mul_f32 v[6:7], v[20:21], v[6:7]
	v_fma_f32 v22, v20, s9, -v6
	v_ldexp_f32 v23, v15, 1
	v_fmac_f32_e32 v22, 0xb102e308, v20
	v_pk_add_f32 v[20:21], v[6:7], v[22:23]
	v_sub_f32_e32 v15, v21, v23
	v_ldexp_f32 v2, v2, 1
	v_sub_f32_e32 v15, v7, v15
	v_add_f32_e32 v67, v2, v15
	v_mov_b32_e32 v66, v6
	v_pk_add_f32 v[6:7], v[20:21], v[6:7] neg_lo:[0,1] neg_hi:[0,1]
	v_pk_add_f32 v[68:69], v[20:21], v[66:67]
	v_mov_b32_e32 v7, v69
	v_mov_b32_e32 v23, v20
	v_pk_add_f32 v[70:71], v[22:23], v[6:7] neg_lo:[0,1] neg_hi:[0,1]
	v_pk_add_f32 v[6:7], v[22:23], v[6:7]
	v_mov_b32_e32 v2, v7
	v_pk_add_f32 v[22:23], v[2:3], v[20:21] neg_lo:[0,1] neg_hi:[0,1]
	v_mov_b32_e32 v15, v22
	v_pk_add_f32 v[80:81], v[68:69], v[14:15] neg_lo:[0,1] neg_hi:[0,1]
	v_mov_b32_e32 v6, v69
	v_mov_b32_e32 v68, v21
	v_mov_b32_e32 v69, v22
	v_mov_b32_e32 v71, v7
	v_pk_add_f32 v[6:7], v[6:7], v[68:69] neg_lo:[0,1] neg_hi:[0,1]
	v_mov_b32_e32 v22, v67
	v_mov_b32_e32 v23, v20
	v_pk_add_f32 v[6:7], v[22:23], v[6:7] neg_lo:[0,1] neg_hi:[0,1]
	v_mov_b32_e32 v80, v70
	v_pk_add_f32 v[20:21], v[80:81], v[6:7]
	v_mov_b32_e32 v22, v21
	v_pk_add_f32 v[22:23], v[20:21], v[22:23]
	v_pk_add_f32 v[66:67], v[2:3], v[22:23]
	v_mov_b32_e32 v21, v66
	v_pk_add_f32 v[68:69], v[20:21], v[70:71] neg_lo:[0,1] neg_hi:[0,1]
	v_mov_b32_e32 v7, v22
	v_sub_f32_e32 v2, v20, v68
	v_pk_add_f32 v[6:7], v[6:7], v[68:69] neg_lo:[0,1] neg_hi:[0,1]
	v_sub_f32_e32 v2, v70, v2
	s_mov_b32 s10, 0x7f800000
	v_add_f32_e32 v2, v6, v2
	s_mov_b32 s9, 0x33800000
	v_add_f32_e32 v2, v2, v7
	v_cmp_eq_f32_e32 vcc, s10, v48
	v_cmp_lt_f32_e64 s[10:11], |v48|, s9
	v_add_f32_e32 v2, v66, v2
	s_or_b64 vcc, vcc, s[10:11]
	v_cndmask_b32_e32 v2, v2, v48, vcc
	v_add_f32_e32 v2, v3, v2
	v_cvt_f16_f32_e32 v15, v2
	v_cvt_f32_f16_e32 v2, v15
	v_mov_b32_e32 v50, v15
.LBB401_352:
	s_or_b64 exec, exec, s[6:7]
	v_max_f32_e32 v3, v16, v16
	v_max_f32_e32 v7, v2, v2
	v_min_f32_e32 v6, v7, v3
	v_cmp_u_f16_e32 vcc, v15, v15
	v_max_f32_e32 v3, v7, v3
	v_cndmask_b32_e32 v6, v6, v2, vcc
	v_cndmask_b32_e32 v3, v3, v2, vcc
	v_cndmask_b32_e64 v6, v6, v16, s[24:25]
	v_cndmask_b32_e64 v3, v3, v16, s[24:25]
	v_cmp_neq_f32_e32 vcc, v6, v3
	v_cmp_class_f32_e64 s[6:7], v6, s8
	s_or_b64 s[8:9], vcc, s[6:7]
	v_mov_b32_e32 v87, v50
	s_and_saveexec_b64 s[6:7], s[8:9]
	s_cbranch_execz .LBB401_354
; %bb.353:
	v_sub_f32_e32 v2, v6, v3
	s_mov_b32 s8, 0x3fb8aa3b
	v_mul_f32_e32 v6, 0x3fb8aa3b, v2
	v_fma_f32 v7, v2, s8, -v6
	v_rndne_f32_e32 v15, v6
	v_fmac_f32_e32 v7, 0x32a5705f, v2
	v_sub_f32_e32 v6, v6, v15
	v_add_f32_e32 v6, v6, v7
	v_exp_f32_e32 v6, v6
	v_cvt_i32_f32_e32 v7, v15
	s_mov_b32 s8, 0xc2ce8ed0
	v_cmp_ngt_f32_e32 vcc, s8, v2
	s_mov_b32 s8, 0x42b17218
	v_ldexp_f32 v6, v6, v7
	v_cndmask_b32_e32 v6, 0, v6, vcc
	v_mov_b32_e32 v7, 0x7f800000
	v_cmp_nlt_f32_e32 vcc, s8, v2
	v_cndmask_b32_e32 v48, v7, v6, vcc
	v_add_f32_e32 v2, 1.0, v48
	v_add_f32_e32 v6, -1.0, v2
	v_sub_f32_e32 v7, v6, v2
	v_add_f32_e32 v7, 1.0, v7
	v_sub_f32_e32 v6, v48, v6
	v_add_f32_e32 v15, v6, v7
	v_frexp_mant_f32_e32 v16, v2
	s_mov_b32 s8, 0x3f2aaaab
	v_cvt_f64_f32_e32 v[6:7], v2
	v_frexp_exp_i32_f64_e32 v6, v[6:7]
	v_cmp_gt_f32_e32 vcc, s8, v16
	v_subbrev_co_u32_e32 v16, vcc, 0, v6, vcc
	v_sub_u32_e32 v6, 0, v16
	v_ldexp_f32 v2, v2, v6
	v_ldexp_f32 v6, v15, v6
	v_add_f32_e32 v15, -1.0, v2
	v_add_f32_e32 v7, 1.0, v15
	v_sub_f32_e32 v7, v2, v7
	v_add_f32_e32 v20, v6, v7
	v_add_f32_e32 v7, 1.0, v2
	v_add_f32_e32 v21, -1.0, v7
	v_sub_f32_e32 v2, v2, v21
	v_add_f32_e32 v2, v6, v2
	v_add_f32_e32 v68, v7, v2
	v_rcp_f32_e32 v69, v68
	v_sub_f32_e32 v6, v7, v68
	v_add_f32_e32 v7, v15, v20
	v_add_f32_e32 v2, v2, v6
	v_sub_f32_e32 v6, v15, v7
	v_mul_f32_e32 v70, v7, v69
	v_add_f32_e32 v15, v20, v6
	v_mul_f32_e32 v20, v68, v70
	v_fma_f32 v22, v70, v68, -v20
	v_fmac_f32_e32 v22, v70, v2
	v_add_f32_e32 v6, v20, v22
	v_sub_f32_e32 v21, v7, v6
	v_pk_add_f32 v[66:67], v[6:7], v[20:21] neg_lo:[0,1] neg_hi:[0,1]
	v_mov_b32_e32 v23, v6
	v_pk_add_f32 v[6:7], v[66:67], v[22:23] neg_lo:[0,1] neg_hi:[0,1]
	v_add_f32_e32 v7, v15, v7
	v_add_f32_e32 v6, v6, v7
	;; [unrolled: 1-line block ×3, first 2 shown]
	v_mul_f32_e32 v15, v69, v7
	v_mul_f32_e32 v20, v68, v15
	v_fma_f32 v22, v15, v68, -v20
	v_fmac_f32_e32 v22, v15, v2
	v_sub_f32_e32 v2, v21, v7
	v_add_f32_e32 v2, v6, v2
	v_add_f32_e32 v6, v20, v22
	v_sub_f32_e32 v21, v7, v6
	v_pk_add_f32 v[66:67], v[6:7], v[20:21] neg_lo:[0,1] neg_hi:[0,1]
	v_mov_b32_e32 v23, v6
	v_pk_add_f32 v[6:7], v[66:67], v[22:23] neg_lo:[0,1] neg_hi:[0,1]
	v_add_f32_e32 v2, v2, v7
	v_add_f32_e32 v2, v6, v2
	;; [unrolled: 1-line block ×4, first 2 shown]
	v_sub_f32_e32 v7, v6, v70
	v_mul_f32_e32 v2, v69, v2
	v_sub_f32_e32 v7, v15, v7
	v_add_f32_e32 v2, v7, v2
	v_add_f32_e32 v15, v6, v2
	v_mul_f32_e32 v21, v15, v15
	v_mov_b32_e32 v20, 0x3ecc95a3
	v_fmac_f32_e32 v20, 0x3e9b6dac, v21
	v_mov_b32_e32 v7, 0x3f2aaada
	v_fmac_f32_e32 v7, v21, v20
	v_cvt_f32_i32_e32 v20, v16
	v_sub_f32_e32 v6, v15, v6
	v_sub_f32_e32 v2, v2, v6
	v_mul_f32_e32 v21, v15, v21
	v_mov_b32_e32 v6, 0x3f317218
	s_mov_b32 s8, 0x3f317218
	v_pk_mul_f32 v[6:7], v[20:21], v[6:7]
	v_fma_f32 v22, v20, s8, -v6
	v_ldexp_f32 v23, v15, 1
	v_fmac_f32_e32 v22, 0xb102e308, v20
	v_pk_add_f32 v[20:21], v[6:7], v[22:23]
	v_sub_f32_e32 v15, v21, v23
	v_ldexp_f32 v2, v2, 1
	v_sub_f32_e32 v15, v7, v15
	v_add_f32_e32 v67, v2, v15
	v_mov_b32_e32 v66, v6
	v_pk_add_f32 v[6:7], v[20:21], v[6:7] neg_lo:[0,1] neg_hi:[0,1]
	v_pk_add_f32 v[68:69], v[20:21], v[66:67]
	v_mov_b32_e32 v7, v69
	v_mov_b32_e32 v23, v20
	v_pk_add_f32 v[70:71], v[22:23], v[6:7] neg_lo:[0,1] neg_hi:[0,1]
	v_pk_add_f32 v[6:7], v[22:23], v[6:7]
	v_mov_b32_e32 v2, v7
	v_pk_add_f32 v[22:23], v[2:3], v[20:21] neg_lo:[0,1] neg_hi:[0,1]
	v_mov_b32_e32 v15, v22
	v_pk_add_f32 v[80:81], v[68:69], v[14:15] neg_lo:[0,1] neg_hi:[0,1]
	v_mov_b32_e32 v6, v69
	v_mov_b32_e32 v68, v21
	v_mov_b32_e32 v69, v22
	v_mov_b32_e32 v71, v7
	v_pk_add_f32 v[6:7], v[6:7], v[68:69] neg_lo:[0,1] neg_hi:[0,1]
	v_mov_b32_e32 v22, v67
	v_mov_b32_e32 v23, v20
	v_pk_add_f32 v[6:7], v[22:23], v[6:7] neg_lo:[0,1] neg_hi:[0,1]
	v_mov_b32_e32 v80, v70
	v_pk_add_f32 v[20:21], v[80:81], v[6:7]
	v_mov_b32_e32 v16, v21
	v_pk_add_f32 v[22:23], v[20:21], v[16:17]
	v_pk_add_f32 v[66:67], v[2:3], v[22:23]
	v_mov_b32_e32 v21, v66
	v_pk_add_f32 v[68:69], v[20:21], v[70:71] neg_lo:[0,1] neg_hi:[0,1]
	v_mov_b32_e32 v7, v22
	v_sub_f32_e32 v2, v20, v68
	v_pk_add_f32 v[6:7], v[6:7], v[68:69] neg_lo:[0,1] neg_hi:[0,1]
	v_sub_f32_e32 v2, v70, v2
	s_mov_b32 s9, 0x7f800000
	v_add_f32_e32 v2, v6, v2
	s_mov_b32 s8, 0x33800000
	v_add_f32_e32 v2, v2, v7
	v_cmp_eq_f32_e32 vcc, s9, v48
	v_cmp_lt_f32_e64 s[8:9], |v48|, s8
	v_add_f32_e32 v2, v66, v2
	s_or_b64 vcc, vcc, s[8:9]
	v_cndmask_b32_e32 v2, v2, v48, vcc
	v_add_f32_e32 v2, v3, v2
	v_cvt_f16_f32_e32 v15, v2
	v_cvt_f32_f16_e32 v2, v15
	v_mov_b32_e32 v87, v15
.LBB401_354:
	s_or_b64 exec, exec, s[6:7]
	v_max_f32_e32 v3, v51, v51
	v_max_f32_e32 v7, v2, v2
	v_min_f32_e32 v6, v7, v3
	v_cmp_u_f16_e32 vcc, v15, v15
	v_max_f32_e32 v3, v7, v3
	v_cndmask_b32_e32 v6, v6, v2, vcc
	v_cndmask_b32_e32 v3, v3, v2, vcc
	v_cndmask_b32_e64 v6, v6, v51, s[26:27]
	v_cndmask_b32_e64 v3, v3, v51, s[26:27]
	s_movk_i32 s8, 0x1f8
	v_cmp_neq_f32_e32 vcc, v6, v3
	v_cmp_class_f32_e64 s[6:7], v6, s8
	s_or_b64 s[10:11], vcc, s[6:7]
	v_mov_b32_e32 v51, v87
	s_and_saveexec_b64 s[6:7], s[10:11]
	s_cbranch_execz .LBB401_356
; %bb.355:
	v_sub_f32_e32 v2, v6, v3
	s_mov_b32 s9, 0x3fb8aa3b
	v_mul_f32_e32 v6, 0x3fb8aa3b, v2
	v_fma_f32 v7, v2, s9, -v6
	v_rndne_f32_e32 v15, v6
	v_fmac_f32_e32 v7, 0x32a5705f, v2
	v_sub_f32_e32 v6, v6, v15
	v_add_f32_e32 v6, v6, v7
	v_exp_f32_e32 v6, v6
	v_cvt_i32_f32_e32 v7, v15
	s_mov_b32 s9, 0xc2ce8ed0
	v_cmp_ngt_f32_e32 vcc, s9, v2
	s_mov_b32 s9, 0x42b17218
	v_ldexp_f32 v6, v6, v7
	v_cndmask_b32_e32 v6, 0, v6, vcc
	v_mov_b32_e32 v7, 0x7f800000
	v_cmp_nlt_f32_e32 vcc, s9, v2
	v_cndmask_b32_e32 v48, v7, v6, vcc
	v_add_f32_e32 v2, 1.0, v48
	v_add_f32_e32 v6, -1.0, v2
	v_sub_f32_e32 v7, v6, v2
	v_add_f32_e32 v7, 1.0, v7
	v_sub_f32_e32 v6, v48, v6
	v_add_f32_e32 v15, v6, v7
	v_frexp_mant_f32_e32 v16, v2
	s_mov_b32 s9, 0x3f2aaaab
	v_cvt_f64_f32_e32 v[6:7], v2
	v_frexp_exp_i32_f64_e32 v6, v[6:7]
	v_cmp_gt_f32_e32 vcc, s9, v16
	v_subbrev_co_u32_e32 v16, vcc, 0, v6, vcc
	v_sub_u32_e32 v6, 0, v16
	v_ldexp_f32 v2, v2, v6
	v_ldexp_f32 v6, v15, v6
	v_add_f32_e32 v15, -1.0, v2
	v_add_f32_e32 v7, 1.0, v15
	v_sub_f32_e32 v7, v2, v7
	v_add_f32_e32 v20, v6, v7
	v_add_f32_e32 v7, 1.0, v2
	v_add_f32_e32 v21, -1.0, v7
	v_sub_f32_e32 v2, v2, v21
	v_add_f32_e32 v2, v6, v2
	v_add_f32_e32 v51, v7, v2
	v_rcp_f32_e32 v68, v51
	v_sub_f32_e32 v6, v7, v51
	v_add_f32_e32 v7, v15, v20
	v_add_f32_e32 v2, v2, v6
	v_sub_f32_e32 v6, v15, v7
	v_mul_f32_e32 v69, v7, v68
	v_add_f32_e32 v15, v20, v6
	v_mul_f32_e32 v20, v51, v69
	v_fma_f32 v22, v69, v51, -v20
	v_fmac_f32_e32 v22, v69, v2
	v_add_f32_e32 v6, v20, v22
	v_sub_f32_e32 v21, v7, v6
	v_pk_add_f32 v[66:67], v[6:7], v[20:21] neg_lo:[0,1] neg_hi:[0,1]
	v_mov_b32_e32 v23, v6
	v_pk_add_f32 v[6:7], v[66:67], v[22:23] neg_lo:[0,1] neg_hi:[0,1]
	v_add_f32_e32 v7, v15, v7
	v_add_f32_e32 v6, v6, v7
	;; [unrolled: 1-line block ×3, first 2 shown]
	v_mul_f32_e32 v15, v68, v7
	v_mul_f32_e32 v20, v51, v15
	v_fma_f32 v22, v15, v51, -v20
	v_fmac_f32_e32 v22, v15, v2
	v_sub_f32_e32 v2, v21, v7
	v_add_f32_e32 v2, v6, v2
	v_add_f32_e32 v6, v20, v22
	v_sub_f32_e32 v21, v7, v6
	v_pk_add_f32 v[66:67], v[6:7], v[20:21] neg_lo:[0,1] neg_hi:[0,1]
	v_mov_b32_e32 v23, v6
	v_pk_add_f32 v[6:7], v[66:67], v[22:23] neg_lo:[0,1] neg_hi:[0,1]
	v_add_f32_e32 v2, v2, v7
	v_add_f32_e32 v2, v6, v2
	;; [unrolled: 1-line block ×4, first 2 shown]
	v_sub_f32_e32 v7, v6, v69
	v_mul_f32_e32 v2, v68, v2
	v_sub_f32_e32 v7, v15, v7
	v_add_f32_e32 v2, v7, v2
	v_add_f32_e32 v15, v6, v2
	v_mul_f32_e32 v21, v15, v15
	v_mov_b32_e32 v20, 0x3ecc95a3
	v_fmac_f32_e32 v20, 0x3e9b6dac, v21
	v_mov_b32_e32 v7, 0x3f2aaada
	v_fmac_f32_e32 v7, v21, v20
	v_cvt_f32_i32_e32 v20, v16
	v_sub_f32_e32 v6, v15, v6
	v_sub_f32_e32 v2, v2, v6
	v_mul_f32_e32 v21, v15, v21
	v_mov_b32_e32 v6, 0x3f317218
	s_mov_b32 s9, 0x3f317218
	v_pk_mul_f32 v[6:7], v[20:21], v[6:7]
	v_fma_f32 v22, v20, s9, -v6
	v_ldexp_f32 v23, v15, 1
	v_fmac_f32_e32 v22, 0xb102e308, v20
	v_pk_add_f32 v[20:21], v[6:7], v[22:23]
	v_sub_f32_e32 v15, v21, v23
	v_ldexp_f32 v2, v2, 1
	v_sub_f32_e32 v15, v7, v15
	v_add_f32_e32 v67, v2, v15
	v_mov_b32_e32 v66, v6
	v_pk_add_f32 v[6:7], v[20:21], v[6:7] neg_lo:[0,1] neg_hi:[0,1]
	v_pk_add_f32 v[68:69], v[20:21], v[66:67]
	v_mov_b32_e32 v7, v69
	v_mov_b32_e32 v23, v20
	v_pk_add_f32 v[70:71], v[22:23], v[6:7] neg_lo:[0,1] neg_hi:[0,1]
	v_pk_add_f32 v[6:7], v[22:23], v[6:7]
	v_mov_b32_e32 v2, v7
	v_pk_add_f32 v[22:23], v[2:3], v[20:21] neg_lo:[0,1] neg_hi:[0,1]
	v_mov_b32_e32 v15, v22
	v_pk_add_f32 v[80:81], v[68:69], v[14:15] neg_lo:[0,1] neg_hi:[0,1]
	v_mov_b32_e32 v6, v69
	v_mov_b32_e32 v68, v21
	;; [unrolled: 1-line block ×4, first 2 shown]
	v_pk_add_f32 v[6:7], v[6:7], v[68:69] neg_lo:[0,1] neg_hi:[0,1]
	v_mov_b32_e32 v22, v67
	v_mov_b32_e32 v23, v20
	v_pk_add_f32 v[6:7], v[22:23], v[6:7] neg_lo:[0,1] neg_hi:[0,1]
	v_mov_b32_e32 v80, v70
	v_pk_add_f32 v[20:21], v[80:81], v[6:7]
	v_mov_b32_e32 v16, v21
	v_pk_add_f32 v[22:23], v[20:21], v[16:17]
	v_pk_add_f32 v[66:67], v[2:3], v[22:23]
	v_mov_b32_e32 v21, v66
	v_pk_add_f32 v[68:69], v[20:21], v[70:71] neg_lo:[0,1] neg_hi:[0,1]
	v_mov_b32_e32 v7, v22
	v_sub_f32_e32 v2, v20, v68
	v_pk_add_f32 v[6:7], v[6:7], v[68:69] neg_lo:[0,1] neg_hi:[0,1]
	v_sub_f32_e32 v2, v70, v2
	s_mov_b32 s10, 0x7f800000
	v_add_f32_e32 v2, v6, v2
	s_mov_b32 s9, 0x33800000
	v_add_f32_e32 v2, v2, v7
	v_cmp_eq_f32_e32 vcc, s10, v48
	v_cmp_lt_f32_e64 s[10:11], |v48|, s9
	v_add_f32_e32 v2, v66, v2
	s_or_b64 vcc, vcc, s[10:11]
	v_cndmask_b32_e32 v2, v2, v48, vcc
	v_add_f32_e32 v2, v3, v2
	v_cvt_f16_f32_e32 v15, v2
	v_cvt_f32_f16_e32 v2, v15
	v_mov_b32_e32 v51, v15
.LBB401_356:
	s_or_b64 exec, exec, s[6:7]
	v_max_f32_e32 v3, v17, v17
	v_max_f32_e32 v7, v2, v2
	v_min_f32_e32 v6, v7, v3
	v_cmp_u_f16_e32 vcc, v15, v15
	v_max_f32_e32 v3, v7, v3
	v_cndmask_b32_e32 v6, v6, v2, vcc
	v_cndmask_b32_e32 v3, v3, v2, vcc
	v_cndmask_b32_e64 v6, v6, v17, s[28:29]
	v_cndmask_b32_e64 v3, v3, v17, s[28:29]
	v_cmp_neq_f32_e32 vcc, v6, v3
	v_cmp_class_f32_e64 s[6:7], v6, s8
	s_or_b64 s[8:9], vcc, s[6:7]
	v_mov_b32_e32 v66, v51
	s_and_saveexec_b64 s[6:7], s[8:9]
	s_cbranch_execz .LBB401_358
; %bb.357:
	v_sub_f32_e32 v2, v6, v3
	s_mov_b32 s8, 0x3fb8aa3b
	v_mul_f32_e32 v6, 0x3fb8aa3b, v2
	v_fma_f32 v7, v2, s8, -v6
	v_rndne_f32_e32 v15, v6
	v_fmac_f32_e32 v7, 0x32a5705f, v2
	v_sub_f32_e32 v6, v6, v15
	v_add_f32_e32 v6, v6, v7
	v_exp_f32_e32 v6, v6
	v_cvt_i32_f32_e32 v7, v15
	s_mov_b32 s8, 0xc2ce8ed0
	v_cmp_ngt_f32_e32 vcc, s8, v2
	s_mov_b32 s8, 0x42b17218
	v_ldexp_f32 v6, v6, v7
	v_cndmask_b32_e32 v6, 0, v6, vcc
	v_mov_b32_e32 v7, 0x7f800000
	v_cmp_nlt_f32_e32 vcc, s8, v2
	v_cndmask_b32_e32 v48, v7, v6, vcc
	v_add_f32_e32 v2, 1.0, v48
	v_add_f32_e32 v6, -1.0, v2
	v_sub_f32_e32 v7, v6, v2
	v_add_f32_e32 v7, 1.0, v7
	v_sub_f32_e32 v6, v48, v6
	v_add_f32_e32 v15, v6, v7
	v_frexp_mant_f32_e32 v16, v2
	s_mov_b32 s8, 0x3f2aaaab
	v_cvt_f64_f32_e32 v[6:7], v2
	v_frexp_exp_i32_f64_e32 v6, v[6:7]
	v_cmp_gt_f32_e32 vcc, s8, v16
	v_subbrev_co_u32_e32 v66, vcc, 0, v6, vcc
	v_sub_u32_e32 v6, 0, v66
	v_ldexp_f32 v2, v2, v6
	v_ldexp_f32 v6, v15, v6
	v_add_f32_e32 v15, -1.0, v2
	v_add_f32_e32 v7, 1.0, v15
	v_sub_f32_e32 v7, v2, v7
	v_add_f32_e32 v16, v6, v7
	v_add_f32_e32 v7, 1.0, v2
	v_add_f32_e32 v17, -1.0, v7
	v_sub_f32_e32 v2, v2, v17
	v_add_f32_e32 v2, v6, v2
	v_add_f32_e32 v67, v7, v2
	v_rcp_f32_e32 v68, v67
	v_sub_f32_e32 v6, v7, v67
	v_add_f32_e32 v7, v15, v16
	v_add_f32_e32 v2, v2, v6
	v_sub_f32_e32 v6, v15, v7
	v_mul_f32_e32 v69, v7, v68
	v_add_f32_e32 v15, v16, v6
	v_mul_f32_e32 v16, v67, v69
	v_fma_f32 v20, v69, v67, -v16
	v_fmac_f32_e32 v20, v69, v2
	v_add_f32_e32 v6, v16, v20
	v_sub_f32_e32 v17, v7, v6
	v_pk_add_f32 v[22:23], v[6:7], v[16:17] neg_lo:[0,1] neg_hi:[0,1]
	v_mov_b32_e32 v21, v6
	v_pk_add_f32 v[6:7], v[22:23], v[20:21] neg_lo:[0,1] neg_hi:[0,1]
	v_add_f32_e32 v7, v15, v7
	v_add_f32_e32 v6, v6, v7
	;; [unrolled: 1-line block ×3, first 2 shown]
	v_mul_f32_e32 v15, v68, v7
	v_mul_f32_e32 v16, v67, v15
	v_fma_f32 v20, v15, v67, -v16
	v_fmac_f32_e32 v20, v15, v2
	v_sub_f32_e32 v2, v17, v7
	v_add_f32_e32 v2, v6, v2
	v_add_f32_e32 v6, v16, v20
	v_sub_f32_e32 v17, v7, v6
	v_pk_add_f32 v[22:23], v[6:7], v[16:17] neg_lo:[0,1] neg_hi:[0,1]
	v_mov_b32_e32 v21, v6
	v_pk_add_f32 v[6:7], v[22:23], v[20:21] neg_lo:[0,1] neg_hi:[0,1]
	v_add_f32_e32 v2, v2, v7
	v_add_f32_e32 v2, v6, v2
	v_add_f32_e32 v6, v69, v15
	v_add_f32_e32 v2, v17, v2
	v_sub_f32_e32 v7, v6, v69
	v_mul_f32_e32 v2, v68, v2
	v_sub_f32_e32 v7, v15, v7
	v_add_f32_e32 v2, v7, v2
	v_add_f32_e32 v15, v6, v2
	v_mul_f32_e32 v17, v15, v15
	v_mov_b32_e32 v16, 0x3ecc95a3
	v_fmac_f32_e32 v16, 0x3e9b6dac, v17
	v_mov_b32_e32 v7, 0x3f2aaada
	v_fmac_f32_e32 v7, v17, v16
	v_cvt_f32_i32_e32 v16, v66
	v_sub_f32_e32 v6, v15, v6
	v_sub_f32_e32 v2, v2, v6
	v_mul_f32_e32 v17, v15, v17
	v_mov_b32_e32 v6, 0x3f317218
	s_mov_b32 s8, 0x3f317218
	v_pk_mul_f32 v[6:7], v[16:17], v[6:7]
	v_fma_f32 v20, v16, s8, -v6
	v_ldexp_f32 v21, v15, 1
	v_fmac_f32_e32 v20, 0xb102e308, v16
	v_pk_add_f32 v[16:17], v[6:7], v[20:21]
	v_sub_f32_e32 v15, v17, v21
	v_ldexp_f32 v2, v2, 1
	v_sub_f32_e32 v15, v7, v15
	v_add_f32_e32 v23, v2, v15
	v_mov_b32_e32 v22, v6
	v_pk_add_f32 v[6:7], v[16:17], v[6:7] neg_lo:[0,1] neg_hi:[0,1]
	v_pk_add_f32 v[66:67], v[16:17], v[22:23]
	v_mov_b32_e32 v7, v67
	v_mov_b32_e32 v21, v16
	v_pk_add_f32 v[68:69], v[20:21], v[6:7] neg_lo:[0,1] neg_hi:[0,1]
	v_pk_add_f32 v[6:7], v[20:21], v[6:7]
	v_mov_b32_e32 v2, v7
	v_pk_add_f32 v[20:21], v[2:3], v[16:17] neg_lo:[0,1] neg_hi:[0,1]
	v_mov_b32_e32 v15, v20
	v_pk_add_f32 v[70:71], v[66:67], v[14:15] neg_lo:[0,1] neg_hi:[0,1]
	v_mov_b32_e32 v6, v67
	v_mov_b32_e32 v66, v17
	;; [unrolled: 1-line block ×4, first 2 shown]
	v_pk_add_f32 v[6:7], v[6:7], v[66:67] neg_lo:[0,1] neg_hi:[0,1]
	v_mov_b32_e32 v20, v23
	v_mov_b32_e32 v21, v16
	v_pk_add_f32 v[6:7], v[20:21], v[6:7] neg_lo:[0,1] neg_hi:[0,1]
	v_mov_b32_e32 v70, v68
	v_pk_add_f32 v[16:17], v[70:71], v[6:7]
	v_mov_b32_e32 v20, v17
	v_pk_add_f32 v[20:21], v[16:17], v[20:21]
	v_pk_add_f32 v[22:23], v[2:3], v[20:21]
	v_mov_b32_e32 v17, v22
	v_pk_add_f32 v[66:67], v[16:17], v[68:69] neg_lo:[0,1] neg_hi:[0,1]
	v_mov_b32_e32 v7, v20
	v_sub_f32_e32 v2, v16, v66
	v_pk_add_f32 v[6:7], v[6:7], v[66:67] neg_lo:[0,1] neg_hi:[0,1]
	v_sub_f32_e32 v2, v68, v2
	s_mov_b32 s9, 0x7f800000
	v_add_f32_e32 v2, v6, v2
	s_mov_b32 s8, 0x33800000
	v_add_f32_e32 v2, v2, v7
	v_cmp_eq_f32_e32 vcc, s9, v48
	v_cmp_lt_f32_e64 s[8:9], |v48|, s8
	v_add_f32_e32 v2, v22, v2
	s_or_b64 vcc, vcc, s[8:9]
	v_cndmask_b32_e32 v2, v2, v48, vcc
	v_add_f32_e32 v2, v3, v2
	v_cvt_f16_f32_e32 v15, v2
	v_cvt_f32_f16_e32 v2, v15
	v_mov_b32_e32 v66, v15
.LBB401_358:
	s_or_b64 exec, exec, s[6:7]
	v_max_f32_e32 v3, v52, v52
	v_max_f32_e32 v7, v2, v2
	v_min_f32_e32 v6, v7, v3
	v_cmp_u_f16_e32 vcc, v15, v15
	v_max_f32_e32 v3, v7, v3
	v_cndmask_b32_e32 v6, v6, v2, vcc
	v_cndmask_b32_e32 v3, v3, v2, vcc
	v_cndmask_b32_e64 v6, v6, v52, s[30:31]
	v_cndmask_b32_e64 v3, v3, v52, s[30:31]
	s_movk_i32 s8, 0x1f8
	v_cmp_neq_f32_e32 vcc, v6, v3
	v_cmp_class_f32_e64 s[6:7], v6, s8
	s_or_b64 s[10:11], vcc, s[6:7]
	v_mov_b32_e32 v52, v66
	s_and_saveexec_b64 s[6:7], s[10:11]
	s_cbranch_execz .LBB401_360
; %bb.359:
	v_sub_f32_e32 v2, v6, v3
	s_mov_b32 s9, 0x3fb8aa3b
	v_mul_f32_e32 v6, 0x3fb8aa3b, v2
	v_fma_f32 v7, v2, s9, -v6
	v_rndne_f32_e32 v15, v6
	v_fmac_f32_e32 v7, 0x32a5705f, v2
	v_sub_f32_e32 v6, v6, v15
	v_add_f32_e32 v6, v6, v7
	v_exp_f32_e32 v6, v6
	v_cvt_i32_f32_e32 v7, v15
	s_mov_b32 s9, 0xc2ce8ed0
	v_cmp_ngt_f32_e32 vcc, s9, v2
	s_mov_b32 s9, 0x42b17218
	v_ldexp_f32 v6, v6, v7
	v_cndmask_b32_e32 v6, 0, v6, vcc
	v_mov_b32_e32 v7, 0x7f800000
	v_cmp_nlt_f32_e32 vcc, s9, v2
	v_cndmask_b32_e32 v48, v7, v6, vcc
	v_add_f32_e32 v2, 1.0, v48
	v_add_f32_e32 v6, -1.0, v2
	v_sub_f32_e32 v7, v6, v2
	v_add_f32_e32 v7, 1.0, v7
	v_sub_f32_e32 v6, v48, v6
	v_add_f32_e32 v15, v6, v7
	v_frexp_mant_f32_e32 v16, v2
	s_mov_b32 s9, 0x3f2aaaab
	v_cvt_f64_f32_e32 v[6:7], v2
	v_frexp_exp_i32_f64_e32 v6, v[6:7]
	v_cmp_gt_f32_e32 vcc, s9, v16
	v_subbrev_co_u32_e32 v52, vcc, 0, v6, vcc
	v_sub_u32_e32 v6, 0, v52
	v_ldexp_f32 v2, v2, v6
	v_ldexp_f32 v6, v15, v6
	v_add_f32_e32 v15, -1.0, v2
	v_add_f32_e32 v7, 1.0, v15
	v_sub_f32_e32 v7, v2, v7
	v_add_f32_e32 v16, v6, v7
	v_add_f32_e32 v7, 1.0, v2
	v_add_f32_e32 v17, -1.0, v7
	v_sub_f32_e32 v2, v2, v17
	v_add_f32_e32 v2, v6, v2
	v_add_f32_e32 v67, v7, v2
	v_rcp_f32_e32 v68, v67
	v_sub_f32_e32 v6, v7, v67
	v_add_f32_e32 v7, v15, v16
	v_add_f32_e32 v2, v2, v6
	v_sub_f32_e32 v6, v15, v7
	v_mul_f32_e32 v69, v7, v68
	v_add_f32_e32 v15, v16, v6
	v_mul_f32_e32 v16, v67, v69
	v_fma_f32 v20, v69, v67, -v16
	v_fmac_f32_e32 v20, v69, v2
	v_add_f32_e32 v6, v16, v20
	v_sub_f32_e32 v17, v7, v6
	v_pk_add_f32 v[22:23], v[6:7], v[16:17] neg_lo:[0,1] neg_hi:[0,1]
	v_mov_b32_e32 v21, v6
	v_pk_add_f32 v[6:7], v[22:23], v[20:21] neg_lo:[0,1] neg_hi:[0,1]
	v_add_f32_e32 v7, v15, v7
	v_add_f32_e32 v6, v6, v7
	;; [unrolled: 1-line block ×3, first 2 shown]
	v_mul_f32_e32 v15, v68, v7
	v_mul_f32_e32 v16, v67, v15
	v_fma_f32 v20, v15, v67, -v16
	v_fmac_f32_e32 v20, v15, v2
	v_sub_f32_e32 v2, v17, v7
	v_add_f32_e32 v2, v6, v2
	v_add_f32_e32 v6, v16, v20
	v_sub_f32_e32 v17, v7, v6
	v_pk_add_f32 v[22:23], v[6:7], v[16:17] neg_lo:[0,1] neg_hi:[0,1]
	v_mov_b32_e32 v21, v6
	v_pk_add_f32 v[6:7], v[22:23], v[20:21] neg_lo:[0,1] neg_hi:[0,1]
	v_add_f32_e32 v2, v2, v7
	v_add_f32_e32 v2, v6, v2
	;; [unrolled: 1-line block ×4, first 2 shown]
	v_sub_f32_e32 v7, v6, v69
	v_mul_f32_e32 v2, v68, v2
	v_sub_f32_e32 v7, v15, v7
	v_add_f32_e32 v2, v7, v2
	v_add_f32_e32 v15, v6, v2
	v_mul_f32_e32 v17, v15, v15
	v_mov_b32_e32 v16, 0x3ecc95a3
	v_fmac_f32_e32 v16, 0x3e9b6dac, v17
	v_mov_b32_e32 v7, 0x3f2aaada
	v_fmac_f32_e32 v7, v17, v16
	v_cvt_f32_i32_e32 v16, v52
	v_sub_f32_e32 v6, v15, v6
	v_sub_f32_e32 v2, v2, v6
	v_mul_f32_e32 v17, v15, v17
	v_mov_b32_e32 v6, 0x3f317218
	s_mov_b32 s9, 0x3f317218
	v_pk_mul_f32 v[6:7], v[16:17], v[6:7]
	v_fma_f32 v20, v16, s9, -v6
	v_ldexp_f32 v21, v15, 1
	v_fmac_f32_e32 v20, 0xb102e308, v16
	v_pk_add_f32 v[16:17], v[6:7], v[20:21]
	v_sub_f32_e32 v15, v17, v21
	v_ldexp_f32 v2, v2, 1
	v_sub_f32_e32 v15, v7, v15
	v_add_f32_e32 v23, v2, v15
	v_mov_b32_e32 v22, v6
	v_pk_add_f32 v[6:7], v[16:17], v[6:7] neg_lo:[0,1] neg_hi:[0,1]
	v_pk_add_f32 v[68:69], v[16:17], v[22:23]
	v_mov_b32_e32 v7, v69
	v_mov_b32_e32 v21, v16
	v_pk_add_f32 v[70:71], v[20:21], v[6:7] neg_lo:[0,1] neg_hi:[0,1]
	v_pk_add_f32 v[6:7], v[20:21], v[6:7]
	v_mov_b32_e32 v2, v7
	v_pk_add_f32 v[20:21], v[2:3], v[16:17] neg_lo:[0,1] neg_hi:[0,1]
	v_mov_b32_e32 v15, v20
	v_pk_add_f32 v[80:81], v[68:69], v[14:15] neg_lo:[0,1] neg_hi:[0,1]
	v_mov_b32_e32 v6, v69
	v_mov_b32_e32 v68, v17
	;; [unrolled: 1-line block ×4, first 2 shown]
	v_pk_add_f32 v[6:7], v[6:7], v[68:69] neg_lo:[0,1] neg_hi:[0,1]
	v_mov_b32_e32 v20, v23
	v_mov_b32_e32 v21, v16
	v_pk_add_f32 v[6:7], v[20:21], v[6:7] neg_lo:[0,1] neg_hi:[0,1]
	v_mov_b32_e32 v80, v70
	v_pk_add_f32 v[16:17], v[80:81], v[6:7]
	v_mov_b32_e32 v20, v17
	v_pk_add_f32 v[20:21], v[16:17], v[20:21]
	v_pk_add_f32 v[22:23], v[2:3], v[20:21]
	v_mov_b32_e32 v17, v22
	v_pk_add_f32 v[68:69], v[16:17], v[70:71] neg_lo:[0,1] neg_hi:[0,1]
	v_mov_b32_e32 v7, v20
	v_sub_f32_e32 v2, v16, v68
	v_pk_add_f32 v[6:7], v[6:7], v[68:69] neg_lo:[0,1] neg_hi:[0,1]
	v_sub_f32_e32 v2, v70, v2
	s_mov_b32 s10, 0x7f800000
	v_add_f32_e32 v2, v6, v2
	s_mov_b32 s9, 0x33800000
	v_add_f32_e32 v2, v2, v7
	v_cmp_eq_f32_e32 vcc, s10, v48
	v_cmp_lt_f32_e64 s[10:11], |v48|, s9
	v_add_f32_e32 v2, v22, v2
	s_or_b64 vcc, vcc, s[10:11]
	v_cndmask_b32_e32 v2, v2, v48, vcc
	v_add_f32_e32 v2, v3, v2
	v_cvt_f16_f32_e32 v15, v2
	v_cvt_f32_f16_e32 v2, v15
	v_mov_b32_e32 v52, v15
.LBB401_360:
	s_or_b64 exec, exec, s[6:7]
	v_max_f32_e32 v3, v18, v18
	v_max_f32_e32 v7, v2, v2
	v_min_f32_e32 v6, v7, v3
	v_cmp_u_f16_e32 vcc, v15, v15
	v_max_f32_e32 v3, v7, v3
	v_cndmask_b32_e32 v6, v6, v2, vcc
	v_cndmask_b32_e32 v3, v3, v2, vcc
	v_cndmask_b32_e64 v6, v6, v18, s[34:35]
	v_cndmask_b32_e64 v3, v3, v18, s[34:35]
	v_cmp_neq_f32_e32 vcc, v6, v3
	v_cmp_class_f32_e64 s[6:7], v6, s8
	s_or_b64 s[8:9], vcc, s[6:7]
	v_mov_b32_e32 v67, v52
	s_and_saveexec_b64 s[6:7], s[8:9]
	s_cbranch_execz .LBB401_362
; %bb.361:
	v_sub_f32_e32 v2, v6, v3
	s_mov_b32 s8, 0x3fb8aa3b
	v_mul_f32_e32 v6, 0x3fb8aa3b, v2
	v_fma_f32 v7, v2, s8, -v6
	v_rndne_f32_e32 v15, v6
	v_fmac_f32_e32 v7, 0x32a5705f, v2
	v_sub_f32_e32 v6, v6, v15
	v_add_f32_e32 v6, v6, v7
	v_exp_f32_e32 v6, v6
	v_cvt_i32_f32_e32 v7, v15
	s_mov_b32 s8, 0xc2ce8ed0
	v_cmp_ngt_f32_e32 vcc, s8, v2
	s_mov_b32 s8, 0x42b17218
	v_ldexp_f32 v6, v6, v7
	v_cndmask_b32_e32 v6, 0, v6, vcc
	v_mov_b32_e32 v7, 0x7f800000
	v_cmp_nlt_f32_e32 vcc, s8, v2
	v_cndmask_b32_e32 v48, v7, v6, vcc
	v_add_f32_e32 v2, 1.0, v48
	v_add_f32_e32 v6, -1.0, v2
	v_sub_f32_e32 v7, v6, v2
	v_add_f32_e32 v7, 1.0, v7
	v_sub_f32_e32 v6, v48, v6
	v_add_f32_e32 v15, v6, v7
	v_frexp_mant_f32_e32 v16, v2
	s_mov_b32 s8, 0x3f2aaaab
	v_cvt_f64_f32_e32 v[6:7], v2
	v_frexp_exp_i32_f64_e32 v6, v[6:7]
	v_cmp_gt_f32_e32 vcc, s8, v16
	v_subbrev_co_u32_e32 v18, vcc, 0, v6, vcc
	v_sub_u32_e32 v6, 0, v18
	v_ldexp_f32 v2, v2, v6
	v_ldexp_f32 v6, v15, v6
	v_add_f32_e32 v15, -1.0, v2
	v_add_f32_e32 v7, 1.0, v15
	v_sub_f32_e32 v7, v2, v7
	v_add_f32_e32 v16, v6, v7
	v_add_f32_e32 v7, 1.0, v2
	v_add_f32_e32 v17, -1.0, v7
	v_sub_f32_e32 v2, v2, v17
	v_add_f32_e32 v2, v6, v2
	v_add_f32_e32 v67, v7, v2
	v_rcp_f32_e32 v68, v67
	v_sub_f32_e32 v6, v7, v67
	v_add_f32_e32 v7, v15, v16
	v_add_f32_e32 v2, v2, v6
	v_sub_f32_e32 v6, v15, v7
	v_mul_f32_e32 v69, v7, v68
	v_add_f32_e32 v15, v16, v6
	v_mul_f32_e32 v16, v67, v69
	v_fma_f32 v20, v69, v67, -v16
	v_fmac_f32_e32 v20, v69, v2
	v_add_f32_e32 v6, v16, v20
	v_sub_f32_e32 v17, v7, v6
	v_pk_add_f32 v[22:23], v[6:7], v[16:17] neg_lo:[0,1] neg_hi:[0,1]
	v_mov_b32_e32 v21, v6
	v_pk_add_f32 v[6:7], v[22:23], v[20:21] neg_lo:[0,1] neg_hi:[0,1]
	v_add_f32_e32 v7, v15, v7
	v_add_f32_e32 v6, v6, v7
	;; [unrolled: 1-line block ×3, first 2 shown]
	v_mul_f32_e32 v15, v68, v7
	v_mul_f32_e32 v16, v67, v15
	v_fma_f32 v20, v15, v67, -v16
	v_fmac_f32_e32 v20, v15, v2
	v_sub_f32_e32 v2, v17, v7
	v_add_f32_e32 v2, v6, v2
	v_add_f32_e32 v6, v16, v20
	v_sub_f32_e32 v17, v7, v6
	v_pk_add_f32 v[22:23], v[6:7], v[16:17] neg_lo:[0,1] neg_hi:[0,1]
	v_mov_b32_e32 v21, v6
	v_pk_add_f32 v[6:7], v[22:23], v[20:21] neg_lo:[0,1] neg_hi:[0,1]
	v_add_f32_e32 v2, v2, v7
	v_add_f32_e32 v2, v6, v2
	;; [unrolled: 1-line block ×4, first 2 shown]
	v_sub_f32_e32 v7, v6, v69
	v_mul_f32_e32 v2, v68, v2
	v_sub_f32_e32 v7, v15, v7
	v_add_f32_e32 v2, v7, v2
	v_add_f32_e32 v15, v6, v2
	v_mul_f32_e32 v17, v15, v15
	v_mov_b32_e32 v16, 0x3ecc95a3
	v_fmac_f32_e32 v16, 0x3e9b6dac, v17
	v_mov_b32_e32 v7, 0x3f2aaada
	v_fmac_f32_e32 v7, v17, v16
	v_cvt_f32_i32_e32 v16, v18
	v_sub_f32_e32 v6, v15, v6
	v_sub_f32_e32 v2, v2, v6
	v_mul_f32_e32 v17, v15, v17
	v_mov_b32_e32 v6, 0x3f317218
	s_mov_b32 s8, 0x3f317218
	v_pk_mul_f32 v[6:7], v[16:17], v[6:7]
	v_fma_f32 v20, v16, s8, -v6
	v_ldexp_f32 v21, v15, 1
	v_fmac_f32_e32 v20, 0xb102e308, v16
	v_pk_add_f32 v[16:17], v[6:7], v[20:21]
	v_sub_f32_e32 v15, v17, v21
	v_ldexp_f32 v2, v2, 1
	v_sub_f32_e32 v15, v7, v15
	v_add_f32_e32 v23, v2, v15
	v_mov_b32_e32 v22, v6
	v_pk_add_f32 v[6:7], v[16:17], v[6:7] neg_lo:[0,1] neg_hi:[0,1]
	v_pk_add_f32 v[68:69], v[16:17], v[22:23]
	v_mov_b32_e32 v7, v69
	v_mov_b32_e32 v21, v16
	v_pk_add_f32 v[70:71], v[20:21], v[6:7] neg_lo:[0,1] neg_hi:[0,1]
	v_pk_add_f32 v[6:7], v[20:21], v[6:7]
	v_mov_b32_e32 v2, v7
	v_pk_add_f32 v[20:21], v[2:3], v[16:17] neg_lo:[0,1] neg_hi:[0,1]
	v_mov_b32_e32 v15, v20
	v_pk_add_f32 v[80:81], v[68:69], v[14:15] neg_lo:[0,1] neg_hi:[0,1]
	v_mov_b32_e32 v6, v69
	v_mov_b32_e32 v68, v17
	;; [unrolled: 1-line block ×4, first 2 shown]
	v_pk_add_f32 v[6:7], v[6:7], v[68:69] neg_lo:[0,1] neg_hi:[0,1]
	v_mov_b32_e32 v20, v23
	v_mov_b32_e32 v21, v16
	v_pk_add_f32 v[6:7], v[20:21], v[6:7] neg_lo:[0,1] neg_hi:[0,1]
	v_mov_b32_e32 v80, v70
	v_pk_add_f32 v[16:17], v[80:81], v[6:7]
	v_mov_b32_e32 v18, v17
	v_pk_add_f32 v[20:21], v[16:17], v[18:19]
	v_pk_add_f32 v[22:23], v[2:3], v[20:21]
	v_mov_b32_e32 v17, v22
	v_pk_add_f32 v[68:69], v[16:17], v[70:71] neg_lo:[0,1] neg_hi:[0,1]
	v_mov_b32_e32 v7, v20
	v_sub_f32_e32 v2, v16, v68
	v_pk_add_f32 v[6:7], v[6:7], v[68:69] neg_lo:[0,1] neg_hi:[0,1]
	v_sub_f32_e32 v2, v70, v2
	s_mov_b32 s9, 0x7f800000
	v_add_f32_e32 v2, v6, v2
	s_mov_b32 s8, 0x33800000
	v_add_f32_e32 v2, v2, v7
	v_cmp_eq_f32_e32 vcc, s9, v48
	v_cmp_lt_f32_e64 s[8:9], |v48|, s8
	v_add_f32_e32 v2, v22, v2
	s_or_b64 vcc, vcc, s[8:9]
	v_cndmask_b32_e32 v2, v2, v48, vcc
	v_add_f32_e32 v2, v3, v2
	v_cvt_f16_f32_e32 v15, v2
	v_cvt_f32_f16_e32 v2, v15
	v_mov_b32_e32 v67, v15
.LBB401_362:
	s_or_b64 exec, exec, s[6:7]
	v_max_f32_e32 v3, v53, v53
	v_max_f32_e32 v7, v2, v2
	v_min_f32_e32 v6, v7, v3
	v_cmp_u_f16_e32 vcc, v15, v15
	v_max_f32_e32 v3, v7, v3
	v_cndmask_b32_e32 v6, v6, v2, vcc
	v_cndmask_b32_e32 v3, v3, v2, vcc
	v_cndmask_b32_e64 v6, v6, v53, s[36:37]
	v_cndmask_b32_e64 v3, v3, v53, s[36:37]
	s_movk_i32 s8, 0x1f8
	v_cmp_neq_f32_e32 vcc, v6, v3
	v_cmp_class_f32_e64 s[6:7], v6, s8
	s_or_b64 s[10:11], vcc, s[6:7]
	v_mov_b32_e32 v53, v67
	s_and_saveexec_b64 s[6:7], s[10:11]
	s_cbranch_execz .LBB401_364
; %bb.363:
	v_sub_f32_e32 v2, v6, v3
	s_mov_b32 s9, 0x3fb8aa3b
	v_mul_f32_e32 v6, 0x3fb8aa3b, v2
	v_fma_f32 v7, v2, s9, -v6
	v_rndne_f32_e32 v15, v6
	v_fmac_f32_e32 v7, 0x32a5705f, v2
	v_sub_f32_e32 v6, v6, v15
	v_add_f32_e32 v6, v6, v7
	v_exp_f32_e32 v6, v6
	v_cvt_i32_f32_e32 v7, v15
	s_mov_b32 s9, 0xc2ce8ed0
	v_cmp_ngt_f32_e32 vcc, s9, v2
	s_mov_b32 s9, 0x42b17218
	v_ldexp_f32 v6, v6, v7
	v_cndmask_b32_e32 v6, 0, v6, vcc
	v_mov_b32_e32 v7, 0x7f800000
	v_cmp_nlt_f32_e32 vcc, s9, v2
	v_cndmask_b32_e32 v48, v7, v6, vcc
	v_add_f32_e32 v2, 1.0, v48
	v_add_f32_e32 v6, -1.0, v2
	v_sub_f32_e32 v7, v6, v2
	v_add_f32_e32 v7, 1.0, v7
	v_sub_f32_e32 v6, v48, v6
	v_add_f32_e32 v15, v6, v7
	v_frexp_mant_f32_e32 v16, v2
	s_mov_b32 s9, 0x3f2aaaab
	v_cvt_f64_f32_e32 v[6:7], v2
	v_frexp_exp_i32_f64_e32 v6, v[6:7]
	v_cmp_gt_f32_e32 vcc, s9, v16
	v_subbrev_co_u32_e32 v18, vcc, 0, v6, vcc
	v_sub_u32_e32 v6, 0, v18
	v_ldexp_f32 v2, v2, v6
	v_ldexp_f32 v6, v15, v6
	v_add_f32_e32 v15, -1.0, v2
	v_add_f32_e32 v7, 1.0, v15
	v_sub_f32_e32 v7, v2, v7
	v_add_f32_e32 v16, v6, v7
	v_add_f32_e32 v7, 1.0, v2
	v_add_f32_e32 v17, -1.0, v7
	v_sub_f32_e32 v2, v2, v17
	v_add_f32_e32 v2, v6, v2
	v_add_f32_e32 v53, v7, v2
	v_rcp_f32_e32 v68, v53
	v_sub_f32_e32 v6, v7, v53
	v_add_f32_e32 v7, v15, v16
	v_add_f32_e32 v2, v2, v6
	v_sub_f32_e32 v6, v15, v7
	v_mul_f32_e32 v69, v7, v68
	v_add_f32_e32 v15, v16, v6
	v_mul_f32_e32 v16, v53, v69
	v_fma_f32 v20, v69, v53, -v16
	v_fmac_f32_e32 v20, v69, v2
	v_add_f32_e32 v6, v16, v20
	v_sub_f32_e32 v17, v7, v6
	v_pk_add_f32 v[22:23], v[6:7], v[16:17] neg_lo:[0,1] neg_hi:[0,1]
	v_mov_b32_e32 v21, v6
	v_pk_add_f32 v[6:7], v[22:23], v[20:21] neg_lo:[0,1] neg_hi:[0,1]
	v_add_f32_e32 v7, v15, v7
	v_add_f32_e32 v6, v6, v7
	v_add_f32_e32 v7, v17, v6
	v_mul_f32_e32 v15, v68, v7
	v_mul_f32_e32 v16, v53, v15
	v_fma_f32 v20, v15, v53, -v16
	v_fmac_f32_e32 v20, v15, v2
	v_sub_f32_e32 v2, v17, v7
	v_add_f32_e32 v2, v6, v2
	v_add_f32_e32 v6, v16, v20
	v_sub_f32_e32 v17, v7, v6
	v_pk_add_f32 v[22:23], v[6:7], v[16:17] neg_lo:[0,1] neg_hi:[0,1]
	v_mov_b32_e32 v21, v6
	v_pk_add_f32 v[6:7], v[22:23], v[20:21] neg_lo:[0,1] neg_hi:[0,1]
	v_add_f32_e32 v2, v2, v7
	v_add_f32_e32 v2, v6, v2
	v_add_f32_e32 v6, v69, v15
	v_add_f32_e32 v2, v17, v2
	v_sub_f32_e32 v7, v6, v69
	v_mul_f32_e32 v2, v68, v2
	v_sub_f32_e32 v7, v15, v7
	v_add_f32_e32 v2, v7, v2
	v_add_f32_e32 v15, v6, v2
	v_mul_f32_e32 v17, v15, v15
	v_mov_b32_e32 v16, 0x3ecc95a3
	v_fmac_f32_e32 v16, 0x3e9b6dac, v17
	v_mov_b32_e32 v7, 0x3f2aaada
	v_fmac_f32_e32 v7, v17, v16
	v_cvt_f32_i32_e32 v16, v18
	v_sub_f32_e32 v6, v15, v6
	v_sub_f32_e32 v2, v2, v6
	v_mul_f32_e32 v17, v15, v17
	v_mov_b32_e32 v6, 0x3f317218
	s_mov_b32 s9, 0x3f317218
	v_pk_mul_f32 v[6:7], v[16:17], v[6:7]
	v_fma_f32 v20, v16, s9, -v6
	v_ldexp_f32 v21, v15, 1
	v_fmac_f32_e32 v20, 0xb102e308, v16
	v_pk_add_f32 v[16:17], v[6:7], v[20:21]
	v_sub_f32_e32 v15, v17, v21
	v_ldexp_f32 v2, v2, 1
	v_sub_f32_e32 v15, v7, v15
	v_add_f32_e32 v23, v2, v15
	v_mov_b32_e32 v22, v6
	v_pk_add_f32 v[6:7], v[16:17], v[6:7] neg_lo:[0,1] neg_hi:[0,1]
	v_pk_add_f32 v[68:69], v[16:17], v[22:23]
	v_mov_b32_e32 v7, v69
	v_mov_b32_e32 v21, v16
	v_pk_add_f32 v[70:71], v[20:21], v[6:7] neg_lo:[0,1] neg_hi:[0,1]
	v_pk_add_f32 v[6:7], v[20:21], v[6:7]
	v_mov_b32_e32 v2, v7
	v_pk_add_f32 v[20:21], v[2:3], v[16:17] neg_lo:[0,1] neg_hi:[0,1]
	v_mov_b32_e32 v15, v20
	v_pk_add_f32 v[80:81], v[68:69], v[14:15] neg_lo:[0,1] neg_hi:[0,1]
	v_mov_b32_e32 v6, v69
	v_mov_b32_e32 v68, v17
	v_mov_b32_e32 v69, v20
	v_mov_b32_e32 v71, v7
	v_pk_add_f32 v[6:7], v[6:7], v[68:69] neg_lo:[0,1] neg_hi:[0,1]
	v_mov_b32_e32 v20, v23
	v_mov_b32_e32 v21, v16
	v_pk_add_f32 v[6:7], v[20:21], v[6:7] neg_lo:[0,1] neg_hi:[0,1]
	v_mov_b32_e32 v80, v70
	v_pk_add_f32 v[16:17], v[80:81], v[6:7]
	v_mov_b32_e32 v18, v17
	v_pk_add_f32 v[20:21], v[16:17], v[18:19]
	v_pk_add_f32 v[22:23], v[2:3], v[20:21]
	v_mov_b32_e32 v17, v22
	v_pk_add_f32 v[68:69], v[16:17], v[70:71] neg_lo:[0,1] neg_hi:[0,1]
	v_mov_b32_e32 v7, v20
	v_sub_f32_e32 v2, v16, v68
	v_pk_add_f32 v[6:7], v[6:7], v[68:69] neg_lo:[0,1] neg_hi:[0,1]
	v_sub_f32_e32 v2, v70, v2
	s_mov_b32 s10, 0x7f800000
	v_add_f32_e32 v2, v6, v2
	s_mov_b32 s9, 0x33800000
	v_add_f32_e32 v2, v2, v7
	v_cmp_eq_f32_e32 vcc, s10, v48
	v_cmp_lt_f32_e64 s[10:11], |v48|, s9
	v_add_f32_e32 v2, v22, v2
	s_or_b64 vcc, vcc, s[10:11]
	v_cndmask_b32_e32 v2, v2, v48, vcc
	v_add_f32_e32 v2, v3, v2
	v_cvt_f16_f32_e32 v15, v2
	v_cvt_f32_f16_e32 v2, v15
	v_mov_b32_e32 v53, v15
.LBB401_364:
	s_or_b64 exec, exec, s[6:7]
	v_max_f32_e32 v3, v19, v19
	v_max_f32_e32 v7, v2, v2
	v_min_f32_e32 v6, v7, v3
	v_cmp_u_f16_e32 vcc, v15, v15
	v_max_f32_e32 v3, v7, v3
	v_cndmask_b32_e32 v6, v6, v2, vcc
	v_cndmask_b32_e32 v3, v3, v2, vcc
	v_cndmask_b32_e64 v6, v6, v19, s[38:39]
	v_cndmask_b32_e64 v3, v3, v19, s[38:39]
	v_cmp_neq_f32_e32 vcc, v6, v3
	v_cmp_class_f32_e64 s[6:7], v6, s8
	s_or_b64 s[8:9], vcc, s[6:7]
	v_mov_b32_e32 v68, v53
	s_and_saveexec_b64 s[6:7], s[8:9]
	s_cbranch_execz .LBB401_366
; %bb.365:
	v_sub_f32_e32 v2, v6, v3
	s_mov_b32 s8, 0x3fb8aa3b
	v_mul_f32_e32 v6, 0x3fb8aa3b, v2
	v_fma_f32 v7, v2, s8, -v6
	v_rndne_f32_e32 v15, v6
	v_fmac_f32_e32 v7, 0x32a5705f, v2
	v_sub_f32_e32 v6, v6, v15
	v_add_f32_e32 v6, v6, v7
	v_exp_f32_e32 v6, v6
	v_cvt_i32_f32_e32 v7, v15
	s_mov_b32 s8, 0xc2ce8ed0
	v_cmp_ngt_f32_e32 vcc, s8, v2
	s_mov_b32 s8, 0x42b17218
	v_ldexp_f32 v6, v6, v7
	v_cndmask_b32_e32 v6, 0, v6, vcc
	v_mov_b32_e32 v7, 0x7f800000
	v_cmp_nlt_f32_e32 vcc, s8, v2
	v_cndmask_b32_e32 v48, v7, v6, vcc
	v_add_f32_e32 v2, 1.0, v48
	v_add_f32_e32 v6, -1.0, v2
	v_sub_f32_e32 v7, v6, v2
	v_add_f32_e32 v7, 1.0, v7
	v_sub_f32_e32 v6, v48, v6
	v_add_f32_e32 v15, v6, v7
	v_frexp_mant_f32_e32 v16, v2
	s_mov_b32 s8, 0x3f2aaaab
	v_cvt_f64_f32_e32 v[6:7], v2
	v_frexp_exp_i32_f64_e32 v6, v[6:7]
	v_cmp_gt_f32_e32 vcc, s8, v16
	v_subbrev_co_u32_e32 v22, vcc, 0, v6, vcc
	v_sub_u32_e32 v6, 0, v22
	v_ldexp_f32 v2, v2, v6
	v_ldexp_f32 v6, v15, v6
	v_add_f32_e32 v15, -1.0, v2
	v_add_f32_e32 v7, 1.0, v15
	v_sub_f32_e32 v7, v2, v7
	v_add_f32_e32 v16, v6, v7
	v_add_f32_e32 v7, 1.0, v2
	v_add_f32_e32 v17, -1.0, v7
	v_sub_f32_e32 v2, v2, v17
	v_add_f32_e32 v2, v6, v2
	v_add_f32_e32 v23, v7, v2
	v_rcp_f32_e32 v68, v23
	v_sub_f32_e32 v6, v7, v23
	v_add_f32_e32 v7, v15, v16
	v_add_f32_e32 v2, v2, v6
	v_sub_f32_e32 v6, v15, v7
	v_mul_f32_e32 v69, v7, v68
	v_add_f32_e32 v15, v16, v6
	v_mul_f32_e32 v16, v23, v69
	v_fma_f32 v18, v69, v23, -v16
	v_fmac_f32_e32 v18, v69, v2
	v_add_f32_e32 v6, v16, v18
	v_sub_f32_e32 v17, v7, v6
	v_pk_add_f32 v[20:21], v[6:7], v[16:17] neg_lo:[0,1] neg_hi:[0,1]
	v_mov_b32_e32 v19, v6
	v_pk_add_f32 v[6:7], v[20:21], v[18:19] neg_lo:[0,1] neg_hi:[0,1]
	v_add_f32_e32 v7, v15, v7
	v_add_f32_e32 v6, v6, v7
	;; [unrolled: 1-line block ×3, first 2 shown]
	v_mul_f32_e32 v15, v68, v7
	v_mul_f32_e32 v16, v23, v15
	v_fma_f32 v18, v15, v23, -v16
	v_fmac_f32_e32 v18, v15, v2
	v_sub_f32_e32 v2, v17, v7
	v_add_f32_e32 v2, v6, v2
	v_add_f32_e32 v6, v16, v18
	v_sub_f32_e32 v17, v7, v6
	v_pk_add_f32 v[20:21], v[6:7], v[16:17] neg_lo:[0,1] neg_hi:[0,1]
	v_mov_b32_e32 v19, v6
	v_pk_add_f32 v[6:7], v[20:21], v[18:19] neg_lo:[0,1] neg_hi:[0,1]
	v_add_f32_e32 v2, v2, v7
	v_add_f32_e32 v2, v6, v2
	;; [unrolled: 1-line block ×4, first 2 shown]
	v_sub_f32_e32 v7, v6, v69
	v_mul_f32_e32 v2, v68, v2
	v_sub_f32_e32 v7, v15, v7
	v_add_f32_e32 v2, v7, v2
	v_add_f32_e32 v15, v6, v2
	v_mul_f32_e32 v17, v15, v15
	v_mov_b32_e32 v16, 0x3ecc95a3
	v_fmac_f32_e32 v16, 0x3e9b6dac, v17
	v_mov_b32_e32 v7, 0x3f2aaada
	v_fmac_f32_e32 v7, v17, v16
	v_cvt_f32_i32_e32 v16, v22
	v_sub_f32_e32 v6, v15, v6
	v_sub_f32_e32 v2, v2, v6
	v_mul_f32_e32 v17, v15, v17
	v_mov_b32_e32 v6, 0x3f317218
	s_mov_b32 s8, 0x3f317218
	v_pk_mul_f32 v[6:7], v[16:17], v[6:7]
	v_fma_f32 v18, v16, s8, -v6
	v_ldexp_f32 v19, v15, 1
	v_fmac_f32_e32 v18, 0xb102e308, v16
	v_pk_add_f32 v[16:17], v[6:7], v[18:19]
	v_sub_f32_e32 v15, v17, v19
	v_ldexp_f32 v2, v2, 1
	v_sub_f32_e32 v15, v7, v15
	v_add_f32_e32 v21, v2, v15
	v_mov_b32_e32 v20, v6
	v_pk_add_f32 v[6:7], v[16:17], v[6:7] neg_lo:[0,1] neg_hi:[0,1]
	v_pk_add_f32 v[22:23], v[16:17], v[20:21]
	v_mov_b32_e32 v7, v23
	v_mov_b32_e32 v19, v16
	v_pk_add_f32 v[68:69], v[18:19], v[6:7] neg_lo:[0,1] neg_hi:[0,1]
	v_pk_add_f32 v[6:7], v[18:19], v[6:7]
	v_mov_b32_e32 v2, v7
	v_pk_add_f32 v[18:19], v[2:3], v[16:17] neg_lo:[0,1] neg_hi:[0,1]
	v_mov_b32_e32 v15, v18
	v_pk_add_f32 v[70:71], v[22:23], v[14:15] neg_lo:[0,1] neg_hi:[0,1]
	v_mov_b32_e32 v6, v23
	v_mov_b32_e32 v22, v17
	;; [unrolled: 1-line block ×4, first 2 shown]
	v_pk_add_f32 v[6:7], v[6:7], v[22:23] neg_lo:[0,1] neg_hi:[0,1]
	v_mov_b32_e32 v18, v21
	v_mov_b32_e32 v19, v16
	v_pk_add_f32 v[6:7], v[18:19], v[6:7] neg_lo:[0,1] neg_hi:[0,1]
	v_mov_b32_e32 v70, v68
	v_pk_add_f32 v[16:17], v[70:71], v[6:7]
	v_mov_b32_e32 v18, v17
	v_pk_add_f32 v[18:19], v[16:17], v[18:19]
	v_pk_add_f32 v[20:21], v[2:3], v[18:19]
	v_mov_b32_e32 v17, v20
	v_pk_add_f32 v[22:23], v[16:17], v[68:69] neg_lo:[0,1] neg_hi:[0,1]
	v_mov_b32_e32 v7, v18
	v_sub_f32_e32 v2, v16, v22
	v_pk_add_f32 v[6:7], v[6:7], v[22:23] neg_lo:[0,1] neg_hi:[0,1]
	v_sub_f32_e32 v2, v68, v2
	s_mov_b32 s9, 0x7f800000
	v_add_f32_e32 v2, v6, v2
	s_mov_b32 s8, 0x33800000
	v_add_f32_e32 v2, v2, v7
	v_cmp_eq_f32_e32 vcc, s9, v48
	v_cmp_lt_f32_e64 s[8:9], |v48|, s8
	v_add_f32_e32 v2, v20, v2
	s_or_b64 vcc, vcc, s[8:9]
	v_cndmask_b32_e32 v2, v2, v48, vcc
	v_add_f32_e32 v2, v3, v2
	v_cvt_f16_f32_e32 v15, v2
	v_cvt_f32_f16_e32 v2, v15
	v_mov_b32_e32 v68, v15
.LBB401_366:
	s_or_b64 exec, exec, s[6:7]
	v_max_f32_e32 v3, v54, v54
	v_max_f32_e32 v7, v2, v2
	v_min_f32_e32 v6, v7, v3
	v_cmp_u_f16_e32 vcc, v15, v15
	v_max_f32_e32 v3, v7, v3
	v_cndmask_b32_e32 v6, v6, v2, vcc
	v_cndmask_b32_e32 v3, v3, v2, vcc
	v_cndmask_b32_e64 v6, v6, v54, s[40:41]
	v_cndmask_b32_e64 v3, v3, v54, s[40:41]
	s_movk_i32 s8, 0x1f8
	v_cmp_neq_f32_e32 vcc, v6, v3
	v_cmp_class_f32_e64 s[6:7], v6, s8
	s_or_b64 s[10:11], vcc, s[6:7]
	v_mov_b32_e32 v54, v68
	s_and_saveexec_b64 s[6:7], s[10:11]
	s_cbranch_execz .LBB401_368
; %bb.367:
	v_sub_f32_e32 v2, v6, v3
	s_mov_b32 s9, 0x3fb8aa3b
	v_mul_f32_e32 v6, 0x3fb8aa3b, v2
	v_fma_f32 v7, v2, s9, -v6
	v_rndne_f32_e32 v15, v6
	v_fmac_f32_e32 v7, 0x32a5705f, v2
	v_sub_f32_e32 v6, v6, v15
	v_add_f32_e32 v6, v6, v7
	v_exp_f32_e32 v6, v6
	v_cvt_i32_f32_e32 v7, v15
	s_mov_b32 s9, 0xc2ce8ed0
	v_cmp_ngt_f32_e32 vcc, s9, v2
	s_mov_b32 s9, 0x42b17218
	v_ldexp_f32 v6, v6, v7
	v_cndmask_b32_e32 v6, 0, v6, vcc
	v_mov_b32_e32 v7, 0x7f800000
	v_cmp_nlt_f32_e32 vcc, s9, v2
	v_cndmask_b32_e32 v48, v7, v6, vcc
	v_add_f32_e32 v2, 1.0, v48
	v_add_f32_e32 v6, -1.0, v2
	v_sub_f32_e32 v7, v6, v2
	v_add_f32_e32 v7, 1.0, v7
	v_sub_f32_e32 v6, v48, v6
	v_add_f32_e32 v15, v6, v7
	v_frexp_mant_f32_e32 v16, v2
	s_mov_b32 s9, 0x3f2aaaab
	v_cvt_f64_f32_e32 v[6:7], v2
	v_frexp_exp_i32_f64_e32 v6, v[6:7]
	v_cmp_gt_f32_e32 vcc, s9, v16
	v_subbrev_co_u32_e32 v22, vcc, 0, v6, vcc
	v_sub_u32_e32 v6, 0, v22
	v_ldexp_f32 v2, v2, v6
	v_ldexp_f32 v6, v15, v6
	v_add_f32_e32 v15, -1.0, v2
	v_add_f32_e32 v7, 1.0, v15
	v_sub_f32_e32 v7, v2, v7
	v_add_f32_e32 v16, v6, v7
	v_add_f32_e32 v7, 1.0, v2
	v_add_f32_e32 v17, -1.0, v7
	v_sub_f32_e32 v2, v2, v17
	v_add_f32_e32 v2, v6, v2
	v_add_f32_e32 v23, v7, v2
	v_rcp_f32_e32 v54, v23
	v_sub_f32_e32 v6, v7, v23
	v_add_f32_e32 v7, v15, v16
	v_add_f32_e32 v2, v2, v6
	v_sub_f32_e32 v6, v15, v7
	v_mul_f32_e32 v69, v7, v54
	v_add_f32_e32 v15, v16, v6
	v_mul_f32_e32 v16, v23, v69
	v_fma_f32 v18, v69, v23, -v16
	v_fmac_f32_e32 v18, v69, v2
	v_add_f32_e32 v6, v16, v18
	v_sub_f32_e32 v17, v7, v6
	v_pk_add_f32 v[20:21], v[6:7], v[16:17] neg_lo:[0,1] neg_hi:[0,1]
	v_mov_b32_e32 v19, v6
	v_pk_add_f32 v[6:7], v[20:21], v[18:19] neg_lo:[0,1] neg_hi:[0,1]
	v_add_f32_e32 v7, v15, v7
	v_add_f32_e32 v6, v6, v7
	;; [unrolled: 1-line block ×3, first 2 shown]
	v_mul_f32_e32 v15, v54, v7
	v_mul_f32_e32 v16, v23, v15
	v_fma_f32 v18, v15, v23, -v16
	v_fmac_f32_e32 v18, v15, v2
	v_sub_f32_e32 v2, v17, v7
	v_add_f32_e32 v2, v6, v2
	v_add_f32_e32 v6, v16, v18
	v_sub_f32_e32 v17, v7, v6
	v_pk_add_f32 v[20:21], v[6:7], v[16:17] neg_lo:[0,1] neg_hi:[0,1]
	v_mov_b32_e32 v19, v6
	v_pk_add_f32 v[6:7], v[20:21], v[18:19] neg_lo:[0,1] neg_hi:[0,1]
	v_add_f32_e32 v2, v2, v7
	v_add_f32_e32 v2, v6, v2
	;; [unrolled: 1-line block ×4, first 2 shown]
	v_sub_f32_e32 v7, v6, v69
	v_mul_f32_e32 v2, v54, v2
	v_sub_f32_e32 v7, v15, v7
	v_add_f32_e32 v2, v7, v2
	v_add_f32_e32 v15, v6, v2
	v_mul_f32_e32 v17, v15, v15
	v_mov_b32_e32 v16, 0x3ecc95a3
	v_fmac_f32_e32 v16, 0x3e9b6dac, v17
	v_mov_b32_e32 v7, 0x3f2aaada
	v_fmac_f32_e32 v7, v17, v16
	v_cvt_f32_i32_e32 v16, v22
	v_sub_f32_e32 v6, v15, v6
	v_sub_f32_e32 v2, v2, v6
	v_mul_f32_e32 v17, v15, v17
	v_mov_b32_e32 v6, 0x3f317218
	s_mov_b32 s9, 0x3f317218
	v_pk_mul_f32 v[6:7], v[16:17], v[6:7]
	v_fma_f32 v18, v16, s9, -v6
	v_ldexp_f32 v19, v15, 1
	v_fmac_f32_e32 v18, 0xb102e308, v16
	v_pk_add_f32 v[16:17], v[6:7], v[18:19]
	v_sub_f32_e32 v15, v17, v19
	v_ldexp_f32 v2, v2, 1
	v_sub_f32_e32 v15, v7, v15
	v_add_f32_e32 v21, v2, v15
	v_mov_b32_e32 v20, v6
	v_pk_add_f32 v[6:7], v[16:17], v[6:7] neg_lo:[0,1] neg_hi:[0,1]
	v_pk_add_f32 v[22:23], v[16:17], v[20:21]
	v_mov_b32_e32 v7, v23
	v_mov_b32_e32 v19, v16
	v_pk_add_f32 v[70:71], v[18:19], v[6:7] neg_lo:[0,1] neg_hi:[0,1]
	v_pk_add_f32 v[6:7], v[18:19], v[6:7]
	v_mov_b32_e32 v2, v7
	v_pk_add_f32 v[18:19], v[2:3], v[16:17] neg_lo:[0,1] neg_hi:[0,1]
	v_mov_b32_e32 v15, v18
	v_pk_add_f32 v[80:81], v[22:23], v[14:15] neg_lo:[0,1] neg_hi:[0,1]
	v_mov_b32_e32 v6, v23
	v_mov_b32_e32 v22, v17
	;; [unrolled: 1-line block ×4, first 2 shown]
	v_pk_add_f32 v[6:7], v[6:7], v[22:23] neg_lo:[0,1] neg_hi:[0,1]
	v_mov_b32_e32 v18, v21
	v_mov_b32_e32 v19, v16
	v_pk_add_f32 v[6:7], v[18:19], v[6:7] neg_lo:[0,1] neg_hi:[0,1]
	v_mov_b32_e32 v80, v70
	v_pk_add_f32 v[16:17], v[80:81], v[6:7]
	v_mov_b32_e32 v18, v17
	v_pk_add_f32 v[18:19], v[16:17], v[18:19]
	v_pk_add_f32 v[20:21], v[2:3], v[18:19]
	v_mov_b32_e32 v17, v20
	v_pk_add_f32 v[22:23], v[16:17], v[70:71] neg_lo:[0,1] neg_hi:[0,1]
	v_mov_b32_e32 v7, v18
	v_sub_f32_e32 v2, v16, v22
	v_pk_add_f32 v[6:7], v[6:7], v[22:23] neg_lo:[0,1] neg_hi:[0,1]
	v_sub_f32_e32 v2, v70, v2
	s_mov_b32 s10, 0x7f800000
	v_add_f32_e32 v2, v6, v2
	s_mov_b32 s9, 0x33800000
	v_add_f32_e32 v2, v2, v7
	v_cmp_eq_f32_e32 vcc, s10, v48
	v_cmp_lt_f32_e64 s[10:11], |v48|, s9
	v_add_f32_e32 v2, v20, v2
	s_or_b64 vcc, vcc, s[10:11]
	v_cndmask_b32_e32 v2, v2, v48, vcc
	v_add_f32_e32 v2, v3, v2
	v_cvt_f16_f32_e32 v15, v2
	v_cvt_f32_f16_e32 v2, v15
	v_mov_b32_e32 v54, v15
.LBB401_368:
	s_or_b64 exec, exec, s[6:7]
	v_max_f32_e32 v3, v12, v12
	v_max_f32_e32 v7, v2, v2
	v_min_f32_e32 v6, v7, v3
	v_cmp_u_f16_e32 vcc, v15, v15
	v_max_f32_e32 v3, v7, v3
	v_cndmask_b32_e32 v6, v6, v2, vcc
	v_cndmask_b32_e32 v3, v3, v2, vcc
	v_cndmask_b32_e64 v6, v6, v12, s[42:43]
	v_cndmask_b32_e64 v3, v3, v12, s[42:43]
	v_cmp_neq_f32_e32 vcc, v6, v3
	v_cmp_class_f32_e64 s[6:7], v6, s8
	s_or_b64 s[8:9], vcc, s[6:7]
	v_mov_b32_e32 v69, v54
	s_and_saveexec_b64 s[6:7], s[8:9]
	s_cbranch_execz .LBB401_370
; %bb.369:
	v_sub_f32_e32 v2, v6, v3
	s_mov_b32 s8, 0x3fb8aa3b
	v_mul_f32_e32 v6, 0x3fb8aa3b, v2
	v_fma_f32 v7, v2, s8, -v6
	v_rndne_f32_e32 v12, v6
	v_fmac_f32_e32 v7, 0x32a5705f, v2
	v_sub_f32_e32 v6, v6, v12
	v_add_f32_e32 v6, v6, v7
	v_exp_f32_e32 v6, v6
	v_cvt_i32_f32_e32 v7, v12
	s_mov_b32 s8, 0xc2ce8ed0
	v_cmp_ngt_f32_e32 vcc, s8, v2
	s_mov_b32 s8, 0x42b17218
	v_ldexp_f32 v6, v6, v7
	v_cndmask_b32_e32 v6, 0, v6, vcc
	v_mov_b32_e32 v7, 0x7f800000
	v_cmp_nlt_f32_e32 vcc, s8, v2
	v_cndmask_b32_e32 v48, v7, v6, vcc
	v_add_f32_e32 v2, 1.0, v48
	v_add_f32_e32 v6, -1.0, v2
	v_sub_f32_e32 v7, v6, v2
	v_add_f32_e32 v7, 1.0, v7
	v_sub_f32_e32 v6, v48, v6
	v_add_f32_e32 v12, v6, v7
	v_frexp_mant_f32_e32 v15, v2
	s_mov_b32 s8, 0x3f2aaaab
	v_cvt_f64_f32_e32 v[6:7], v2
	v_frexp_exp_i32_f64_e32 v6, v[6:7]
	v_cmp_gt_f32_e32 vcc, s8, v15
	v_subbrev_co_u32_e32 v15, vcc, 0, v6, vcc
	v_sub_u32_e32 v6, 0, v15
	v_ldexp_f32 v2, v2, v6
	v_ldexp_f32 v6, v12, v6
	v_add_f32_e32 v12, -1.0, v2
	v_add_f32_e32 v7, 1.0, v12
	v_sub_f32_e32 v7, v2, v7
	v_add_f32_e32 v16, v6, v7
	v_add_f32_e32 v7, 1.0, v2
	v_add_f32_e32 v17, -1.0, v7
	v_sub_f32_e32 v2, v2, v17
	v_add_f32_e32 v2, v6, v2
	v_add_f32_e32 v22, v7, v2
	v_rcp_f32_e32 v23, v22
	v_sub_f32_e32 v6, v7, v22
	v_add_f32_e32 v7, v12, v16
	v_add_f32_e32 v2, v2, v6
	v_sub_f32_e32 v6, v12, v7
	v_mul_f32_e32 v69, v7, v23
	v_add_f32_e32 v12, v16, v6
	v_mul_f32_e32 v16, v22, v69
	v_fma_f32 v18, v69, v22, -v16
	v_fmac_f32_e32 v18, v69, v2
	v_add_f32_e32 v6, v16, v18
	v_sub_f32_e32 v17, v7, v6
	v_pk_add_f32 v[20:21], v[6:7], v[16:17] neg_lo:[0,1] neg_hi:[0,1]
	v_mov_b32_e32 v19, v6
	v_pk_add_f32 v[6:7], v[20:21], v[18:19] neg_lo:[0,1] neg_hi:[0,1]
	v_add_f32_e32 v7, v12, v7
	v_add_f32_e32 v6, v6, v7
	;; [unrolled: 1-line block ×3, first 2 shown]
	v_mul_f32_e32 v12, v23, v7
	v_mul_f32_e32 v16, v22, v12
	v_fma_f32 v18, v12, v22, -v16
	v_fmac_f32_e32 v18, v12, v2
	v_sub_f32_e32 v2, v17, v7
	v_add_f32_e32 v2, v6, v2
	v_add_f32_e32 v6, v16, v18
	v_sub_f32_e32 v17, v7, v6
	v_pk_add_f32 v[20:21], v[6:7], v[16:17] neg_lo:[0,1] neg_hi:[0,1]
	v_mov_b32_e32 v19, v6
	v_pk_add_f32 v[6:7], v[20:21], v[18:19] neg_lo:[0,1] neg_hi:[0,1]
	v_add_f32_e32 v2, v2, v7
	v_add_f32_e32 v2, v6, v2
	;; [unrolled: 1-line block ×4, first 2 shown]
	v_sub_f32_e32 v7, v6, v69
	v_mul_f32_e32 v2, v23, v2
	v_sub_f32_e32 v7, v12, v7
	v_add_f32_e32 v2, v7, v2
	v_add_f32_e32 v12, v6, v2
	v_mul_f32_e32 v17, v12, v12
	v_mov_b32_e32 v16, 0x3ecc95a3
	v_fmac_f32_e32 v16, 0x3e9b6dac, v17
	v_mov_b32_e32 v7, 0x3f2aaada
	v_fmac_f32_e32 v7, v17, v16
	v_cvt_f32_i32_e32 v16, v15
	v_sub_f32_e32 v6, v12, v6
	v_sub_f32_e32 v2, v2, v6
	v_mul_f32_e32 v17, v12, v17
	v_mov_b32_e32 v6, 0x3f317218
	s_mov_b32 s8, 0x3f317218
	v_pk_mul_f32 v[6:7], v[16:17], v[6:7]
	v_fma_f32 v18, v16, s8, -v6
	v_ldexp_f32 v19, v12, 1
	v_fmac_f32_e32 v18, 0xb102e308, v16
	v_pk_add_f32 v[16:17], v[6:7], v[18:19]
	v_sub_f32_e32 v12, v17, v19
	v_ldexp_f32 v2, v2, 1
	v_sub_f32_e32 v12, v7, v12
	v_add_f32_e32 v21, v2, v12
	v_mov_b32_e32 v20, v6
	v_pk_add_f32 v[6:7], v[16:17], v[6:7] neg_lo:[0,1] neg_hi:[0,1]
	v_pk_add_f32 v[22:23], v[16:17], v[20:21]
	v_mov_b32_e32 v7, v23
	v_mov_b32_e32 v19, v16
	v_pk_add_f32 v[70:71], v[18:19], v[6:7] neg_lo:[0,1] neg_hi:[0,1]
	v_pk_add_f32 v[6:7], v[18:19], v[6:7]
	v_mov_b32_e32 v2, v7
	v_pk_add_f32 v[18:19], v[2:3], v[16:17] neg_lo:[0,1] neg_hi:[0,1]
	v_mov_b32_e32 v15, v18
	v_pk_add_f32 v[80:81], v[22:23], v[14:15] neg_lo:[0,1] neg_hi:[0,1]
	v_mov_b32_e32 v6, v23
	v_mov_b32_e32 v22, v17
	v_mov_b32_e32 v23, v18
	v_mov_b32_e32 v71, v7
	v_pk_add_f32 v[6:7], v[6:7], v[22:23] neg_lo:[0,1] neg_hi:[0,1]
	v_mov_b32_e32 v18, v21
	v_mov_b32_e32 v19, v16
	v_pk_add_f32 v[6:7], v[18:19], v[6:7] neg_lo:[0,1] neg_hi:[0,1]
	v_mov_b32_e32 v80, v70
	v_pk_add_f32 v[16:17], v[80:81], v[6:7]
	v_mov_b32_e32 v12, v17
	v_pk_add_f32 v[18:19], v[16:17], v[12:13]
	v_pk_add_f32 v[20:21], v[2:3], v[18:19]
	v_mov_b32_e32 v17, v20
	v_pk_add_f32 v[22:23], v[16:17], v[70:71] neg_lo:[0,1] neg_hi:[0,1]
	v_mov_b32_e32 v7, v18
	v_sub_f32_e32 v2, v16, v22
	v_pk_add_f32 v[6:7], v[6:7], v[22:23] neg_lo:[0,1] neg_hi:[0,1]
	v_sub_f32_e32 v2, v70, v2
	s_mov_b32 s9, 0x7f800000
	v_add_f32_e32 v2, v6, v2
	s_mov_b32 s8, 0x33800000
	v_add_f32_e32 v2, v2, v7
	v_cmp_eq_f32_e32 vcc, s9, v48
	v_cmp_lt_f32_e64 s[8:9], |v48|, s8
	v_add_f32_e32 v2, v20, v2
	s_or_b64 vcc, vcc, s[8:9]
	v_cndmask_b32_e32 v2, v2, v48, vcc
	v_add_f32_e32 v2, v3, v2
	v_cvt_f16_f32_e32 v15, v2
	v_cvt_f32_f16_e32 v2, v15
	v_mov_b32_e32 v69, v15
.LBB401_370:
	s_or_b64 exec, exec, s[6:7]
	v_max_f32_e32 v3, v55, v55
	v_max_f32_e32 v7, v2, v2
	v_min_f32_e32 v6, v7, v3
	v_cmp_u_f16_e32 vcc, v15, v15
	v_max_f32_e32 v3, v7, v3
	v_cndmask_b32_e32 v6, v6, v2, vcc
	v_cndmask_b32_e32 v3, v3, v2, vcc
	v_cndmask_b32_e64 v6, v6, v55, s[44:45]
	v_cndmask_b32_e64 v3, v3, v55, s[44:45]
	s_movk_i32 s8, 0x1f8
	v_cmp_neq_f32_e32 vcc, v6, v3
	v_cmp_class_f32_e64 s[6:7], v6, s8
	s_or_b64 s[10:11], vcc, s[6:7]
	v_mov_b32_e32 v55, v69
	s_and_saveexec_b64 s[6:7], s[10:11]
	s_cbranch_execz .LBB401_372
; %bb.371:
	v_sub_f32_e32 v2, v6, v3
	s_mov_b32 s9, 0x3fb8aa3b
	v_mul_f32_e32 v6, 0x3fb8aa3b, v2
	v_fma_f32 v7, v2, s9, -v6
	v_rndne_f32_e32 v12, v6
	v_fmac_f32_e32 v7, 0x32a5705f, v2
	v_sub_f32_e32 v6, v6, v12
	v_add_f32_e32 v6, v6, v7
	v_exp_f32_e32 v6, v6
	v_cvt_i32_f32_e32 v7, v12
	s_mov_b32 s9, 0xc2ce8ed0
	v_cmp_ngt_f32_e32 vcc, s9, v2
	s_mov_b32 s9, 0x42b17218
	v_ldexp_f32 v6, v6, v7
	v_cndmask_b32_e32 v6, 0, v6, vcc
	v_mov_b32_e32 v7, 0x7f800000
	v_cmp_nlt_f32_e32 vcc, s9, v2
	v_cndmask_b32_e32 v48, v7, v6, vcc
	v_add_f32_e32 v2, 1.0, v48
	v_add_f32_e32 v6, -1.0, v2
	v_sub_f32_e32 v7, v6, v2
	v_add_f32_e32 v7, 1.0, v7
	v_sub_f32_e32 v6, v48, v6
	v_add_f32_e32 v12, v6, v7
	v_frexp_mant_f32_e32 v15, v2
	s_mov_b32 s9, 0x3f2aaaab
	v_cvt_f64_f32_e32 v[6:7], v2
	v_frexp_exp_i32_f64_e32 v6, v[6:7]
	v_cmp_gt_f32_e32 vcc, s9, v15
	v_subbrev_co_u32_e32 v15, vcc, 0, v6, vcc
	v_sub_u32_e32 v6, 0, v15
	v_ldexp_f32 v2, v2, v6
	v_ldexp_f32 v6, v12, v6
	v_add_f32_e32 v12, -1.0, v2
	v_add_f32_e32 v7, 1.0, v12
	v_sub_f32_e32 v7, v2, v7
	v_add_f32_e32 v16, v6, v7
	v_add_f32_e32 v7, 1.0, v2
	v_add_f32_e32 v17, -1.0, v7
	v_sub_f32_e32 v2, v2, v17
	v_add_f32_e32 v2, v6, v2
	v_add_f32_e32 v22, v7, v2
	v_rcp_f32_e32 v23, v22
	v_sub_f32_e32 v6, v7, v22
	v_add_f32_e32 v7, v12, v16
	v_add_f32_e32 v2, v2, v6
	v_sub_f32_e32 v6, v12, v7
	v_mul_f32_e32 v55, v7, v23
	v_add_f32_e32 v12, v16, v6
	v_mul_f32_e32 v16, v22, v55
	v_fma_f32 v18, v55, v22, -v16
	v_fmac_f32_e32 v18, v55, v2
	v_add_f32_e32 v6, v16, v18
	v_sub_f32_e32 v17, v7, v6
	v_pk_add_f32 v[20:21], v[6:7], v[16:17] neg_lo:[0,1] neg_hi:[0,1]
	v_mov_b32_e32 v19, v6
	v_pk_add_f32 v[6:7], v[20:21], v[18:19] neg_lo:[0,1] neg_hi:[0,1]
	v_add_f32_e32 v7, v12, v7
	v_add_f32_e32 v6, v6, v7
	;; [unrolled: 1-line block ×3, first 2 shown]
	v_mul_f32_e32 v12, v23, v7
	v_mul_f32_e32 v16, v22, v12
	v_fma_f32 v18, v12, v22, -v16
	v_fmac_f32_e32 v18, v12, v2
	v_sub_f32_e32 v2, v17, v7
	v_add_f32_e32 v2, v6, v2
	v_add_f32_e32 v6, v16, v18
	v_sub_f32_e32 v17, v7, v6
	v_pk_add_f32 v[20:21], v[6:7], v[16:17] neg_lo:[0,1] neg_hi:[0,1]
	v_mov_b32_e32 v19, v6
	v_pk_add_f32 v[6:7], v[20:21], v[18:19] neg_lo:[0,1] neg_hi:[0,1]
	v_add_f32_e32 v2, v2, v7
	v_add_f32_e32 v2, v6, v2
	;; [unrolled: 1-line block ×4, first 2 shown]
	v_sub_f32_e32 v7, v6, v55
	v_mul_f32_e32 v2, v23, v2
	v_sub_f32_e32 v7, v12, v7
	v_add_f32_e32 v2, v7, v2
	v_add_f32_e32 v12, v6, v2
	v_mul_f32_e32 v17, v12, v12
	v_mov_b32_e32 v16, 0x3ecc95a3
	v_fmac_f32_e32 v16, 0x3e9b6dac, v17
	v_mov_b32_e32 v7, 0x3f2aaada
	v_fmac_f32_e32 v7, v17, v16
	v_cvt_f32_i32_e32 v16, v15
	v_sub_f32_e32 v6, v12, v6
	v_sub_f32_e32 v2, v2, v6
	v_mul_f32_e32 v17, v12, v17
	v_mov_b32_e32 v6, 0x3f317218
	s_mov_b32 s9, 0x3f317218
	v_pk_mul_f32 v[6:7], v[16:17], v[6:7]
	v_fma_f32 v18, v16, s9, -v6
	v_ldexp_f32 v19, v12, 1
	v_fmac_f32_e32 v18, 0xb102e308, v16
	v_pk_add_f32 v[16:17], v[6:7], v[18:19]
	v_sub_f32_e32 v12, v17, v19
	v_ldexp_f32 v2, v2, 1
	v_sub_f32_e32 v12, v7, v12
	v_add_f32_e32 v21, v2, v12
	v_mov_b32_e32 v20, v6
	v_pk_add_f32 v[6:7], v[16:17], v[6:7] neg_lo:[0,1] neg_hi:[0,1]
	v_pk_add_f32 v[22:23], v[16:17], v[20:21]
	v_mov_b32_e32 v7, v23
	v_mov_b32_e32 v19, v16
	v_pk_add_f32 v[70:71], v[18:19], v[6:7] neg_lo:[0,1] neg_hi:[0,1]
	v_pk_add_f32 v[6:7], v[18:19], v[6:7]
	v_mov_b32_e32 v2, v7
	v_pk_add_f32 v[18:19], v[2:3], v[16:17] neg_lo:[0,1] neg_hi:[0,1]
	v_mov_b32_e32 v15, v18
	v_pk_add_f32 v[80:81], v[22:23], v[14:15] neg_lo:[0,1] neg_hi:[0,1]
	v_mov_b32_e32 v6, v23
	v_mov_b32_e32 v22, v17
	;; [unrolled: 1-line block ×4, first 2 shown]
	v_pk_add_f32 v[6:7], v[6:7], v[22:23] neg_lo:[0,1] neg_hi:[0,1]
	v_mov_b32_e32 v18, v21
	v_mov_b32_e32 v19, v16
	v_pk_add_f32 v[6:7], v[18:19], v[6:7] neg_lo:[0,1] neg_hi:[0,1]
	v_mov_b32_e32 v80, v70
	v_pk_add_f32 v[16:17], v[80:81], v[6:7]
	v_mov_b32_e32 v12, v17
	v_pk_add_f32 v[18:19], v[16:17], v[12:13]
	v_pk_add_f32 v[20:21], v[2:3], v[18:19]
	v_mov_b32_e32 v17, v20
	v_pk_add_f32 v[22:23], v[16:17], v[70:71] neg_lo:[0,1] neg_hi:[0,1]
	v_mov_b32_e32 v7, v18
	v_sub_f32_e32 v2, v16, v22
	v_pk_add_f32 v[6:7], v[6:7], v[22:23] neg_lo:[0,1] neg_hi:[0,1]
	v_sub_f32_e32 v2, v70, v2
	s_mov_b32 s10, 0x7f800000
	v_add_f32_e32 v2, v6, v2
	s_mov_b32 s9, 0x33800000
	v_add_f32_e32 v2, v2, v7
	v_cmp_eq_f32_e32 vcc, s10, v48
	v_cmp_lt_f32_e64 s[10:11], |v48|, s9
	v_add_f32_e32 v2, v20, v2
	s_or_b64 vcc, vcc, s[10:11]
	v_cndmask_b32_e32 v2, v2, v48, vcc
	v_add_f32_e32 v2, v3, v2
	v_cvt_f16_f32_e32 v15, v2
	v_cvt_f32_f16_e32 v2, v15
	v_mov_b32_e32 v55, v15
.LBB401_372:
	s_or_b64 exec, exec, s[6:7]
	v_max_f32_e32 v3, v13, v13
	v_max_f32_e32 v7, v2, v2
	v_min_f32_e32 v6, v7, v3
	v_cmp_u_f16_e32 vcc, v15, v15
	v_max_f32_e32 v3, v7, v3
	v_cndmask_b32_e32 v6, v6, v2, vcc
	v_cndmask_b32_e32 v3, v3, v2, vcc
	v_cndmask_b32_e64 v6, v6, v13, s[46:47]
	v_cndmask_b32_e64 v3, v3, v13, s[46:47]
	v_cmp_neq_f32_e32 vcc, v6, v3
	v_cmp_class_f32_e64 s[6:7], v6, s8
	s_or_b64 s[8:9], vcc, s[6:7]
	v_mov_b32_e32 v70, v55
	s_and_saveexec_b64 s[6:7], s[8:9]
	s_cbranch_execz .LBB401_374
; %bb.373:
	v_sub_f32_e32 v2, v6, v3
	s_mov_b32 s8, 0x3fb8aa3b
	v_mul_f32_e32 v6, 0x3fb8aa3b, v2
	v_fma_f32 v7, v2, s8, -v6
	v_rndne_f32_e32 v12, v6
	v_fmac_f32_e32 v7, 0x32a5705f, v2
	v_sub_f32_e32 v6, v6, v12
	v_add_f32_e32 v6, v6, v7
	v_exp_f32_e32 v6, v6
	v_cvt_i32_f32_e32 v7, v12
	s_mov_b32 s8, 0xc2ce8ed0
	v_cmp_ngt_f32_e32 vcc, s8, v2
	s_mov_b32 s8, 0x42b17218
	v_ldexp_f32 v6, v6, v7
	v_cndmask_b32_e32 v6, 0, v6, vcc
	v_mov_b32_e32 v7, 0x7f800000
	v_cmp_nlt_f32_e32 vcc, s8, v2
	v_cndmask_b32_e32 v48, v7, v6, vcc
	v_add_f32_e32 v2, 1.0, v48
	v_add_f32_e32 v6, -1.0, v2
	v_sub_f32_e32 v7, v6, v2
	v_add_f32_e32 v7, 1.0, v7
	v_sub_f32_e32 v6, v48, v6
	v_add_f32_e32 v12, v6, v7
	v_frexp_mant_f32_e32 v13, v2
	s_mov_b32 s8, 0x3f2aaaab
	v_cvt_f64_f32_e32 v[6:7], v2
	v_frexp_exp_i32_f64_e32 v6, v[6:7]
	v_cmp_gt_f32_e32 vcc, s8, v13
	v_subbrev_co_u32_e32 v15, vcc, 0, v6, vcc
	v_sub_u32_e32 v6, 0, v15
	v_ldexp_f32 v2, v2, v6
	v_ldexp_f32 v6, v12, v6
	v_add_f32_e32 v12, -1.0, v2
	v_add_f32_e32 v7, 1.0, v12
	v_sub_f32_e32 v7, v2, v7
	v_add_f32_e32 v13, v6, v7
	v_add_f32_e32 v7, 1.0, v2
	v_add_f32_e32 v16, -1.0, v7
	v_sub_f32_e32 v2, v2, v16
	v_add_f32_e32 v2, v6, v2
	v_add_f32_e32 v20, v7, v2
	v_rcp_f32_e32 v21, v20
	v_sub_f32_e32 v6, v7, v20
	v_add_f32_e32 v7, v12, v13
	v_add_f32_e32 v2, v2, v6
	v_mul_f32_e32 v23, v7, v21
	v_sub_f32_e32 v6, v12, v7
	v_mul_f32_e32 v12, v20, v23
	v_fma_f32 v16, v23, v20, -v12
	v_fmac_f32_e32 v16, v23, v2
	v_add_f32_e32 v22, v13, v6
	v_add_f32_e32 v6, v12, v16
	v_sub_f32_e32 v13, v7, v6
	v_pk_add_f32 v[18:19], v[6:7], v[12:13] neg_lo:[0,1] neg_hi:[0,1]
	v_mov_b32_e32 v17, v6
	v_pk_add_f32 v[6:7], v[18:19], v[16:17] neg_lo:[0,1] neg_hi:[0,1]
	v_add_f32_e32 v7, v22, v7
	v_add_f32_e32 v6, v6, v7
	;; [unrolled: 1-line block ×3, first 2 shown]
	v_mul_f32_e32 v22, v21, v7
	v_mul_f32_e32 v12, v20, v22
	v_fma_f32 v16, v22, v20, -v12
	v_fmac_f32_e32 v16, v22, v2
	v_sub_f32_e32 v2, v13, v7
	v_add_f32_e32 v2, v6, v2
	v_add_f32_e32 v6, v12, v16
	v_sub_f32_e32 v13, v7, v6
	v_pk_add_f32 v[18:19], v[6:7], v[12:13] neg_lo:[0,1] neg_hi:[0,1]
	v_mov_b32_e32 v17, v6
	v_pk_add_f32 v[6:7], v[18:19], v[16:17] neg_lo:[0,1] neg_hi:[0,1]
	v_add_f32_e32 v2, v2, v7
	v_add_f32_e32 v2, v6, v2
	;; [unrolled: 1-line block ×4, first 2 shown]
	v_sub_f32_e32 v7, v6, v23
	v_mul_f32_e32 v2, v21, v2
	v_sub_f32_e32 v7, v22, v7
	v_add_f32_e32 v2, v7, v2
	v_add_f32_e32 v13, v6, v2
	v_mul_f32_e32 v16, v13, v13
	v_mov_b32_e32 v12, 0x3ecc95a3
	v_fmac_f32_e32 v12, 0x3e9b6dac, v16
	v_mov_b32_e32 v7, 0x3f2aaada
	v_fmac_f32_e32 v7, v16, v12
	v_cvt_f32_i32_e32 v12, v15
	v_sub_f32_e32 v6, v13, v6
	v_sub_f32_e32 v2, v2, v6
	v_ldexp_f32 v17, v13, 1
	v_mul_f32_e32 v13, v13, v16
	v_mov_b32_e32 v6, 0x3f317218
	s_mov_b32 s8, 0x3f317218
	v_pk_mul_f32 v[6:7], v[12:13], v[6:7]
	v_fma_f32 v16, v12, s8, -v6
	v_fmac_f32_e32 v16, 0xb102e308, v12
	v_pk_add_f32 v[12:13], v[6:7], v[16:17]
	v_sub_f32_e32 v15, v13, v17
	v_ldexp_f32 v2, v2, 1
	v_sub_f32_e32 v15, v7, v15
	v_add_f32_e32 v19, v2, v15
	v_mov_b32_e32 v18, v6
	v_pk_add_f32 v[6:7], v[12:13], v[6:7] neg_lo:[0,1] neg_hi:[0,1]
	v_pk_add_f32 v[20:21], v[12:13], v[18:19]
	v_mov_b32_e32 v7, v21
	v_mov_b32_e32 v17, v12
	v_pk_add_f32 v[22:23], v[16:17], v[6:7] neg_lo:[0,1] neg_hi:[0,1]
	v_pk_add_f32 v[6:7], v[16:17], v[6:7]
	v_mov_b32_e32 v2, v7
	v_pk_add_f32 v[16:17], v[2:3], v[12:13] neg_lo:[0,1] neg_hi:[0,1]
	v_mov_b32_e32 v15, v16
	v_pk_add_f32 v[70:71], v[20:21], v[14:15] neg_lo:[0,1] neg_hi:[0,1]
	v_mov_b32_e32 v6, v21
	v_mov_b32_e32 v20, v13
	;; [unrolled: 1-line block ×4, first 2 shown]
	v_pk_add_f32 v[6:7], v[6:7], v[20:21] neg_lo:[0,1] neg_hi:[0,1]
	v_mov_b32_e32 v16, v19
	v_mov_b32_e32 v17, v12
	v_pk_add_f32 v[6:7], v[16:17], v[6:7] neg_lo:[0,1] neg_hi:[0,1]
	v_mov_b32_e32 v70, v22
	v_pk_add_f32 v[12:13], v[70:71], v[6:7]
	v_mov_b32_e32 v16, v13
	v_pk_add_f32 v[16:17], v[12:13], v[16:17]
	v_pk_add_f32 v[18:19], v[2:3], v[16:17]
	v_mov_b32_e32 v13, v18
	v_pk_add_f32 v[20:21], v[12:13], v[22:23] neg_lo:[0,1] neg_hi:[0,1]
	v_mov_b32_e32 v7, v16
	v_sub_f32_e32 v2, v12, v20
	v_pk_add_f32 v[6:7], v[6:7], v[20:21] neg_lo:[0,1] neg_hi:[0,1]
	v_sub_f32_e32 v2, v22, v2
	s_mov_b32 s9, 0x7f800000
	v_add_f32_e32 v2, v6, v2
	s_mov_b32 s8, 0x33800000
	v_add_f32_e32 v2, v2, v7
	v_cmp_eq_f32_e32 vcc, s9, v48
	v_cmp_lt_f32_e64 s[8:9], |v48|, s8
	v_add_f32_e32 v2, v18, v2
	s_or_b64 vcc, vcc, s[8:9]
	v_cndmask_b32_e32 v2, v2, v48, vcc
	v_add_f32_e32 v2, v3, v2
	v_cvt_f16_f32_e32 v15, v2
	v_cvt_f32_f16_e32 v2, v15
	v_mov_b32_e32 v70, v15
.LBB401_374:
	s_or_b64 exec, exec, s[6:7]
	v_max_f32_e32 v3, v64, v64
	v_max_f32_e32 v7, v2, v2
	v_min_f32_e32 v6, v7, v3
	v_cmp_u_f16_e32 vcc, v15, v15
	v_max_f32_e32 v3, v7, v3
	v_cndmask_b32_e32 v6, v6, v2, vcc
	v_cndmask_b32_e32 v3, v3, v2, vcc
	v_cndmask_b32_e64 v6, v6, v64, s[48:49]
	v_cndmask_b32_e64 v3, v3, v64, s[48:49]
	s_movk_i32 s8, 0x1f8
	v_cmp_neq_f32_e32 vcc, v6, v3
	v_cmp_class_f32_e64 s[6:7], v6, s8
	s_or_b64 s[10:11], vcc, s[6:7]
	v_mov_b32_e32 v64, v70
	s_and_saveexec_b64 s[6:7], s[10:11]
	s_cbranch_execz .LBB401_376
; %bb.375:
	v_sub_f32_e32 v2, v6, v3
	s_mov_b32 s9, 0x3fb8aa3b
	v_mul_f32_e32 v6, 0x3fb8aa3b, v2
	v_fma_f32 v7, v2, s9, -v6
	v_rndne_f32_e32 v12, v6
	v_fmac_f32_e32 v7, 0x32a5705f, v2
	v_sub_f32_e32 v6, v6, v12
	v_add_f32_e32 v6, v6, v7
	v_exp_f32_e32 v6, v6
	v_cvt_i32_f32_e32 v7, v12
	s_mov_b32 s9, 0xc2ce8ed0
	v_cmp_ngt_f32_e32 vcc, s9, v2
	s_mov_b32 s9, 0x42b17218
	v_ldexp_f32 v6, v6, v7
	v_cndmask_b32_e32 v6, 0, v6, vcc
	v_mov_b32_e32 v7, 0x7f800000
	v_cmp_nlt_f32_e32 vcc, s9, v2
	v_cndmask_b32_e32 v48, v7, v6, vcc
	v_add_f32_e32 v2, 1.0, v48
	v_add_f32_e32 v6, -1.0, v2
	v_sub_f32_e32 v7, v6, v2
	v_add_f32_e32 v7, 1.0, v7
	v_sub_f32_e32 v6, v48, v6
	v_add_f32_e32 v12, v6, v7
	v_frexp_mant_f32_e32 v13, v2
	s_mov_b32 s9, 0x3f2aaaab
	v_cvt_f64_f32_e32 v[6:7], v2
	v_frexp_exp_i32_f64_e32 v6, v[6:7]
	v_cmp_gt_f32_e32 vcc, s9, v13
	v_subbrev_co_u32_e32 v15, vcc, 0, v6, vcc
	v_sub_u32_e32 v6, 0, v15
	v_ldexp_f32 v2, v2, v6
	v_ldexp_f32 v6, v12, v6
	v_add_f32_e32 v12, -1.0, v2
	v_add_f32_e32 v7, 1.0, v12
	v_sub_f32_e32 v7, v2, v7
	v_add_f32_e32 v13, v6, v7
	v_add_f32_e32 v7, 1.0, v2
	v_add_f32_e32 v16, -1.0, v7
	v_sub_f32_e32 v2, v2, v16
	v_add_f32_e32 v2, v6, v2
	v_add_f32_e32 v20, v7, v2
	v_rcp_f32_e32 v21, v20
	v_sub_f32_e32 v6, v7, v20
	v_add_f32_e32 v7, v12, v13
	v_add_f32_e32 v2, v2, v6
	v_mul_f32_e32 v23, v7, v21
	v_sub_f32_e32 v6, v12, v7
	v_mul_f32_e32 v12, v20, v23
	v_fma_f32 v16, v23, v20, -v12
	v_fmac_f32_e32 v16, v23, v2
	v_add_f32_e32 v22, v13, v6
	v_add_f32_e32 v6, v12, v16
	v_sub_f32_e32 v13, v7, v6
	v_pk_add_f32 v[18:19], v[6:7], v[12:13] neg_lo:[0,1] neg_hi:[0,1]
	v_mov_b32_e32 v17, v6
	v_pk_add_f32 v[6:7], v[18:19], v[16:17] neg_lo:[0,1] neg_hi:[0,1]
	v_add_f32_e32 v7, v22, v7
	v_add_f32_e32 v6, v6, v7
	;; [unrolled: 1-line block ×3, first 2 shown]
	v_mul_f32_e32 v22, v21, v7
	v_mul_f32_e32 v12, v20, v22
	v_fma_f32 v16, v22, v20, -v12
	v_fmac_f32_e32 v16, v22, v2
	v_sub_f32_e32 v2, v13, v7
	v_add_f32_e32 v2, v6, v2
	v_add_f32_e32 v6, v12, v16
	v_sub_f32_e32 v13, v7, v6
	v_pk_add_f32 v[18:19], v[6:7], v[12:13] neg_lo:[0,1] neg_hi:[0,1]
	v_mov_b32_e32 v17, v6
	v_pk_add_f32 v[6:7], v[18:19], v[16:17] neg_lo:[0,1] neg_hi:[0,1]
	v_add_f32_e32 v2, v2, v7
	v_add_f32_e32 v2, v6, v2
	;; [unrolled: 1-line block ×4, first 2 shown]
	v_sub_f32_e32 v7, v6, v23
	v_mul_f32_e32 v2, v21, v2
	v_sub_f32_e32 v7, v22, v7
	v_add_f32_e32 v2, v7, v2
	v_add_f32_e32 v13, v6, v2
	v_mul_f32_e32 v16, v13, v13
	v_mov_b32_e32 v12, 0x3ecc95a3
	v_fmac_f32_e32 v12, 0x3e9b6dac, v16
	v_mov_b32_e32 v7, 0x3f2aaada
	v_fmac_f32_e32 v7, v16, v12
	v_cvt_f32_i32_e32 v12, v15
	v_sub_f32_e32 v6, v13, v6
	v_sub_f32_e32 v2, v2, v6
	v_ldexp_f32 v17, v13, 1
	v_mul_f32_e32 v13, v13, v16
	v_mov_b32_e32 v6, 0x3f317218
	s_mov_b32 s9, 0x3f317218
	v_pk_mul_f32 v[6:7], v[12:13], v[6:7]
	v_fma_f32 v16, v12, s9, -v6
	v_fmac_f32_e32 v16, 0xb102e308, v12
	v_pk_add_f32 v[12:13], v[6:7], v[16:17]
	v_sub_f32_e32 v15, v13, v17
	v_ldexp_f32 v2, v2, 1
	v_sub_f32_e32 v15, v7, v15
	v_add_f32_e32 v19, v2, v15
	v_mov_b32_e32 v18, v6
	v_pk_add_f32 v[6:7], v[12:13], v[6:7] neg_lo:[0,1] neg_hi:[0,1]
	v_pk_add_f32 v[20:21], v[12:13], v[18:19]
	v_mov_b32_e32 v7, v21
	v_mov_b32_e32 v17, v12
	v_pk_add_f32 v[22:23], v[16:17], v[6:7] neg_lo:[0,1] neg_hi:[0,1]
	v_pk_add_f32 v[6:7], v[16:17], v[6:7]
	v_mov_b32_e32 v2, v7
	v_pk_add_f32 v[16:17], v[2:3], v[12:13] neg_lo:[0,1] neg_hi:[0,1]
	v_mov_b32_e32 v15, v16
	v_pk_add_f32 v[80:81], v[20:21], v[14:15] neg_lo:[0,1] neg_hi:[0,1]
	v_mov_b32_e32 v6, v21
	v_mov_b32_e32 v20, v13
	;; [unrolled: 1-line block ×4, first 2 shown]
	v_pk_add_f32 v[6:7], v[6:7], v[20:21] neg_lo:[0,1] neg_hi:[0,1]
	v_mov_b32_e32 v16, v19
	v_mov_b32_e32 v17, v12
	v_pk_add_f32 v[6:7], v[16:17], v[6:7] neg_lo:[0,1] neg_hi:[0,1]
	v_mov_b32_e32 v80, v22
	v_pk_add_f32 v[12:13], v[80:81], v[6:7]
	v_mov_b32_e32 v16, v13
	v_pk_add_f32 v[16:17], v[12:13], v[16:17]
	v_pk_add_f32 v[18:19], v[2:3], v[16:17]
	v_mov_b32_e32 v13, v18
	v_pk_add_f32 v[20:21], v[12:13], v[22:23] neg_lo:[0,1] neg_hi:[0,1]
	v_mov_b32_e32 v7, v16
	v_sub_f32_e32 v2, v12, v20
	v_pk_add_f32 v[6:7], v[6:7], v[20:21] neg_lo:[0,1] neg_hi:[0,1]
	v_sub_f32_e32 v2, v22, v2
	s_mov_b32 s10, 0x7f800000
	v_add_f32_e32 v2, v6, v2
	s_mov_b32 s9, 0x33800000
	v_add_f32_e32 v2, v2, v7
	v_cmp_eq_f32_e32 vcc, s10, v48
	v_cmp_lt_f32_e64 s[10:11], |v48|, s9
	v_add_f32_e32 v2, v18, v2
	s_or_b64 vcc, vcc, s[10:11]
	v_cndmask_b32_e32 v2, v2, v48, vcc
	v_add_f32_e32 v2, v3, v2
	v_cvt_f16_f32_e32 v15, v2
	v_cvt_f32_f16_e32 v2, v15
	v_mov_b32_e32 v64, v15
.LBB401_376:
	s_or_b64 exec, exec, s[6:7]
	v_max_f32_e32 v3, v14, v14
	v_max_f32_e32 v7, v2, v2
	v_min_f32_e32 v6, v7, v3
	v_cmp_u_f16_e32 vcc, v15, v15
	v_max_f32_e32 v3, v7, v3
	v_cndmask_b32_e32 v6, v6, v2, vcc
	v_cndmask_b32_e32 v3, v3, v2, vcc
	v_cndmask_b32_e64 v6, v6, v14, s[50:51]
	v_cndmask_b32_e64 v3, v3, v14, s[50:51]
	v_cmp_neq_f32_e32 vcc, v6, v3
	v_cmp_class_f32_e64 s[6:7], v6, s8
	s_or_b64 s[8:9], vcc, s[6:7]
	v_mov_b32_e32 v71, v64
	s_and_saveexec_b64 s[6:7], s[8:9]
	s_cbranch_execz .LBB401_378
; %bb.377:
	v_sub_f32_e32 v2, v6, v3
	s_mov_b32 s8, 0x3fb8aa3b
	v_mul_f32_e32 v6, 0x3fb8aa3b, v2
	v_fma_f32 v7, v2, s8, -v6
	v_rndne_f32_e32 v12, v6
	v_fmac_f32_e32 v7, 0x32a5705f, v2
	v_sub_f32_e32 v6, v6, v12
	v_add_f32_e32 v6, v6, v7
	v_exp_f32_e32 v6, v6
	v_cvt_i32_f32_e32 v7, v12
	s_mov_b32 s8, 0xc2ce8ed0
	v_cmp_ngt_f32_e32 vcc, s8, v2
	s_mov_b32 s8, 0x42b17218
	v_ldexp_f32 v6, v6, v7
	v_cndmask_b32_e32 v6, 0, v6, vcc
	v_mov_b32_e32 v7, 0x7f800000
	v_cmp_nlt_f32_e32 vcc, s8, v2
	v_cndmask_b32_e32 v48, v7, v6, vcc
	v_add_f32_e32 v2, 1.0, v48
	v_add_f32_e32 v6, -1.0, v2
	v_sub_f32_e32 v7, v6, v2
	v_add_f32_e32 v7, 1.0, v7
	v_sub_f32_e32 v6, v48, v6
	v_add_f32_e32 v12, v6, v7
	v_frexp_mant_f32_e32 v13, v2
	s_mov_b32 s8, 0x3f2aaaab
	v_cvt_f64_f32_e32 v[6:7], v2
	v_frexp_exp_i32_f64_e32 v6, v[6:7]
	v_cmp_gt_f32_e32 vcc, s8, v13
	v_subbrev_co_u32_e32 v18, vcc, 0, v6, vcc
	v_sub_u32_e32 v6, 0, v18
	v_ldexp_f32 v2, v2, v6
	v_ldexp_f32 v6, v12, v6
	v_add_f32_e32 v12, -1.0, v2
	v_add_f32_e32 v7, 1.0, v12
	v_sub_f32_e32 v7, v2, v7
	v_add_f32_e32 v13, v6, v7
	v_add_f32_e32 v7, 1.0, v2
	v_add_f32_e32 v14, -1.0, v7
	v_sub_f32_e32 v2, v2, v14
	v_add_f32_e32 v2, v6, v2
	v_add_f32_e32 v19, v7, v2
	v_rcp_f32_e32 v20, v19
	v_sub_f32_e32 v6, v7, v19
	v_add_f32_e32 v7, v12, v13
	v_add_f32_e32 v2, v2, v6
	v_mul_f32_e32 v22, v7, v20
	v_sub_f32_e32 v6, v12, v7
	v_mul_f32_e32 v12, v19, v22
	v_fma_f32 v14, v22, v19, -v12
	v_fmac_f32_e32 v14, v22, v2
	v_add_f32_e32 v21, v13, v6
	v_add_f32_e32 v6, v12, v14
	v_sub_f32_e32 v13, v7, v6
	v_pk_add_f32 v[16:17], v[6:7], v[12:13] neg_lo:[0,1] neg_hi:[0,1]
	v_mov_b32_e32 v15, v6
	v_pk_add_f32 v[6:7], v[16:17], v[14:15] neg_lo:[0,1] neg_hi:[0,1]
	v_add_f32_e32 v7, v21, v7
	v_add_f32_e32 v6, v6, v7
	;; [unrolled: 1-line block ×3, first 2 shown]
	v_mul_f32_e32 v21, v20, v7
	v_mul_f32_e32 v12, v19, v21
	v_fma_f32 v14, v21, v19, -v12
	v_fmac_f32_e32 v14, v21, v2
	v_sub_f32_e32 v2, v13, v7
	v_add_f32_e32 v2, v6, v2
	v_add_f32_e32 v6, v12, v14
	v_sub_f32_e32 v13, v7, v6
	v_pk_add_f32 v[16:17], v[6:7], v[12:13] neg_lo:[0,1] neg_hi:[0,1]
	v_mov_b32_e32 v15, v6
	v_pk_add_f32 v[6:7], v[16:17], v[14:15] neg_lo:[0,1] neg_hi:[0,1]
	v_add_f32_e32 v2, v2, v7
	v_add_f32_e32 v2, v6, v2
	;; [unrolled: 1-line block ×4, first 2 shown]
	v_sub_f32_e32 v7, v6, v22
	v_mul_f32_e32 v2, v20, v2
	v_sub_f32_e32 v7, v21, v7
	v_add_f32_e32 v2, v7, v2
	v_add_f32_e32 v13, v6, v2
	v_mul_f32_e32 v14, v13, v13
	v_mov_b32_e32 v12, 0x3ecc95a3
	v_fmac_f32_e32 v12, 0x3e9b6dac, v14
	v_mov_b32_e32 v7, 0x3f2aaada
	v_fmac_f32_e32 v7, v14, v12
	v_cvt_f32_i32_e32 v12, v18
	v_sub_f32_e32 v6, v13, v6
	v_sub_f32_e32 v2, v2, v6
	v_ldexp_f32 v15, v13, 1
	v_mul_f32_e32 v13, v13, v14
	v_mov_b32_e32 v6, 0x3f317218
	s_mov_b32 s8, 0x3f317218
	v_pk_mul_f32 v[6:7], v[12:13], v[6:7]
	v_fma_f32 v14, v12, s8, -v6
	v_fmac_f32_e32 v14, 0xb102e308, v12
	v_pk_add_f32 v[12:13], v[6:7], v[14:15]
	v_sub_f32_e32 v15, v13, v15
	v_ldexp_f32 v2, v2, 1
	v_sub_f32_e32 v15, v7, v15
	v_add_f32_e32 v17, v2, v15
	v_mov_b32_e32 v16, v6
	v_pk_add_f32 v[6:7], v[12:13], v[6:7] neg_lo:[0,1] neg_hi:[0,1]
	v_pk_add_f32 v[18:19], v[12:13], v[16:17]
	v_mov_b32_e32 v7, v19
	v_mov_b32_e32 v15, v12
	v_pk_add_f32 v[20:21], v[14:15], v[6:7] neg_lo:[0,1] neg_hi:[0,1]
	v_pk_add_f32 v[6:7], v[14:15], v[6:7]
	v_mov_b32_e32 v2, v7
	v_pk_add_f32 v[14:15], v[2:3], v[12:13] neg_lo:[0,1] neg_hi:[0,1]
	v_mov_b32_e32 v15, v14
	v_pk_add_f32 v[22:23], v[18:19], v[14:15] neg_lo:[0,1] neg_hi:[0,1]
	v_mov_b32_e32 v6, v19
	v_mov_b32_e32 v18, v13
	v_mov_b32_e32 v19, v14
	v_mov_b32_e32 v21, v7
	v_pk_add_f32 v[6:7], v[6:7], v[18:19] neg_lo:[0,1] neg_hi:[0,1]
	v_mov_b32_e32 v14, v17
	v_mov_b32_e32 v15, v12
	v_pk_add_f32 v[6:7], v[14:15], v[6:7] neg_lo:[0,1] neg_hi:[0,1]
	v_mov_b32_e32 v22, v20
	v_pk_add_f32 v[12:13], v[22:23], v[6:7]
	v_mov_b32_e32 v14, v13
	v_pk_add_f32 v[14:15], v[12:13], v[14:15]
	v_pk_add_f32 v[16:17], v[2:3], v[14:15]
	v_mov_b32_e32 v13, v16
	v_pk_add_f32 v[18:19], v[12:13], v[20:21] neg_lo:[0,1] neg_hi:[0,1]
	v_mov_b32_e32 v7, v14
	v_sub_f32_e32 v2, v12, v18
	v_pk_add_f32 v[6:7], v[6:7], v[18:19] neg_lo:[0,1] neg_hi:[0,1]
	v_sub_f32_e32 v2, v20, v2
	s_mov_b32 s9, 0x7f800000
	v_add_f32_e32 v2, v6, v2
	s_mov_b32 s8, 0x33800000
	v_add_f32_e32 v2, v2, v7
	v_cmp_eq_f32_e32 vcc, s9, v48
	v_cmp_lt_f32_e64 s[8:9], |v48|, s8
	v_add_f32_e32 v2, v16, v2
	s_or_b64 vcc, vcc, s[8:9]
	v_cndmask_b32_e32 v2, v2, v48, vcc
	v_add_f32_e32 v2, v3, v2
	v_cvt_f16_f32_e32 v15, v2
	v_cvt_f32_f16_e32 v2, v15
	v_mov_b32_e32 v71, v15
.LBB401_378:
	s_or_b64 exec, exec, s[6:7]
	v_max_f32_e32 v6, v65, v65
	v_max_f32_e32 v7, v2, v2
	v_min_f32_e32 v3, v7, v6
	v_cmp_u_f16_e32 vcc, v15, v15
	v_max_f32_e32 v6, v7, v6
	v_cndmask_b32_e32 v3, v3, v2, vcc
	v_cndmask_b32_e32 v2, v6, v2, vcc
	v_cndmask_b32_e64 v3, v3, v65, s[52:53]
	v_cndmask_b32_e64 v2, v2, v65, s[52:53]
	s_movk_i32 s6, 0x1f8
	v_cmp_neq_f32_e32 vcc, v3, v2
	v_cmp_class_f32_e64 s[6:7], v3, s6
	s_or_b64 s[8:9], vcc, s[6:7]
	v_mov_b32_e32 v65, v71
	s_and_saveexec_b64 s[6:7], s[8:9]
	s_cbranch_execz .LBB401_380
; %bb.379:
	v_sub_f32_e32 v3, v3, v2
	s_mov_b32 s8, 0x3fb8aa3b
	v_mul_f32_e32 v6, 0x3fb8aa3b, v3
	v_fma_f32 v7, v3, s8, -v6
	v_rndne_f32_e32 v12, v6
	v_fmac_f32_e32 v7, 0x32a5705f, v3
	v_sub_f32_e32 v6, v6, v12
	v_add_f32_e32 v6, v6, v7
	v_exp_f32_e32 v6, v6
	v_cvt_i32_f32_e32 v7, v12
	s_mov_b32 s8, 0xc2ce8ed0
	v_cmp_ngt_f32_e32 vcc, s8, v3
	s_mov_b32 s8, 0x42b17218
	v_ldexp_f32 v6, v6, v7
	v_cndmask_b32_e32 v6, 0, v6, vcc
	v_mov_b32_e32 v7, 0x7f800000
	v_cmp_nlt_f32_e32 vcc, s8, v3
	v_cndmask_b32_e32 v48, v7, v6, vcc
	v_add_f32_e32 v3, 1.0, v48
	v_add_f32_e32 v6, -1.0, v3
	v_sub_f32_e32 v7, v6, v3
	v_add_f32_e32 v7, 1.0, v7
	v_sub_f32_e32 v6, v48, v6
	v_add_f32_e32 v12, v6, v7
	v_frexp_mant_f32_e32 v13, v3
	s_mov_b32 s8, 0x3f2aaaab
	v_cvt_f64_f32_e32 v[6:7], v3
	v_frexp_exp_i32_f64_e32 v6, v[6:7]
	v_cmp_gt_f32_e32 vcc, s8, v13
	v_subbrev_co_u32_e32 v18, vcc, 0, v6, vcc
	v_sub_u32_e32 v6, 0, v18
	v_ldexp_f32 v3, v3, v6
	v_ldexp_f32 v6, v12, v6
	v_add_f32_e32 v12, -1.0, v3
	v_add_f32_e32 v7, 1.0, v12
	v_sub_f32_e32 v7, v3, v7
	v_add_f32_e32 v13, v6, v7
	v_add_f32_e32 v7, 1.0, v3
	v_add_f32_e32 v14, -1.0, v7
	v_sub_f32_e32 v3, v3, v14
	v_add_f32_e32 v3, v6, v3
	v_add_f32_e32 v19, v7, v3
	v_rcp_f32_e32 v20, v19
	v_sub_f32_e32 v6, v7, v19
	v_add_f32_e32 v7, v12, v13
	v_add_f32_e32 v3, v3, v6
	v_mul_f32_e32 v22, v7, v20
	v_sub_f32_e32 v6, v12, v7
	v_mul_f32_e32 v12, v19, v22
	v_fma_f32 v14, v22, v19, -v12
	v_fmac_f32_e32 v14, v22, v3
	v_add_f32_e32 v21, v13, v6
	v_add_f32_e32 v6, v12, v14
	v_sub_f32_e32 v13, v7, v6
	v_pk_add_f32 v[16:17], v[6:7], v[12:13] neg_lo:[0,1] neg_hi:[0,1]
	v_mov_b32_e32 v15, v6
	v_pk_add_f32 v[6:7], v[16:17], v[14:15] neg_lo:[0,1] neg_hi:[0,1]
	v_add_f32_e32 v7, v21, v7
	v_add_f32_e32 v6, v6, v7
	;; [unrolled: 1-line block ×3, first 2 shown]
	v_mul_f32_e32 v21, v20, v7
	v_mul_f32_e32 v12, v19, v21
	v_fma_f32 v14, v21, v19, -v12
	v_fmac_f32_e32 v14, v21, v3
	v_sub_f32_e32 v3, v13, v7
	v_add_f32_e32 v3, v6, v3
	v_add_f32_e32 v6, v12, v14
	v_sub_f32_e32 v13, v7, v6
	v_pk_add_f32 v[16:17], v[6:7], v[12:13] neg_lo:[0,1] neg_hi:[0,1]
	v_mov_b32_e32 v15, v6
	v_pk_add_f32 v[6:7], v[16:17], v[14:15] neg_lo:[0,1] neg_hi:[0,1]
	v_add_f32_e32 v3, v3, v7
	v_add_f32_e32 v3, v6, v3
	;; [unrolled: 1-line block ×4, first 2 shown]
	v_sub_f32_e32 v7, v6, v22
	v_mul_f32_e32 v3, v20, v3
	v_sub_f32_e32 v7, v21, v7
	v_add_f32_e32 v3, v7, v3
	v_add_f32_e32 v13, v6, v3
	v_mul_f32_e32 v14, v13, v13
	v_mov_b32_e32 v12, 0x3ecc95a3
	v_fmac_f32_e32 v12, 0x3e9b6dac, v14
	v_mov_b32_e32 v7, 0x3f2aaada
	v_fmac_f32_e32 v7, v14, v12
	v_cvt_f32_i32_e32 v12, v18
	v_sub_f32_e32 v6, v13, v6
	v_sub_f32_e32 v3, v3, v6
	v_ldexp_f32 v15, v13, 1
	v_mul_f32_e32 v13, v13, v14
	v_mov_b32_e32 v6, 0x3f317218
	s_mov_b32 s8, 0x3f317218
	v_pk_mul_f32 v[6:7], v[12:13], v[6:7]
	v_fma_f32 v14, v12, s8, -v6
	v_fmac_f32_e32 v14, 0xb102e308, v12
	v_pk_add_f32 v[12:13], v[6:7], v[14:15]
	v_sub_f32_e32 v15, v13, v15
	v_ldexp_f32 v3, v3, 1
	v_sub_f32_e32 v15, v7, v15
	v_add_f32_e32 v17, v3, v15
	v_mov_b32_e32 v16, v6
	v_pk_add_f32 v[6:7], v[12:13], v[6:7] neg_lo:[0,1] neg_hi:[0,1]
	v_pk_add_f32 v[18:19], v[12:13], v[16:17]
	v_mov_b32_e32 v7, v19
	v_mov_b32_e32 v15, v12
	v_pk_add_f32 v[20:21], v[14:15], v[6:7] neg_lo:[0,1] neg_hi:[0,1]
	v_pk_add_f32 v[6:7], v[14:15], v[6:7]
	v_mov_b32_e32 v14, v7
	v_pk_add_f32 v[22:23], v[14:15], v[12:13] neg_lo:[0,1] neg_hi:[0,1]
	v_mov_b32_e32 v3, v22
	v_pk_add_f32 v[80:81], v[18:19], v[2:3] neg_lo:[0,1] neg_hi:[0,1]
	v_mov_b32_e32 v6, v19
	v_mov_b32_e32 v18, v13
	;; [unrolled: 1-line block ×4, first 2 shown]
	v_pk_add_f32 v[6:7], v[6:7], v[18:19] neg_lo:[0,1] neg_hi:[0,1]
	v_mov_b32_e32 v16, v17
	v_mov_b32_e32 v17, v12
	v_pk_add_f32 v[6:7], v[16:17], v[6:7] neg_lo:[0,1] neg_hi:[0,1]
	v_mov_b32_e32 v80, v20
	v_pk_add_f32 v[12:13], v[80:81], v[6:7]
	v_mov_b32_e32 v16, v13
	v_pk_add_f32 v[16:17], v[12:13], v[16:17]
	v_pk_add_f32 v[14:15], v[14:15], v[16:17]
	v_mov_b32_e32 v13, v14
	v_pk_add_f32 v[18:19], v[12:13], v[20:21] neg_lo:[0,1] neg_hi:[0,1]
	v_mov_b32_e32 v7, v16
	v_sub_f32_e32 v3, v12, v18
	v_pk_add_f32 v[6:7], v[6:7], v[18:19] neg_lo:[0,1] neg_hi:[0,1]
	v_sub_f32_e32 v3, v20, v3
	s_mov_b32 s9, 0x7f800000
	v_add_f32_e32 v3, v6, v3
	s_mov_b32 s8, 0x33800000
	v_add_f32_e32 v3, v3, v7
	v_cmp_eq_f32_e32 vcc, s9, v48
	v_cmp_lt_f32_e64 s[8:9], |v48|, s8
	v_add_f32_e32 v3, v14, v3
	s_or_b64 vcc, vcc, s[8:9]
	v_cndmask_b32_e32 v3, v3, v48, vcc
	v_add_f32_e32 v2, v2, v3
	v_cvt_f16_f32_e32 v65, v2
.LBB401_380:
	s_or_b64 exec, exec, s[6:7]
	s_and_saveexec_b64 s[6:7], s[56:57]
	s_cbranch_execz .LBB401_382
; %bb.381:
	s_mov_b32 s8, 0x20000
	v_or_b32_sdwa v2, v65, s8 dst_sel:DWORD dst_unused:UNUSED_PAD src0_sel:WORD_0 src1_sel:DWORD
	flat_store_dword v[24:25], v2 offset:256
.LBB401_382:
	s_or_b64 exec, exec, s[6:7]
.LBB401_383:
	v_add_co_u32_e32 v2, vcc, v10, v28
	v_addc_co_u32_e32 v3, vcc, v11, v29, vcc
	v_mov_b32_e32 v6, s63
	v_add_co_u32_e32 v2, vcc, s62, v2
	v_addc_co_u32_e32 v3, vcc, v3, v6, vcc
	s_waitcnt lgkmcnt(0)
	; wave barrier
	s_waitcnt lgkmcnt(0)
	s_and_saveexec_b64 s[6:7], s[4:5]
	s_xor_b64 s[4:5], exec, s[6:7]
	s_cbranch_execz .LBB401_385
; %bb.384:
	s_mov_b32 s6, 0x5040100
	v_perm_b32 v7, v35, v34, s6
	v_perm_b32 v6, v33, v32, s6
	;; [unrolled: 1-line block ×4, first 2 shown]
	ds_write_b128 v1, v[4:7]
	v_perm_b32 v7, v53, v67, s6
	v_perm_b32 v6, v52, v66, s6
	;; [unrolled: 1-line block ×4, first 2 shown]
	ds_write_b128 v1, v[4:7] offset:16
	v_perm_b32 v7, v65, v71, s6
	v_perm_b32 v6, v64, v70, s6
	v_perm_b32 v5, v55, v69, s6
	v_perm_b32 v4, v54, v68, s6
	ds_write_b128 v1, v[4:7] offset:32
	s_waitcnt lgkmcnt(0)
	; wave barrier
	s_waitcnt lgkmcnt(0)
	ds_read_u16 v4, v38
	ds_read_u16 v5, v38 offset:128
	ds_read_u16 v6, v38 offset:256
	;; [unrolled: 1-line block ×23, first 2 shown]
	v_add_co_u32_e32 v0, vcc, v2, v38
	v_addc_co_u32_e32 v1, vcc, 0, v3, vcc
	s_waitcnt lgkmcnt(0)
	flat_store_short v[0:1], v4
	flat_store_short v[0:1], v5 offset:128
	flat_store_short v[0:1], v6 offset:256
	;; [unrolled: 1-line block ×23, first 2 shown]
                                        ; implicit-def: $vgpr2_vgpr3_vgpr4_vgpr5
                                        ; implicit-def: $vgpr6_vgpr7_vgpr8_vgpr9
                                        ; implicit-def: $vgpr0
                                        ; implicit-def: $vgpr1
                                        ; implicit-def: $vgpr26
                                        ; implicit-def: $vgpr27
                                        ; implicit-def: $vgpr30
                                        ; implicit-def: $vgpr31
                                        ; implicit-def: $vgpr32
                                        ; implicit-def: $vgpr33
                                        ; implicit-def: $vgpr34
                                        ; implicit-def: $vgpr35
                                        ; implicit-def: $vgpr49
                                        ; implicit-def: $vgpr50
                                        ; implicit-def: $vgpr87
                                        ; implicit-def: $vgpr51
                                        ; implicit-def: $vgpr66
                                        ; implicit-def: $vgpr52
                                        ; implicit-def: $vgpr67
                                        ; implicit-def: $vgpr53
                                        ; implicit-def: $vgpr68
                                        ; implicit-def: $vgpr54
                                        ; implicit-def: $vgpr69
                                        ; implicit-def: $vgpr55
                                        ; implicit-def: $vgpr70
                                        ; implicit-def: $vgpr64
                                        ; implicit-def: $vgpr71
                                        ; implicit-def: $vgpr65
                                        ; implicit-def: $vgpr39
                                        ; implicit-def: $vgpr36
                                        ; implicit-def: $vgpr37
                                        ; implicit-def: $vgpr2
                                        ; implicit-def: $vgpr3
                                        ; implicit-def: $vgpr38
.LBB401_385:
	s_andn2_saveexec_b64 s[6:7], s[4:5]
	s_cbranch_execz .LBB401_526
; %bb.386:
	s_mov_b32 s4, 0x5040100
	v_perm_b32 v13, v35, v34, s4
	v_perm_b32 v12, v33, v32, s4
	;; [unrolled: 1-line block ×4, first 2 shown]
	ds_write_b128 v1, v[10:13]
	v_perm_b32 v13, v53, v67, s4
	v_perm_b32 v12, v52, v66, s4
	;; [unrolled: 1-line block ×4, first 2 shown]
	ds_write_b128 v1, v[10:13] offset:16
	v_perm_b32 v13, v65, v71, s4
	v_perm_b32 v12, v64, v70, s4
	;; [unrolled: 1-line block ×4, first 2 shown]
	ds_write_b128 v1, v[10:13] offset:32
	s_waitcnt lgkmcnt(0)
	; wave barrier
	s_waitcnt lgkmcnt(0)
	ds_read_u16 v7, v38
	ds_read_u16 v6, v38 offset:128
	ds_read_u16 v11, v38 offset:256
	;; [unrolled: 1-line block ×23, first 2 shown]
	v_add_co_u32_e32 v2, vcc, v2, v38
	v_addc_co_u32_e32 v3, vcc, 0, v3, vcc
	v_mov_b32_e32 v1, 0
	v_cmp_lt_u32_e32 vcc, v0, v36
	s_and_saveexec_b64 s[4:5], vcc
	s_cbranch_execz .LBB401_388
; %bb.387:
	s_waitcnt lgkmcnt(0)
	flat_store_short v[2:3], v7
.LBB401_388:
	s_or_b64 exec, exec, s[4:5]
	v_add_u32_e32 v32, 64, v0
	v_cmp_lt_u32_e32 vcc, v32, v36
	s_and_saveexec_b64 s[4:5], vcc
	s_cbranch_execz .LBB401_390
; %bb.389:
	s_waitcnt lgkmcnt(0)
	flat_store_short v[2:3], v6 offset:128
.LBB401_390:
	s_or_b64 exec, exec, s[4:5]
	v_add_u32_e32 v32, 0x80, v0
	v_cmp_lt_u32_e32 vcc, v32, v36
	s_and_saveexec_b64 s[4:5], vcc
	s_cbranch_execz .LBB401_392
; %bb.391:
	s_waitcnt lgkmcnt(0)
	flat_store_short v[2:3], v11 offset:256
.LBB401_392:
	;; [unrolled: 9-line block ×15, first 2 shown]
	s_or_b64 exec, exec, s[4:5]
	v_or_b32_e32 v32, 0x400, v0
	v_cmp_lt_u32_e32 vcc, v32, v36
	s_and_saveexec_b64 s[4:5], vcc
	s_cbranch_execz .LBB401_420
; %bb.419:
	s_waitcnt lgkmcnt(0)
	flat_store_short v[2:3], v26 offset:2048
.LBB401_420:
	s_or_b64 exec, exec, s[4:5]
	v_add_u32_e32 v32, 0x440, v0
	v_cmp_lt_u32_e32 vcc, v32, v36
	s_and_saveexec_b64 s[4:5], vcc
	s_cbranch_execz .LBB401_422
; %bb.421:
	s_waitcnt lgkmcnt(0)
	flat_store_short v[2:3], v30 offset:2176
.LBB401_422:
	s_or_b64 exec, exec, s[4:5]
	v_add_u32_e32 v32, 0x480, v0
	;; [unrolled: 9-line block ×7, first 2 shown]
	v_cmp_lt_u32_e32 vcc, v32, v36
	s_and_saveexec_b64 s[4:5], vcc
	s_cbranch_execz .LBB401_434
; %bb.433:
	s_waitcnt lgkmcnt(0)
	flat_store_short v[2:3], v31 offset:2944
.LBB401_434:
	s_or_b64 exec, exec, s[4:5]
	v_cmp_lt_u64_e32 vcc, 1, v[8:9]
	s_and_saveexec_b64 s[8:9], vcc
	s_cbranch_execz .LBB401_525
; %bb.435:
	s_add_u32 s4, 0, 0xaaaa0000
	s_addc_u32 s5, 0, 42
	s_add_i32 s5, s5, 0xaaaaa80
	s_mul_hi_u32 s13, s4, 0xffffffe8
	s_sub_i32 s13, s13, s4
	s_mul_i32 s14, s5, 0xffffffe8
	s_mul_i32 s10, s4, 0xffffffe8
	s_add_i32 s13, s13, s14
	s_mul_hi_u32 s11, s5, s10
	s_mul_i32 s12, s5, s10
	s_mul_i32 s15, s4, s13
	s_mul_hi_u32 s10, s4, s10
	s_mul_hi_u32 s14, s4, s13
	s_add_u32 s10, s10, s15
	s_addc_u32 s14, 0, s14
	s_add_u32 s10, s10, s12
	s_mul_hi_u32 s15, s5, s13
	s_addc_u32 s10, s14, s11
	s_addc_u32 s11, s15, 0
	s_mul_i32 s12, s5, s13
	v_add_co_u32_e32 v2, vcc, -1, v36
	s_add_u32 s10, s10, s12
	v_addc_co_u32_e32 v3, vcc, -1, v37, vcc
	v_mov_b32_e32 v8, s10
	s_addc_u32 s11, 0, s11
	v_add_co_u32_e32 v32, vcc, s4, v8
	s_cmp_lg_u64 vcc, 0
	s_addc_u32 s10, s5, s11
	v_mad_u64_u32 v[8:9], s[4:5], v2, s10, 0
	v_mul_hi_u32 v33, v2, v32
	v_add_co_u32_e32 v34, vcc, v33, v8
	v_addc_co_u32_e32 v35, vcc, 0, v9, vcc
	v_mad_u64_u32 v[32:33], s[4:5], v3, v32, 0
	v_add_co_u32_e32 v32, vcc, v34, v32
	v_mad_u64_u32 v[8:9], s[4:5], v3, s10, 0
	v_addc_co_u32_e32 v32, vcc, v35, v33, vcc
	v_addc_co_u32_e32 v9, vcc, 0, v9, vcc
	v_add_co_u32_e32 v34, vcc, v32, v8
	v_addc_co_u32_e32 v35, vcc, 0, v9, vcc
	v_mad_u64_u32 v[8:9], s[4:5], v34, 24, 0
	v_mov_b32_e32 v32, v9
	v_mad_u64_u32 v[32:33], s[4:5], v35, 24, v[32:33]
	v_sub_co_u32_e32 v8, vcc, v2, v8
	v_subb_co_u32_e32 v9, vcc, v3, v32, vcc
	v_subrev_co_u32_e32 v32, vcc, 24, v8
	v_subbrev_co_u32_e32 v33, vcc, 0, v9, vcc
	v_cmp_lt_u32_e32 vcc, 23, v32
	v_cndmask_b32_e64 v32, 0, -1, vcc
	v_cmp_eq_u32_e32 vcc, 0, v33
	v_cndmask_b32_e32 v32, -1, v32, vcc
	v_add_co_u32_e32 v33, vcc, 2, v34
	v_addc_co_u32_e32 v36, vcc, 0, v35, vcc
	v_add_co_u32_e32 v37, vcc, 1, v34
	v_cmp_lt_u32_e64 s[4:5], 23, v8
	v_addc_co_u32_e32 v38, vcc, 0, v35, vcc
	v_cndmask_b32_e64 v8, 0, -1, s[4:5]
	v_cmp_eq_u32_e64 s[4:5], 0, v9
	v_cmp_ne_u32_e32 vcc, 0, v32
	v_cndmask_b32_e64 v8, -1, v8, s[4:5]
	v_cndmask_b32_e32 v32, v38, v36, vcc
	v_cmp_ne_u32_e64 s[4:5], 0, v8
	v_cndmask_b32_e32 v8, v37, v33, vcc
	v_cndmask_b32_e64 v9, v35, v32, s[4:5]
	v_cndmask_b32_e64 v8, v34, v8, s[4:5]
	v_cmp_eq_u64_e32 vcc, v[8:9], v[0:1]
	s_and_b64 exec, exec, vcc
	s_cbranch_execz .LBB401_525
; %bb.436:
	v_mul_hi_u32_u24_e32 v1, 24, v0
	v_sub_co_u32_e32 v0, vcc, v2, v39
	v_subb_co_u32_e32 v1, vcc, v3, v1, vcc
	v_cmp_lt_i64_e32 vcc, 11, v[0:1]
	s_mov_b64 s[4:5], 0
	s_mov_b64 s[16:17], 0
	;; [unrolled: 1-line block ×4, first 2 shown]
	s_and_saveexec_b64 s[10:11], vcc
	s_xor_b64 s[10:11], exec, s[10:11]
	s_cbranch_execnz .LBB401_442
; %bb.437:
	s_andn2_saveexec_b64 s[10:11], s[10:11]
	s_cbranch_execnz .LBB401_487
.LBB401_438:
	s_or_b64 exec, exec, s[10:11]
	s_and_saveexec_b64 s[10:11], s[16:17]
	s_cbranch_execnz .LBB401_504
.LBB401_439:
	s_or_b64 exec, exec, s[10:11]
	s_and_saveexec_b64 s[10:11], s[14:15]
	s_cbranch_execnz .LBB401_505
.LBB401_440:
	s_or_b64 exec, exec, s[10:11]
	s_and_saveexec_b64 s[10:11], s[12:13]
	s_xor_b64 s[10:11], exec, s[10:11]
	s_cbranch_execnz .LBB401_506
.LBB401_441:
	s_or_b64 exec, exec, s[10:11]
	s_and_b64 exec, exec, s[4:5]
	s_cbranch_execnz .LBB401_507
	s_branch .LBB401_525
.LBB401_442:
	v_cmp_lt_i64_e32 vcc, 17, v[0:1]
	s_and_saveexec_b64 s[18:19], vcc
	s_xor_b64 s[18:19], exec, s[18:19]
	s_cbranch_execz .LBB401_464
; %bb.443:
	v_cmp_lt_i64_e32 vcc, 20, v[0:1]
                                        ; implicit-def: $vgpr14
	s_and_saveexec_b64 s[20:21], vcc
	s_xor_b64 s[20:21], exec, s[20:21]
	s_cbranch_execz .LBB401_453
; %bb.444:
	v_cmp_lt_i64_e32 vcc, 21, v[0:1]
	s_mov_b64 s[22:23], 0
                                        ; implicit-def: $vgpr14
	s_and_saveexec_b64 s[12:13], vcc
	s_xor_b64 s[12:13], exec, s[12:13]
	s_cbranch_execz .LBB401_450
; %bb.445:
	v_cmp_lt_i64_e32 vcc, 22, v[0:1]
	s_and_saveexec_b64 s[22:23], vcc
	s_xor_b64 s[22:23], exec, s[22:23]
	s_cbranch_execz .LBB401_447
; %bb.446:
	s_waitcnt lgkmcnt(0)
	flat_store_short v[4:5], v31
                                        ; implicit-def: $vgpr29
.LBB401_447:
	s_or_saveexec_b64 s[22:23], s[22:23]
	s_mov_b64 s[24:25], 0
	s_xor_b64 exec, exec, s[22:23]
; %bb.448:
	s_mov_b64 s[24:25], exec
; %bb.449:
	s_or_b64 exec, exec, s[22:23]
	s_and_b64 s[22:23], s[24:25], exec
	s_waitcnt lgkmcnt(0)
	v_mov_b32_e32 v14, v29
                                        ; implicit-def: $vgpr15
.LBB401_450:
	s_andn2_saveexec_b64 s[12:13], s[12:13]
; %bb.451:
	s_mov_b64 s[14:15], exec
                                        ; implicit-def: $vgpr14
; %bb.452:
	s_or_b64 exec, exec, s[12:13]
	s_and_b64 s[12:13], s[22:23], exec
	s_and_b64 s[14:15], s[14:15], exec
                                        ; implicit-def: $vgpr28
                                        ; implicit-def: $vgpr16
                                        ; implicit-def: $vgpr25
.LBB401_453:
	s_andn2_saveexec_b64 s[20:21], s[20:21]
	s_cbranch_execz .LBB401_463
; %bb.454:
	v_cmp_lt_i64_e32 vcc, 18, v[0:1]
	s_mov_b64 s[22:23], 0
	s_and_saveexec_b64 s[16:17], vcc
	s_xor_b64 s[16:17], exec, s[16:17]
	s_cbranch_execz .LBB401_460
; %bb.455:
	v_cmp_lt_i64_e32 vcc, 19, v[0:1]
	s_and_saveexec_b64 s[24:25], vcc
	s_xor_b64 s[24:25], exec, s[24:25]
; %bb.456:
	s_mov_b64 s[22:23], exec
                                        ; implicit-def: $vgpr25
; %bb.457:
	s_andn2_saveexec_b64 s[24:25], s[24:25]
	s_cbranch_execz .LBB401_459
; %bb.458:
	s_waitcnt lgkmcnt(0)
	flat_store_short v[4:5], v25
                                        ; implicit-def: $vgpr16
.LBB401_459:
	s_or_b64 exec, exec, s[24:25]
	s_and_b64 s[22:23], s[22:23], exec
                                        ; implicit-def: $vgpr28
.LBB401_460:
	s_andn2_saveexec_b64 s[16:17], s[16:17]
	s_cbranch_execz .LBB401_462
; %bb.461:
	s_waitcnt lgkmcnt(0)
	flat_store_short v[4:5], v28
                                        ; implicit-def: $vgpr16
.LBB401_462:
	s_or_b64 exec, exec, s[16:17]
	s_and_b64 s[16:17], s[22:23], exec
                                        ; implicit-def: $vgpr14
                                        ; implicit-def: $vgpr15
.LBB401_463:
	s_or_b64 exec, exec, s[20:21]
	s_and_b64 s[12:13], s[12:13], exec
	s_and_b64 s[14:15], s[14:15], exec
	;; [unrolled: 1-line block ×3, first 2 shown]
                                        ; implicit-def: $vgpr22
                                        ; implicit-def: $vgpr17
                                        ; implicit-def: $vgpr18
                                        ; implicit-def: $vgpr26
                                        ; implicit-def: $vgpr30
.LBB401_464:
	s_andn2_saveexec_b64 s[18:19], s[18:19]
	s_cbranch_execz .LBB401_486
; %bb.465:
	v_cmp_lt_i64_e32 vcc, 14, v[0:1]
	s_mov_b64 s[20:21], s[12:13]
	s_and_saveexec_b64 s[22:23], vcc
	s_xor_b64 s[22:23], exec, s[22:23]
	s_cbranch_execz .LBB401_475
; %bb.466:
	v_cmp_lt_i64_e32 vcc, 15, v[0:1]
	s_and_saveexec_b64 s[20:21], vcc
	s_xor_b64 s[20:21], exec, s[20:21]
	s_cbranch_execz .LBB401_472
; %bb.467:
	v_cmp_lt_i64_e32 vcc, 16, v[0:1]
	s_and_saveexec_b64 s[24:25], vcc
	s_xor_b64 s[24:25], exec, s[24:25]
	s_cbranch_execz .LBB401_469
; %bb.468:
	s_waitcnt lgkmcnt(0)
	flat_store_short v[4:5], v30
                                        ; implicit-def: $vgpr26
.LBB401_469:
	s_andn2_saveexec_b64 s[24:25], s[24:25]
	s_cbranch_execz .LBB401_471
; %bb.470:
	s_waitcnt lgkmcnt(0)
	flat_store_short v[4:5], v26
.LBB401_471:
	s_or_b64 exec, exec, s[24:25]
                                        ; implicit-def: $vgpr14
.LBB401_472:
	s_or_saveexec_b64 s[20:21], s[20:21]
	s_mov_b64 s[24:25], s[12:13]
	s_xor_b64 exec, exec, s[20:21]
; %bb.473:
	s_or_b64 s[24:25], s[12:13], exec
; %bb.474:
	s_or_b64 exec, exec, s[20:21]
	s_andn2_b64 s[20:21], s[12:13], exec
	s_and_b64 s[24:25], s[24:25], exec
	s_or_b64 s[20:21], s[20:21], s[24:25]
                                        ; implicit-def: $vgpr22
                                        ; implicit-def: $vgpr17
                                        ; implicit-def: $vgpr18
.LBB401_475:
	s_or_saveexec_b64 s[22:23], s[22:23]
	s_mov_b64 s[24:25], s[14:15]
                                        ; implicit-def: $vgpr15
	s_xor_b64 exec, exec, s[22:23]
	s_cbranch_execz .LBB401_485
; %bb.476:
	v_cmp_lt_i64_e32 vcc, 12, v[0:1]
	s_mov_b64 s[26:27], s[14:15]
	s_mov_b64 s[28:29], s[20:21]
                                        ; implicit-def: $vgpr14
                                        ; implicit-def: $vgpr15
	s_and_saveexec_b64 s[24:25], vcc
	s_xor_b64 s[24:25], exec, s[24:25]
	s_cbranch_execz .LBB401_482
; %bb.477:
	v_cmp_lt_i64_e32 vcc, 13, v[0:1]
	s_mov_b64 s[26:27], s[20:21]
	s_and_saveexec_b64 s[28:29], vcc
	s_xor_b64 s[28:29], exec, s[28:29]
; %bb.478:
	s_or_b64 s[26:27], s[20:21], exec
                                        ; implicit-def: $vgpr17
; %bb.479:
	s_or_saveexec_b64 s[28:29], s[28:29]
	s_mov_b64 vcc, s[14:15]
	s_xor_b64 exec, exec, s[28:29]
; %bb.480:
	s_or_b64 vcc, s[14:15], exec
                                        ; implicit-def: $vgpr18
; %bb.481:
	s_or_b64 exec, exec, s[28:29]
	s_andn2_b64 s[28:29], s[20:21], exec
	s_and_b64 s[26:27], s[26:27], exec
	s_or_b64 s[28:29], s[28:29], s[26:27]
	s_andn2_b64 s[26:27], s[14:15], exec
	s_and_b64 vcc, vcc, exec
	s_or_b64 s[26:27], s[26:27], vcc
	s_waitcnt lgkmcnt(0)
	v_mov_b32_e32 v14, v18
	v_mov_b32_e32 v15, v17
                                        ; implicit-def: $vgpr22
.LBB401_482:
	s_andn2_saveexec_b64 s[24:25], s[24:25]
	s_cbranch_execz .LBB401_484
; %bb.483:
	s_or_b64 s[26:27], s[26:27], exec
                                        ; implicit-def: $vgpr14
	s_waitcnt lgkmcnt(0)
	v_mov_b32_e32 v15, v22
.LBB401_484:
	s_or_b64 exec, exec, s[24:25]
	s_andn2_b64 s[20:21], s[20:21], exec
	s_and_b64 s[24:25], s[28:29], exec
	s_or_b64 s[20:21], s[20:21], s[24:25]
	s_andn2_b64 s[24:25], s[14:15], exec
	s_and_b64 s[26:27], s[26:27], exec
	s_or_b64 s[24:25], s[24:25], s[26:27]
.LBB401_485:
	s_or_b64 exec, exec, s[22:23]
	s_andn2_b64 s[12:13], s[12:13], exec
	s_and_b64 s[20:21], s[20:21], exec
	s_or_b64 s[12:13], s[12:13], s[20:21]
	s_andn2_b64 s[14:15], s[14:15], exec
	s_and_b64 s[20:21], s[24:25], exec
	s_or_b64 s[14:15], s[14:15], s[20:21]
                                        ; implicit-def: $vgpr16
.LBB401_486:
	s_or_b64 exec, exec, s[18:19]
	s_and_b64 s[12:13], s[12:13], exec
	s_and_b64 s[14:15], s[14:15], exec
	;; [unrolled: 1-line block ×3, first 2 shown]
                                        ; implicit-def: $vgpr21
                                        ; implicit-def: $vgpr19
                                        ; implicit-def: $vgpr20
                                        ; implicit-def: $vgpr27
                                        ; implicit-def: $vgpr24
                                        ; implicit-def: $vgpr23
	s_andn2_saveexec_b64 s[10:11], s[10:11]
	s_cbranch_execz .LBB401_438
.LBB401_487:
	v_cmp_lt_i64_e32 vcc, 5, v[0:1]
	s_mov_b64 s[20:21], -1
	s_mov_b64 s[18:19], s[16:17]
	s_mov_b64 s[22:23], s[14:15]
	;; [unrolled: 1-line block ×3, first 2 shown]
                                        ; implicit-def: $vgpr14
                                        ; implicit-def: $vgpr15
                                        ; implicit-def: $vgpr16
	s_and_saveexec_b64 s[4:5], vcc
	s_cbranch_execz .LBB401_503
; %bb.488:
	v_cmp_lt_i64_e32 vcc, 8, v[0:1]
	s_mov_b64 s[18:19], s[16:17]
                                        ; implicit-def: $vgpr16
	s_and_saveexec_b64 s[20:21], vcc
	s_xor_b64 s[20:21], exec, s[20:21]
	s_cbranch_execz .LBB401_498
; %bb.489:
	v_cmp_lt_i64_e32 vcc, 9, v[0:1]
	s_and_saveexec_b64 s[18:19], vcc
	s_xor_b64 s[18:19], exec, s[18:19]
	s_cbranch_execz .LBB401_495
; %bb.490:
	v_cmp_lt_i64_e32 vcc, 10, v[0:1]
	s_and_saveexec_b64 s[22:23], vcc
	s_xor_b64 s[22:23], exec, s[22:23]
; %bb.491:
                                        ; implicit-def: $vgpr24
; %bb.492:
	s_andn2_saveexec_b64 s[22:23], s[22:23]
	s_cbranch_execz .LBB401_494
; %bb.493:
	s_waitcnt lgkmcnt(0)
	v_mov_b32_e32 v23, v24
.LBB401_494:
	s_or_b64 exec, exec, s[22:23]
                                        ; implicit-def: $vgpr27
.LBB401_495:
	s_andn2_saveexec_b64 s[18:19], s[18:19]
	s_cbranch_execz .LBB401_497
; %bb.496:
	s_waitcnt lgkmcnt(0)
	v_mov_b32_e32 v23, v27
.LBB401_497:
	s_or_b64 exec, exec, s[18:19]
	s_or_b64 s[18:19], s[16:17], exec
	s_waitcnt lgkmcnt(0)
	v_mov_b32_e32 v16, v23
                                        ; implicit-def: $vgpr21
                                        ; implicit-def: $vgpr19
                                        ; implicit-def: $vgpr20
.LBB401_498:
	s_or_saveexec_b64 s[20:21], s[20:21]
	s_mov_b64 s[22:23], s[14:15]
	s_mov_b64 s[26:27], s[12:13]
                                        ; implicit-def: $vgpr14
                                        ; implicit-def: $vgpr15
	s_xor_b64 exec, exec, s[20:21]
	s_cbranch_execz .LBB401_502
; %bb.499:
	v_cmp_lt_i64_e32 vcc, 6, v[0:1]
	s_mov_b64 s[26:27], -1
	s_mov_b64 s[24:25], s[18:19]
	s_mov_b64 s[22:23], s[14:15]
	s_and_saveexec_b64 s[28:29], vcc
; %bb.500:
	v_cmp_lt_i64_e32 vcc, 7, v[0:1]
	s_andn2_b64 s[24:25], s[18:19], exec
	s_and_b64 vcc, vcc, exec
	s_xor_b64 s[26:27], exec, -1
	s_or_b64 s[22:23], s[14:15], exec
	s_or_b64 s[24:25], s[24:25], vcc
                                        ; implicit-def: $vgpr21
; %bb.501:
	s_or_b64 exec, exec, s[28:29]
	s_andn2_b64 s[28:29], s[12:13], exec
	s_and_b64 s[26:27], s[26:27], exec
	s_or_b64 s[26:27], s[28:29], s[26:27]
	s_andn2_b64 s[28:29], s[14:15], exec
	s_and_b64 s[22:23], s[22:23], exec
	s_andn2_b64 s[18:19], s[18:19], exec
	s_and_b64 s[24:25], s[24:25], exec
	s_or_b64 s[22:23], s[28:29], s[22:23]
	s_or_b64 s[18:19], s[18:19], s[24:25]
	s_waitcnt lgkmcnt(0)
	v_mov_b32_e32 v14, v21
	v_mov_b32_e32 v15, v19
	v_mov_b32_e32 v16, v20
.LBB401_502:
	s_or_b64 exec, exec, s[20:21]
	s_andn2_b64 s[24:25], s[12:13], exec
	s_and_b64 s[26:27], s[26:27], exec
	s_or_b64 s[24:25], s[24:25], s[26:27]
	s_andn2_b64 s[26:27], s[14:15], exec
	s_and_b64 s[22:23], s[22:23], exec
	s_or_b64 s[22:23], s[26:27], s[22:23]
	s_andn2_b64 s[26:27], s[16:17], exec
	s_and_b64 s[18:19], s[18:19], exec
	s_xor_b64 s[20:21], exec, -1
	s_or_b64 s[18:19], s[26:27], s[18:19]
.LBB401_503:
	s_or_b64 exec, exec, s[4:5]
	s_and_b64 s[4:5], s[20:21], exec
	s_andn2_b64 s[12:13], s[12:13], exec
	s_and_b64 s[20:21], s[24:25], exec
	s_or_b64 s[12:13], s[12:13], s[20:21]
	s_andn2_b64 s[14:15], s[14:15], exec
	s_and_b64 s[20:21], s[22:23], exec
	s_andn2_b64 s[16:17], s[16:17], exec
	s_and_b64 s[18:19], s[18:19], exec
	s_or_b64 s[14:15], s[14:15], s[20:21]
	s_or_b64 s[16:17], s[16:17], s[18:19]
	s_or_b64 exec, exec, s[10:11]
	s_and_saveexec_b64 s[10:11], s[16:17]
	s_cbranch_execz .LBB401_439
.LBB401_504:
	s_andn2_b64 s[14:15], s[14:15], exec
	s_waitcnt lgkmcnt(0)
	flat_store_short v[4:5], v16
                                        ; implicit-def: $vgpr14
                                        ; implicit-def: $vgpr15
	s_or_b64 exec, exec, s[10:11]
	s_and_saveexec_b64 s[10:11], s[14:15]
	s_cbranch_execz .LBB401_440
.LBB401_505:
	s_waitcnt lgkmcnt(0)
	flat_store_short v[4:5], v15
                                        ; implicit-def: $vgpr14
	s_or_b64 exec, exec, s[10:11]
	s_and_saveexec_b64 s[10:11], s[12:13]
	s_xor_b64 s[10:11], exec, s[10:11]
	s_cbranch_execz .LBB401_441
.LBB401_506:
	s_waitcnt lgkmcnt(0)
	flat_store_short v[4:5], v14
	s_or_b64 exec, exec, s[10:11]
	s_and_b64 exec, exec, s[4:5]
	s_cbranch_execz .LBB401_525
.LBB401_507:
	v_cmp_lt_i64_e32 vcc, 2, v[0:1]
	s_and_saveexec_b64 s[4:5], vcc
	s_xor_b64 s[4:5], exec, s[4:5]
	s_cbranch_execz .LBB401_517
; %bb.508:
	v_cmp_lt_i64_e32 vcc, 3, v[0:1]
	s_and_saveexec_b64 s[10:11], vcc
	s_xor_b64 s[10:11], exec, s[10:11]
	s_cbranch_execz .LBB401_514
; %bb.509:
	;; [unrolled: 5-line block ×3, first 2 shown]
	s_waitcnt lgkmcnt(0)
	flat_store_short v[4:5], v13
                                        ; implicit-def: $vgpr4_vgpr5
                                        ; implicit-def: $vgpr10
.LBB401_511:
	s_andn2_saveexec_b64 s[12:13], s[12:13]
	s_cbranch_execz .LBB401_513
; %bb.512:
	s_waitcnt lgkmcnt(0)
	flat_store_short v[4:5], v10
.LBB401_513:
	s_or_b64 exec, exec, s[12:13]
                                        ; implicit-def: $vgpr4_vgpr5
                                        ; implicit-def: $vgpr12
.LBB401_514:
	s_andn2_saveexec_b64 s[10:11], s[10:11]
	s_cbranch_execz .LBB401_516
; %bb.515:
	s_waitcnt lgkmcnt(0)
	flat_store_short v[4:5], v12
.LBB401_516:
	s_or_b64 exec, exec, s[10:11]
                                        ; implicit-def: $vgpr0_vgpr1
                                        ; implicit-def: $vgpr4_vgpr5
                                        ; implicit-def: $vgpr11
                                        ; implicit-def: $vgpr6
                                        ; implicit-def: $vgpr7
.LBB401_517:
	s_andn2_saveexec_b64 s[4:5], s[4:5]
	s_cbranch_execz .LBB401_525
; %bb.518:
	v_cmp_lt_i64_e32 vcc, 1, v[0:1]
	s_and_saveexec_b64 s[4:5], vcc
	s_xor_b64 s[4:5], exec, s[4:5]
	s_cbranch_execz .LBB401_520
; %bb.519:
	s_waitcnt lgkmcnt(0)
	flat_store_short v[4:5], v11
                                        ; implicit-def: $vgpr4_vgpr5
                                        ; implicit-def: $vgpr6
                                        ; implicit-def: $vgpr0_vgpr1
                                        ; implicit-def: $vgpr7
.LBB401_520:
	s_andn2_saveexec_b64 s[4:5], s[4:5]
	s_cbranch_execz .LBB401_525
; %bb.521:
	v_cmp_ne_u64_e32 vcc, 1, v[0:1]
	s_and_saveexec_b64 s[4:5], vcc
	s_xor_b64 s[4:5], exec, s[4:5]
	s_cbranch_execz .LBB401_523
; %bb.522:
	s_waitcnt lgkmcnt(0)
	flat_store_short v[4:5], v7
                                        ; implicit-def: $vgpr4_vgpr5
                                        ; implicit-def: $vgpr6
.LBB401_523:
	s_andn2_saveexec_b64 s[4:5], s[4:5]
	s_cbranch_execz .LBB401_525
; %bb.524:
	s_waitcnt lgkmcnt(0)
	flat_store_short v[4:5], v6
.LBB401_525:
	s_or_b64 exec, exec, s[8:9]
.LBB401_526:
	s_or_b64 exec, exec, s[6:7]
	v_readlane_b32 s30, v40, 0
	v_readlane_b32 s31, v40, 1
	s_or_saveexec_b64 s[4:5], -1
	buffer_load_dword v40, off, s[0:3], s32 ; 4-byte Folded Reload
	s_mov_b64 exec, s[4:5]
	s_waitcnt vmcnt(0) lgkmcnt(0)
	s_setpc_b64 s[30:31]
.Lfunc_end401:
	.size	_ZZZN7rocprim17ROCPRIM_400000_NS6detail9scan_implILNS1_25lookback_scan_determinismE0ELb0ELb0ENS0_14default_configEPKN3c104HalfEPS6_S6_ZZZN2at6native31launch_logcumsumexp_cuda_kernelERKNSA_10TensorBaseESE_lENKUlvE_clEvENKUlvE3_clEvEUlS6_S6_E_S6_EEDaPvRmT3_T4_T5_mT6_P12ihipStream_tbENKUlT_T0_E_clISt17integral_constantIbLb1EESU_IbLb0EEEEDaSQ_SR_ENKUlSQ_E_clINS1_13target_configIS4_NS1_20scan_config_selectorIS6_EENS1_11comp_targetILNS1_3genE4ELNS1_11target_archE910ELNS1_3gpuE8ELNS1_3repE0EEELNS0_4arch9wavefront6targetE1EEEEEDaSQ_, .Lfunc_end401-_ZZZN7rocprim17ROCPRIM_400000_NS6detail9scan_implILNS1_25lookback_scan_determinismE0ELb0ELb0ENS0_14default_configEPKN3c104HalfEPS6_S6_ZZZN2at6native31launch_logcumsumexp_cuda_kernelERKNSA_10TensorBaseESE_lENKUlvE_clEvENKUlvE3_clEvEUlS6_S6_E_S6_EEDaPvRmT3_T4_T5_mT6_P12ihipStream_tbENKUlT_T0_E_clISt17integral_constantIbLb1EESU_IbLb0EEEEDaSQ_SR_ENKUlSQ_E_clINS1_13target_configIS4_NS1_20scan_config_selectorIS6_EENS1_11comp_targetILNS1_3genE4ELNS1_11target_archE910ELNS1_3gpuE8ELNS1_3repE0EEELNS0_4arch9wavefront6targetE1EEEEEDaSQ_
                                        ; -- End function
	.section	.AMDGPU.csdata,"",@progbits
; Function info:
; codeLenInByte = 109380
; NumSgprs: 82
; NumVgprs: 164
; NumAgprs: 0
; TotalNumVgprs: 164
; ScratchSize: 8
; MemoryBound: 0
	.section	.text._ZN7rocprim17ROCPRIM_400000_NS6detail17trampoline_kernelINS0_14default_configENS1_20scan_config_selectorIN3c104HalfEEEZZNS1_9scan_implILNS1_25lookback_scan_determinismE0ELb0ELb0ES3_PKS6_PS6_S6_ZZZN2at6native31launch_logcumsumexp_cuda_kernelERKNSD_10TensorBaseESH_lENKUlvE_clEvENKUlvE3_clEvEUlS6_S6_E_S6_EEDaPvRmT3_T4_T5_mT6_P12ihipStream_tbENKUlT_T0_E_clISt17integral_constantIbLb1EESX_IbLb0EEEEDaST_SU_EUlST_E_NS1_11comp_targetILNS1_3genE4ELNS1_11target_archE910ELNS1_3gpuE8ELNS1_3repE0EEENS1_30default_config_static_selectorELNS0_4arch9wavefront6targetE1EEEvT1_,"axG",@progbits,_ZN7rocprim17ROCPRIM_400000_NS6detail17trampoline_kernelINS0_14default_configENS1_20scan_config_selectorIN3c104HalfEEEZZNS1_9scan_implILNS1_25lookback_scan_determinismE0ELb0ELb0ES3_PKS6_PS6_S6_ZZZN2at6native31launch_logcumsumexp_cuda_kernelERKNSD_10TensorBaseESH_lENKUlvE_clEvENKUlvE3_clEvEUlS6_S6_E_S6_EEDaPvRmT3_T4_T5_mT6_P12ihipStream_tbENKUlT_T0_E_clISt17integral_constantIbLb1EESX_IbLb0EEEEDaST_SU_EUlST_E_NS1_11comp_targetILNS1_3genE4ELNS1_11target_archE910ELNS1_3gpuE8ELNS1_3repE0EEENS1_30default_config_static_selectorELNS0_4arch9wavefront6targetE1EEEvT1_,comdat
	.globl	_ZN7rocprim17ROCPRIM_400000_NS6detail17trampoline_kernelINS0_14default_configENS1_20scan_config_selectorIN3c104HalfEEEZZNS1_9scan_implILNS1_25lookback_scan_determinismE0ELb0ELb0ES3_PKS6_PS6_S6_ZZZN2at6native31launch_logcumsumexp_cuda_kernelERKNSD_10TensorBaseESH_lENKUlvE_clEvENKUlvE3_clEvEUlS6_S6_E_S6_EEDaPvRmT3_T4_T5_mT6_P12ihipStream_tbENKUlT_T0_E_clISt17integral_constantIbLb1EESX_IbLb0EEEEDaST_SU_EUlST_E_NS1_11comp_targetILNS1_3genE4ELNS1_11target_archE910ELNS1_3gpuE8ELNS1_3repE0EEENS1_30default_config_static_selectorELNS0_4arch9wavefront6targetE1EEEvT1_ ; -- Begin function _ZN7rocprim17ROCPRIM_400000_NS6detail17trampoline_kernelINS0_14default_configENS1_20scan_config_selectorIN3c104HalfEEEZZNS1_9scan_implILNS1_25lookback_scan_determinismE0ELb0ELb0ES3_PKS6_PS6_S6_ZZZN2at6native31launch_logcumsumexp_cuda_kernelERKNSD_10TensorBaseESH_lENKUlvE_clEvENKUlvE3_clEvEUlS6_S6_E_S6_EEDaPvRmT3_T4_T5_mT6_P12ihipStream_tbENKUlT_T0_E_clISt17integral_constantIbLb1EESX_IbLb0EEEEDaST_SU_EUlST_E_NS1_11comp_targetILNS1_3genE4ELNS1_11target_archE910ELNS1_3gpuE8ELNS1_3repE0EEENS1_30default_config_static_selectorELNS0_4arch9wavefront6targetE1EEEvT1_
	.p2align	8
	.type	_ZN7rocprim17ROCPRIM_400000_NS6detail17trampoline_kernelINS0_14default_configENS1_20scan_config_selectorIN3c104HalfEEEZZNS1_9scan_implILNS1_25lookback_scan_determinismE0ELb0ELb0ES3_PKS6_PS6_S6_ZZZN2at6native31launch_logcumsumexp_cuda_kernelERKNSD_10TensorBaseESH_lENKUlvE_clEvENKUlvE3_clEvEUlS6_S6_E_S6_EEDaPvRmT3_T4_T5_mT6_P12ihipStream_tbENKUlT_T0_E_clISt17integral_constantIbLb1EESX_IbLb0EEEEDaST_SU_EUlST_E_NS1_11comp_targetILNS1_3genE4ELNS1_11target_archE910ELNS1_3gpuE8ELNS1_3repE0EEENS1_30default_config_static_selectorELNS0_4arch9wavefront6targetE1EEEvT1_,@function
_ZN7rocprim17ROCPRIM_400000_NS6detail17trampoline_kernelINS0_14default_configENS1_20scan_config_selectorIN3c104HalfEEEZZNS1_9scan_implILNS1_25lookback_scan_determinismE0ELb0ELb0ES3_PKS6_PS6_S6_ZZZN2at6native31launch_logcumsumexp_cuda_kernelERKNSD_10TensorBaseESH_lENKUlvE_clEvENKUlvE3_clEvEUlS6_S6_E_S6_EEDaPvRmT3_T4_T5_mT6_P12ihipStream_tbENKUlT_T0_E_clISt17integral_constantIbLb1EESX_IbLb0EEEEDaST_SU_EUlST_E_NS1_11comp_targetILNS1_3genE4ELNS1_11target_archE910ELNS1_3gpuE8ELNS1_3repE0EEENS1_30default_config_static_selectorELNS0_4arch9wavefront6targetE1EEEvT1_: ; @_ZN7rocprim17ROCPRIM_400000_NS6detail17trampoline_kernelINS0_14default_configENS1_20scan_config_selectorIN3c104HalfEEEZZNS1_9scan_implILNS1_25lookback_scan_determinismE0ELb0ELb0ES3_PKS6_PS6_S6_ZZZN2at6native31launch_logcumsumexp_cuda_kernelERKNSD_10TensorBaseESH_lENKUlvE_clEvENKUlvE3_clEvEUlS6_S6_E_S6_EEDaPvRmT3_T4_T5_mT6_P12ihipStream_tbENKUlT_T0_E_clISt17integral_constantIbLb1EESX_IbLb0EEEEDaST_SU_EUlST_E_NS1_11comp_targetILNS1_3genE4ELNS1_11target_archE910ELNS1_3gpuE8ELNS1_3repE0EEENS1_30default_config_static_selectorELNS0_4arch9wavefront6targetE1EEEvT1_
; %bb.0:
	s_load_dwordx8 s[16:23], s[4:5], 0x0
	s_add_u32 flat_scratch_lo, s6, s9
	s_addc_u32 flat_scratch_hi, s7, 0
	s_add_u32 s0, s0, s9
	s_addc_u32 s1, s1, 0
	s_waitcnt lgkmcnt(0)
	v_mov_b32_e32 v1, s19
	buffer_store_dword v1, off, s[0:3], 0 offset:12
	v_mov_b32_e32 v1, s18
	buffer_store_dword v1, off, s[0:3], 0 offset:8
	v_mov_b32_e32 v1, s17
	s_load_dwordx8 s[24:31], s[4:5], 0x20
	buffer_store_dword v1, off, s[0:3], 0 offset:4
	v_mov_b32_e32 v1, s16
	buffer_store_dword v1, off, s[0:3], 0
	v_mov_b32_e32 v1, s23
	buffer_store_dword v1, off, s[0:3], 0 offset:28
	v_mov_b32_e32 v1, s22
	buffer_store_dword v1, off, s[0:3], 0 offset:24
	;; [unrolled: 2-line block ×4, first 2 shown]
	s_waitcnt lgkmcnt(0)
	v_mov_b32_e32 v1, s27
	buffer_store_dword v1, off, s[0:3], 0 offset:44
	v_mov_b32_e32 v1, s26
	buffer_store_dword v1, off, s[0:3], 0 offset:40
	;; [unrolled: 2-line block ×3, first 2 shown]
	v_mov_b32_e32 v1, s24
	s_load_dwordx8 s[16:23], s[4:5], 0x40
	buffer_store_dword v1, off, s[0:3], 0 offset:32
	v_mov_b32_e32 v1, s31
	buffer_store_dword v1, off, s[0:3], 0 offset:60
	v_mov_b32_e32 v1, s30
	;; [unrolled: 2-line block ×4, first 2 shown]
	buffer_store_dword v1, off, s[0:3], 0 offset:48
	s_waitcnt lgkmcnt(0)
	v_mov_b32_e32 v1, s19
	buffer_store_dword v1, off, s[0:3], 0 offset:76
	v_mov_b32_e32 v1, s18
	buffer_store_dword v1, off, s[0:3], 0 offset:72
	;; [unrolled: 2-line block ×6, first 2 shown]
	v_mov_b32_e32 v1, s21
	s_mov_b32 s12, s8
	s_mov_b64 s[6:7], src_private_base
	buffer_store_dword v1, off, s[0:3], 0 offset:84
	v_mov_b32_e32 v1, s20
	s_add_u32 s8, s4, 0x60
	buffer_store_dword v1, off, s[0:3], 0 offset:80
	s_addc_u32 s9, s5, 0
	v_mov_b32_e32 v31, v0
	v_mov_b32_e32 v0, 0
	;; [unrolled: 1-line block ×3, first 2 shown]
	s_movk_i32 s32, 0x1c00
	s_getpc_b64 s[4:5]
	s_add_u32 s4, s4, _ZZZN7rocprim17ROCPRIM_400000_NS6detail9scan_implILNS1_25lookback_scan_determinismE0ELb0ELb0ENS0_14default_configEPKN3c104HalfEPS6_S6_ZZZN2at6native31launch_logcumsumexp_cuda_kernelERKNSA_10TensorBaseESE_lENKUlvE_clEvENKUlvE3_clEvEUlS6_S6_E_S6_EEDaPvRmT3_T4_T5_mT6_P12ihipStream_tbENKUlT_T0_E_clISt17integral_constantIbLb1EESU_IbLb0EEEEDaSQ_SR_ENKUlSQ_E_clINS1_13target_configIS4_NS1_20scan_config_selectorIS6_EENS1_11comp_targetILNS1_3genE4ELNS1_11target_archE910ELNS1_3gpuE8ELNS1_3repE0EEELNS0_4arch9wavefront6targetE1EEEEEDaSQ_@rel32@lo+4
	s_addc_u32 s5, s5, _ZZZN7rocprim17ROCPRIM_400000_NS6detail9scan_implILNS1_25lookback_scan_determinismE0ELb0ELb0ENS0_14default_configEPKN3c104HalfEPS6_S6_ZZZN2at6native31launch_logcumsumexp_cuda_kernelERKNSA_10TensorBaseESE_lENKUlvE_clEvENKUlvE3_clEvEUlS6_S6_E_S6_EEDaPvRmT3_T4_T5_mT6_P12ihipStream_tbENKUlT_T0_E_clISt17integral_constantIbLb1EESU_IbLb0EEEEDaSQ_SR_ENKUlSQ_E_clINS1_13target_configIS4_NS1_20scan_config_selectorIS6_EENS1_11comp_targetILNS1_3genE4ELNS1_11target_archE910ELNS1_3gpuE8ELNS1_3repE0EEELNS0_4arch9wavefront6targetE1EEEEEDaSQ_@rel32@hi+12
	s_swappc_b64 s[30:31], s[4:5]
	s_endpgm
	.section	.rodata,"a",@progbits
	.p2align	6, 0x0
	.amdhsa_kernel _ZN7rocprim17ROCPRIM_400000_NS6detail17trampoline_kernelINS0_14default_configENS1_20scan_config_selectorIN3c104HalfEEEZZNS1_9scan_implILNS1_25lookback_scan_determinismE0ELb0ELb0ES3_PKS6_PS6_S6_ZZZN2at6native31launch_logcumsumexp_cuda_kernelERKNSD_10TensorBaseESH_lENKUlvE_clEvENKUlvE3_clEvEUlS6_S6_E_S6_EEDaPvRmT3_T4_T5_mT6_P12ihipStream_tbENKUlT_T0_E_clISt17integral_constantIbLb1EESX_IbLb0EEEEDaST_SU_EUlST_E_NS1_11comp_targetILNS1_3genE4ELNS1_11target_archE910ELNS1_3gpuE8ELNS1_3repE0EEENS1_30default_config_static_selectorELNS0_4arch9wavefront6targetE1EEEvT1_
		.amdhsa_group_segment_fixed_size 3072
		.amdhsa_private_segment_fixed_size 120
		.amdhsa_kernarg_size 352
		.amdhsa_user_sgpr_count 8
		.amdhsa_user_sgpr_private_segment_buffer 1
		.amdhsa_user_sgpr_dispatch_ptr 0
		.amdhsa_user_sgpr_queue_ptr 0
		.amdhsa_user_sgpr_kernarg_segment_ptr 1
		.amdhsa_user_sgpr_dispatch_id 0
		.amdhsa_user_sgpr_flat_scratch_init 1
		.amdhsa_user_sgpr_kernarg_preload_length 0
		.amdhsa_user_sgpr_kernarg_preload_offset 0
		.amdhsa_user_sgpr_private_segment_size 0
		.amdhsa_uses_dynamic_stack 0
		.amdhsa_system_sgpr_private_segment_wavefront_offset 1
		.amdhsa_system_sgpr_workgroup_id_x 1
		.amdhsa_system_sgpr_workgroup_id_y 0
		.amdhsa_system_sgpr_workgroup_id_z 0
		.amdhsa_system_sgpr_workgroup_info 0
		.amdhsa_system_vgpr_workitem_id 0
		.amdhsa_next_free_vgpr 164
		.amdhsa_next_free_sgpr 78
		.amdhsa_accum_offset 164
		.amdhsa_reserve_vcc 1
		.amdhsa_reserve_flat_scratch 1
		.amdhsa_float_round_mode_32 0
		.amdhsa_float_round_mode_16_64 0
		.amdhsa_float_denorm_mode_32 3
		.amdhsa_float_denorm_mode_16_64 3
		.amdhsa_dx10_clamp 1
		.amdhsa_ieee_mode 1
		.amdhsa_fp16_overflow 0
		.amdhsa_tg_split 0
		.amdhsa_exception_fp_ieee_invalid_op 0
		.amdhsa_exception_fp_denorm_src 0
		.amdhsa_exception_fp_ieee_div_zero 0
		.amdhsa_exception_fp_ieee_overflow 0
		.amdhsa_exception_fp_ieee_underflow 0
		.amdhsa_exception_fp_ieee_inexact 0
		.amdhsa_exception_int_div_zero 0
	.end_amdhsa_kernel
	.section	.text._ZN7rocprim17ROCPRIM_400000_NS6detail17trampoline_kernelINS0_14default_configENS1_20scan_config_selectorIN3c104HalfEEEZZNS1_9scan_implILNS1_25lookback_scan_determinismE0ELb0ELb0ES3_PKS6_PS6_S6_ZZZN2at6native31launch_logcumsumexp_cuda_kernelERKNSD_10TensorBaseESH_lENKUlvE_clEvENKUlvE3_clEvEUlS6_S6_E_S6_EEDaPvRmT3_T4_T5_mT6_P12ihipStream_tbENKUlT_T0_E_clISt17integral_constantIbLb1EESX_IbLb0EEEEDaST_SU_EUlST_E_NS1_11comp_targetILNS1_3genE4ELNS1_11target_archE910ELNS1_3gpuE8ELNS1_3repE0EEENS1_30default_config_static_selectorELNS0_4arch9wavefront6targetE1EEEvT1_,"axG",@progbits,_ZN7rocprim17ROCPRIM_400000_NS6detail17trampoline_kernelINS0_14default_configENS1_20scan_config_selectorIN3c104HalfEEEZZNS1_9scan_implILNS1_25lookback_scan_determinismE0ELb0ELb0ES3_PKS6_PS6_S6_ZZZN2at6native31launch_logcumsumexp_cuda_kernelERKNSD_10TensorBaseESH_lENKUlvE_clEvENKUlvE3_clEvEUlS6_S6_E_S6_EEDaPvRmT3_T4_T5_mT6_P12ihipStream_tbENKUlT_T0_E_clISt17integral_constantIbLb1EESX_IbLb0EEEEDaST_SU_EUlST_E_NS1_11comp_targetILNS1_3genE4ELNS1_11target_archE910ELNS1_3gpuE8ELNS1_3repE0EEENS1_30default_config_static_selectorELNS0_4arch9wavefront6targetE1EEEvT1_,comdat
.Lfunc_end402:
	.size	_ZN7rocprim17ROCPRIM_400000_NS6detail17trampoline_kernelINS0_14default_configENS1_20scan_config_selectorIN3c104HalfEEEZZNS1_9scan_implILNS1_25lookback_scan_determinismE0ELb0ELb0ES3_PKS6_PS6_S6_ZZZN2at6native31launch_logcumsumexp_cuda_kernelERKNSD_10TensorBaseESH_lENKUlvE_clEvENKUlvE3_clEvEUlS6_S6_E_S6_EEDaPvRmT3_T4_T5_mT6_P12ihipStream_tbENKUlT_T0_E_clISt17integral_constantIbLb1EESX_IbLb0EEEEDaST_SU_EUlST_E_NS1_11comp_targetILNS1_3genE4ELNS1_11target_archE910ELNS1_3gpuE8ELNS1_3repE0EEENS1_30default_config_static_selectorELNS0_4arch9wavefront6targetE1EEEvT1_, .Lfunc_end402-_ZN7rocprim17ROCPRIM_400000_NS6detail17trampoline_kernelINS0_14default_configENS1_20scan_config_selectorIN3c104HalfEEEZZNS1_9scan_implILNS1_25lookback_scan_determinismE0ELb0ELb0ES3_PKS6_PS6_S6_ZZZN2at6native31launch_logcumsumexp_cuda_kernelERKNSD_10TensorBaseESH_lENKUlvE_clEvENKUlvE3_clEvEUlS6_S6_E_S6_EEDaPvRmT3_T4_T5_mT6_P12ihipStream_tbENKUlT_T0_E_clISt17integral_constantIbLb1EESX_IbLb0EEEEDaST_SU_EUlST_E_NS1_11comp_targetILNS1_3genE4ELNS1_11target_archE910ELNS1_3gpuE8ELNS1_3repE0EEENS1_30default_config_static_selectorELNS0_4arch9wavefront6targetE1EEEvT1_
                                        ; -- End function
	.section	.AMDGPU.csdata,"",@progbits
; Kernel info:
; codeLenInByte = 404
; NumSgprs: 84
; NumVgprs: 164
; NumAgprs: 0
; TotalNumVgprs: 164
; ScratchSize: 120
; MemoryBound: 0
; FloatMode: 240
; IeeeMode: 1
; LDSByteSize: 3072 bytes/workgroup (compile time only)
; SGPRBlocks: 10
; VGPRBlocks: 20
; NumSGPRsForWavesPerEU: 84
; NumVGPRsForWavesPerEU: 164
; AccumOffset: 164
; Occupancy: 3
; WaveLimiterHint : 1
; COMPUTE_PGM_RSRC2:SCRATCH_EN: 1
; COMPUTE_PGM_RSRC2:USER_SGPR: 8
; COMPUTE_PGM_RSRC2:TRAP_HANDLER: 0
; COMPUTE_PGM_RSRC2:TGID_X_EN: 1
; COMPUTE_PGM_RSRC2:TGID_Y_EN: 0
; COMPUTE_PGM_RSRC2:TGID_Z_EN: 0
; COMPUTE_PGM_RSRC2:TIDIG_COMP_CNT: 0
; COMPUTE_PGM_RSRC3_GFX90A:ACCUM_OFFSET: 40
; COMPUTE_PGM_RSRC3_GFX90A:TG_SPLIT: 0
	.section	.text._ZN7rocprim17ROCPRIM_400000_NS6detail17trampoline_kernelINS0_14default_configENS1_20scan_config_selectorIN3c104HalfEEEZZNS1_9scan_implILNS1_25lookback_scan_determinismE0ELb0ELb0ES3_PKS6_PS6_S6_ZZZN2at6native31launch_logcumsumexp_cuda_kernelERKNSD_10TensorBaseESH_lENKUlvE_clEvENKUlvE3_clEvEUlS6_S6_E_S6_EEDaPvRmT3_T4_T5_mT6_P12ihipStream_tbENKUlT_T0_E_clISt17integral_constantIbLb1EESX_IbLb0EEEEDaST_SU_EUlST_E_NS1_11comp_targetILNS1_3genE3ELNS1_11target_archE908ELNS1_3gpuE7ELNS1_3repE0EEENS1_30default_config_static_selectorELNS0_4arch9wavefront6targetE1EEEvT1_,"axG",@progbits,_ZN7rocprim17ROCPRIM_400000_NS6detail17trampoline_kernelINS0_14default_configENS1_20scan_config_selectorIN3c104HalfEEEZZNS1_9scan_implILNS1_25lookback_scan_determinismE0ELb0ELb0ES3_PKS6_PS6_S6_ZZZN2at6native31launch_logcumsumexp_cuda_kernelERKNSD_10TensorBaseESH_lENKUlvE_clEvENKUlvE3_clEvEUlS6_S6_E_S6_EEDaPvRmT3_T4_T5_mT6_P12ihipStream_tbENKUlT_T0_E_clISt17integral_constantIbLb1EESX_IbLb0EEEEDaST_SU_EUlST_E_NS1_11comp_targetILNS1_3genE3ELNS1_11target_archE908ELNS1_3gpuE7ELNS1_3repE0EEENS1_30default_config_static_selectorELNS0_4arch9wavefront6targetE1EEEvT1_,comdat
	.globl	_ZN7rocprim17ROCPRIM_400000_NS6detail17trampoline_kernelINS0_14default_configENS1_20scan_config_selectorIN3c104HalfEEEZZNS1_9scan_implILNS1_25lookback_scan_determinismE0ELb0ELb0ES3_PKS6_PS6_S6_ZZZN2at6native31launch_logcumsumexp_cuda_kernelERKNSD_10TensorBaseESH_lENKUlvE_clEvENKUlvE3_clEvEUlS6_S6_E_S6_EEDaPvRmT3_T4_T5_mT6_P12ihipStream_tbENKUlT_T0_E_clISt17integral_constantIbLb1EESX_IbLb0EEEEDaST_SU_EUlST_E_NS1_11comp_targetILNS1_3genE3ELNS1_11target_archE908ELNS1_3gpuE7ELNS1_3repE0EEENS1_30default_config_static_selectorELNS0_4arch9wavefront6targetE1EEEvT1_ ; -- Begin function _ZN7rocprim17ROCPRIM_400000_NS6detail17trampoline_kernelINS0_14default_configENS1_20scan_config_selectorIN3c104HalfEEEZZNS1_9scan_implILNS1_25lookback_scan_determinismE0ELb0ELb0ES3_PKS6_PS6_S6_ZZZN2at6native31launch_logcumsumexp_cuda_kernelERKNSD_10TensorBaseESH_lENKUlvE_clEvENKUlvE3_clEvEUlS6_S6_E_S6_EEDaPvRmT3_T4_T5_mT6_P12ihipStream_tbENKUlT_T0_E_clISt17integral_constantIbLb1EESX_IbLb0EEEEDaST_SU_EUlST_E_NS1_11comp_targetILNS1_3genE3ELNS1_11target_archE908ELNS1_3gpuE7ELNS1_3repE0EEENS1_30default_config_static_selectorELNS0_4arch9wavefront6targetE1EEEvT1_
	.p2align	8
	.type	_ZN7rocprim17ROCPRIM_400000_NS6detail17trampoline_kernelINS0_14default_configENS1_20scan_config_selectorIN3c104HalfEEEZZNS1_9scan_implILNS1_25lookback_scan_determinismE0ELb0ELb0ES3_PKS6_PS6_S6_ZZZN2at6native31launch_logcumsumexp_cuda_kernelERKNSD_10TensorBaseESH_lENKUlvE_clEvENKUlvE3_clEvEUlS6_S6_E_S6_EEDaPvRmT3_T4_T5_mT6_P12ihipStream_tbENKUlT_T0_E_clISt17integral_constantIbLb1EESX_IbLb0EEEEDaST_SU_EUlST_E_NS1_11comp_targetILNS1_3genE3ELNS1_11target_archE908ELNS1_3gpuE7ELNS1_3repE0EEENS1_30default_config_static_selectorELNS0_4arch9wavefront6targetE1EEEvT1_,@function
_ZN7rocprim17ROCPRIM_400000_NS6detail17trampoline_kernelINS0_14default_configENS1_20scan_config_selectorIN3c104HalfEEEZZNS1_9scan_implILNS1_25lookback_scan_determinismE0ELb0ELb0ES3_PKS6_PS6_S6_ZZZN2at6native31launch_logcumsumexp_cuda_kernelERKNSD_10TensorBaseESH_lENKUlvE_clEvENKUlvE3_clEvEUlS6_S6_E_S6_EEDaPvRmT3_T4_T5_mT6_P12ihipStream_tbENKUlT_T0_E_clISt17integral_constantIbLb1EESX_IbLb0EEEEDaST_SU_EUlST_E_NS1_11comp_targetILNS1_3genE3ELNS1_11target_archE908ELNS1_3gpuE7ELNS1_3repE0EEENS1_30default_config_static_selectorELNS0_4arch9wavefront6targetE1EEEvT1_: ; @_ZN7rocprim17ROCPRIM_400000_NS6detail17trampoline_kernelINS0_14default_configENS1_20scan_config_selectorIN3c104HalfEEEZZNS1_9scan_implILNS1_25lookback_scan_determinismE0ELb0ELb0ES3_PKS6_PS6_S6_ZZZN2at6native31launch_logcumsumexp_cuda_kernelERKNSD_10TensorBaseESH_lENKUlvE_clEvENKUlvE3_clEvEUlS6_S6_E_S6_EEDaPvRmT3_T4_T5_mT6_P12ihipStream_tbENKUlT_T0_E_clISt17integral_constantIbLb1EESX_IbLb0EEEEDaST_SU_EUlST_E_NS1_11comp_targetILNS1_3genE3ELNS1_11target_archE908ELNS1_3gpuE7ELNS1_3repE0EEENS1_30default_config_static_selectorELNS0_4arch9wavefront6targetE1EEEvT1_
; %bb.0:
	.section	.rodata,"a",@progbits
	.p2align	6, 0x0
	.amdhsa_kernel _ZN7rocprim17ROCPRIM_400000_NS6detail17trampoline_kernelINS0_14default_configENS1_20scan_config_selectorIN3c104HalfEEEZZNS1_9scan_implILNS1_25lookback_scan_determinismE0ELb0ELb0ES3_PKS6_PS6_S6_ZZZN2at6native31launch_logcumsumexp_cuda_kernelERKNSD_10TensorBaseESH_lENKUlvE_clEvENKUlvE3_clEvEUlS6_S6_E_S6_EEDaPvRmT3_T4_T5_mT6_P12ihipStream_tbENKUlT_T0_E_clISt17integral_constantIbLb1EESX_IbLb0EEEEDaST_SU_EUlST_E_NS1_11comp_targetILNS1_3genE3ELNS1_11target_archE908ELNS1_3gpuE7ELNS1_3repE0EEENS1_30default_config_static_selectorELNS0_4arch9wavefront6targetE1EEEvT1_
		.amdhsa_group_segment_fixed_size 0
		.amdhsa_private_segment_fixed_size 0
		.amdhsa_kernarg_size 96
		.amdhsa_user_sgpr_count 6
		.amdhsa_user_sgpr_private_segment_buffer 1
		.amdhsa_user_sgpr_dispatch_ptr 0
		.amdhsa_user_sgpr_queue_ptr 0
		.amdhsa_user_sgpr_kernarg_segment_ptr 1
		.amdhsa_user_sgpr_dispatch_id 0
		.amdhsa_user_sgpr_flat_scratch_init 0
		.amdhsa_user_sgpr_kernarg_preload_length 0
		.amdhsa_user_sgpr_kernarg_preload_offset 0
		.amdhsa_user_sgpr_private_segment_size 0
		.amdhsa_uses_dynamic_stack 0
		.amdhsa_system_sgpr_private_segment_wavefront_offset 0
		.amdhsa_system_sgpr_workgroup_id_x 1
		.amdhsa_system_sgpr_workgroup_id_y 0
		.amdhsa_system_sgpr_workgroup_id_z 0
		.amdhsa_system_sgpr_workgroup_info 0
		.amdhsa_system_vgpr_workitem_id 0
		.amdhsa_next_free_vgpr 1
		.amdhsa_next_free_sgpr 0
		.amdhsa_accum_offset 4
		.amdhsa_reserve_vcc 0
		.amdhsa_reserve_flat_scratch 0
		.amdhsa_float_round_mode_32 0
		.amdhsa_float_round_mode_16_64 0
		.amdhsa_float_denorm_mode_32 3
		.amdhsa_float_denorm_mode_16_64 3
		.amdhsa_dx10_clamp 1
		.amdhsa_ieee_mode 1
		.amdhsa_fp16_overflow 0
		.amdhsa_tg_split 0
		.amdhsa_exception_fp_ieee_invalid_op 0
		.amdhsa_exception_fp_denorm_src 0
		.amdhsa_exception_fp_ieee_div_zero 0
		.amdhsa_exception_fp_ieee_overflow 0
		.amdhsa_exception_fp_ieee_underflow 0
		.amdhsa_exception_fp_ieee_inexact 0
		.amdhsa_exception_int_div_zero 0
	.end_amdhsa_kernel
	.section	.text._ZN7rocprim17ROCPRIM_400000_NS6detail17trampoline_kernelINS0_14default_configENS1_20scan_config_selectorIN3c104HalfEEEZZNS1_9scan_implILNS1_25lookback_scan_determinismE0ELb0ELb0ES3_PKS6_PS6_S6_ZZZN2at6native31launch_logcumsumexp_cuda_kernelERKNSD_10TensorBaseESH_lENKUlvE_clEvENKUlvE3_clEvEUlS6_S6_E_S6_EEDaPvRmT3_T4_T5_mT6_P12ihipStream_tbENKUlT_T0_E_clISt17integral_constantIbLb1EESX_IbLb0EEEEDaST_SU_EUlST_E_NS1_11comp_targetILNS1_3genE3ELNS1_11target_archE908ELNS1_3gpuE7ELNS1_3repE0EEENS1_30default_config_static_selectorELNS0_4arch9wavefront6targetE1EEEvT1_,"axG",@progbits,_ZN7rocprim17ROCPRIM_400000_NS6detail17trampoline_kernelINS0_14default_configENS1_20scan_config_selectorIN3c104HalfEEEZZNS1_9scan_implILNS1_25lookback_scan_determinismE0ELb0ELb0ES3_PKS6_PS6_S6_ZZZN2at6native31launch_logcumsumexp_cuda_kernelERKNSD_10TensorBaseESH_lENKUlvE_clEvENKUlvE3_clEvEUlS6_S6_E_S6_EEDaPvRmT3_T4_T5_mT6_P12ihipStream_tbENKUlT_T0_E_clISt17integral_constantIbLb1EESX_IbLb0EEEEDaST_SU_EUlST_E_NS1_11comp_targetILNS1_3genE3ELNS1_11target_archE908ELNS1_3gpuE7ELNS1_3repE0EEENS1_30default_config_static_selectorELNS0_4arch9wavefront6targetE1EEEvT1_,comdat
.Lfunc_end403:
	.size	_ZN7rocprim17ROCPRIM_400000_NS6detail17trampoline_kernelINS0_14default_configENS1_20scan_config_selectorIN3c104HalfEEEZZNS1_9scan_implILNS1_25lookback_scan_determinismE0ELb0ELb0ES3_PKS6_PS6_S6_ZZZN2at6native31launch_logcumsumexp_cuda_kernelERKNSD_10TensorBaseESH_lENKUlvE_clEvENKUlvE3_clEvEUlS6_S6_E_S6_EEDaPvRmT3_T4_T5_mT6_P12ihipStream_tbENKUlT_T0_E_clISt17integral_constantIbLb1EESX_IbLb0EEEEDaST_SU_EUlST_E_NS1_11comp_targetILNS1_3genE3ELNS1_11target_archE908ELNS1_3gpuE7ELNS1_3repE0EEENS1_30default_config_static_selectorELNS0_4arch9wavefront6targetE1EEEvT1_, .Lfunc_end403-_ZN7rocprim17ROCPRIM_400000_NS6detail17trampoline_kernelINS0_14default_configENS1_20scan_config_selectorIN3c104HalfEEEZZNS1_9scan_implILNS1_25lookback_scan_determinismE0ELb0ELb0ES3_PKS6_PS6_S6_ZZZN2at6native31launch_logcumsumexp_cuda_kernelERKNSD_10TensorBaseESH_lENKUlvE_clEvENKUlvE3_clEvEUlS6_S6_E_S6_EEDaPvRmT3_T4_T5_mT6_P12ihipStream_tbENKUlT_T0_E_clISt17integral_constantIbLb1EESX_IbLb0EEEEDaST_SU_EUlST_E_NS1_11comp_targetILNS1_3genE3ELNS1_11target_archE908ELNS1_3gpuE7ELNS1_3repE0EEENS1_30default_config_static_selectorELNS0_4arch9wavefront6targetE1EEEvT1_
                                        ; -- End function
	.section	.AMDGPU.csdata,"",@progbits
; Kernel info:
; codeLenInByte = 0
; NumSgprs: 4
; NumVgprs: 0
; NumAgprs: 0
; TotalNumVgprs: 0
; ScratchSize: 0
; MemoryBound: 0
; FloatMode: 240
; IeeeMode: 1
; LDSByteSize: 0 bytes/workgroup (compile time only)
; SGPRBlocks: 0
; VGPRBlocks: 0
; NumSGPRsForWavesPerEU: 4
; NumVGPRsForWavesPerEU: 1
; AccumOffset: 4
; Occupancy: 8
; WaveLimiterHint : 0
; COMPUTE_PGM_RSRC2:SCRATCH_EN: 0
; COMPUTE_PGM_RSRC2:USER_SGPR: 6
; COMPUTE_PGM_RSRC2:TRAP_HANDLER: 0
; COMPUTE_PGM_RSRC2:TGID_X_EN: 1
; COMPUTE_PGM_RSRC2:TGID_Y_EN: 0
; COMPUTE_PGM_RSRC2:TGID_Z_EN: 0
; COMPUTE_PGM_RSRC2:TIDIG_COMP_CNT: 0
; COMPUTE_PGM_RSRC3_GFX90A:ACCUM_OFFSET: 0
; COMPUTE_PGM_RSRC3_GFX90A:TG_SPLIT: 0
	.section	.text._ZN7rocprim17ROCPRIM_400000_NS6detail17trampoline_kernelINS0_14default_configENS1_20scan_config_selectorIN3c104HalfEEEZZNS1_9scan_implILNS1_25lookback_scan_determinismE0ELb0ELb0ES3_PKS6_PS6_S6_ZZZN2at6native31launch_logcumsumexp_cuda_kernelERKNSD_10TensorBaseESH_lENKUlvE_clEvENKUlvE3_clEvEUlS6_S6_E_S6_EEDaPvRmT3_T4_T5_mT6_P12ihipStream_tbENKUlT_T0_E_clISt17integral_constantIbLb1EESX_IbLb0EEEEDaST_SU_EUlST_E_NS1_11comp_targetILNS1_3genE2ELNS1_11target_archE906ELNS1_3gpuE6ELNS1_3repE0EEENS1_30default_config_static_selectorELNS0_4arch9wavefront6targetE1EEEvT1_,"axG",@progbits,_ZN7rocprim17ROCPRIM_400000_NS6detail17trampoline_kernelINS0_14default_configENS1_20scan_config_selectorIN3c104HalfEEEZZNS1_9scan_implILNS1_25lookback_scan_determinismE0ELb0ELb0ES3_PKS6_PS6_S6_ZZZN2at6native31launch_logcumsumexp_cuda_kernelERKNSD_10TensorBaseESH_lENKUlvE_clEvENKUlvE3_clEvEUlS6_S6_E_S6_EEDaPvRmT3_T4_T5_mT6_P12ihipStream_tbENKUlT_T0_E_clISt17integral_constantIbLb1EESX_IbLb0EEEEDaST_SU_EUlST_E_NS1_11comp_targetILNS1_3genE2ELNS1_11target_archE906ELNS1_3gpuE6ELNS1_3repE0EEENS1_30default_config_static_selectorELNS0_4arch9wavefront6targetE1EEEvT1_,comdat
	.globl	_ZN7rocprim17ROCPRIM_400000_NS6detail17trampoline_kernelINS0_14default_configENS1_20scan_config_selectorIN3c104HalfEEEZZNS1_9scan_implILNS1_25lookback_scan_determinismE0ELb0ELb0ES3_PKS6_PS6_S6_ZZZN2at6native31launch_logcumsumexp_cuda_kernelERKNSD_10TensorBaseESH_lENKUlvE_clEvENKUlvE3_clEvEUlS6_S6_E_S6_EEDaPvRmT3_T4_T5_mT6_P12ihipStream_tbENKUlT_T0_E_clISt17integral_constantIbLb1EESX_IbLb0EEEEDaST_SU_EUlST_E_NS1_11comp_targetILNS1_3genE2ELNS1_11target_archE906ELNS1_3gpuE6ELNS1_3repE0EEENS1_30default_config_static_selectorELNS0_4arch9wavefront6targetE1EEEvT1_ ; -- Begin function _ZN7rocprim17ROCPRIM_400000_NS6detail17trampoline_kernelINS0_14default_configENS1_20scan_config_selectorIN3c104HalfEEEZZNS1_9scan_implILNS1_25lookback_scan_determinismE0ELb0ELb0ES3_PKS6_PS6_S6_ZZZN2at6native31launch_logcumsumexp_cuda_kernelERKNSD_10TensorBaseESH_lENKUlvE_clEvENKUlvE3_clEvEUlS6_S6_E_S6_EEDaPvRmT3_T4_T5_mT6_P12ihipStream_tbENKUlT_T0_E_clISt17integral_constantIbLb1EESX_IbLb0EEEEDaST_SU_EUlST_E_NS1_11comp_targetILNS1_3genE2ELNS1_11target_archE906ELNS1_3gpuE6ELNS1_3repE0EEENS1_30default_config_static_selectorELNS0_4arch9wavefront6targetE1EEEvT1_
	.p2align	8
	.type	_ZN7rocprim17ROCPRIM_400000_NS6detail17trampoline_kernelINS0_14default_configENS1_20scan_config_selectorIN3c104HalfEEEZZNS1_9scan_implILNS1_25lookback_scan_determinismE0ELb0ELb0ES3_PKS6_PS6_S6_ZZZN2at6native31launch_logcumsumexp_cuda_kernelERKNSD_10TensorBaseESH_lENKUlvE_clEvENKUlvE3_clEvEUlS6_S6_E_S6_EEDaPvRmT3_T4_T5_mT6_P12ihipStream_tbENKUlT_T0_E_clISt17integral_constantIbLb1EESX_IbLb0EEEEDaST_SU_EUlST_E_NS1_11comp_targetILNS1_3genE2ELNS1_11target_archE906ELNS1_3gpuE6ELNS1_3repE0EEENS1_30default_config_static_selectorELNS0_4arch9wavefront6targetE1EEEvT1_,@function
_ZN7rocprim17ROCPRIM_400000_NS6detail17trampoline_kernelINS0_14default_configENS1_20scan_config_selectorIN3c104HalfEEEZZNS1_9scan_implILNS1_25lookback_scan_determinismE0ELb0ELb0ES3_PKS6_PS6_S6_ZZZN2at6native31launch_logcumsumexp_cuda_kernelERKNSD_10TensorBaseESH_lENKUlvE_clEvENKUlvE3_clEvEUlS6_S6_E_S6_EEDaPvRmT3_T4_T5_mT6_P12ihipStream_tbENKUlT_T0_E_clISt17integral_constantIbLb1EESX_IbLb0EEEEDaST_SU_EUlST_E_NS1_11comp_targetILNS1_3genE2ELNS1_11target_archE906ELNS1_3gpuE6ELNS1_3repE0EEENS1_30default_config_static_selectorELNS0_4arch9wavefront6targetE1EEEvT1_: ; @_ZN7rocprim17ROCPRIM_400000_NS6detail17trampoline_kernelINS0_14default_configENS1_20scan_config_selectorIN3c104HalfEEEZZNS1_9scan_implILNS1_25lookback_scan_determinismE0ELb0ELb0ES3_PKS6_PS6_S6_ZZZN2at6native31launch_logcumsumexp_cuda_kernelERKNSD_10TensorBaseESH_lENKUlvE_clEvENKUlvE3_clEvEUlS6_S6_E_S6_EEDaPvRmT3_T4_T5_mT6_P12ihipStream_tbENKUlT_T0_E_clISt17integral_constantIbLb1EESX_IbLb0EEEEDaST_SU_EUlST_E_NS1_11comp_targetILNS1_3genE2ELNS1_11target_archE906ELNS1_3gpuE6ELNS1_3repE0EEENS1_30default_config_static_selectorELNS0_4arch9wavefront6targetE1EEEvT1_
; %bb.0:
	.section	.rodata,"a",@progbits
	.p2align	6, 0x0
	.amdhsa_kernel _ZN7rocprim17ROCPRIM_400000_NS6detail17trampoline_kernelINS0_14default_configENS1_20scan_config_selectorIN3c104HalfEEEZZNS1_9scan_implILNS1_25lookback_scan_determinismE0ELb0ELb0ES3_PKS6_PS6_S6_ZZZN2at6native31launch_logcumsumexp_cuda_kernelERKNSD_10TensorBaseESH_lENKUlvE_clEvENKUlvE3_clEvEUlS6_S6_E_S6_EEDaPvRmT3_T4_T5_mT6_P12ihipStream_tbENKUlT_T0_E_clISt17integral_constantIbLb1EESX_IbLb0EEEEDaST_SU_EUlST_E_NS1_11comp_targetILNS1_3genE2ELNS1_11target_archE906ELNS1_3gpuE6ELNS1_3repE0EEENS1_30default_config_static_selectorELNS0_4arch9wavefront6targetE1EEEvT1_
		.amdhsa_group_segment_fixed_size 0
		.amdhsa_private_segment_fixed_size 0
		.amdhsa_kernarg_size 96
		.amdhsa_user_sgpr_count 6
		.amdhsa_user_sgpr_private_segment_buffer 1
		.amdhsa_user_sgpr_dispatch_ptr 0
		.amdhsa_user_sgpr_queue_ptr 0
		.amdhsa_user_sgpr_kernarg_segment_ptr 1
		.amdhsa_user_sgpr_dispatch_id 0
		.amdhsa_user_sgpr_flat_scratch_init 0
		.amdhsa_user_sgpr_kernarg_preload_length 0
		.amdhsa_user_sgpr_kernarg_preload_offset 0
		.amdhsa_user_sgpr_private_segment_size 0
		.amdhsa_uses_dynamic_stack 0
		.amdhsa_system_sgpr_private_segment_wavefront_offset 0
		.amdhsa_system_sgpr_workgroup_id_x 1
		.amdhsa_system_sgpr_workgroup_id_y 0
		.amdhsa_system_sgpr_workgroup_id_z 0
		.amdhsa_system_sgpr_workgroup_info 0
		.amdhsa_system_vgpr_workitem_id 0
		.amdhsa_next_free_vgpr 1
		.amdhsa_next_free_sgpr 0
		.amdhsa_accum_offset 4
		.amdhsa_reserve_vcc 0
		.amdhsa_reserve_flat_scratch 0
		.amdhsa_float_round_mode_32 0
		.amdhsa_float_round_mode_16_64 0
		.amdhsa_float_denorm_mode_32 3
		.amdhsa_float_denorm_mode_16_64 3
		.amdhsa_dx10_clamp 1
		.amdhsa_ieee_mode 1
		.amdhsa_fp16_overflow 0
		.amdhsa_tg_split 0
		.amdhsa_exception_fp_ieee_invalid_op 0
		.amdhsa_exception_fp_denorm_src 0
		.amdhsa_exception_fp_ieee_div_zero 0
		.amdhsa_exception_fp_ieee_overflow 0
		.amdhsa_exception_fp_ieee_underflow 0
		.amdhsa_exception_fp_ieee_inexact 0
		.amdhsa_exception_int_div_zero 0
	.end_amdhsa_kernel
	.section	.text._ZN7rocprim17ROCPRIM_400000_NS6detail17trampoline_kernelINS0_14default_configENS1_20scan_config_selectorIN3c104HalfEEEZZNS1_9scan_implILNS1_25lookback_scan_determinismE0ELb0ELb0ES3_PKS6_PS6_S6_ZZZN2at6native31launch_logcumsumexp_cuda_kernelERKNSD_10TensorBaseESH_lENKUlvE_clEvENKUlvE3_clEvEUlS6_S6_E_S6_EEDaPvRmT3_T4_T5_mT6_P12ihipStream_tbENKUlT_T0_E_clISt17integral_constantIbLb1EESX_IbLb0EEEEDaST_SU_EUlST_E_NS1_11comp_targetILNS1_3genE2ELNS1_11target_archE906ELNS1_3gpuE6ELNS1_3repE0EEENS1_30default_config_static_selectorELNS0_4arch9wavefront6targetE1EEEvT1_,"axG",@progbits,_ZN7rocprim17ROCPRIM_400000_NS6detail17trampoline_kernelINS0_14default_configENS1_20scan_config_selectorIN3c104HalfEEEZZNS1_9scan_implILNS1_25lookback_scan_determinismE0ELb0ELb0ES3_PKS6_PS6_S6_ZZZN2at6native31launch_logcumsumexp_cuda_kernelERKNSD_10TensorBaseESH_lENKUlvE_clEvENKUlvE3_clEvEUlS6_S6_E_S6_EEDaPvRmT3_T4_T5_mT6_P12ihipStream_tbENKUlT_T0_E_clISt17integral_constantIbLb1EESX_IbLb0EEEEDaST_SU_EUlST_E_NS1_11comp_targetILNS1_3genE2ELNS1_11target_archE906ELNS1_3gpuE6ELNS1_3repE0EEENS1_30default_config_static_selectorELNS0_4arch9wavefront6targetE1EEEvT1_,comdat
.Lfunc_end404:
	.size	_ZN7rocprim17ROCPRIM_400000_NS6detail17trampoline_kernelINS0_14default_configENS1_20scan_config_selectorIN3c104HalfEEEZZNS1_9scan_implILNS1_25lookback_scan_determinismE0ELb0ELb0ES3_PKS6_PS6_S6_ZZZN2at6native31launch_logcumsumexp_cuda_kernelERKNSD_10TensorBaseESH_lENKUlvE_clEvENKUlvE3_clEvEUlS6_S6_E_S6_EEDaPvRmT3_T4_T5_mT6_P12ihipStream_tbENKUlT_T0_E_clISt17integral_constantIbLb1EESX_IbLb0EEEEDaST_SU_EUlST_E_NS1_11comp_targetILNS1_3genE2ELNS1_11target_archE906ELNS1_3gpuE6ELNS1_3repE0EEENS1_30default_config_static_selectorELNS0_4arch9wavefront6targetE1EEEvT1_, .Lfunc_end404-_ZN7rocprim17ROCPRIM_400000_NS6detail17trampoline_kernelINS0_14default_configENS1_20scan_config_selectorIN3c104HalfEEEZZNS1_9scan_implILNS1_25lookback_scan_determinismE0ELb0ELb0ES3_PKS6_PS6_S6_ZZZN2at6native31launch_logcumsumexp_cuda_kernelERKNSD_10TensorBaseESH_lENKUlvE_clEvENKUlvE3_clEvEUlS6_S6_E_S6_EEDaPvRmT3_T4_T5_mT6_P12ihipStream_tbENKUlT_T0_E_clISt17integral_constantIbLb1EESX_IbLb0EEEEDaST_SU_EUlST_E_NS1_11comp_targetILNS1_3genE2ELNS1_11target_archE906ELNS1_3gpuE6ELNS1_3repE0EEENS1_30default_config_static_selectorELNS0_4arch9wavefront6targetE1EEEvT1_
                                        ; -- End function
	.section	.AMDGPU.csdata,"",@progbits
; Kernel info:
; codeLenInByte = 0
; NumSgprs: 4
; NumVgprs: 0
; NumAgprs: 0
; TotalNumVgprs: 0
; ScratchSize: 0
; MemoryBound: 0
; FloatMode: 240
; IeeeMode: 1
; LDSByteSize: 0 bytes/workgroup (compile time only)
; SGPRBlocks: 0
; VGPRBlocks: 0
; NumSGPRsForWavesPerEU: 4
; NumVGPRsForWavesPerEU: 1
; AccumOffset: 4
; Occupancy: 8
; WaveLimiterHint : 0
; COMPUTE_PGM_RSRC2:SCRATCH_EN: 0
; COMPUTE_PGM_RSRC2:USER_SGPR: 6
; COMPUTE_PGM_RSRC2:TRAP_HANDLER: 0
; COMPUTE_PGM_RSRC2:TGID_X_EN: 1
; COMPUTE_PGM_RSRC2:TGID_Y_EN: 0
; COMPUTE_PGM_RSRC2:TGID_Z_EN: 0
; COMPUTE_PGM_RSRC2:TIDIG_COMP_CNT: 0
; COMPUTE_PGM_RSRC3_GFX90A:ACCUM_OFFSET: 0
; COMPUTE_PGM_RSRC3_GFX90A:TG_SPLIT: 0
	.section	.text._ZN7rocprim17ROCPRIM_400000_NS6detail17trampoline_kernelINS0_14default_configENS1_20scan_config_selectorIN3c104HalfEEEZZNS1_9scan_implILNS1_25lookback_scan_determinismE0ELb0ELb0ES3_PKS6_PS6_S6_ZZZN2at6native31launch_logcumsumexp_cuda_kernelERKNSD_10TensorBaseESH_lENKUlvE_clEvENKUlvE3_clEvEUlS6_S6_E_S6_EEDaPvRmT3_T4_T5_mT6_P12ihipStream_tbENKUlT_T0_E_clISt17integral_constantIbLb1EESX_IbLb0EEEEDaST_SU_EUlST_E_NS1_11comp_targetILNS1_3genE10ELNS1_11target_archE1201ELNS1_3gpuE5ELNS1_3repE0EEENS1_30default_config_static_selectorELNS0_4arch9wavefront6targetE1EEEvT1_,"axG",@progbits,_ZN7rocprim17ROCPRIM_400000_NS6detail17trampoline_kernelINS0_14default_configENS1_20scan_config_selectorIN3c104HalfEEEZZNS1_9scan_implILNS1_25lookback_scan_determinismE0ELb0ELb0ES3_PKS6_PS6_S6_ZZZN2at6native31launch_logcumsumexp_cuda_kernelERKNSD_10TensorBaseESH_lENKUlvE_clEvENKUlvE3_clEvEUlS6_S6_E_S6_EEDaPvRmT3_T4_T5_mT6_P12ihipStream_tbENKUlT_T0_E_clISt17integral_constantIbLb1EESX_IbLb0EEEEDaST_SU_EUlST_E_NS1_11comp_targetILNS1_3genE10ELNS1_11target_archE1201ELNS1_3gpuE5ELNS1_3repE0EEENS1_30default_config_static_selectorELNS0_4arch9wavefront6targetE1EEEvT1_,comdat
	.globl	_ZN7rocprim17ROCPRIM_400000_NS6detail17trampoline_kernelINS0_14default_configENS1_20scan_config_selectorIN3c104HalfEEEZZNS1_9scan_implILNS1_25lookback_scan_determinismE0ELb0ELb0ES3_PKS6_PS6_S6_ZZZN2at6native31launch_logcumsumexp_cuda_kernelERKNSD_10TensorBaseESH_lENKUlvE_clEvENKUlvE3_clEvEUlS6_S6_E_S6_EEDaPvRmT3_T4_T5_mT6_P12ihipStream_tbENKUlT_T0_E_clISt17integral_constantIbLb1EESX_IbLb0EEEEDaST_SU_EUlST_E_NS1_11comp_targetILNS1_3genE10ELNS1_11target_archE1201ELNS1_3gpuE5ELNS1_3repE0EEENS1_30default_config_static_selectorELNS0_4arch9wavefront6targetE1EEEvT1_ ; -- Begin function _ZN7rocprim17ROCPRIM_400000_NS6detail17trampoline_kernelINS0_14default_configENS1_20scan_config_selectorIN3c104HalfEEEZZNS1_9scan_implILNS1_25lookback_scan_determinismE0ELb0ELb0ES3_PKS6_PS6_S6_ZZZN2at6native31launch_logcumsumexp_cuda_kernelERKNSD_10TensorBaseESH_lENKUlvE_clEvENKUlvE3_clEvEUlS6_S6_E_S6_EEDaPvRmT3_T4_T5_mT6_P12ihipStream_tbENKUlT_T0_E_clISt17integral_constantIbLb1EESX_IbLb0EEEEDaST_SU_EUlST_E_NS1_11comp_targetILNS1_3genE10ELNS1_11target_archE1201ELNS1_3gpuE5ELNS1_3repE0EEENS1_30default_config_static_selectorELNS0_4arch9wavefront6targetE1EEEvT1_
	.p2align	8
	.type	_ZN7rocprim17ROCPRIM_400000_NS6detail17trampoline_kernelINS0_14default_configENS1_20scan_config_selectorIN3c104HalfEEEZZNS1_9scan_implILNS1_25lookback_scan_determinismE0ELb0ELb0ES3_PKS6_PS6_S6_ZZZN2at6native31launch_logcumsumexp_cuda_kernelERKNSD_10TensorBaseESH_lENKUlvE_clEvENKUlvE3_clEvEUlS6_S6_E_S6_EEDaPvRmT3_T4_T5_mT6_P12ihipStream_tbENKUlT_T0_E_clISt17integral_constantIbLb1EESX_IbLb0EEEEDaST_SU_EUlST_E_NS1_11comp_targetILNS1_3genE10ELNS1_11target_archE1201ELNS1_3gpuE5ELNS1_3repE0EEENS1_30default_config_static_selectorELNS0_4arch9wavefront6targetE1EEEvT1_,@function
_ZN7rocprim17ROCPRIM_400000_NS6detail17trampoline_kernelINS0_14default_configENS1_20scan_config_selectorIN3c104HalfEEEZZNS1_9scan_implILNS1_25lookback_scan_determinismE0ELb0ELb0ES3_PKS6_PS6_S6_ZZZN2at6native31launch_logcumsumexp_cuda_kernelERKNSD_10TensorBaseESH_lENKUlvE_clEvENKUlvE3_clEvEUlS6_S6_E_S6_EEDaPvRmT3_T4_T5_mT6_P12ihipStream_tbENKUlT_T0_E_clISt17integral_constantIbLb1EESX_IbLb0EEEEDaST_SU_EUlST_E_NS1_11comp_targetILNS1_3genE10ELNS1_11target_archE1201ELNS1_3gpuE5ELNS1_3repE0EEENS1_30default_config_static_selectorELNS0_4arch9wavefront6targetE1EEEvT1_: ; @_ZN7rocprim17ROCPRIM_400000_NS6detail17trampoline_kernelINS0_14default_configENS1_20scan_config_selectorIN3c104HalfEEEZZNS1_9scan_implILNS1_25lookback_scan_determinismE0ELb0ELb0ES3_PKS6_PS6_S6_ZZZN2at6native31launch_logcumsumexp_cuda_kernelERKNSD_10TensorBaseESH_lENKUlvE_clEvENKUlvE3_clEvEUlS6_S6_E_S6_EEDaPvRmT3_T4_T5_mT6_P12ihipStream_tbENKUlT_T0_E_clISt17integral_constantIbLb1EESX_IbLb0EEEEDaST_SU_EUlST_E_NS1_11comp_targetILNS1_3genE10ELNS1_11target_archE1201ELNS1_3gpuE5ELNS1_3repE0EEENS1_30default_config_static_selectorELNS0_4arch9wavefront6targetE1EEEvT1_
; %bb.0:
	.section	.rodata,"a",@progbits
	.p2align	6, 0x0
	.amdhsa_kernel _ZN7rocprim17ROCPRIM_400000_NS6detail17trampoline_kernelINS0_14default_configENS1_20scan_config_selectorIN3c104HalfEEEZZNS1_9scan_implILNS1_25lookback_scan_determinismE0ELb0ELb0ES3_PKS6_PS6_S6_ZZZN2at6native31launch_logcumsumexp_cuda_kernelERKNSD_10TensorBaseESH_lENKUlvE_clEvENKUlvE3_clEvEUlS6_S6_E_S6_EEDaPvRmT3_T4_T5_mT6_P12ihipStream_tbENKUlT_T0_E_clISt17integral_constantIbLb1EESX_IbLb0EEEEDaST_SU_EUlST_E_NS1_11comp_targetILNS1_3genE10ELNS1_11target_archE1201ELNS1_3gpuE5ELNS1_3repE0EEENS1_30default_config_static_selectorELNS0_4arch9wavefront6targetE1EEEvT1_
		.amdhsa_group_segment_fixed_size 0
		.amdhsa_private_segment_fixed_size 0
		.amdhsa_kernarg_size 96
		.amdhsa_user_sgpr_count 6
		.amdhsa_user_sgpr_private_segment_buffer 1
		.amdhsa_user_sgpr_dispatch_ptr 0
		.amdhsa_user_sgpr_queue_ptr 0
		.amdhsa_user_sgpr_kernarg_segment_ptr 1
		.amdhsa_user_sgpr_dispatch_id 0
		.amdhsa_user_sgpr_flat_scratch_init 0
		.amdhsa_user_sgpr_kernarg_preload_length 0
		.amdhsa_user_sgpr_kernarg_preload_offset 0
		.amdhsa_user_sgpr_private_segment_size 0
		.amdhsa_uses_dynamic_stack 0
		.amdhsa_system_sgpr_private_segment_wavefront_offset 0
		.amdhsa_system_sgpr_workgroup_id_x 1
		.amdhsa_system_sgpr_workgroup_id_y 0
		.amdhsa_system_sgpr_workgroup_id_z 0
		.amdhsa_system_sgpr_workgroup_info 0
		.amdhsa_system_vgpr_workitem_id 0
		.amdhsa_next_free_vgpr 1
		.amdhsa_next_free_sgpr 0
		.amdhsa_accum_offset 4
		.amdhsa_reserve_vcc 0
		.amdhsa_reserve_flat_scratch 0
		.amdhsa_float_round_mode_32 0
		.amdhsa_float_round_mode_16_64 0
		.amdhsa_float_denorm_mode_32 3
		.amdhsa_float_denorm_mode_16_64 3
		.amdhsa_dx10_clamp 1
		.amdhsa_ieee_mode 1
		.amdhsa_fp16_overflow 0
		.amdhsa_tg_split 0
		.amdhsa_exception_fp_ieee_invalid_op 0
		.amdhsa_exception_fp_denorm_src 0
		.amdhsa_exception_fp_ieee_div_zero 0
		.amdhsa_exception_fp_ieee_overflow 0
		.amdhsa_exception_fp_ieee_underflow 0
		.amdhsa_exception_fp_ieee_inexact 0
		.amdhsa_exception_int_div_zero 0
	.end_amdhsa_kernel
	.section	.text._ZN7rocprim17ROCPRIM_400000_NS6detail17trampoline_kernelINS0_14default_configENS1_20scan_config_selectorIN3c104HalfEEEZZNS1_9scan_implILNS1_25lookback_scan_determinismE0ELb0ELb0ES3_PKS6_PS6_S6_ZZZN2at6native31launch_logcumsumexp_cuda_kernelERKNSD_10TensorBaseESH_lENKUlvE_clEvENKUlvE3_clEvEUlS6_S6_E_S6_EEDaPvRmT3_T4_T5_mT6_P12ihipStream_tbENKUlT_T0_E_clISt17integral_constantIbLb1EESX_IbLb0EEEEDaST_SU_EUlST_E_NS1_11comp_targetILNS1_3genE10ELNS1_11target_archE1201ELNS1_3gpuE5ELNS1_3repE0EEENS1_30default_config_static_selectorELNS0_4arch9wavefront6targetE1EEEvT1_,"axG",@progbits,_ZN7rocprim17ROCPRIM_400000_NS6detail17trampoline_kernelINS0_14default_configENS1_20scan_config_selectorIN3c104HalfEEEZZNS1_9scan_implILNS1_25lookback_scan_determinismE0ELb0ELb0ES3_PKS6_PS6_S6_ZZZN2at6native31launch_logcumsumexp_cuda_kernelERKNSD_10TensorBaseESH_lENKUlvE_clEvENKUlvE3_clEvEUlS6_S6_E_S6_EEDaPvRmT3_T4_T5_mT6_P12ihipStream_tbENKUlT_T0_E_clISt17integral_constantIbLb1EESX_IbLb0EEEEDaST_SU_EUlST_E_NS1_11comp_targetILNS1_3genE10ELNS1_11target_archE1201ELNS1_3gpuE5ELNS1_3repE0EEENS1_30default_config_static_selectorELNS0_4arch9wavefront6targetE1EEEvT1_,comdat
.Lfunc_end405:
	.size	_ZN7rocprim17ROCPRIM_400000_NS6detail17trampoline_kernelINS0_14default_configENS1_20scan_config_selectorIN3c104HalfEEEZZNS1_9scan_implILNS1_25lookback_scan_determinismE0ELb0ELb0ES3_PKS6_PS6_S6_ZZZN2at6native31launch_logcumsumexp_cuda_kernelERKNSD_10TensorBaseESH_lENKUlvE_clEvENKUlvE3_clEvEUlS6_S6_E_S6_EEDaPvRmT3_T4_T5_mT6_P12ihipStream_tbENKUlT_T0_E_clISt17integral_constantIbLb1EESX_IbLb0EEEEDaST_SU_EUlST_E_NS1_11comp_targetILNS1_3genE10ELNS1_11target_archE1201ELNS1_3gpuE5ELNS1_3repE0EEENS1_30default_config_static_selectorELNS0_4arch9wavefront6targetE1EEEvT1_, .Lfunc_end405-_ZN7rocprim17ROCPRIM_400000_NS6detail17trampoline_kernelINS0_14default_configENS1_20scan_config_selectorIN3c104HalfEEEZZNS1_9scan_implILNS1_25lookback_scan_determinismE0ELb0ELb0ES3_PKS6_PS6_S6_ZZZN2at6native31launch_logcumsumexp_cuda_kernelERKNSD_10TensorBaseESH_lENKUlvE_clEvENKUlvE3_clEvEUlS6_S6_E_S6_EEDaPvRmT3_T4_T5_mT6_P12ihipStream_tbENKUlT_T0_E_clISt17integral_constantIbLb1EESX_IbLb0EEEEDaST_SU_EUlST_E_NS1_11comp_targetILNS1_3genE10ELNS1_11target_archE1201ELNS1_3gpuE5ELNS1_3repE0EEENS1_30default_config_static_selectorELNS0_4arch9wavefront6targetE1EEEvT1_
                                        ; -- End function
	.section	.AMDGPU.csdata,"",@progbits
; Kernel info:
; codeLenInByte = 0
; NumSgprs: 4
; NumVgprs: 0
; NumAgprs: 0
; TotalNumVgprs: 0
; ScratchSize: 0
; MemoryBound: 0
; FloatMode: 240
; IeeeMode: 1
; LDSByteSize: 0 bytes/workgroup (compile time only)
; SGPRBlocks: 0
; VGPRBlocks: 0
; NumSGPRsForWavesPerEU: 4
; NumVGPRsForWavesPerEU: 1
; AccumOffset: 4
; Occupancy: 8
; WaveLimiterHint : 0
; COMPUTE_PGM_RSRC2:SCRATCH_EN: 0
; COMPUTE_PGM_RSRC2:USER_SGPR: 6
; COMPUTE_PGM_RSRC2:TRAP_HANDLER: 0
; COMPUTE_PGM_RSRC2:TGID_X_EN: 1
; COMPUTE_PGM_RSRC2:TGID_Y_EN: 0
; COMPUTE_PGM_RSRC2:TGID_Z_EN: 0
; COMPUTE_PGM_RSRC2:TIDIG_COMP_CNT: 0
; COMPUTE_PGM_RSRC3_GFX90A:ACCUM_OFFSET: 0
; COMPUTE_PGM_RSRC3_GFX90A:TG_SPLIT: 0
	.section	.text._ZN7rocprim17ROCPRIM_400000_NS6detail17trampoline_kernelINS0_14default_configENS1_20scan_config_selectorIN3c104HalfEEEZZNS1_9scan_implILNS1_25lookback_scan_determinismE0ELb0ELb0ES3_PKS6_PS6_S6_ZZZN2at6native31launch_logcumsumexp_cuda_kernelERKNSD_10TensorBaseESH_lENKUlvE_clEvENKUlvE3_clEvEUlS6_S6_E_S6_EEDaPvRmT3_T4_T5_mT6_P12ihipStream_tbENKUlT_T0_E_clISt17integral_constantIbLb1EESX_IbLb0EEEEDaST_SU_EUlST_E_NS1_11comp_targetILNS1_3genE10ELNS1_11target_archE1200ELNS1_3gpuE4ELNS1_3repE0EEENS1_30default_config_static_selectorELNS0_4arch9wavefront6targetE1EEEvT1_,"axG",@progbits,_ZN7rocprim17ROCPRIM_400000_NS6detail17trampoline_kernelINS0_14default_configENS1_20scan_config_selectorIN3c104HalfEEEZZNS1_9scan_implILNS1_25lookback_scan_determinismE0ELb0ELb0ES3_PKS6_PS6_S6_ZZZN2at6native31launch_logcumsumexp_cuda_kernelERKNSD_10TensorBaseESH_lENKUlvE_clEvENKUlvE3_clEvEUlS6_S6_E_S6_EEDaPvRmT3_T4_T5_mT6_P12ihipStream_tbENKUlT_T0_E_clISt17integral_constantIbLb1EESX_IbLb0EEEEDaST_SU_EUlST_E_NS1_11comp_targetILNS1_3genE10ELNS1_11target_archE1200ELNS1_3gpuE4ELNS1_3repE0EEENS1_30default_config_static_selectorELNS0_4arch9wavefront6targetE1EEEvT1_,comdat
	.globl	_ZN7rocprim17ROCPRIM_400000_NS6detail17trampoline_kernelINS0_14default_configENS1_20scan_config_selectorIN3c104HalfEEEZZNS1_9scan_implILNS1_25lookback_scan_determinismE0ELb0ELb0ES3_PKS6_PS6_S6_ZZZN2at6native31launch_logcumsumexp_cuda_kernelERKNSD_10TensorBaseESH_lENKUlvE_clEvENKUlvE3_clEvEUlS6_S6_E_S6_EEDaPvRmT3_T4_T5_mT6_P12ihipStream_tbENKUlT_T0_E_clISt17integral_constantIbLb1EESX_IbLb0EEEEDaST_SU_EUlST_E_NS1_11comp_targetILNS1_3genE10ELNS1_11target_archE1200ELNS1_3gpuE4ELNS1_3repE0EEENS1_30default_config_static_selectorELNS0_4arch9wavefront6targetE1EEEvT1_ ; -- Begin function _ZN7rocprim17ROCPRIM_400000_NS6detail17trampoline_kernelINS0_14default_configENS1_20scan_config_selectorIN3c104HalfEEEZZNS1_9scan_implILNS1_25lookback_scan_determinismE0ELb0ELb0ES3_PKS6_PS6_S6_ZZZN2at6native31launch_logcumsumexp_cuda_kernelERKNSD_10TensorBaseESH_lENKUlvE_clEvENKUlvE3_clEvEUlS6_S6_E_S6_EEDaPvRmT3_T4_T5_mT6_P12ihipStream_tbENKUlT_T0_E_clISt17integral_constantIbLb1EESX_IbLb0EEEEDaST_SU_EUlST_E_NS1_11comp_targetILNS1_3genE10ELNS1_11target_archE1200ELNS1_3gpuE4ELNS1_3repE0EEENS1_30default_config_static_selectorELNS0_4arch9wavefront6targetE1EEEvT1_
	.p2align	8
	.type	_ZN7rocprim17ROCPRIM_400000_NS6detail17trampoline_kernelINS0_14default_configENS1_20scan_config_selectorIN3c104HalfEEEZZNS1_9scan_implILNS1_25lookback_scan_determinismE0ELb0ELb0ES3_PKS6_PS6_S6_ZZZN2at6native31launch_logcumsumexp_cuda_kernelERKNSD_10TensorBaseESH_lENKUlvE_clEvENKUlvE3_clEvEUlS6_S6_E_S6_EEDaPvRmT3_T4_T5_mT6_P12ihipStream_tbENKUlT_T0_E_clISt17integral_constantIbLb1EESX_IbLb0EEEEDaST_SU_EUlST_E_NS1_11comp_targetILNS1_3genE10ELNS1_11target_archE1200ELNS1_3gpuE4ELNS1_3repE0EEENS1_30default_config_static_selectorELNS0_4arch9wavefront6targetE1EEEvT1_,@function
_ZN7rocprim17ROCPRIM_400000_NS6detail17trampoline_kernelINS0_14default_configENS1_20scan_config_selectorIN3c104HalfEEEZZNS1_9scan_implILNS1_25lookback_scan_determinismE0ELb0ELb0ES3_PKS6_PS6_S6_ZZZN2at6native31launch_logcumsumexp_cuda_kernelERKNSD_10TensorBaseESH_lENKUlvE_clEvENKUlvE3_clEvEUlS6_S6_E_S6_EEDaPvRmT3_T4_T5_mT6_P12ihipStream_tbENKUlT_T0_E_clISt17integral_constantIbLb1EESX_IbLb0EEEEDaST_SU_EUlST_E_NS1_11comp_targetILNS1_3genE10ELNS1_11target_archE1200ELNS1_3gpuE4ELNS1_3repE0EEENS1_30default_config_static_selectorELNS0_4arch9wavefront6targetE1EEEvT1_: ; @_ZN7rocprim17ROCPRIM_400000_NS6detail17trampoline_kernelINS0_14default_configENS1_20scan_config_selectorIN3c104HalfEEEZZNS1_9scan_implILNS1_25lookback_scan_determinismE0ELb0ELb0ES3_PKS6_PS6_S6_ZZZN2at6native31launch_logcumsumexp_cuda_kernelERKNSD_10TensorBaseESH_lENKUlvE_clEvENKUlvE3_clEvEUlS6_S6_E_S6_EEDaPvRmT3_T4_T5_mT6_P12ihipStream_tbENKUlT_T0_E_clISt17integral_constantIbLb1EESX_IbLb0EEEEDaST_SU_EUlST_E_NS1_11comp_targetILNS1_3genE10ELNS1_11target_archE1200ELNS1_3gpuE4ELNS1_3repE0EEENS1_30default_config_static_selectorELNS0_4arch9wavefront6targetE1EEEvT1_
; %bb.0:
	.section	.rodata,"a",@progbits
	.p2align	6, 0x0
	.amdhsa_kernel _ZN7rocprim17ROCPRIM_400000_NS6detail17trampoline_kernelINS0_14default_configENS1_20scan_config_selectorIN3c104HalfEEEZZNS1_9scan_implILNS1_25lookback_scan_determinismE0ELb0ELb0ES3_PKS6_PS6_S6_ZZZN2at6native31launch_logcumsumexp_cuda_kernelERKNSD_10TensorBaseESH_lENKUlvE_clEvENKUlvE3_clEvEUlS6_S6_E_S6_EEDaPvRmT3_T4_T5_mT6_P12ihipStream_tbENKUlT_T0_E_clISt17integral_constantIbLb1EESX_IbLb0EEEEDaST_SU_EUlST_E_NS1_11comp_targetILNS1_3genE10ELNS1_11target_archE1200ELNS1_3gpuE4ELNS1_3repE0EEENS1_30default_config_static_selectorELNS0_4arch9wavefront6targetE1EEEvT1_
		.amdhsa_group_segment_fixed_size 0
		.amdhsa_private_segment_fixed_size 0
		.amdhsa_kernarg_size 96
		.amdhsa_user_sgpr_count 6
		.amdhsa_user_sgpr_private_segment_buffer 1
		.amdhsa_user_sgpr_dispatch_ptr 0
		.amdhsa_user_sgpr_queue_ptr 0
		.amdhsa_user_sgpr_kernarg_segment_ptr 1
		.amdhsa_user_sgpr_dispatch_id 0
		.amdhsa_user_sgpr_flat_scratch_init 0
		.amdhsa_user_sgpr_kernarg_preload_length 0
		.amdhsa_user_sgpr_kernarg_preload_offset 0
		.amdhsa_user_sgpr_private_segment_size 0
		.amdhsa_uses_dynamic_stack 0
		.amdhsa_system_sgpr_private_segment_wavefront_offset 0
		.amdhsa_system_sgpr_workgroup_id_x 1
		.amdhsa_system_sgpr_workgroup_id_y 0
		.amdhsa_system_sgpr_workgroup_id_z 0
		.amdhsa_system_sgpr_workgroup_info 0
		.amdhsa_system_vgpr_workitem_id 0
		.amdhsa_next_free_vgpr 1
		.amdhsa_next_free_sgpr 0
		.amdhsa_accum_offset 4
		.amdhsa_reserve_vcc 0
		.amdhsa_reserve_flat_scratch 0
		.amdhsa_float_round_mode_32 0
		.amdhsa_float_round_mode_16_64 0
		.amdhsa_float_denorm_mode_32 3
		.amdhsa_float_denorm_mode_16_64 3
		.amdhsa_dx10_clamp 1
		.amdhsa_ieee_mode 1
		.amdhsa_fp16_overflow 0
		.amdhsa_tg_split 0
		.amdhsa_exception_fp_ieee_invalid_op 0
		.amdhsa_exception_fp_denorm_src 0
		.amdhsa_exception_fp_ieee_div_zero 0
		.amdhsa_exception_fp_ieee_overflow 0
		.amdhsa_exception_fp_ieee_underflow 0
		.amdhsa_exception_fp_ieee_inexact 0
		.amdhsa_exception_int_div_zero 0
	.end_amdhsa_kernel
	.section	.text._ZN7rocprim17ROCPRIM_400000_NS6detail17trampoline_kernelINS0_14default_configENS1_20scan_config_selectorIN3c104HalfEEEZZNS1_9scan_implILNS1_25lookback_scan_determinismE0ELb0ELb0ES3_PKS6_PS6_S6_ZZZN2at6native31launch_logcumsumexp_cuda_kernelERKNSD_10TensorBaseESH_lENKUlvE_clEvENKUlvE3_clEvEUlS6_S6_E_S6_EEDaPvRmT3_T4_T5_mT6_P12ihipStream_tbENKUlT_T0_E_clISt17integral_constantIbLb1EESX_IbLb0EEEEDaST_SU_EUlST_E_NS1_11comp_targetILNS1_3genE10ELNS1_11target_archE1200ELNS1_3gpuE4ELNS1_3repE0EEENS1_30default_config_static_selectorELNS0_4arch9wavefront6targetE1EEEvT1_,"axG",@progbits,_ZN7rocprim17ROCPRIM_400000_NS6detail17trampoline_kernelINS0_14default_configENS1_20scan_config_selectorIN3c104HalfEEEZZNS1_9scan_implILNS1_25lookback_scan_determinismE0ELb0ELb0ES3_PKS6_PS6_S6_ZZZN2at6native31launch_logcumsumexp_cuda_kernelERKNSD_10TensorBaseESH_lENKUlvE_clEvENKUlvE3_clEvEUlS6_S6_E_S6_EEDaPvRmT3_T4_T5_mT6_P12ihipStream_tbENKUlT_T0_E_clISt17integral_constantIbLb1EESX_IbLb0EEEEDaST_SU_EUlST_E_NS1_11comp_targetILNS1_3genE10ELNS1_11target_archE1200ELNS1_3gpuE4ELNS1_3repE0EEENS1_30default_config_static_selectorELNS0_4arch9wavefront6targetE1EEEvT1_,comdat
.Lfunc_end406:
	.size	_ZN7rocprim17ROCPRIM_400000_NS6detail17trampoline_kernelINS0_14default_configENS1_20scan_config_selectorIN3c104HalfEEEZZNS1_9scan_implILNS1_25lookback_scan_determinismE0ELb0ELb0ES3_PKS6_PS6_S6_ZZZN2at6native31launch_logcumsumexp_cuda_kernelERKNSD_10TensorBaseESH_lENKUlvE_clEvENKUlvE3_clEvEUlS6_S6_E_S6_EEDaPvRmT3_T4_T5_mT6_P12ihipStream_tbENKUlT_T0_E_clISt17integral_constantIbLb1EESX_IbLb0EEEEDaST_SU_EUlST_E_NS1_11comp_targetILNS1_3genE10ELNS1_11target_archE1200ELNS1_3gpuE4ELNS1_3repE0EEENS1_30default_config_static_selectorELNS0_4arch9wavefront6targetE1EEEvT1_, .Lfunc_end406-_ZN7rocprim17ROCPRIM_400000_NS6detail17trampoline_kernelINS0_14default_configENS1_20scan_config_selectorIN3c104HalfEEEZZNS1_9scan_implILNS1_25lookback_scan_determinismE0ELb0ELb0ES3_PKS6_PS6_S6_ZZZN2at6native31launch_logcumsumexp_cuda_kernelERKNSD_10TensorBaseESH_lENKUlvE_clEvENKUlvE3_clEvEUlS6_S6_E_S6_EEDaPvRmT3_T4_T5_mT6_P12ihipStream_tbENKUlT_T0_E_clISt17integral_constantIbLb1EESX_IbLb0EEEEDaST_SU_EUlST_E_NS1_11comp_targetILNS1_3genE10ELNS1_11target_archE1200ELNS1_3gpuE4ELNS1_3repE0EEENS1_30default_config_static_selectorELNS0_4arch9wavefront6targetE1EEEvT1_
                                        ; -- End function
	.section	.AMDGPU.csdata,"",@progbits
; Kernel info:
; codeLenInByte = 0
; NumSgprs: 4
; NumVgprs: 0
; NumAgprs: 0
; TotalNumVgprs: 0
; ScratchSize: 0
; MemoryBound: 0
; FloatMode: 240
; IeeeMode: 1
; LDSByteSize: 0 bytes/workgroup (compile time only)
; SGPRBlocks: 0
; VGPRBlocks: 0
; NumSGPRsForWavesPerEU: 4
; NumVGPRsForWavesPerEU: 1
; AccumOffset: 4
; Occupancy: 8
; WaveLimiterHint : 0
; COMPUTE_PGM_RSRC2:SCRATCH_EN: 0
; COMPUTE_PGM_RSRC2:USER_SGPR: 6
; COMPUTE_PGM_RSRC2:TRAP_HANDLER: 0
; COMPUTE_PGM_RSRC2:TGID_X_EN: 1
; COMPUTE_PGM_RSRC2:TGID_Y_EN: 0
; COMPUTE_PGM_RSRC2:TGID_Z_EN: 0
; COMPUTE_PGM_RSRC2:TIDIG_COMP_CNT: 0
; COMPUTE_PGM_RSRC3_GFX90A:ACCUM_OFFSET: 0
; COMPUTE_PGM_RSRC3_GFX90A:TG_SPLIT: 0
	.section	.text._ZN7rocprim17ROCPRIM_400000_NS6detail17trampoline_kernelINS0_14default_configENS1_20scan_config_selectorIN3c104HalfEEEZZNS1_9scan_implILNS1_25lookback_scan_determinismE0ELb0ELb0ES3_PKS6_PS6_S6_ZZZN2at6native31launch_logcumsumexp_cuda_kernelERKNSD_10TensorBaseESH_lENKUlvE_clEvENKUlvE3_clEvEUlS6_S6_E_S6_EEDaPvRmT3_T4_T5_mT6_P12ihipStream_tbENKUlT_T0_E_clISt17integral_constantIbLb1EESX_IbLb0EEEEDaST_SU_EUlST_E_NS1_11comp_targetILNS1_3genE9ELNS1_11target_archE1100ELNS1_3gpuE3ELNS1_3repE0EEENS1_30default_config_static_selectorELNS0_4arch9wavefront6targetE1EEEvT1_,"axG",@progbits,_ZN7rocprim17ROCPRIM_400000_NS6detail17trampoline_kernelINS0_14default_configENS1_20scan_config_selectorIN3c104HalfEEEZZNS1_9scan_implILNS1_25lookback_scan_determinismE0ELb0ELb0ES3_PKS6_PS6_S6_ZZZN2at6native31launch_logcumsumexp_cuda_kernelERKNSD_10TensorBaseESH_lENKUlvE_clEvENKUlvE3_clEvEUlS6_S6_E_S6_EEDaPvRmT3_T4_T5_mT6_P12ihipStream_tbENKUlT_T0_E_clISt17integral_constantIbLb1EESX_IbLb0EEEEDaST_SU_EUlST_E_NS1_11comp_targetILNS1_3genE9ELNS1_11target_archE1100ELNS1_3gpuE3ELNS1_3repE0EEENS1_30default_config_static_selectorELNS0_4arch9wavefront6targetE1EEEvT1_,comdat
	.globl	_ZN7rocprim17ROCPRIM_400000_NS6detail17trampoline_kernelINS0_14default_configENS1_20scan_config_selectorIN3c104HalfEEEZZNS1_9scan_implILNS1_25lookback_scan_determinismE0ELb0ELb0ES3_PKS6_PS6_S6_ZZZN2at6native31launch_logcumsumexp_cuda_kernelERKNSD_10TensorBaseESH_lENKUlvE_clEvENKUlvE3_clEvEUlS6_S6_E_S6_EEDaPvRmT3_T4_T5_mT6_P12ihipStream_tbENKUlT_T0_E_clISt17integral_constantIbLb1EESX_IbLb0EEEEDaST_SU_EUlST_E_NS1_11comp_targetILNS1_3genE9ELNS1_11target_archE1100ELNS1_3gpuE3ELNS1_3repE0EEENS1_30default_config_static_selectorELNS0_4arch9wavefront6targetE1EEEvT1_ ; -- Begin function _ZN7rocprim17ROCPRIM_400000_NS6detail17trampoline_kernelINS0_14default_configENS1_20scan_config_selectorIN3c104HalfEEEZZNS1_9scan_implILNS1_25lookback_scan_determinismE0ELb0ELb0ES3_PKS6_PS6_S6_ZZZN2at6native31launch_logcumsumexp_cuda_kernelERKNSD_10TensorBaseESH_lENKUlvE_clEvENKUlvE3_clEvEUlS6_S6_E_S6_EEDaPvRmT3_T4_T5_mT6_P12ihipStream_tbENKUlT_T0_E_clISt17integral_constantIbLb1EESX_IbLb0EEEEDaST_SU_EUlST_E_NS1_11comp_targetILNS1_3genE9ELNS1_11target_archE1100ELNS1_3gpuE3ELNS1_3repE0EEENS1_30default_config_static_selectorELNS0_4arch9wavefront6targetE1EEEvT1_
	.p2align	8
	.type	_ZN7rocprim17ROCPRIM_400000_NS6detail17trampoline_kernelINS0_14default_configENS1_20scan_config_selectorIN3c104HalfEEEZZNS1_9scan_implILNS1_25lookback_scan_determinismE0ELb0ELb0ES3_PKS6_PS6_S6_ZZZN2at6native31launch_logcumsumexp_cuda_kernelERKNSD_10TensorBaseESH_lENKUlvE_clEvENKUlvE3_clEvEUlS6_S6_E_S6_EEDaPvRmT3_T4_T5_mT6_P12ihipStream_tbENKUlT_T0_E_clISt17integral_constantIbLb1EESX_IbLb0EEEEDaST_SU_EUlST_E_NS1_11comp_targetILNS1_3genE9ELNS1_11target_archE1100ELNS1_3gpuE3ELNS1_3repE0EEENS1_30default_config_static_selectorELNS0_4arch9wavefront6targetE1EEEvT1_,@function
_ZN7rocprim17ROCPRIM_400000_NS6detail17trampoline_kernelINS0_14default_configENS1_20scan_config_selectorIN3c104HalfEEEZZNS1_9scan_implILNS1_25lookback_scan_determinismE0ELb0ELb0ES3_PKS6_PS6_S6_ZZZN2at6native31launch_logcumsumexp_cuda_kernelERKNSD_10TensorBaseESH_lENKUlvE_clEvENKUlvE3_clEvEUlS6_S6_E_S6_EEDaPvRmT3_T4_T5_mT6_P12ihipStream_tbENKUlT_T0_E_clISt17integral_constantIbLb1EESX_IbLb0EEEEDaST_SU_EUlST_E_NS1_11comp_targetILNS1_3genE9ELNS1_11target_archE1100ELNS1_3gpuE3ELNS1_3repE0EEENS1_30default_config_static_selectorELNS0_4arch9wavefront6targetE1EEEvT1_: ; @_ZN7rocprim17ROCPRIM_400000_NS6detail17trampoline_kernelINS0_14default_configENS1_20scan_config_selectorIN3c104HalfEEEZZNS1_9scan_implILNS1_25lookback_scan_determinismE0ELb0ELb0ES3_PKS6_PS6_S6_ZZZN2at6native31launch_logcumsumexp_cuda_kernelERKNSD_10TensorBaseESH_lENKUlvE_clEvENKUlvE3_clEvEUlS6_S6_E_S6_EEDaPvRmT3_T4_T5_mT6_P12ihipStream_tbENKUlT_T0_E_clISt17integral_constantIbLb1EESX_IbLb0EEEEDaST_SU_EUlST_E_NS1_11comp_targetILNS1_3genE9ELNS1_11target_archE1100ELNS1_3gpuE3ELNS1_3repE0EEENS1_30default_config_static_selectorELNS0_4arch9wavefront6targetE1EEEvT1_
; %bb.0:
	.section	.rodata,"a",@progbits
	.p2align	6, 0x0
	.amdhsa_kernel _ZN7rocprim17ROCPRIM_400000_NS6detail17trampoline_kernelINS0_14default_configENS1_20scan_config_selectorIN3c104HalfEEEZZNS1_9scan_implILNS1_25lookback_scan_determinismE0ELb0ELb0ES3_PKS6_PS6_S6_ZZZN2at6native31launch_logcumsumexp_cuda_kernelERKNSD_10TensorBaseESH_lENKUlvE_clEvENKUlvE3_clEvEUlS6_S6_E_S6_EEDaPvRmT3_T4_T5_mT6_P12ihipStream_tbENKUlT_T0_E_clISt17integral_constantIbLb1EESX_IbLb0EEEEDaST_SU_EUlST_E_NS1_11comp_targetILNS1_3genE9ELNS1_11target_archE1100ELNS1_3gpuE3ELNS1_3repE0EEENS1_30default_config_static_selectorELNS0_4arch9wavefront6targetE1EEEvT1_
		.amdhsa_group_segment_fixed_size 0
		.amdhsa_private_segment_fixed_size 0
		.amdhsa_kernarg_size 96
		.amdhsa_user_sgpr_count 6
		.amdhsa_user_sgpr_private_segment_buffer 1
		.amdhsa_user_sgpr_dispatch_ptr 0
		.amdhsa_user_sgpr_queue_ptr 0
		.amdhsa_user_sgpr_kernarg_segment_ptr 1
		.amdhsa_user_sgpr_dispatch_id 0
		.amdhsa_user_sgpr_flat_scratch_init 0
		.amdhsa_user_sgpr_kernarg_preload_length 0
		.amdhsa_user_sgpr_kernarg_preload_offset 0
		.amdhsa_user_sgpr_private_segment_size 0
		.amdhsa_uses_dynamic_stack 0
		.amdhsa_system_sgpr_private_segment_wavefront_offset 0
		.amdhsa_system_sgpr_workgroup_id_x 1
		.amdhsa_system_sgpr_workgroup_id_y 0
		.amdhsa_system_sgpr_workgroup_id_z 0
		.amdhsa_system_sgpr_workgroup_info 0
		.amdhsa_system_vgpr_workitem_id 0
		.amdhsa_next_free_vgpr 1
		.amdhsa_next_free_sgpr 0
		.amdhsa_accum_offset 4
		.amdhsa_reserve_vcc 0
		.amdhsa_reserve_flat_scratch 0
		.amdhsa_float_round_mode_32 0
		.amdhsa_float_round_mode_16_64 0
		.amdhsa_float_denorm_mode_32 3
		.amdhsa_float_denorm_mode_16_64 3
		.amdhsa_dx10_clamp 1
		.amdhsa_ieee_mode 1
		.amdhsa_fp16_overflow 0
		.amdhsa_tg_split 0
		.amdhsa_exception_fp_ieee_invalid_op 0
		.amdhsa_exception_fp_denorm_src 0
		.amdhsa_exception_fp_ieee_div_zero 0
		.amdhsa_exception_fp_ieee_overflow 0
		.amdhsa_exception_fp_ieee_underflow 0
		.amdhsa_exception_fp_ieee_inexact 0
		.amdhsa_exception_int_div_zero 0
	.end_amdhsa_kernel
	.section	.text._ZN7rocprim17ROCPRIM_400000_NS6detail17trampoline_kernelINS0_14default_configENS1_20scan_config_selectorIN3c104HalfEEEZZNS1_9scan_implILNS1_25lookback_scan_determinismE0ELb0ELb0ES3_PKS6_PS6_S6_ZZZN2at6native31launch_logcumsumexp_cuda_kernelERKNSD_10TensorBaseESH_lENKUlvE_clEvENKUlvE3_clEvEUlS6_S6_E_S6_EEDaPvRmT3_T4_T5_mT6_P12ihipStream_tbENKUlT_T0_E_clISt17integral_constantIbLb1EESX_IbLb0EEEEDaST_SU_EUlST_E_NS1_11comp_targetILNS1_3genE9ELNS1_11target_archE1100ELNS1_3gpuE3ELNS1_3repE0EEENS1_30default_config_static_selectorELNS0_4arch9wavefront6targetE1EEEvT1_,"axG",@progbits,_ZN7rocprim17ROCPRIM_400000_NS6detail17trampoline_kernelINS0_14default_configENS1_20scan_config_selectorIN3c104HalfEEEZZNS1_9scan_implILNS1_25lookback_scan_determinismE0ELb0ELb0ES3_PKS6_PS6_S6_ZZZN2at6native31launch_logcumsumexp_cuda_kernelERKNSD_10TensorBaseESH_lENKUlvE_clEvENKUlvE3_clEvEUlS6_S6_E_S6_EEDaPvRmT3_T4_T5_mT6_P12ihipStream_tbENKUlT_T0_E_clISt17integral_constantIbLb1EESX_IbLb0EEEEDaST_SU_EUlST_E_NS1_11comp_targetILNS1_3genE9ELNS1_11target_archE1100ELNS1_3gpuE3ELNS1_3repE0EEENS1_30default_config_static_selectorELNS0_4arch9wavefront6targetE1EEEvT1_,comdat
.Lfunc_end407:
	.size	_ZN7rocprim17ROCPRIM_400000_NS6detail17trampoline_kernelINS0_14default_configENS1_20scan_config_selectorIN3c104HalfEEEZZNS1_9scan_implILNS1_25lookback_scan_determinismE0ELb0ELb0ES3_PKS6_PS6_S6_ZZZN2at6native31launch_logcumsumexp_cuda_kernelERKNSD_10TensorBaseESH_lENKUlvE_clEvENKUlvE3_clEvEUlS6_S6_E_S6_EEDaPvRmT3_T4_T5_mT6_P12ihipStream_tbENKUlT_T0_E_clISt17integral_constantIbLb1EESX_IbLb0EEEEDaST_SU_EUlST_E_NS1_11comp_targetILNS1_3genE9ELNS1_11target_archE1100ELNS1_3gpuE3ELNS1_3repE0EEENS1_30default_config_static_selectorELNS0_4arch9wavefront6targetE1EEEvT1_, .Lfunc_end407-_ZN7rocprim17ROCPRIM_400000_NS6detail17trampoline_kernelINS0_14default_configENS1_20scan_config_selectorIN3c104HalfEEEZZNS1_9scan_implILNS1_25lookback_scan_determinismE0ELb0ELb0ES3_PKS6_PS6_S6_ZZZN2at6native31launch_logcumsumexp_cuda_kernelERKNSD_10TensorBaseESH_lENKUlvE_clEvENKUlvE3_clEvEUlS6_S6_E_S6_EEDaPvRmT3_T4_T5_mT6_P12ihipStream_tbENKUlT_T0_E_clISt17integral_constantIbLb1EESX_IbLb0EEEEDaST_SU_EUlST_E_NS1_11comp_targetILNS1_3genE9ELNS1_11target_archE1100ELNS1_3gpuE3ELNS1_3repE0EEENS1_30default_config_static_selectorELNS0_4arch9wavefront6targetE1EEEvT1_
                                        ; -- End function
	.section	.AMDGPU.csdata,"",@progbits
; Kernel info:
; codeLenInByte = 0
; NumSgprs: 4
; NumVgprs: 0
; NumAgprs: 0
; TotalNumVgprs: 0
; ScratchSize: 0
; MemoryBound: 0
; FloatMode: 240
; IeeeMode: 1
; LDSByteSize: 0 bytes/workgroup (compile time only)
; SGPRBlocks: 0
; VGPRBlocks: 0
; NumSGPRsForWavesPerEU: 4
; NumVGPRsForWavesPerEU: 1
; AccumOffset: 4
; Occupancy: 8
; WaveLimiterHint : 0
; COMPUTE_PGM_RSRC2:SCRATCH_EN: 0
; COMPUTE_PGM_RSRC2:USER_SGPR: 6
; COMPUTE_PGM_RSRC2:TRAP_HANDLER: 0
; COMPUTE_PGM_RSRC2:TGID_X_EN: 1
; COMPUTE_PGM_RSRC2:TGID_Y_EN: 0
; COMPUTE_PGM_RSRC2:TGID_Z_EN: 0
; COMPUTE_PGM_RSRC2:TIDIG_COMP_CNT: 0
; COMPUTE_PGM_RSRC3_GFX90A:ACCUM_OFFSET: 0
; COMPUTE_PGM_RSRC3_GFX90A:TG_SPLIT: 0
	.section	.text._ZN7rocprim17ROCPRIM_400000_NS6detail17trampoline_kernelINS0_14default_configENS1_20scan_config_selectorIN3c104HalfEEEZZNS1_9scan_implILNS1_25lookback_scan_determinismE0ELb0ELb0ES3_PKS6_PS6_S6_ZZZN2at6native31launch_logcumsumexp_cuda_kernelERKNSD_10TensorBaseESH_lENKUlvE_clEvENKUlvE3_clEvEUlS6_S6_E_S6_EEDaPvRmT3_T4_T5_mT6_P12ihipStream_tbENKUlT_T0_E_clISt17integral_constantIbLb1EESX_IbLb0EEEEDaST_SU_EUlST_E_NS1_11comp_targetILNS1_3genE8ELNS1_11target_archE1030ELNS1_3gpuE2ELNS1_3repE0EEENS1_30default_config_static_selectorELNS0_4arch9wavefront6targetE1EEEvT1_,"axG",@progbits,_ZN7rocprim17ROCPRIM_400000_NS6detail17trampoline_kernelINS0_14default_configENS1_20scan_config_selectorIN3c104HalfEEEZZNS1_9scan_implILNS1_25lookback_scan_determinismE0ELb0ELb0ES3_PKS6_PS6_S6_ZZZN2at6native31launch_logcumsumexp_cuda_kernelERKNSD_10TensorBaseESH_lENKUlvE_clEvENKUlvE3_clEvEUlS6_S6_E_S6_EEDaPvRmT3_T4_T5_mT6_P12ihipStream_tbENKUlT_T0_E_clISt17integral_constantIbLb1EESX_IbLb0EEEEDaST_SU_EUlST_E_NS1_11comp_targetILNS1_3genE8ELNS1_11target_archE1030ELNS1_3gpuE2ELNS1_3repE0EEENS1_30default_config_static_selectorELNS0_4arch9wavefront6targetE1EEEvT1_,comdat
	.globl	_ZN7rocprim17ROCPRIM_400000_NS6detail17trampoline_kernelINS0_14default_configENS1_20scan_config_selectorIN3c104HalfEEEZZNS1_9scan_implILNS1_25lookback_scan_determinismE0ELb0ELb0ES3_PKS6_PS6_S6_ZZZN2at6native31launch_logcumsumexp_cuda_kernelERKNSD_10TensorBaseESH_lENKUlvE_clEvENKUlvE3_clEvEUlS6_S6_E_S6_EEDaPvRmT3_T4_T5_mT6_P12ihipStream_tbENKUlT_T0_E_clISt17integral_constantIbLb1EESX_IbLb0EEEEDaST_SU_EUlST_E_NS1_11comp_targetILNS1_3genE8ELNS1_11target_archE1030ELNS1_3gpuE2ELNS1_3repE0EEENS1_30default_config_static_selectorELNS0_4arch9wavefront6targetE1EEEvT1_ ; -- Begin function _ZN7rocprim17ROCPRIM_400000_NS6detail17trampoline_kernelINS0_14default_configENS1_20scan_config_selectorIN3c104HalfEEEZZNS1_9scan_implILNS1_25lookback_scan_determinismE0ELb0ELb0ES3_PKS6_PS6_S6_ZZZN2at6native31launch_logcumsumexp_cuda_kernelERKNSD_10TensorBaseESH_lENKUlvE_clEvENKUlvE3_clEvEUlS6_S6_E_S6_EEDaPvRmT3_T4_T5_mT6_P12ihipStream_tbENKUlT_T0_E_clISt17integral_constantIbLb1EESX_IbLb0EEEEDaST_SU_EUlST_E_NS1_11comp_targetILNS1_3genE8ELNS1_11target_archE1030ELNS1_3gpuE2ELNS1_3repE0EEENS1_30default_config_static_selectorELNS0_4arch9wavefront6targetE1EEEvT1_
	.p2align	8
	.type	_ZN7rocprim17ROCPRIM_400000_NS6detail17trampoline_kernelINS0_14default_configENS1_20scan_config_selectorIN3c104HalfEEEZZNS1_9scan_implILNS1_25lookback_scan_determinismE0ELb0ELb0ES3_PKS6_PS6_S6_ZZZN2at6native31launch_logcumsumexp_cuda_kernelERKNSD_10TensorBaseESH_lENKUlvE_clEvENKUlvE3_clEvEUlS6_S6_E_S6_EEDaPvRmT3_T4_T5_mT6_P12ihipStream_tbENKUlT_T0_E_clISt17integral_constantIbLb1EESX_IbLb0EEEEDaST_SU_EUlST_E_NS1_11comp_targetILNS1_3genE8ELNS1_11target_archE1030ELNS1_3gpuE2ELNS1_3repE0EEENS1_30default_config_static_selectorELNS0_4arch9wavefront6targetE1EEEvT1_,@function
_ZN7rocprim17ROCPRIM_400000_NS6detail17trampoline_kernelINS0_14default_configENS1_20scan_config_selectorIN3c104HalfEEEZZNS1_9scan_implILNS1_25lookback_scan_determinismE0ELb0ELb0ES3_PKS6_PS6_S6_ZZZN2at6native31launch_logcumsumexp_cuda_kernelERKNSD_10TensorBaseESH_lENKUlvE_clEvENKUlvE3_clEvEUlS6_S6_E_S6_EEDaPvRmT3_T4_T5_mT6_P12ihipStream_tbENKUlT_T0_E_clISt17integral_constantIbLb1EESX_IbLb0EEEEDaST_SU_EUlST_E_NS1_11comp_targetILNS1_3genE8ELNS1_11target_archE1030ELNS1_3gpuE2ELNS1_3repE0EEENS1_30default_config_static_selectorELNS0_4arch9wavefront6targetE1EEEvT1_: ; @_ZN7rocprim17ROCPRIM_400000_NS6detail17trampoline_kernelINS0_14default_configENS1_20scan_config_selectorIN3c104HalfEEEZZNS1_9scan_implILNS1_25lookback_scan_determinismE0ELb0ELb0ES3_PKS6_PS6_S6_ZZZN2at6native31launch_logcumsumexp_cuda_kernelERKNSD_10TensorBaseESH_lENKUlvE_clEvENKUlvE3_clEvEUlS6_S6_E_S6_EEDaPvRmT3_T4_T5_mT6_P12ihipStream_tbENKUlT_T0_E_clISt17integral_constantIbLb1EESX_IbLb0EEEEDaST_SU_EUlST_E_NS1_11comp_targetILNS1_3genE8ELNS1_11target_archE1030ELNS1_3gpuE2ELNS1_3repE0EEENS1_30default_config_static_selectorELNS0_4arch9wavefront6targetE1EEEvT1_
; %bb.0:
	.section	.rodata,"a",@progbits
	.p2align	6, 0x0
	.amdhsa_kernel _ZN7rocprim17ROCPRIM_400000_NS6detail17trampoline_kernelINS0_14default_configENS1_20scan_config_selectorIN3c104HalfEEEZZNS1_9scan_implILNS1_25lookback_scan_determinismE0ELb0ELb0ES3_PKS6_PS6_S6_ZZZN2at6native31launch_logcumsumexp_cuda_kernelERKNSD_10TensorBaseESH_lENKUlvE_clEvENKUlvE3_clEvEUlS6_S6_E_S6_EEDaPvRmT3_T4_T5_mT6_P12ihipStream_tbENKUlT_T0_E_clISt17integral_constantIbLb1EESX_IbLb0EEEEDaST_SU_EUlST_E_NS1_11comp_targetILNS1_3genE8ELNS1_11target_archE1030ELNS1_3gpuE2ELNS1_3repE0EEENS1_30default_config_static_selectorELNS0_4arch9wavefront6targetE1EEEvT1_
		.amdhsa_group_segment_fixed_size 0
		.amdhsa_private_segment_fixed_size 0
		.amdhsa_kernarg_size 96
		.amdhsa_user_sgpr_count 6
		.amdhsa_user_sgpr_private_segment_buffer 1
		.amdhsa_user_sgpr_dispatch_ptr 0
		.amdhsa_user_sgpr_queue_ptr 0
		.amdhsa_user_sgpr_kernarg_segment_ptr 1
		.amdhsa_user_sgpr_dispatch_id 0
		.amdhsa_user_sgpr_flat_scratch_init 0
		.amdhsa_user_sgpr_kernarg_preload_length 0
		.amdhsa_user_sgpr_kernarg_preload_offset 0
		.amdhsa_user_sgpr_private_segment_size 0
		.amdhsa_uses_dynamic_stack 0
		.amdhsa_system_sgpr_private_segment_wavefront_offset 0
		.amdhsa_system_sgpr_workgroup_id_x 1
		.amdhsa_system_sgpr_workgroup_id_y 0
		.amdhsa_system_sgpr_workgroup_id_z 0
		.amdhsa_system_sgpr_workgroup_info 0
		.amdhsa_system_vgpr_workitem_id 0
		.amdhsa_next_free_vgpr 1
		.amdhsa_next_free_sgpr 0
		.amdhsa_accum_offset 4
		.amdhsa_reserve_vcc 0
		.amdhsa_reserve_flat_scratch 0
		.amdhsa_float_round_mode_32 0
		.amdhsa_float_round_mode_16_64 0
		.amdhsa_float_denorm_mode_32 3
		.amdhsa_float_denorm_mode_16_64 3
		.amdhsa_dx10_clamp 1
		.amdhsa_ieee_mode 1
		.amdhsa_fp16_overflow 0
		.amdhsa_tg_split 0
		.amdhsa_exception_fp_ieee_invalid_op 0
		.amdhsa_exception_fp_denorm_src 0
		.amdhsa_exception_fp_ieee_div_zero 0
		.amdhsa_exception_fp_ieee_overflow 0
		.amdhsa_exception_fp_ieee_underflow 0
		.amdhsa_exception_fp_ieee_inexact 0
		.amdhsa_exception_int_div_zero 0
	.end_amdhsa_kernel
	.section	.text._ZN7rocprim17ROCPRIM_400000_NS6detail17trampoline_kernelINS0_14default_configENS1_20scan_config_selectorIN3c104HalfEEEZZNS1_9scan_implILNS1_25lookback_scan_determinismE0ELb0ELb0ES3_PKS6_PS6_S6_ZZZN2at6native31launch_logcumsumexp_cuda_kernelERKNSD_10TensorBaseESH_lENKUlvE_clEvENKUlvE3_clEvEUlS6_S6_E_S6_EEDaPvRmT3_T4_T5_mT6_P12ihipStream_tbENKUlT_T0_E_clISt17integral_constantIbLb1EESX_IbLb0EEEEDaST_SU_EUlST_E_NS1_11comp_targetILNS1_3genE8ELNS1_11target_archE1030ELNS1_3gpuE2ELNS1_3repE0EEENS1_30default_config_static_selectorELNS0_4arch9wavefront6targetE1EEEvT1_,"axG",@progbits,_ZN7rocprim17ROCPRIM_400000_NS6detail17trampoline_kernelINS0_14default_configENS1_20scan_config_selectorIN3c104HalfEEEZZNS1_9scan_implILNS1_25lookback_scan_determinismE0ELb0ELb0ES3_PKS6_PS6_S6_ZZZN2at6native31launch_logcumsumexp_cuda_kernelERKNSD_10TensorBaseESH_lENKUlvE_clEvENKUlvE3_clEvEUlS6_S6_E_S6_EEDaPvRmT3_T4_T5_mT6_P12ihipStream_tbENKUlT_T0_E_clISt17integral_constantIbLb1EESX_IbLb0EEEEDaST_SU_EUlST_E_NS1_11comp_targetILNS1_3genE8ELNS1_11target_archE1030ELNS1_3gpuE2ELNS1_3repE0EEENS1_30default_config_static_selectorELNS0_4arch9wavefront6targetE1EEEvT1_,comdat
.Lfunc_end408:
	.size	_ZN7rocprim17ROCPRIM_400000_NS6detail17trampoline_kernelINS0_14default_configENS1_20scan_config_selectorIN3c104HalfEEEZZNS1_9scan_implILNS1_25lookback_scan_determinismE0ELb0ELb0ES3_PKS6_PS6_S6_ZZZN2at6native31launch_logcumsumexp_cuda_kernelERKNSD_10TensorBaseESH_lENKUlvE_clEvENKUlvE3_clEvEUlS6_S6_E_S6_EEDaPvRmT3_T4_T5_mT6_P12ihipStream_tbENKUlT_T0_E_clISt17integral_constantIbLb1EESX_IbLb0EEEEDaST_SU_EUlST_E_NS1_11comp_targetILNS1_3genE8ELNS1_11target_archE1030ELNS1_3gpuE2ELNS1_3repE0EEENS1_30default_config_static_selectorELNS0_4arch9wavefront6targetE1EEEvT1_, .Lfunc_end408-_ZN7rocprim17ROCPRIM_400000_NS6detail17trampoline_kernelINS0_14default_configENS1_20scan_config_selectorIN3c104HalfEEEZZNS1_9scan_implILNS1_25lookback_scan_determinismE0ELb0ELb0ES3_PKS6_PS6_S6_ZZZN2at6native31launch_logcumsumexp_cuda_kernelERKNSD_10TensorBaseESH_lENKUlvE_clEvENKUlvE3_clEvEUlS6_S6_E_S6_EEDaPvRmT3_T4_T5_mT6_P12ihipStream_tbENKUlT_T0_E_clISt17integral_constantIbLb1EESX_IbLb0EEEEDaST_SU_EUlST_E_NS1_11comp_targetILNS1_3genE8ELNS1_11target_archE1030ELNS1_3gpuE2ELNS1_3repE0EEENS1_30default_config_static_selectorELNS0_4arch9wavefront6targetE1EEEvT1_
                                        ; -- End function
	.section	.AMDGPU.csdata,"",@progbits
; Kernel info:
; codeLenInByte = 0
; NumSgprs: 4
; NumVgprs: 0
; NumAgprs: 0
; TotalNumVgprs: 0
; ScratchSize: 0
; MemoryBound: 0
; FloatMode: 240
; IeeeMode: 1
; LDSByteSize: 0 bytes/workgroup (compile time only)
; SGPRBlocks: 0
; VGPRBlocks: 0
; NumSGPRsForWavesPerEU: 4
; NumVGPRsForWavesPerEU: 1
; AccumOffset: 4
; Occupancy: 8
; WaveLimiterHint : 0
; COMPUTE_PGM_RSRC2:SCRATCH_EN: 0
; COMPUTE_PGM_RSRC2:USER_SGPR: 6
; COMPUTE_PGM_RSRC2:TRAP_HANDLER: 0
; COMPUTE_PGM_RSRC2:TGID_X_EN: 1
; COMPUTE_PGM_RSRC2:TGID_Y_EN: 0
; COMPUTE_PGM_RSRC2:TGID_Z_EN: 0
; COMPUTE_PGM_RSRC2:TIDIG_COMP_CNT: 0
; COMPUTE_PGM_RSRC3_GFX90A:ACCUM_OFFSET: 0
; COMPUTE_PGM_RSRC3_GFX90A:TG_SPLIT: 0
	.section	.text._ZN7rocprim17ROCPRIM_400000_NS6detail17trampoline_kernelINS0_14default_configENS1_20scan_config_selectorIN3c104HalfEEEZZNS1_9scan_implILNS1_25lookback_scan_determinismE0ELb0ELb0ES3_PKS6_PS6_S6_ZZZN2at6native31launch_logcumsumexp_cuda_kernelERKNSD_10TensorBaseESH_lENKUlvE_clEvENKUlvE3_clEvEUlS6_S6_E_S6_EEDaPvRmT3_T4_T5_mT6_P12ihipStream_tbENKUlT_T0_E_clISt17integral_constantIbLb1EESX_IbLb0EEEEDaST_SU_EUlST_E0_NS1_11comp_targetILNS1_3genE0ELNS1_11target_archE4294967295ELNS1_3gpuE0ELNS1_3repE0EEENS1_30default_config_static_selectorELNS0_4arch9wavefront6targetE1EEEvT1_,"axG",@progbits,_ZN7rocprim17ROCPRIM_400000_NS6detail17trampoline_kernelINS0_14default_configENS1_20scan_config_selectorIN3c104HalfEEEZZNS1_9scan_implILNS1_25lookback_scan_determinismE0ELb0ELb0ES3_PKS6_PS6_S6_ZZZN2at6native31launch_logcumsumexp_cuda_kernelERKNSD_10TensorBaseESH_lENKUlvE_clEvENKUlvE3_clEvEUlS6_S6_E_S6_EEDaPvRmT3_T4_T5_mT6_P12ihipStream_tbENKUlT_T0_E_clISt17integral_constantIbLb1EESX_IbLb0EEEEDaST_SU_EUlST_E0_NS1_11comp_targetILNS1_3genE0ELNS1_11target_archE4294967295ELNS1_3gpuE0ELNS1_3repE0EEENS1_30default_config_static_selectorELNS0_4arch9wavefront6targetE1EEEvT1_,comdat
	.globl	_ZN7rocprim17ROCPRIM_400000_NS6detail17trampoline_kernelINS0_14default_configENS1_20scan_config_selectorIN3c104HalfEEEZZNS1_9scan_implILNS1_25lookback_scan_determinismE0ELb0ELb0ES3_PKS6_PS6_S6_ZZZN2at6native31launch_logcumsumexp_cuda_kernelERKNSD_10TensorBaseESH_lENKUlvE_clEvENKUlvE3_clEvEUlS6_S6_E_S6_EEDaPvRmT3_T4_T5_mT6_P12ihipStream_tbENKUlT_T0_E_clISt17integral_constantIbLb1EESX_IbLb0EEEEDaST_SU_EUlST_E0_NS1_11comp_targetILNS1_3genE0ELNS1_11target_archE4294967295ELNS1_3gpuE0ELNS1_3repE0EEENS1_30default_config_static_selectorELNS0_4arch9wavefront6targetE1EEEvT1_ ; -- Begin function _ZN7rocprim17ROCPRIM_400000_NS6detail17trampoline_kernelINS0_14default_configENS1_20scan_config_selectorIN3c104HalfEEEZZNS1_9scan_implILNS1_25lookback_scan_determinismE0ELb0ELb0ES3_PKS6_PS6_S6_ZZZN2at6native31launch_logcumsumexp_cuda_kernelERKNSD_10TensorBaseESH_lENKUlvE_clEvENKUlvE3_clEvEUlS6_S6_E_S6_EEDaPvRmT3_T4_T5_mT6_P12ihipStream_tbENKUlT_T0_E_clISt17integral_constantIbLb1EESX_IbLb0EEEEDaST_SU_EUlST_E0_NS1_11comp_targetILNS1_3genE0ELNS1_11target_archE4294967295ELNS1_3gpuE0ELNS1_3repE0EEENS1_30default_config_static_selectorELNS0_4arch9wavefront6targetE1EEEvT1_
	.p2align	8
	.type	_ZN7rocprim17ROCPRIM_400000_NS6detail17trampoline_kernelINS0_14default_configENS1_20scan_config_selectorIN3c104HalfEEEZZNS1_9scan_implILNS1_25lookback_scan_determinismE0ELb0ELb0ES3_PKS6_PS6_S6_ZZZN2at6native31launch_logcumsumexp_cuda_kernelERKNSD_10TensorBaseESH_lENKUlvE_clEvENKUlvE3_clEvEUlS6_S6_E_S6_EEDaPvRmT3_T4_T5_mT6_P12ihipStream_tbENKUlT_T0_E_clISt17integral_constantIbLb1EESX_IbLb0EEEEDaST_SU_EUlST_E0_NS1_11comp_targetILNS1_3genE0ELNS1_11target_archE4294967295ELNS1_3gpuE0ELNS1_3repE0EEENS1_30default_config_static_selectorELNS0_4arch9wavefront6targetE1EEEvT1_,@function
_ZN7rocprim17ROCPRIM_400000_NS6detail17trampoline_kernelINS0_14default_configENS1_20scan_config_selectorIN3c104HalfEEEZZNS1_9scan_implILNS1_25lookback_scan_determinismE0ELb0ELb0ES3_PKS6_PS6_S6_ZZZN2at6native31launch_logcumsumexp_cuda_kernelERKNSD_10TensorBaseESH_lENKUlvE_clEvENKUlvE3_clEvEUlS6_S6_E_S6_EEDaPvRmT3_T4_T5_mT6_P12ihipStream_tbENKUlT_T0_E_clISt17integral_constantIbLb1EESX_IbLb0EEEEDaST_SU_EUlST_E0_NS1_11comp_targetILNS1_3genE0ELNS1_11target_archE4294967295ELNS1_3gpuE0ELNS1_3repE0EEENS1_30default_config_static_selectorELNS0_4arch9wavefront6targetE1EEEvT1_: ; @_ZN7rocprim17ROCPRIM_400000_NS6detail17trampoline_kernelINS0_14default_configENS1_20scan_config_selectorIN3c104HalfEEEZZNS1_9scan_implILNS1_25lookback_scan_determinismE0ELb0ELb0ES3_PKS6_PS6_S6_ZZZN2at6native31launch_logcumsumexp_cuda_kernelERKNSD_10TensorBaseESH_lENKUlvE_clEvENKUlvE3_clEvEUlS6_S6_E_S6_EEDaPvRmT3_T4_T5_mT6_P12ihipStream_tbENKUlT_T0_E_clISt17integral_constantIbLb1EESX_IbLb0EEEEDaST_SU_EUlST_E0_NS1_11comp_targetILNS1_3genE0ELNS1_11target_archE4294967295ELNS1_3gpuE0ELNS1_3repE0EEENS1_30default_config_static_selectorELNS0_4arch9wavefront6targetE1EEEvT1_
; %bb.0:
	.section	.rodata,"a",@progbits
	.p2align	6, 0x0
	.amdhsa_kernel _ZN7rocprim17ROCPRIM_400000_NS6detail17trampoline_kernelINS0_14default_configENS1_20scan_config_selectorIN3c104HalfEEEZZNS1_9scan_implILNS1_25lookback_scan_determinismE0ELb0ELb0ES3_PKS6_PS6_S6_ZZZN2at6native31launch_logcumsumexp_cuda_kernelERKNSD_10TensorBaseESH_lENKUlvE_clEvENKUlvE3_clEvEUlS6_S6_E_S6_EEDaPvRmT3_T4_T5_mT6_P12ihipStream_tbENKUlT_T0_E_clISt17integral_constantIbLb1EESX_IbLb0EEEEDaST_SU_EUlST_E0_NS1_11comp_targetILNS1_3genE0ELNS1_11target_archE4294967295ELNS1_3gpuE0ELNS1_3repE0EEENS1_30default_config_static_selectorELNS0_4arch9wavefront6targetE1EEEvT1_
		.amdhsa_group_segment_fixed_size 0
		.amdhsa_private_segment_fixed_size 0
		.amdhsa_kernarg_size 32
		.amdhsa_user_sgpr_count 6
		.amdhsa_user_sgpr_private_segment_buffer 1
		.amdhsa_user_sgpr_dispatch_ptr 0
		.amdhsa_user_sgpr_queue_ptr 0
		.amdhsa_user_sgpr_kernarg_segment_ptr 1
		.amdhsa_user_sgpr_dispatch_id 0
		.amdhsa_user_sgpr_flat_scratch_init 0
		.amdhsa_user_sgpr_kernarg_preload_length 0
		.amdhsa_user_sgpr_kernarg_preload_offset 0
		.amdhsa_user_sgpr_private_segment_size 0
		.amdhsa_uses_dynamic_stack 0
		.amdhsa_system_sgpr_private_segment_wavefront_offset 0
		.amdhsa_system_sgpr_workgroup_id_x 1
		.amdhsa_system_sgpr_workgroup_id_y 0
		.amdhsa_system_sgpr_workgroup_id_z 0
		.amdhsa_system_sgpr_workgroup_info 0
		.amdhsa_system_vgpr_workitem_id 0
		.amdhsa_next_free_vgpr 1
		.amdhsa_next_free_sgpr 0
		.amdhsa_accum_offset 4
		.amdhsa_reserve_vcc 0
		.amdhsa_reserve_flat_scratch 0
		.amdhsa_float_round_mode_32 0
		.amdhsa_float_round_mode_16_64 0
		.amdhsa_float_denorm_mode_32 3
		.amdhsa_float_denorm_mode_16_64 3
		.amdhsa_dx10_clamp 1
		.amdhsa_ieee_mode 1
		.amdhsa_fp16_overflow 0
		.amdhsa_tg_split 0
		.amdhsa_exception_fp_ieee_invalid_op 0
		.amdhsa_exception_fp_denorm_src 0
		.amdhsa_exception_fp_ieee_div_zero 0
		.amdhsa_exception_fp_ieee_overflow 0
		.amdhsa_exception_fp_ieee_underflow 0
		.amdhsa_exception_fp_ieee_inexact 0
		.amdhsa_exception_int_div_zero 0
	.end_amdhsa_kernel
	.section	.text._ZN7rocprim17ROCPRIM_400000_NS6detail17trampoline_kernelINS0_14default_configENS1_20scan_config_selectorIN3c104HalfEEEZZNS1_9scan_implILNS1_25lookback_scan_determinismE0ELb0ELb0ES3_PKS6_PS6_S6_ZZZN2at6native31launch_logcumsumexp_cuda_kernelERKNSD_10TensorBaseESH_lENKUlvE_clEvENKUlvE3_clEvEUlS6_S6_E_S6_EEDaPvRmT3_T4_T5_mT6_P12ihipStream_tbENKUlT_T0_E_clISt17integral_constantIbLb1EESX_IbLb0EEEEDaST_SU_EUlST_E0_NS1_11comp_targetILNS1_3genE0ELNS1_11target_archE4294967295ELNS1_3gpuE0ELNS1_3repE0EEENS1_30default_config_static_selectorELNS0_4arch9wavefront6targetE1EEEvT1_,"axG",@progbits,_ZN7rocprim17ROCPRIM_400000_NS6detail17trampoline_kernelINS0_14default_configENS1_20scan_config_selectorIN3c104HalfEEEZZNS1_9scan_implILNS1_25lookback_scan_determinismE0ELb0ELb0ES3_PKS6_PS6_S6_ZZZN2at6native31launch_logcumsumexp_cuda_kernelERKNSD_10TensorBaseESH_lENKUlvE_clEvENKUlvE3_clEvEUlS6_S6_E_S6_EEDaPvRmT3_T4_T5_mT6_P12ihipStream_tbENKUlT_T0_E_clISt17integral_constantIbLb1EESX_IbLb0EEEEDaST_SU_EUlST_E0_NS1_11comp_targetILNS1_3genE0ELNS1_11target_archE4294967295ELNS1_3gpuE0ELNS1_3repE0EEENS1_30default_config_static_selectorELNS0_4arch9wavefront6targetE1EEEvT1_,comdat
.Lfunc_end409:
	.size	_ZN7rocprim17ROCPRIM_400000_NS6detail17trampoline_kernelINS0_14default_configENS1_20scan_config_selectorIN3c104HalfEEEZZNS1_9scan_implILNS1_25lookback_scan_determinismE0ELb0ELb0ES3_PKS6_PS6_S6_ZZZN2at6native31launch_logcumsumexp_cuda_kernelERKNSD_10TensorBaseESH_lENKUlvE_clEvENKUlvE3_clEvEUlS6_S6_E_S6_EEDaPvRmT3_T4_T5_mT6_P12ihipStream_tbENKUlT_T0_E_clISt17integral_constantIbLb1EESX_IbLb0EEEEDaST_SU_EUlST_E0_NS1_11comp_targetILNS1_3genE0ELNS1_11target_archE4294967295ELNS1_3gpuE0ELNS1_3repE0EEENS1_30default_config_static_selectorELNS0_4arch9wavefront6targetE1EEEvT1_, .Lfunc_end409-_ZN7rocprim17ROCPRIM_400000_NS6detail17trampoline_kernelINS0_14default_configENS1_20scan_config_selectorIN3c104HalfEEEZZNS1_9scan_implILNS1_25lookback_scan_determinismE0ELb0ELb0ES3_PKS6_PS6_S6_ZZZN2at6native31launch_logcumsumexp_cuda_kernelERKNSD_10TensorBaseESH_lENKUlvE_clEvENKUlvE3_clEvEUlS6_S6_E_S6_EEDaPvRmT3_T4_T5_mT6_P12ihipStream_tbENKUlT_T0_E_clISt17integral_constantIbLb1EESX_IbLb0EEEEDaST_SU_EUlST_E0_NS1_11comp_targetILNS1_3genE0ELNS1_11target_archE4294967295ELNS1_3gpuE0ELNS1_3repE0EEENS1_30default_config_static_selectorELNS0_4arch9wavefront6targetE1EEEvT1_
                                        ; -- End function
	.section	.AMDGPU.csdata,"",@progbits
; Kernel info:
; codeLenInByte = 0
; NumSgprs: 4
; NumVgprs: 0
; NumAgprs: 0
; TotalNumVgprs: 0
; ScratchSize: 0
; MemoryBound: 0
; FloatMode: 240
; IeeeMode: 1
; LDSByteSize: 0 bytes/workgroup (compile time only)
; SGPRBlocks: 0
; VGPRBlocks: 0
; NumSGPRsForWavesPerEU: 4
; NumVGPRsForWavesPerEU: 1
; AccumOffset: 4
; Occupancy: 8
; WaveLimiterHint : 0
; COMPUTE_PGM_RSRC2:SCRATCH_EN: 0
; COMPUTE_PGM_RSRC2:USER_SGPR: 6
; COMPUTE_PGM_RSRC2:TRAP_HANDLER: 0
; COMPUTE_PGM_RSRC2:TGID_X_EN: 1
; COMPUTE_PGM_RSRC2:TGID_Y_EN: 0
; COMPUTE_PGM_RSRC2:TGID_Z_EN: 0
; COMPUTE_PGM_RSRC2:TIDIG_COMP_CNT: 0
; COMPUTE_PGM_RSRC3_GFX90A:ACCUM_OFFSET: 0
; COMPUTE_PGM_RSRC3_GFX90A:TG_SPLIT: 0
	.section	.text._ZN7rocprim17ROCPRIM_400000_NS6detail17trampoline_kernelINS0_14default_configENS1_20scan_config_selectorIN3c104HalfEEEZZNS1_9scan_implILNS1_25lookback_scan_determinismE0ELb0ELb0ES3_PKS6_PS6_S6_ZZZN2at6native31launch_logcumsumexp_cuda_kernelERKNSD_10TensorBaseESH_lENKUlvE_clEvENKUlvE3_clEvEUlS6_S6_E_S6_EEDaPvRmT3_T4_T5_mT6_P12ihipStream_tbENKUlT_T0_E_clISt17integral_constantIbLb1EESX_IbLb0EEEEDaST_SU_EUlST_E0_NS1_11comp_targetILNS1_3genE5ELNS1_11target_archE942ELNS1_3gpuE9ELNS1_3repE0EEENS1_30default_config_static_selectorELNS0_4arch9wavefront6targetE1EEEvT1_,"axG",@progbits,_ZN7rocprim17ROCPRIM_400000_NS6detail17trampoline_kernelINS0_14default_configENS1_20scan_config_selectorIN3c104HalfEEEZZNS1_9scan_implILNS1_25lookback_scan_determinismE0ELb0ELb0ES3_PKS6_PS6_S6_ZZZN2at6native31launch_logcumsumexp_cuda_kernelERKNSD_10TensorBaseESH_lENKUlvE_clEvENKUlvE3_clEvEUlS6_S6_E_S6_EEDaPvRmT3_T4_T5_mT6_P12ihipStream_tbENKUlT_T0_E_clISt17integral_constantIbLb1EESX_IbLb0EEEEDaST_SU_EUlST_E0_NS1_11comp_targetILNS1_3genE5ELNS1_11target_archE942ELNS1_3gpuE9ELNS1_3repE0EEENS1_30default_config_static_selectorELNS0_4arch9wavefront6targetE1EEEvT1_,comdat
	.globl	_ZN7rocprim17ROCPRIM_400000_NS6detail17trampoline_kernelINS0_14default_configENS1_20scan_config_selectorIN3c104HalfEEEZZNS1_9scan_implILNS1_25lookback_scan_determinismE0ELb0ELb0ES3_PKS6_PS6_S6_ZZZN2at6native31launch_logcumsumexp_cuda_kernelERKNSD_10TensorBaseESH_lENKUlvE_clEvENKUlvE3_clEvEUlS6_S6_E_S6_EEDaPvRmT3_T4_T5_mT6_P12ihipStream_tbENKUlT_T0_E_clISt17integral_constantIbLb1EESX_IbLb0EEEEDaST_SU_EUlST_E0_NS1_11comp_targetILNS1_3genE5ELNS1_11target_archE942ELNS1_3gpuE9ELNS1_3repE0EEENS1_30default_config_static_selectorELNS0_4arch9wavefront6targetE1EEEvT1_ ; -- Begin function _ZN7rocprim17ROCPRIM_400000_NS6detail17trampoline_kernelINS0_14default_configENS1_20scan_config_selectorIN3c104HalfEEEZZNS1_9scan_implILNS1_25lookback_scan_determinismE0ELb0ELb0ES3_PKS6_PS6_S6_ZZZN2at6native31launch_logcumsumexp_cuda_kernelERKNSD_10TensorBaseESH_lENKUlvE_clEvENKUlvE3_clEvEUlS6_S6_E_S6_EEDaPvRmT3_T4_T5_mT6_P12ihipStream_tbENKUlT_T0_E_clISt17integral_constantIbLb1EESX_IbLb0EEEEDaST_SU_EUlST_E0_NS1_11comp_targetILNS1_3genE5ELNS1_11target_archE942ELNS1_3gpuE9ELNS1_3repE0EEENS1_30default_config_static_selectorELNS0_4arch9wavefront6targetE1EEEvT1_
	.p2align	8
	.type	_ZN7rocprim17ROCPRIM_400000_NS6detail17trampoline_kernelINS0_14default_configENS1_20scan_config_selectorIN3c104HalfEEEZZNS1_9scan_implILNS1_25lookback_scan_determinismE0ELb0ELb0ES3_PKS6_PS6_S6_ZZZN2at6native31launch_logcumsumexp_cuda_kernelERKNSD_10TensorBaseESH_lENKUlvE_clEvENKUlvE3_clEvEUlS6_S6_E_S6_EEDaPvRmT3_T4_T5_mT6_P12ihipStream_tbENKUlT_T0_E_clISt17integral_constantIbLb1EESX_IbLb0EEEEDaST_SU_EUlST_E0_NS1_11comp_targetILNS1_3genE5ELNS1_11target_archE942ELNS1_3gpuE9ELNS1_3repE0EEENS1_30default_config_static_selectorELNS0_4arch9wavefront6targetE1EEEvT1_,@function
_ZN7rocprim17ROCPRIM_400000_NS6detail17trampoline_kernelINS0_14default_configENS1_20scan_config_selectorIN3c104HalfEEEZZNS1_9scan_implILNS1_25lookback_scan_determinismE0ELb0ELb0ES3_PKS6_PS6_S6_ZZZN2at6native31launch_logcumsumexp_cuda_kernelERKNSD_10TensorBaseESH_lENKUlvE_clEvENKUlvE3_clEvEUlS6_S6_E_S6_EEDaPvRmT3_T4_T5_mT6_P12ihipStream_tbENKUlT_T0_E_clISt17integral_constantIbLb1EESX_IbLb0EEEEDaST_SU_EUlST_E0_NS1_11comp_targetILNS1_3genE5ELNS1_11target_archE942ELNS1_3gpuE9ELNS1_3repE0EEENS1_30default_config_static_selectorELNS0_4arch9wavefront6targetE1EEEvT1_: ; @_ZN7rocprim17ROCPRIM_400000_NS6detail17trampoline_kernelINS0_14default_configENS1_20scan_config_selectorIN3c104HalfEEEZZNS1_9scan_implILNS1_25lookback_scan_determinismE0ELb0ELb0ES3_PKS6_PS6_S6_ZZZN2at6native31launch_logcumsumexp_cuda_kernelERKNSD_10TensorBaseESH_lENKUlvE_clEvENKUlvE3_clEvEUlS6_S6_E_S6_EEDaPvRmT3_T4_T5_mT6_P12ihipStream_tbENKUlT_T0_E_clISt17integral_constantIbLb1EESX_IbLb0EEEEDaST_SU_EUlST_E0_NS1_11comp_targetILNS1_3genE5ELNS1_11target_archE942ELNS1_3gpuE9ELNS1_3repE0EEENS1_30default_config_static_selectorELNS0_4arch9wavefront6targetE1EEEvT1_
; %bb.0:
	.section	.rodata,"a",@progbits
	.p2align	6, 0x0
	.amdhsa_kernel _ZN7rocprim17ROCPRIM_400000_NS6detail17trampoline_kernelINS0_14default_configENS1_20scan_config_selectorIN3c104HalfEEEZZNS1_9scan_implILNS1_25lookback_scan_determinismE0ELb0ELb0ES3_PKS6_PS6_S6_ZZZN2at6native31launch_logcumsumexp_cuda_kernelERKNSD_10TensorBaseESH_lENKUlvE_clEvENKUlvE3_clEvEUlS6_S6_E_S6_EEDaPvRmT3_T4_T5_mT6_P12ihipStream_tbENKUlT_T0_E_clISt17integral_constantIbLb1EESX_IbLb0EEEEDaST_SU_EUlST_E0_NS1_11comp_targetILNS1_3genE5ELNS1_11target_archE942ELNS1_3gpuE9ELNS1_3repE0EEENS1_30default_config_static_selectorELNS0_4arch9wavefront6targetE1EEEvT1_
		.amdhsa_group_segment_fixed_size 0
		.amdhsa_private_segment_fixed_size 0
		.amdhsa_kernarg_size 32
		.amdhsa_user_sgpr_count 6
		.amdhsa_user_sgpr_private_segment_buffer 1
		.amdhsa_user_sgpr_dispatch_ptr 0
		.amdhsa_user_sgpr_queue_ptr 0
		.amdhsa_user_sgpr_kernarg_segment_ptr 1
		.amdhsa_user_sgpr_dispatch_id 0
		.amdhsa_user_sgpr_flat_scratch_init 0
		.amdhsa_user_sgpr_kernarg_preload_length 0
		.amdhsa_user_sgpr_kernarg_preload_offset 0
		.amdhsa_user_sgpr_private_segment_size 0
		.amdhsa_uses_dynamic_stack 0
		.amdhsa_system_sgpr_private_segment_wavefront_offset 0
		.amdhsa_system_sgpr_workgroup_id_x 1
		.amdhsa_system_sgpr_workgroup_id_y 0
		.amdhsa_system_sgpr_workgroup_id_z 0
		.amdhsa_system_sgpr_workgroup_info 0
		.amdhsa_system_vgpr_workitem_id 0
		.amdhsa_next_free_vgpr 1
		.amdhsa_next_free_sgpr 0
		.amdhsa_accum_offset 4
		.amdhsa_reserve_vcc 0
		.amdhsa_reserve_flat_scratch 0
		.amdhsa_float_round_mode_32 0
		.amdhsa_float_round_mode_16_64 0
		.amdhsa_float_denorm_mode_32 3
		.amdhsa_float_denorm_mode_16_64 3
		.amdhsa_dx10_clamp 1
		.amdhsa_ieee_mode 1
		.amdhsa_fp16_overflow 0
		.amdhsa_tg_split 0
		.amdhsa_exception_fp_ieee_invalid_op 0
		.amdhsa_exception_fp_denorm_src 0
		.amdhsa_exception_fp_ieee_div_zero 0
		.amdhsa_exception_fp_ieee_overflow 0
		.amdhsa_exception_fp_ieee_underflow 0
		.amdhsa_exception_fp_ieee_inexact 0
		.amdhsa_exception_int_div_zero 0
	.end_amdhsa_kernel
	.section	.text._ZN7rocprim17ROCPRIM_400000_NS6detail17trampoline_kernelINS0_14default_configENS1_20scan_config_selectorIN3c104HalfEEEZZNS1_9scan_implILNS1_25lookback_scan_determinismE0ELb0ELb0ES3_PKS6_PS6_S6_ZZZN2at6native31launch_logcumsumexp_cuda_kernelERKNSD_10TensorBaseESH_lENKUlvE_clEvENKUlvE3_clEvEUlS6_S6_E_S6_EEDaPvRmT3_T4_T5_mT6_P12ihipStream_tbENKUlT_T0_E_clISt17integral_constantIbLb1EESX_IbLb0EEEEDaST_SU_EUlST_E0_NS1_11comp_targetILNS1_3genE5ELNS1_11target_archE942ELNS1_3gpuE9ELNS1_3repE0EEENS1_30default_config_static_selectorELNS0_4arch9wavefront6targetE1EEEvT1_,"axG",@progbits,_ZN7rocprim17ROCPRIM_400000_NS6detail17trampoline_kernelINS0_14default_configENS1_20scan_config_selectorIN3c104HalfEEEZZNS1_9scan_implILNS1_25lookback_scan_determinismE0ELb0ELb0ES3_PKS6_PS6_S6_ZZZN2at6native31launch_logcumsumexp_cuda_kernelERKNSD_10TensorBaseESH_lENKUlvE_clEvENKUlvE3_clEvEUlS6_S6_E_S6_EEDaPvRmT3_T4_T5_mT6_P12ihipStream_tbENKUlT_T0_E_clISt17integral_constantIbLb1EESX_IbLb0EEEEDaST_SU_EUlST_E0_NS1_11comp_targetILNS1_3genE5ELNS1_11target_archE942ELNS1_3gpuE9ELNS1_3repE0EEENS1_30default_config_static_selectorELNS0_4arch9wavefront6targetE1EEEvT1_,comdat
.Lfunc_end410:
	.size	_ZN7rocprim17ROCPRIM_400000_NS6detail17trampoline_kernelINS0_14default_configENS1_20scan_config_selectorIN3c104HalfEEEZZNS1_9scan_implILNS1_25lookback_scan_determinismE0ELb0ELb0ES3_PKS6_PS6_S6_ZZZN2at6native31launch_logcumsumexp_cuda_kernelERKNSD_10TensorBaseESH_lENKUlvE_clEvENKUlvE3_clEvEUlS6_S6_E_S6_EEDaPvRmT3_T4_T5_mT6_P12ihipStream_tbENKUlT_T0_E_clISt17integral_constantIbLb1EESX_IbLb0EEEEDaST_SU_EUlST_E0_NS1_11comp_targetILNS1_3genE5ELNS1_11target_archE942ELNS1_3gpuE9ELNS1_3repE0EEENS1_30default_config_static_selectorELNS0_4arch9wavefront6targetE1EEEvT1_, .Lfunc_end410-_ZN7rocprim17ROCPRIM_400000_NS6detail17trampoline_kernelINS0_14default_configENS1_20scan_config_selectorIN3c104HalfEEEZZNS1_9scan_implILNS1_25lookback_scan_determinismE0ELb0ELb0ES3_PKS6_PS6_S6_ZZZN2at6native31launch_logcumsumexp_cuda_kernelERKNSD_10TensorBaseESH_lENKUlvE_clEvENKUlvE3_clEvEUlS6_S6_E_S6_EEDaPvRmT3_T4_T5_mT6_P12ihipStream_tbENKUlT_T0_E_clISt17integral_constantIbLb1EESX_IbLb0EEEEDaST_SU_EUlST_E0_NS1_11comp_targetILNS1_3genE5ELNS1_11target_archE942ELNS1_3gpuE9ELNS1_3repE0EEENS1_30default_config_static_selectorELNS0_4arch9wavefront6targetE1EEEvT1_
                                        ; -- End function
	.section	.AMDGPU.csdata,"",@progbits
; Kernel info:
; codeLenInByte = 0
; NumSgprs: 4
; NumVgprs: 0
; NumAgprs: 0
; TotalNumVgprs: 0
; ScratchSize: 0
; MemoryBound: 0
; FloatMode: 240
; IeeeMode: 1
; LDSByteSize: 0 bytes/workgroup (compile time only)
; SGPRBlocks: 0
; VGPRBlocks: 0
; NumSGPRsForWavesPerEU: 4
; NumVGPRsForWavesPerEU: 1
; AccumOffset: 4
; Occupancy: 8
; WaveLimiterHint : 0
; COMPUTE_PGM_RSRC2:SCRATCH_EN: 0
; COMPUTE_PGM_RSRC2:USER_SGPR: 6
; COMPUTE_PGM_RSRC2:TRAP_HANDLER: 0
; COMPUTE_PGM_RSRC2:TGID_X_EN: 1
; COMPUTE_PGM_RSRC2:TGID_Y_EN: 0
; COMPUTE_PGM_RSRC2:TGID_Z_EN: 0
; COMPUTE_PGM_RSRC2:TIDIG_COMP_CNT: 0
; COMPUTE_PGM_RSRC3_GFX90A:ACCUM_OFFSET: 0
; COMPUTE_PGM_RSRC3_GFX90A:TG_SPLIT: 0
	.section	.text._ZN7rocprim17ROCPRIM_400000_NS6detail17trampoline_kernelINS0_14default_configENS1_20scan_config_selectorIN3c104HalfEEEZZNS1_9scan_implILNS1_25lookback_scan_determinismE0ELb0ELb0ES3_PKS6_PS6_S6_ZZZN2at6native31launch_logcumsumexp_cuda_kernelERKNSD_10TensorBaseESH_lENKUlvE_clEvENKUlvE3_clEvEUlS6_S6_E_S6_EEDaPvRmT3_T4_T5_mT6_P12ihipStream_tbENKUlT_T0_E_clISt17integral_constantIbLb1EESX_IbLb0EEEEDaST_SU_EUlST_E0_NS1_11comp_targetILNS1_3genE4ELNS1_11target_archE910ELNS1_3gpuE8ELNS1_3repE0EEENS1_30default_config_static_selectorELNS0_4arch9wavefront6targetE1EEEvT1_,"axG",@progbits,_ZN7rocprim17ROCPRIM_400000_NS6detail17trampoline_kernelINS0_14default_configENS1_20scan_config_selectorIN3c104HalfEEEZZNS1_9scan_implILNS1_25lookback_scan_determinismE0ELb0ELb0ES3_PKS6_PS6_S6_ZZZN2at6native31launch_logcumsumexp_cuda_kernelERKNSD_10TensorBaseESH_lENKUlvE_clEvENKUlvE3_clEvEUlS6_S6_E_S6_EEDaPvRmT3_T4_T5_mT6_P12ihipStream_tbENKUlT_T0_E_clISt17integral_constantIbLb1EESX_IbLb0EEEEDaST_SU_EUlST_E0_NS1_11comp_targetILNS1_3genE4ELNS1_11target_archE910ELNS1_3gpuE8ELNS1_3repE0EEENS1_30default_config_static_selectorELNS0_4arch9wavefront6targetE1EEEvT1_,comdat
	.globl	_ZN7rocprim17ROCPRIM_400000_NS6detail17trampoline_kernelINS0_14default_configENS1_20scan_config_selectorIN3c104HalfEEEZZNS1_9scan_implILNS1_25lookback_scan_determinismE0ELb0ELb0ES3_PKS6_PS6_S6_ZZZN2at6native31launch_logcumsumexp_cuda_kernelERKNSD_10TensorBaseESH_lENKUlvE_clEvENKUlvE3_clEvEUlS6_S6_E_S6_EEDaPvRmT3_T4_T5_mT6_P12ihipStream_tbENKUlT_T0_E_clISt17integral_constantIbLb1EESX_IbLb0EEEEDaST_SU_EUlST_E0_NS1_11comp_targetILNS1_3genE4ELNS1_11target_archE910ELNS1_3gpuE8ELNS1_3repE0EEENS1_30default_config_static_selectorELNS0_4arch9wavefront6targetE1EEEvT1_ ; -- Begin function _ZN7rocprim17ROCPRIM_400000_NS6detail17trampoline_kernelINS0_14default_configENS1_20scan_config_selectorIN3c104HalfEEEZZNS1_9scan_implILNS1_25lookback_scan_determinismE0ELb0ELb0ES3_PKS6_PS6_S6_ZZZN2at6native31launch_logcumsumexp_cuda_kernelERKNSD_10TensorBaseESH_lENKUlvE_clEvENKUlvE3_clEvEUlS6_S6_E_S6_EEDaPvRmT3_T4_T5_mT6_P12ihipStream_tbENKUlT_T0_E_clISt17integral_constantIbLb1EESX_IbLb0EEEEDaST_SU_EUlST_E0_NS1_11comp_targetILNS1_3genE4ELNS1_11target_archE910ELNS1_3gpuE8ELNS1_3repE0EEENS1_30default_config_static_selectorELNS0_4arch9wavefront6targetE1EEEvT1_
	.p2align	8
	.type	_ZN7rocprim17ROCPRIM_400000_NS6detail17trampoline_kernelINS0_14default_configENS1_20scan_config_selectorIN3c104HalfEEEZZNS1_9scan_implILNS1_25lookback_scan_determinismE0ELb0ELb0ES3_PKS6_PS6_S6_ZZZN2at6native31launch_logcumsumexp_cuda_kernelERKNSD_10TensorBaseESH_lENKUlvE_clEvENKUlvE3_clEvEUlS6_S6_E_S6_EEDaPvRmT3_T4_T5_mT6_P12ihipStream_tbENKUlT_T0_E_clISt17integral_constantIbLb1EESX_IbLb0EEEEDaST_SU_EUlST_E0_NS1_11comp_targetILNS1_3genE4ELNS1_11target_archE910ELNS1_3gpuE8ELNS1_3repE0EEENS1_30default_config_static_selectorELNS0_4arch9wavefront6targetE1EEEvT1_,@function
_ZN7rocprim17ROCPRIM_400000_NS6detail17trampoline_kernelINS0_14default_configENS1_20scan_config_selectorIN3c104HalfEEEZZNS1_9scan_implILNS1_25lookback_scan_determinismE0ELb0ELb0ES3_PKS6_PS6_S6_ZZZN2at6native31launch_logcumsumexp_cuda_kernelERKNSD_10TensorBaseESH_lENKUlvE_clEvENKUlvE3_clEvEUlS6_S6_E_S6_EEDaPvRmT3_T4_T5_mT6_P12ihipStream_tbENKUlT_T0_E_clISt17integral_constantIbLb1EESX_IbLb0EEEEDaST_SU_EUlST_E0_NS1_11comp_targetILNS1_3genE4ELNS1_11target_archE910ELNS1_3gpuE8ELNS1_3repE0EEENS1_30default_config_static_selectorELNS0_4arch9wavefront6targetE1EEEvT1_: ; @_ZN7rocprim17ROCPRIM_400000_NS6detail17trampoline_kernelINS0_14default_configENS1_20scan_config_selectorIN3c104HalfEEEZZNS1_9scan_implILNS1_25lookback_scan_determinismE0ELb0ELb0ES3_PKS6_PS6_S6_ZZZN2at6native31launch_logcumsumexp_cuda_kernelERKNSD_10TensorBaseESH_lENKUlvE_clEvENKUlvE3_clEvEUlS6_S6_E_S6_EEDaPvRmT3_T4_T5_mT6_P12ihipStream_tbENKUlT_T0_E_clISt17integral_constantIbLb1EESX_IbLb0EEEEDaST_SU_EUlST_E0_NS1_11comp_targetILNS1_3genE4ELNS1_11target_archE910ELNS1_3gpuE8ELNS1_3repE0EEENS1_30default_config_static_selectorELNS0_4arch9wavefront6targetE1EEEvT1_
; %bb.0:
	s_load_dwordx4 s[52:55], s[4:5], 0x0
	v_mov_b32_e32 v1, 0
	v_lshlrev_b32_e32 v14, 1, v0
	s_waitcnt lgkmcnt(0)
	global_load_ushort v2, v1, s[52:53]
	v_cmp_gt_u32_e64 s[2:3], s54, v0
	s_waitcnt vmcnt(0)
	v_mov_b32_e32 v3, v2
	s_mov_b64 s[0:1], exec
                                        ; implicit-def: $vgpr51 : SGPR spill to VGPR lane
	v_writelane_b32 v51, s2, 0
	v_writelane_b32 v51, s3, 1
	s_and_b64 s[2:3], s[0:1], s[2:3]
	s_mov_b64 exec, s[2:3]
	s_cbranch_execz .LBB411_2
; %bb.1:
	global_load_ushort v3, v14, s[52:53]
.LBB411_2:
	s_or_b64 exec, exec, s[0:1]
	v_or_b32_e32 v1, 64, v0
	v_mov_b32_e32 v4, v2
	v_cmp_gt_u32_e64 s[2:3], s54, v1
	s_mov_b64 s[0:1], exec
	v_writelane_b32 v51, s2, 2
	v_writelane_b32 v51, s3, 3
	s_and_b64 s[2:3], s[0:1], s[2:3]
	s_mov_b64 exec, s[2:3]
	s_cbranch_execz .LBB411_4
; %bb.3:
	global_load_ushort v4, v14, s[52:53] offset:128
.LBB411_4:
	s_or_b64 exec, exec, s[0:1]
	v_or_b32_e32 v1, 0x80, v0
	v_cmp_gt_u32_e64 s[2:3], s54, v1
	v_mov_b32_e32 v5, v2
	v_writelane_b32 v51, s2, 4
	v_writelane_b32 v51, s3, 5
	s_and_saveexec_b64 s[0:1], s[2:3]
	s_cbranch_execz .LBB411_6
; %bb.5:
	global_load_ushort v5, v14, s[52:53] offset:256
.LBB411_6:
	s_or_b64 exec, exec, s[0:1]
	v_or_b32_e32 v1, 0xc0, v0
	v_cmp_gt_u32_e64 s[46:47], s54, v1
	v_mov_b32_e32 v6, v2
	s_and_saveexec_b64 s[0:1], s[46:47]
	s_cbranch_execz .LBB411_8
; %bb.7:
	global_load_ushort v6, v14, s[52:53] offset:384
.LBB411_8:
	s_or_b64 exec, exec, s[0:1]
	v_or_b32_e32 v1, 0x100, v0
	v_cmp_gt_u32_e64 s[6:7], s54, v1
	v_mov_b32_e32 v7, v2
	;; [unrolled: 9-line block ×20, first 2 shown]
	s_and_saveexec_b64 s[0:1], s[44:45]
	s_cbranch_execz .LBB411_46
; %bb.45:
	global_load_ushort v26, v14, s[52:53] offset:2816
.LBB411_46:
	s_or_b64 exec, exec, s[0:1]
	v_or_b32_e32 v1, 0x5c0, v0
	v_cmp_gt_u32_e64 s[0:1], s54, v1
	v_writelane_b32 v51, s0, 6
	v_cmp_le_u32_e64 s[48:49], s54, v1
	v_writelane_b32 v51, s1, 7
	s_and_saveexec_b64 s[0:1], s[48:49]
	s_xor_b64 s[0:1], exec, s[0:1]
; %bb.47:
	v_mov_b32_e32 v1, 0
; %bb.48:
	s_andn2_saveexec_b64 s[0:1], s[0:1]
	s_cbranch_execz .LBB411_50
; %bb.49:
	global_load_ushort v2, v14, s[52:53] offset:2944
	v_mov_b32_e32 v1, 0
.LBB411_50:
	s_or_b64 exec, exec, s[0:1]
	s_waitcnt vmcnt(0)
	ds_write_b16 v14, v3
	ds_write_b16 v14, v4 offset:128
	ds_write_b16 v14, v5 offset:256
	;; [unrolled: 1-line block ×23, first 2 shown]
	v_mad_u32_u24 v6, v0, 46, v14
	s_waitcnt lgkmcnt(0)
	; wave barrier
	s_waitcnt lgkmcnt(0)
	ds_read_b128 v[2:5], v6
	ds_read_b128 v[10:13], v6 offset:16
	ds_read_b128 v[6:9], v6 offset:32
	s_movk_i32 s33, 0x1f8
	s_waitcnt lgkmcnt(0)
	v_cvt_f32_f16_e32 v15, v2
	v_cvt_f32_f16_sdwa v16, v2 dst_sel:DWORD dst_unused:UNUSED_PAD src0_sel:WORD_1
	v_cmp_u_f16_e64 s[94:95], v2, v2
	v_cmp_u_f16_sdwa s[48:49], v2, v2 src0_sel:WORD_1 src1_sel:WORD_1
	v_mov_b32_e32 v33, v15
	v_min_f32_e32 v29, v15, v16
	v_cndmask_b32_e64 v17, v29, v15, s[94:95]
	v_max_f32_e32 v30, v15, v16
	v_cndmask_b32_e64 v18, v17, v16, s[48:49]
	v_cndmask_b32_e64 v17, v30, v15, s[94:95]
	;; [unrolled: 1-line block ×3, first 2 shown]
	v_cmp_neq_f32_e64 s[50:51], v18, v17
	v_cmp_class_f32_e64 s[0:1], v18, s33
	s_or_b64 s[50:51], s[50:51], s[0:1]
	v_mov_b32_e32 v31, v2
	v_mov_b32_e32 v32, v2
	; wave barrier
	s_and_saveexec_b64 s[0:1], s[50:51]
	s_cbranch_execz .LBB411_52
; %bb.51:
	v_sub_f32_e32 v18, v18, v17
	s_mov_b32 s2, 0x3fb8aa3b
	v_mul_f32_e32 v19, 0x3fb8aa3b, v18
	v_fma_f32 v20, v18, s2, -v19
	v_rndne_f32_e32 v21, v19
	v_fmac_f32_e32 v20, 0x32a5705f, v18
	v_sub_f32_e32 v19, v19, v21
	v_add_f32_e32 v19, v19, v20
	v_exp_f32_e32 v19, v19
	v_cvt_i32_f32_e32 v20, v21
	s_mov_b32 s2, 0xc2ce8ed0
	v_cmp_ngt_f32_e64 s[50:51], s2, v18
	s_mov_b32 s2, 0x42b17218
	v_ldexp_f32 v19, v19, v20
	v_cndmask_b32_e64 v19, 0, v19, s[50:51]
	v_mov_b32_e32 v20, 0x7f800000
	v_cmp_nlt_f32_e64 s[50:51], s2, v18
	v_cndmask_b32_e64 v28, v20, v19, s[50:51]
	v_add_f32_e32 v20, 1.0, v28
	v_add_f32_e32 v18, -1.0, v20
	v_sub_f32_e32 v19, v18, v20
	v_add_f32_e32 v19, 1.0, v19
	v_sub_f32_e32 v18, v28, v18
	v_add_f32_e32 v21, v18, v19
	v_frexp_mant_f32_e32 v22, v20
	s_mov_b32 s2, 0x3f2aaaab
	v_cvt_f64_f32_e32 v[18:19], v20
	v_frexp_exp_i32_f64_e32 v18, v[18:19]
	v_cmp_gt_f32_e64 s[50:51], s2, v22
	v_subbrev_co_u32_e64 v26, s[50:51], 0, v18, s[50:51]
	v_sub_u32_e32 v18, 0, v26
	v_ldexp_f32 v19, v20, v18
	v_add_f32_e32 v20, -1.0, v19
	v_add_f32_e32 v22, 1.0, v19
	v_ldexp_f32 v18, v21, v18
	v_add_f32_e32 v21, 1.0, v20
	v_add_f32_e32 v23, -1.0, v22
	v_sub_f32_e32 v21, v19, v21
	v_sub_f32_e32 v19, v19, v23
	v_add_f32_e32 v21, v18, v21
	v_add_f32_e32 v18, v18, v19
	;; [unrolled: 1-line block ×3, first 2 shown]
	v_rcp_f32_e32 v32, v27
	v_sub_f32_e32 v19, v22, v27
	v_add_f32_e32 v31, v18, v19
	v_add_f32_e32 v19, v20, v21
	v_mul_f32_e32 v34, v19, v32
	v_sub_f32_e32 v18, v20, v19
	v_mul_f32_e32 v20, v27, v34
	v_fma_f32 v22, v34, v27, -v20
	v_fmac_f32_e32 v22, v34, v31
	v_add_f32_e32 v33, v21, v18
	v_add_f32_e32 v18, v20, v22
	v_sub_f32_e32 v21, v19, v18
	v_pk_add_f32 v[24:25], v[18:19], v[20:21] neg_lo:[0,1] neg_hi:[0,1]
	v_mov_b32_e32 v23, v18
	v_pk_add_f32 v[18:19], v[24:25], v[22:23] neg_lo:[0,1] neg_hi:[0,1]
	v_add_f32_e32 v19, v33, v19
	v_add_f32_e32 v18, v18, v19
	;; [unrolled: 1-line block ×3, first 2 shown]
	v_mul_f32_e32 v33, v32, v19
	v_mul_f32_e32 v20, v27, v33
	v_fma_f32 v22, v33, v27, -v20
	v_fmac_f32_e32 v22, v33, v31
	v_sub_f32_e32 v21, v21, v19
	v_add_f32_e32 v27, v18, v21
	v_add_f32_e32 v18, v20, v22
	v_sub_f32_e32 v21, v19, v18
	v_pk_add_f32 v[24:25], v[18:19], v[20:21] neg_lo:[0,1] neg_hi:[0,1]
	v_mov_b32_e32 v23, v18
	v_pk_add_f32 v[18:19], v[24:25], v[22:23] neg_lo:[0,1] neg_hi:[0,1]
	v_add_f32_e32 v19, v27, v19
	v_add_f32_e32 v18, v18, v19
	;; [unrolled: 1-line block ×4, first 2 shown]
	v_sub_f32_e32 v19, v21, v34
	v_mul_f32_e32 v18, v32, v18
	v_sub_f32_e32 v19, v33, v19
	v_add_f32_e32 v18, v19, v18
	v_add_f32_e32 v22, v21, v18
	v_mul_f32_e32 v24, v22, v22
	v_mov_b32_e32 v20, 0x3ecc95a3
	v_fmac_f32_e32 v20, 0x3e9b6dac, v24
	v_mov_b32_e32 v19, 0x3f2aaada
	v_fmac_f32_e32 v19, v24, v20
	v_cvt_f32_i32_e32 v20, v26
	v_sub_f32_e32 v21, v22, v21
	v_sub_f32_e32 v18, v18, v21
	v_ldexp_f32 v25, v18, 1
	v_mul_f32_e32 v21, v22, v24
	v_mov_b32_e32 v18, 0x3f317218
	s_mov_b32 s2, 0x3f317218
	v_pk_mul_f32 v[18:19], v[20:21], v[18:19]
	v_ldexp_f32 v23, v22, 1
	v_fma_f32 v22, v20, s2, -v18
	v_fmac_f32_e32 v22, 0xb102e308, v20
	v_pk_add_f32 v[20:21], v[18:19], v[22:23]
	v_sub_f32_e32 v23, v21, v23
	v_sub_f32_e32 v23, v19, v23
	v_add_f32_e32 v25, v25, v23
	v_mov_b32_e32 v24, v18
	v_pk_add_f32 v[18:19], v[20:21], v[18:19] neg_lo:[0,1] neg_hi:[0,1]
	v_pk_add_f32 v[26:27], v[20:21], v[24:25]
	v_mov_b32_e32 v19, v27
	v_mov_b32_e32 v23, v20
	v_pk_add_f32 v[32:33], v[22:23], v[18:19] neg_lo:[0,1] neg_hi:[0,1]
	v_pk_add_f32 v[18:19], v[22:23], v[18:19]
	v_mov_b32_e32 v22, v19
	v_pk_add_f32 v[34:35], v[22:23], v[20:21] neg_lo:[0,1] neg_hi:[0,1]
	v_mov_b32_e32 v23, v34
	v_pk_add_f32 v[36:37], v[26:27], v[22:23] neg_lo:[0,1] neg_hi:[0,1]
	v_mov_b32_e32 v18, v27
	v_mov_b32_e32 v26, v21
	;; [unrolled: 1-line block ×4, first 2 shown]
	v_pk_add_f32 v[18:19], v[18:19], v[26:27] neg_lo:[0,1] neg_hi:[0,1]
	v_mov_b32_e32 v24, v25
	v_mov_b32_e32 v25, v20
	v_pk_add_f32 v[18:19], v[24:25], v[18:19] neg_lo:[0,1] neg_hi:[0,1]
	v_mov_b32_e32 v36, v32
	v_pk_add_f32 v[20:21], v[36:37], v[18:19]
	v_mov_b32_e32 v24, v21
	v_pk_add_f32 v[24:25], v[20:21], v[24:25]
	v_pk_add_f32 v[22:23], v[22:23], v[24:25]
	v_mov_b32_e32 v21, v22
	v_pk_add_f32 v[26:27], v[20:21], v[32:33] neg_lo:[0,1] neg_hi:[0,1]
	v_mov_b32_e32 v19, v24
	v_sub_f32_e32 v20, v20, v26
	v_pk_add_f32 v[18:19], v[18:19], v[26:27] neg_lo:[0,1] neg_hi:[0,1]
	v_sub_f32_e32 v20, v32, v20
	s_mov_b32 s3, 0x7f800000
	v_add_f32_e32 v18, v18, v20
	s_mov_b32 s2, 0x33800000
	v_add_f32_e32 v18, v18, v19
	v_cmp_eq_f32_e64 s[50:51], s3, v28
	v_cmp_lt_f32_e64 s[52:53], |v28|, s2
	v_add_f32_e32 v18, v22, v18
	s_or_b64 s[50:51], s[50:51], s[52:53]
	v_cndmask_b32_e64 v18, v18, v28, s[50:51]
	v_add_f32_e32 v17, v17, v18
	v_cvt_f16_f32_e32 v31, v17
	v_cvt_f32_f16_e32 v33, v31
	v_mov_b32_e32 v32, v31
.LBB411_52:
	s_or_b64 exec, exec, s[0:1]
	v_cvt_f32_f16_e32 v17, v3
	v_max_f32_e32 v18, v33, v33
	v_cmp_u_f16_e64 s[52:53], v31, v31
	v_cmp_u_f16_e64 s[50:51], v3, v3
	v_min_f32_e32 v19, v18, v17
	v_max_f32_e32 v18, v18, v17
	v_cndmask_b32_e64 v19, v19, v33, s[52:53]
	v_cndmask_b32_e64 v18, v18, v33, s[52:53]
	;; [unrolled: 1-line block ×4, first 2 shown]
	v_cmp_neq_f32_e64 s[52:53], v19, v18
	v_cmp_class_f32_e64 s[0:1], v19, s33
	s_or_b64 s[52:53], s[52:53], s[0:1]
	s_and_saveexec_b64 s[0:1], s[52:53]
	s_cbranch_execz .LBB411_54
; %bb.53:
	v_sub_f32_e32 v19, v19, v18
	s_mov_b32 s2, 0x3fb8aa3b
	v_mul_f32_e32 v20, 0x3fb8aa3b, v19
	v_fma_f32 v21, v19, s2, -v20
	v_rndne_f32_e32 v22, v20
	v_fmac_f32_e32 v21, 0x32a5705f, v19
	v_sub_f32_e32 v20, v20, v22
	v_add_f32_e32 v20, v20, v21
	v_exp_f32_e32 v20, v20
	v_cvt_i32_f32_e32 v21, v22
	s_mov_b32 s2, 0xc2ce8ed0
	v_cmp_ngt_f32_e64 s[52:53], s2, v19
	s_mov_b32 s2, 0x42b17218
	v_ldexp_f32 v20, v20, v21
	v_cndmask_b32_e64 v20, 0, v20, s[52:53]
	v_mov_b32_e32 v21, 0x7f800000
	v_cmp_nlt_f32_e64 s[52:53], s2, v19
	v_cndmask_b32_e64 v28, v21, v20, s[52:53]
	v_add_f32_e32 v19, 1.0, v28
	v_add_f32_e32 v20, -1.0, v19
	v_sub_f32_e32 v21, v20, v19
	v_add_f32_e32 v21, 1.0, v21
	v_sub_f32_e32 v20, v28, v20
	v_add_f32_e32 v22, v20, v21
	v_frexp_mant_f32_e32 v23, v19
	s_mov_b32 s2, 0x3f2aaaab
	v_cvt_f64_f32_e32 v[20:21], v19
	v_frexp_exp_i32_f64_e32 v20, v[20:21]
	v_cmp_gt_f32_e64 s[52:53], s2, v23
	v_subbrev_co_u32_e64 v31, s[52:53], 0, v20, s[52:53]
	v_sub_u32_e32 v20, 0, v31
	v_ldexp_f32 v19, v19, v20
	v_ldexp_f32 v20, v22, v20
	v_add_f32_e32 v22, -1.0, v19
	v_add_f32_e32 v21, 1.0, v22
	v_sub_f32_e32 v21, v19, v21
	v_add_f32_e32 v23, v20, v21
	v_add_f32_e32 v21, 1.0, v19
	v_add_f32_e32 v24, -1.0, v21
	v_sub_f32_e32 v19, v19, v24
	v_add_f32_e32 v19, v20, v19
	v_add_f32_e32 v32, v21, v19
	v_rcp_f32_e32 v33, v32
	v_sub_f32_e32 v20, v21, v32
	v_add_f32_e32 v21, v22, v23
	v_add_f32_e32 v19, v19, v20
	v_mul_f32_e32 v35, v21, v33
	v_sub_f32_e32 v20, v22, v21
	v_mul_f32_e32 v22, v32, v35
	v_fma_f32 v24, v35, v32, -v22
	v_fmac_f32_e32 v24, v35, v19
	v_add_f32_e32 v34, v23, v20
	v_add_f32_e32 v20, v22, v24
	v_sub_f32_e32 v23, v21, v20
	v_pk_add_f32 v[26:27], v[20:21], v[22:23] neg_lo:[0,1] neg_hi:[0,1]
	v_mov_b32_e32 v25, v20
	v_pk_add_f32 v[20:21], v[26:27], v[24:25] neg_lo:[0,1] neg_hi:[0,1]
	v_add_f32_e32 v21, v34, v21
	v_add_f32_e32 v20, v20, v21
	;; [unrolled: 1-line block ×3, first 2 shown]
	v_mul_f32_e32 v34, v33, v21
	v_mul_f32_e32 v22, v32, v34
	v_fma_f32 v24, v34, v32, -v22
	v_fmac_f32_e32 v24, v34, v19
	v_sub_f32_e32 v19, v23, v21
	v_add_f32_e32 v19, v20, v19
	v_add_f32_e32 v20, v22, v24
	v_sub_f32_e32 v23, v21, v20
	v_pk_add_f32 v[26:27], v[20:21], v[22:23] neg_lo:[0,1] neg_hi:[0,1]
	v_mov_b32_e32 v25, v20
	v_pk_add_f32 v[20:21], v[26:27], v[24:25] neg_lo:[0,1] neg_hi:[0,1]
	v_add_f32_e32 v19, v19, v21
	v_add_f32_e32 v19, v20, v19
	;; [unrolled: 1-line block ×4, first 2 shown]
	v_sub_f32_e32 v21, v20, v35
	v_mul_f32_e32 v19, v33, v19
	v_sub_f32_e32 v21, v34, v21
	v_add_f32_e32 v19, v21, v19
	v_add_f32_e32 v23, v20, v19
	v_mul_f32_e32 v24, v23, v23
	v_mov_b32_e32 v22, 0x3ecc95a3
	v_fmac_f32_e32 v22, 0x3e9b6dac, v24
	v_mov_b32_e32 v21, 0x3f2aaada
	v_fmac_f32_e32 v21, v24, v22
	v_cvt_f32_i32_e32 v22, v31
	v_sub_f32_e32 v20, v23, v20
	v_sub_f32_e32 v19, v19, v20
	v_ldexp_f32 v25, v23, 1
	v_mul_f32_e32 v23, v23, v24
	v_mov_b32_e32 v20, 0x3f317218
	s_mov_b32 s2, 0x3f317218
	v_pk_mul_f32 v[20:21], v[22:23], v[20:21]
	v_fma_f32 v24, v22, s2, -v20
	v_fmac_f32_e32 v24, 0xb102e308, v22
	v_pk_add_f32 v[22:23], v[20:21], v[24:25]
	v_sub_f32_e32 v25, v23, v25
	v_ldexp_f32 v19, v19, 1
	v_sub_f32_e32 v25, v21, v25
	v_add_f32_e32 v27, v19, v25
	v_mov_b32_e32 v26, v20
	v_pk_add_f32 v[20:21], v[22:23], v[20:21] neg_lo:[0,1] neg_hi:[0,1]
	v_pk_add_f32 v[32:33], v[22:23], v[26:27]
	v_mov_b32_e32 v21, v33
	v_mov_b32_e32 v25, v22
	v_pk_add_f32 v[34:35], v[24:25], v[20:21] neg_lo:[0,1] neg_hi:[0,1]
	v_pk_add_f32 v[20:21], v[24:25], v[20:21]
	v_mov_b32_e32 v24, v21
	v_pk_add_f32 v[36:37], v[24:25], v[22:23] neg_lo:[0,1] neg_hi:[0,1]
	v_mov_b32_e32 v19, v36
	v_pk_add_f32 v[38:39], v[32:33], v[18:19] neg_lo:[0,1] neg_hi:[0,1]
	v_mov_b32_e32 v20, v33
	v_mov_b32_e32 v32, v23
	;; [unrolled: 1-line block ×4, first 2 shown]
	v_pk_add_f32 v[20:21], v[20:21], v[32:33] neg_lo:[0,1] neg_hi:[0,1]
	v_mov_b32_e32 v26, v27
	v_mov_b32_e32 v27, v22
	v_pk_add_f32 v[20:21], v[26:27], v[20:21] neg_lo:[0,1] neg_hi:[0,1]
	v_mov_b32_e32 v38, v34
	v_pk_add_f32 v[22:23], v[38:39], v[20:21]
	v_mov_b32_e32 v26, v23
	v_pk_add_f32 v[26:27], v[22:23], v[26:27]
	v_pk_add_f32 v[24:25], v[24:25], v[26:27]
	v_mov_b32_e32 v23, v24
	v_pk_add_f32 v[32:33], v[22:23], v[34:35] neg_lo:[0,1] neg_hi:[0,1]
	v_mov_b32_e32 v21, v26
	v_sub_f32_e32 v19, v22, v32
	v_pk_add_f32 v[20:21], v[20:21], v[32:33] neg_lo:[0,1] neg_hi:[0,1]
	v_sub_f32_e32 v19, v34, v19
	s_mov_b32 s3, 0x7f800000
	v_add_f32_e32 v19, v20, v19
	s_mov_b32 s2, 0x33800000
	v_add_f32_e32 v19, v19, v21
	v_cmp_eq_f32_e64 s[52:53], s3, v28
	v_cmp_lt_f32_e64 s[54:55], |v28|, s2
	v_add_f32_e32 v19, v24, v19
	s_or_b64 s[52:53], s[52:53], s[54:55]
	v_cndmask_b32_e64 v19, v19, v28, s[52:53]
	v_add_f32_e32 v18, v18, v19
	v_cvt_f16_f32_e32 v31, v18
	v_cvt_f32_f16_e32 v33, v31
	v_mov_b32_e32 v32, v31
.LBB411_54:
	s_or_b64 exec, exec, s[0:1]
	v_cvt_f32_f16_sdwa v18, v3 dst_sel:DWORD dst_unused:UNUSED_PAD src0_sel:WORD_1
	v_max_f32_e32 v20, v33, v33
	v_cmp_u_f16_e64 s[54:55], v31, v31
	v_cmp_u_f16_sdwa s[52:53], v3, v3 src0_sel:WORD_1 src1_sel:WORD_1
	v_min_f32_e32 v19, v20, v18
	v_max_f32_e32 v3, v20, v18
	v_cndmask_b32_e64 v19, v19, v33, s[54:55]
	v_cndmask_b32_e64 v3, v3, v33, s[54:55]
	;; [unrolled: 1-line block ×4, first 2 shown]
	v_cmp_neq_f32_e64 s[54:55], v19, v3
	v_cmp_class_f32_e64 s[0:1], v19, s33
	s_or_b64 s[54:55], s[54:55], s[0:1]
	s_and_saveexec_b64 s[0:1], s[54:55]
	s_cbranch_execz .LBB411_56
; %bb.55:
	v_sub_f32_e32 v19, v19, v3
	s_mov_b32 s2, 0x3fb8aa3b
	v_mul_f32_e32 v20, 0x3fb8aa3b, v19
	v_fma_f32 v21, v19, s2, -v20
	v_rndne_f32_e32 v22, v20
	v_fmac_f32_e32 v21, 0x32a5705f, v19
	v_sub_f32_e32 v20, v20, v22
	v_add_f32_e32 v20, v20, v21
	v_exp_f32_e32 v20, v20
	v_cvt_i32_f32_e32 v21, v22
	s_mov_b32 s2, 0xc2ce8ed0
	v_cmp_ngt_f32_e64 s[54:55], s2, v19
	s_mov_b32 s2, 0x42b17218
	v_ldexp_f32 v20, v20, v21
	v_cndmask_b32_e64 v20, 0, v20, s[54:55]
	v_mov_b32_e32 v21, 0x7f800000
	v_cmp_nlt_f32_e64 s[54:55], s2, v19
	v_cndmask_b32_e64 v28, v21, v20, s[54:55]
	v_add_f32_e32 v19, 1.0, v28
	v_add_f32_e32 v20, -1.0, v19
	v_sub_f32_e32 v21, v20, v19
	v_add_f32_e32 v21, 1.0, v21
	v_sub_f32_e32 v20, v28, v20
	v_add_f32_e32 v22, v20, v21
	v_frexp_mant_f32_e32 v23, v19
	s_mov_b32 s2, 0x3f2aaaab
	v_cvt_f64_f32_e32 v[20:21], v19
	v_frexp_exp_i32_f64_e32 v20, v[20:21]
	v_cmp_gt_f32_e64 s[54:55], s2, v23
	v_subbrev_co_u32_e64 v31, s[54:55], 0, v20, s[54:55]
	v_sub_u32_e32 v20, 0, v31
	v_ldexp_f32 v19, v19, v20
	v_ldexp_f32 v20, v22, v20
	v_add_f32_e32 v22, -1.0, v19
	v_add_f32_e32 v21, 1.0, v22
	v_sub_f32_e32 v21, v19, v21
	v_add_f32_e32 v23, v20, v21
	v_add_f32_e32 v21, 1.0, v19
	v_add_f32_e32 v24, -1.0, v21
	v_sub_f32_e32 v19, v19, v24
	v_add_f32_e32 v19, v20, v19
	v_add_f32_e32 v32, v21, v19
	v_rcp_f32_e32 v33, v32
	v_sub_f32_e32 v20, v21, v32
	v_add_f32_e32 v21, v22, v23
	v_add_f32_e32 v19, v19, v20
	v_mul_f32_e32 v35, v21, v33
	v_sub_f32_e32 v20, v22, v21
	v_mul_f32_e32 v22, v32, v35
	v_fma_f32 v24, v35, v32, -v22
	v_fmac_f32_e32 v24, v35, v19
	v_add_f32_e32 v34, v23, v20
	v_add_f32_e32 v20, v22, v24
	v_sub_f32_e32 v23, v21, v20
	v_pk_add_f32 v[26:27], v[20:21], v[22:23] neg_lo:[0,1] neg_hi:[0,1]
	v_mov_b32_e32 v25, v20
	v_pk_add_f32 v[20:21], v[26:27], v[24:25] neg_lo:[0,1] neg_hi:[0,1]
	v_add_f32_e32 v21, v34, v21
	v_add_f32_e32 v20, v20, v21
	;; [unrolled: 1-line block ×3, first 2 shown]
	v_mul_f32_e32 v34, v33, v21
	v_mul_f32_e32 v22, v32, v34
	v_fma_f32 v24, v34, v32, -v22
	v_fmac_f32_e32 v24, v34, v19
	v_sub_f32_e32 v19, v23, v21
	v_add_f32_e32 v19, v20, v19
	v_add_f32_e32 v20, v22, v24
	v_sub_f32_e32 v23, v21, v20
	v_pk_add_f32 v[26:27], v[20:21], v[22:23] neg_lo:[0,1] neg_hi:[0,1]
	v_mov_b32_e32 v25, v20
	v_pk_add_f32 v[20:21], v[26:27], v[24:25] neg_lo:[0,1] neg_hi:[0,1]
	v_add_f32_e32 v19, v19, v21
	v_add_f32_e32 v19, v20, v19
	;; [unrolled: 1-line block ×4, first 2 shown]
	v_sub_f32_e32 v21, v20, v35
	v_mul_f32_e32 v19, v33, v19
	v_sub_f32_e32 v21, v34, v21
	v_add_f32_e32 v19, v21, v19
	v_add_f32_e32 v23, v20, v19
	v_mul_f32_e32 v24, v23, v23
	v_mov_b32_e32 v22, 0x3ecc95a3
	v_fmac_f32_e32 v22, 0x3e9b6dac, v24
	v_mov_b32_e32 v21, 0x3f2aaada
	v_fmac_f32_e32 v21, v24, v22
	v_cvt_f32_i32_e32 v22, v31
	v_sub_f32_e32 v20, v23, v20
	v_sub_f32_e32 v19, v19, v20
	v_ldexp_f32 v25, v23, 1
	v_mul_f32_e32 v23, v23, v24
	v_mov_b32_e32 v20, 0x3f317218
	s_mov_b32 s2, 0x3f317218
	v_pk_mul_f32 v[20:21], v[22:23], v[20:21]
	v_fma_f32 v24, v22, s2, -v20
	v_fmac_f32_e32 v24, 0xb102e308, v22
	v_pk_add_f32 v[22:23], v[20:21], v[24:25]
	v_sub_f32_e32 v25, v23, v25
	v_ldexp_f32 v19, v19, 1
	v_sub_f32_e32 v25, v21, v25
	v_add_f32_e32 v27, v19, v25
	v_mov_b32_e32 v26, v20
	v_pk_add_f32 v[20:21], v[22:23], v[20:21] neg_lo:[0,1] neg_hi:[0,1]
	v_pk_add_f32 v[32:33], v[22:23], v[26:27]
	v_mov_b32_e32 v21, v33
	v_mov_b32_e32 v25, v22
	v_pk_add_f32 v[34:35], v[24:25], v[20:21] neg_lo:[0,1] neg_hi:[0,1]
	v_pk_add_f32 v[20:21], v[24:25], v[20:21]
	v_mov_b32_e32 v24, v21
	v_pk_add_f32 v[36:37], v[24:25], v[22:23] neg_lo:[0,1] neg_hi:[0,1]
	v_mov_b32_e32 v19, v36
	v_pk_add_f32 v[38:39], v[32:33], v[18:19] neg_lo:[0,1] neg_hi:[0,1]
	v_mov_b32_e32 v20, v33
	v_mov_b32_e32 v32, v23
	;; [unrolled: 1-line block ×4, first 2 shown]
	v_pk_add_f32 v[20:21], v[20:21], v[32:33] neg_lo:[0,1] neg_hi:[0,1]
	v_mov_b32_e32 v26, v27
	v_mov_b32_e32 v27, v22
	v_pk_add_f32 v[20:21], v[26:27], v[20:21] neg_lo:[0,1] neg_hi:[0,1]
	v_mov_b32_e32 v38, v34
	v_pk_add_f32 v[22:23], v[38:39], v[20:21]
	v_mov_b32_e32 v26, v23
	v_pk_add_f32 v[26:27], v[22:23], v[26:27]
	v_pk_add_f32 v[24:25], v[24:25], v[26:27]
	v_mov_b32_e32 v23, v24
	v_pk_add_f32 v[32:33], v[22:23], v[34:35] neg_lo:[0,1] neg_hi:[0,1]
	v_mov_b32_e32 v21, v26
	v_sub_f32_e32 v19, v22, v32
	v_pk_add_f32 v[20:21], v[20:21], v[32:33] neg_lo:[0,1] neg_hi:[0,1]
	v_sub_f32_e32 v19, v34, v19
	s_mov_b32 s3, 0x7f800000
	v_add_f32_e32 v19, v20, v19
	s_mov_b32 s2, 0x33800000
	v_add_f32_e32 v19, v19, v21
	v_cmp_eq_f32_e64 s[54:55], s3, v28
	v_cmp_lt_f32_e64 s[56:57], |v28|, s2
	v_add_f32_e32 v19, v24, v19
	s_or_b64 s[54:55], s[54:55], s[56:57]
	v_cndmask_b32_e64 v19, v19, v28, s[54:55]
	v_add_f32_e32 v3, v3, v19
	v_cvt_f16_f32_e32 v31, v3
	v_cvt_f32_f16_e32 v33, v31
	v_mov_b32_e32 v32, v31
.LBB411_56:
	s_or_b64 exec, exec, s[0:1]
	v_cvt_f32_f16_e32 v3, v4
	v_max_f32_e32 v19, v33, v33
	v_cmp_u_f16_e64 s[56:57], v31, v31
	v_cmp_u_f16_e64 s[54:55], v4, v4
	v_min_f32_e32 v20, v19, v3
	v_max_f32_e32 v19, v19, v3
	v_cndmask_b32_e64 v20, v20, v33, s[56:57]
	v_cndmask_b32_e64 v19, v19, v33, s[56:57]
	v_cndmask_b32_e64 v20, v20, v3, s[54:55]
	v_cndmask_b32_e64 v19, v19, v3, s[54:55]
	v_cmp_neq_f32_e64 s[56:57], v20, v19
	v_cmp_class_f32_e64 s[0:1], v20, s33
	s_or_b64 s[56:57], s[56:57], s[0:1]
	s_and_saveexec_b64 s[0:1], s[56:57]
	s_cbranch_execz .LBB411_58
; %bb.57:
	v_sub_f32_e32 v20, v20, v19
	s_mov_b32 s2, 0x3fb8aa3b
	v_mul_f32_e32 v21, 0x3fb8aa3b, v20
	v_fma_f32 v22, v20, s2, -v21
	v_rndne_f32_e32 v23, v21
	v_fmac_f32_e32 v22, 0x32a5705f, v20
	v_sub_f32_e32 v21, v21, v23
	v_add_f32_e32 v21, v21, v22
	v_exp_f32_e32 v21, v21
	v_cvt_i32_f32_e32 v22, v23
	s_mov_b32 s2, 0xc2ce8ed0
	v_cmp_ngt_f32_e64 s[56:57], s2, v20
	s_mov_b32 s2, 0x42b17218
	v_ldexp_f32 v21, v21, v22
	v_cndmask_b32_e64 v21, 0, v21, s[56:57]
	v_mov_b32_e32 v22, 0x7f800000
	v_cmp_nlt_f32_e64 s[56:57], s2, v20
	v_cndmask_b32_e64 v28, v22, v21, s[56:57]
	v_add_f32_e32 v22, 1.0, v28
	v_add_f32_e32 v20, -1.0, v22
	v_sub_f32_e32 v21, v20, v22
	v_add_f32_e32 v21, 1.0, v21
	v_sub_f32_e32 v20, v28, v20
	v_add_f32_e32 v23, v20, v21
	v_frexp_mant_f32_e32 v24, v22
	s_mov_b32 s2, 0x3f2aaaab
	v_cvt_f64_f32_e32 v[20:21], v22
	v_frexp_exp_i32_f64_e32 v20, v[20:21]
	v_cmp_gt_f32_e64 s[56:57], s2, v24
	v_subbrev_co_u32_e64 v31, s[56:57], 0, v20, s[56:57]
	v_sub_u32_e32 v20, 0, v31
	v_ldexp_f32 v21, v22, v20
	v_add_f32_e32 v22, -1.0, v21
	v_add_f32_e32 v24, 1.0, v21
	v_ldexp_f32 v20, v23, v20
	v_add_f32_e32 v23, 1.0, v22
	v_add_f32_e32 v25, -1.0, v24
	v_sub_f32_e32 v23, v21, v23
	v_sub_f32_e32 v21, v21, v25
	v_add_f32_e32 v23, v20, v23
	v_add_f32_e32 v20, v20, v21
	;; [unrolled: 1-line block ×3, first 2 shown]
	v_rcp_f32_e32 v34, v32
	v_sub_f32_e32 v21, v24, v32
	v_add_f32_e32 v33, v20, v21
	v_add_f32_e32 v21, v22, v23
	v_mul_f32_e32 v36, v21, v34
	v_sub_f32_e32 v20, v22, v21
	v_mul_f32_e32 v22, v32, v36
	v_fma_f32 v24, v36, v32, -v22
	v_fmac_f32_e32 v24, v36, v33
	v_add_f32_e32 v35, v23, v20
	v_add_f32_e32 v20, v22, v24
	v_sub_f32_e32 v23, v21, v20
	v_pk_add_f32 v[26:27], v[20:21], v[22:23] neg_lo:[0,1] neg_hi:[0,1]
	v_mov_b32_e32 v25, v20
	v_pk_add_f32 v[20:21], v[26:27], v[24:25] neg_lo:[0,1] neg_hi:[0,1]
	v_add_f32_e32 v21, v35, v21
	v_add_f32_e32 v20, v20, v21
	;; [unrolled: 1-line block ×3, first 2 shown]
	v_mul_f32_e32 v35, v34, v21
	v_mul_f32_e32 v22, v32, v35
	v_fma_f32 v24, v35, v32, -v22
	v_fmac_f32_e32 v24, v35, v33
	v_sub_f32_e32 v23, v23, v21
	v_add_f32_e32 v32, v20, v23
	v_add_f32_e32 v20, v22, v24
	v_sub_f32_e32 v23, v21, v20
	v_pk_add_f32 v[26:27], v[20:21], v[22:23] neg_lo:[0,1] neg_hi:[0,1]
	v_mov_b32_e32 v25, v20
	v_pk_add_f32 v[20:21], v[26:27], v[24:25] neg_lo:[0,1] neg_hi:[0,1]
	v_add_f32_e32 v21, v32, v21
	v_add_f32_e32 v20, v20, v21
	v_add_f32_e32 v20, v23, v20
	v_add_f32_e32 v23, v36, v35
	v_sub_f32_e32 v21, v23, v36
	v_mul_f32_e32 v20, v34, v20
	v_sub_f32_e32 v21, v35, v21
	v_add_f32_e32 v20, v21, v20
	v_add_f32_e32 v24, v23, v20
	v_mul_f32_e32 v26, v24, v24
	v_mov_b32_e32 v22, 0x3ecc95a3
	v_fmac_f32_e32 v22, 0x3e9b6dac, v26
	v_mov_b32_e32 v21, 0x3f2aaada
	v_fmac_f32_e32 v21, v26, v22
	v_cvt_f32_i32_e32 v22, v31
	v_sub_f32_e32 v23, v24, v23
	v_sub_f32_e32 v20, v20, v23
	v_ldexp_f32 v27, v20, 1
	v_mul_f32_e32 v23, v24, v26
	v_mov_b32_e32 v20, 0x3f317218
	s_mov_b32 s2, 0x3f317218
	v_pk_mul_f32 v[20:21], v[22:23], v[20:21]
	v_ldexp_f32 v25, v24, 1
	v_fma_f32 v24, v22, s2, -v20
	v_fmac_f32_e32 v24, 0xb102e308, v22
	v_pk_add_f32 v[22:23], v[20:21], v[24:25]
	v_sub_f32_e32 v25, v23, v25
	v_sub_f32_e32 v25, v21, v25
	v_add_f32_e32 v27, v27, v25
	v_mov_b32_e32 v26, v20
	v_pk_add_f32 v[20:21], v[22:23], v[20:21] neg_lo:[0,1] neg_hi:[0,1]
	v_pk_add_f32 v[32:33], v[22:23], v[26:27]
	v_mov_b32_e32 v21, v33
	v_mov_b32_e32 v25, v22
	v_pk_add_f32 v[34:35], v[24:25], v[20:21] neg_lo:[0,1] neg_hi:[0,1]
	v_pk_add_f32 v[20:21], v[24:25], v[20:21]
	v_mov_b32_e32 v24, v21
	v_pk_add_f32 v[36:37], v[24:25], v[22:23] neg_lo:[0,1] neg_hi:[0,1]
	v_mov_b32_e32 v25, v36
	v_pk_add_f32 v[38:39], v[32:33], v[24:25] neg_lo:[0,1] neg_hi:[0,1]
	v_mov_b32_e32 v20, v33
	v_mov_b32_e32 v32, v23
	;; [unrolled: 1-line block ×4, first 2 shown]
	v_pk_add_f32 v[20:21], v[20:21], v[32:33] neg_lo:[0,1] neg_hi:[0,1]
	v_mov_b32_e32 v26, v27
	v_mov_b32_e32 v27, v22
	v_pk_add_f32 v[20:21], v[26:27], v[20:21] neg_lo:[0,1] neg_hi:[0,1]
	v_mov_b32_e32 v38, v34
	v_pk_add_f32 v[22:23], v[38:39], v[20:21]
	v_mov_b32_e32 v26, v23
	v_pk_add_f32 v[26:27], v[22:23], v[26:27]
	v_pk_add_f32 v[24:25], v[24:25], v[26:27]
	v_mov_b32_e32 v23, v24
	v_pk_add_f32 v[32:33], v[22:23], v[34:35] neg_lo:[0,1] neg_hi:[0,1]
	v_mov_b32_e32 v21, v26
	v_sub_f32_e32 v22, v22, v32
	v_pk_add_f32 v[20:21], v[20:21], v[32:33] neg_lo:[0,1] neg_hi:[0,1]
	v_sub_f32_e32 v22, v34, v22
	s_mov_b32 s3, 0x7f800000
	v_add_f32_e32 v20, v20, v22
	s_mov_b32 s2, 0x33800000
	v_add_f32_e32 v20, v20, v21
	v_cmp_eq_f32_e64 s[56:57], s3, v28
	v_cmp_lt_f32_e64 s[58:59], |v28|, s2
	v_add_f32_e32 v20, v24, v20
	s_or_b64 s[56:57], s[56:57], s[58:59]
	v_cndmask_b32_e64 v20, v20, v28, s[56:57]
	v_add_f32_e32 v19, v19, v20
	v_cvt_f16_f32_e32 v31, v19
	v_cvt_f32_f16_e32 v33, v31
	v_mov_b32_e32 v32, v31
.LBB411_58:
	s_or_b64 exec, exec, s[0:1]
	v_cvt_f32_f16_sdwa v19, v4 dst_sel:DWORD dst_unused:UNUSED_PAD src0_sel:WORD_1
	v_max_f32_e32 v21, v33, v33
	v_cmp_u_f16_e64 s[58:59], v31, v31
	v_cmp_u_f16_sdwa s[56:57], v4, v4 src0_sel:WORD_1 src1_sel:WORD_1
	v_min_f32_e32 v20, v21, v19
	v_max_f32_e32 v4, v21, v19
	v_cndmask_b32_e64 v20, v20, v33, s[58:59]
	v_cndmask_b32_e64 v4, v4, v33, s[58:59]
	;; [unrolled: 1-line block ×4, first 2 shown]
	v_cmp_neq_f32_e64 s[58:59], v20, v4
	v_cmp_class_f32_e64 s[0:1], v20, s33
	s_or_b64 s[58:59], s[58:59], s[0:1]
	s_and_saveexec_b64 s[0:1], s[58:59]
	s_cbranch_execz .LBB411_60
; %bb.59:
	v_sub_f32_e32 v20, v20, v4
	s_mov_b32 s2, 0x3fb8aa3b
	v_mul_f32_e32 v21, 0x3fb8aa3b, v20
	v_fma_f32 v22, v20, s2, -v21
	v_rndne_f32_e32 v23, v21
	v_fmac_f32_e32 v22, 0x32a5705f, v20
	v_sub_f32_e32 v21, v21, v23
	v_add_f32_e32 v21, v21, v22
	v_exp_f32_e32 v21, v21
	v_cvt_i32_f32_e32 v22, v23
	s_mov_b32 s2, 0xc2ce8ed0
	v_cmp_ngt_f32_e64 s[58:59], s2, v20
	s_mov_b32 s2, 0x42b17218
	v_ldexp_f32 v21, v21, v22
	v_cndmask_b32_e64 v21, 0, v21, s[58:59]
	v_mov_b32_e32 v22, 0x7f800000
	v_cmp_nlt_f32_e64 s[58:59], s2, v20
	v_cndmask_b32_e64 v28, v22, v21, s[58:59]
	v_add_f32_e32 v22, 1.0, v28
	v_add_f32_e32 v20, -1.0, v22
	v_sub_f32_e32 v21, v20, v22
	v_add_f32_e32 v21, 1.0, v21
	v_sub_f32_e32 v20, v28, v20
	v_add_f32_e32 v23, v20, v21
	v_frexp_mant_f32_e32 v24, v22
	s_mov_b32 s2, 0x3f2aaaab
	v_cvt_f64_f32_e32 v[20:21], v22
	v_frexp_exp_i32_f64_e32 v20, v[20:21]
	v_cmp_gt_f32_e64 s[58:59], s2, v24
	v_subbrev_co_u32_e64 v31, s[58:59], 0, v20, s[58:59]
	v_sub_u32_e32 v20, 0, v31
	v_ldexp_f32 v21, v22, v20
	v_add_f32_e32 v22, -1.0, v21
	v_add_f32_e32 v24, 1.0, v21
	v_ldexp_f32 v20, v23, v20
	v_add_f32_e32 v23, 1.0, v22
	v_add_f32_e32 v25, -1.0, v24
	v_sub_f32_e32 v23, v21, v23
	v_sub_f32_e32 v21, v21, v25
	v_add_f32_e32 v23, v20, v23
	v_add_f32_e32 v20, v20, v21
	;; [unrolled: 1-line block ×3, first 2 shown]
	v_rcp_f32_e32 v34, v32
	v_sub_f32_e32 v21, v24, v32
	v_add_f32_e32 v33, v20, v21
	v_add_f32_e32 v21, v22, v23
	v_mul_f32_e32 v36, v21, v34
	v_sub_f32_e32 v20, v22, v21
	v_mul_f32_e32 v22, v32, v36
	v_fma_f32 v24, v36, v32, -v22
	v_fmac_f32_e32 v24, v36, v33
	v_add_f32_e32 v35, v23, v20
	v_add_f32_e32 v20, v22, v24
	v_sub_f32_e32 v23, v21, v20
	v_pk_add_f32 v[26:27], v[20:21], v[22:23] neg_lo:[0,1] neg_hi:[0,1]
	v_mov_b32_e32 v25, v20
	v_pk_add_f32 v[20:21], v[26:27], v[24:25] neg_lo:[0,1] neg_hi:[0,1]
	v_add_f32_e32 v21, v35, v21
	v_add_f32_e32 v20, v20, v21
	;; [unrolled: 1-line block ×3, first 2 shown]
	v_mul_f32_e32 v35, v34, v21
	v_mul_f32_e32 v22, v32, v35
	v_fma_f32 v24, v35, v32, -v22
	v_fmac_f32_e32 v24, v35, v33
	v_sub_f32_e32 v23, v23, v21
	v_add_f32_e32 v32, v20, v23
	v_add_f32_e32 v20, v22, v24
	v_sub_f32_e32 v23, v21, v20
	v_pk_add_f32 v[26:27], v[20:21], v[22:23] neg_lo:[0,1] neg_hi:[0,1]
	v_mov_b32_e32 v25, v20
	v_pk_add_f32 v[20:21], v[26:27], v[24:25] neg_lo:[0,1] neg_hi:[0,1]
	v_add_f32_e32 v21, v32, v21
	v_add_f32_e32 v20, v20, v21
	;; [unrolled: 1-line block ×4, first 2 shown]
	v_sub_f32_e32 v21, v23, v36
	v_mul_f32_e32 v20, v34, v20
	v_sub_f32_e32 v21, v35, v21
	v_add_f32_e32 v20, v21, v20
	v_add_f32_e32 v24, v23, v20
	v_mul_f32_e32 v26, v24, v24
	v_mov_b32_e32 v22, 0x3ecc95a3
	v_fmac_f32_e32 v22, 0x3e9b6dac, v26
	v_mov_b32_e32 v21, 0x3f2aaada
	v_fmac_f32_e32 v21, v26, v22
	v_cvt_f32_i32_e32 v22, v31
	v_sub_f32_e32 v23, v24, v23
	v_sub_f32_e32 v20, v20, v23
	v_ldexp_f32 v27, v20, 1
	v_mul_f32_e32 v23, v24, v26
	v_mov_b32_e32 v20, 0x3f317218
	s_mov_b32 s2, 0x3f317218
	v_pk_mul_f32 v[20:21], v[22:23], v[20:21]
	v_ldexp_f32 v25, v24, 1
	v_fma_f32 v24, v22, s2, -v20
	v_fmac_f32_e32 v24, 0xb102e308, v22
	v_pk_add_f32 v[22:23], v[20:21], v[24:25]
	v_sub_f32_e32 v25, v23, v25
	v_sub_f32_e32 v25, v21, v25
	v_add_f32_e32 v27, v27, v25
	v_mov_b32_e32 v26, v20
	v_pk_add_f32 v[20:21], v[22:23], v[20:21] neg_lo:[0,1] neg_hi:[0,1]
	v_pk_add_f32 v[32:33], v[22:23], v[26:27]
	v_mov_b32_e32 v21, v33
	v_mov_b32_e32 v25, v22
	v_pk_add_f32 v[34:35], v[24:25], v[20:21] neg_lo:[0,1] neg_hi:[0,1]
	v_pk_add_f32 v[20:21], v[24:25], v[20:21]
	v_mov_b32_e32 v24, v21
	v_pk_add_f32 v[36:37], v[24:25], v[22:23] neg_lo:[0,1] neg_hi:[0,1]
	v_mov_b32_e32 v25, v36
	v_pk_add_f32 v[38:39], v[32:33], v[24:25] neg_lo:[0,1] neg_hi:[0,1]
	v_mov_b32_e32 v20, v33
	v_mov_b32_e32 v32, v23
	;; [unrolled: 1-line block ×4, first 2 shown]
	v_pk_add_f32 v[20:21], v[20:21], v[32:33] neg_lo:[0,1] neg_hi:[0,1]
	v_mov_b32_e32 v26, v27
	v_mov_b32_e32 v27, v22
	v_pk_add_f32 v[20:21], v[26:27], v[20:21] neg_lo:[0,1] neg_hi:[0,1]
	v_mov_b32_e32 v38, v34
	v_pk_add_f32 v[22:23], v[38:39], v[20:21]
	v_mov_b32_e32 v26, v23
	v_pk_add_f32 v[26:27], v[22:23], v[26:27]
	v_pk_add_f32 v[24:25], v[24:25], v[26:27]
	v_mov_b32_e32 v23, v24
	v_pk_add_f32 v[32:33], v[22:23], v[34:35] neg_lo:[0,1] neg_hi:[0,1]
	v_mov_b32_e32 v21, v26
	v_sub_f32_e32 v22, v22, v32
	v_pk_add_f32 v[20:21], v[20:21], v[32:33] neg_lo:[0,1] neg_hi:[0,1]
	v_sub_f32_e32 v22, v34, v22
	s_mov_b32 s3, 0x7f800000
	v_add_f32_e32 v20, v20, v22
	s_mov_b32 s2, 0x33800000
	v_add_f32_e32 v20, v20, v21
	v_cmp_eq_f32_e64 s[58:59], s3, v28
	v_cmp_lt_f32_e64 s[60:61], |v28|, s2
	v_add_f32_e32 v20, v24, v20
	s_or_b64 s[58:59], s[58:59], s[60:61]
	v_cndmask_b32_e64 v20, v20, v28, s[58:59]
	v_add_f32_e32 v4, v4, v20
	v_cvt_f16_f32_e32 v31, v4
	v_cvt_f32_f16_e32 v33, v31
	v_mov_b32_e32 v32, v31
.LBB411_60:
	s_or_b64 exec, exec, s[0:1]
	v_cvt_f32_f16_e32 v4, v5
	v_max_f32_e32 v20, v33, v33
	v_cmp_u_f16_e64 s[60:61], v31, v31
	v_cmp_u_f16_e64 s[58:59], v5, v5
	v_min_f32_e32 v21, v20, v4
	v_max_f32_e32 v20, v20, v4
	v_cndmask_b32_e64 v21, v21, v33, s[60:61]
	v_cndmask_b32_e64 v20, v20, v33, s[60:61]
	;; [unrolled: 1-line block ×4, first 2 shown]
	v_cmp_neq_f32_e64 s[60:61], v21, v20
	v_cmp_class_f32_e64 s[0:1], v21, s33
	s_or_b64 s[60:61], s[60:61], s[0:1]
	s_and_saveexec_b64 s[0:1], s[60:61]
	s_cbranch_execz .LBB411_62
; %bb.61:
	v_sub_f32_e32 v21, v21, v20
	s_mov_b32 s2, 0x3fb8aa3b
	v_mul_f32_e32 v22, 0x3fb8aa3b, v21
	v_fma_f32 v23, v21, s2, -v22
	v_rndne_f32_e32 v24, v22
	v_fmac_f32_e32 v23, 0x32a5705f, v21
	v_sub_f32_e32 v22, v22, v24
	v_add_f32_e32 v22, v22, v23
	v_exp_f32_e32 v22, v22
	v_cvt_i32_f32_e32 v23, v24
	s_mov_b32 s2, 0xc2ce8ed0
	v_cmp_ngt_f32_e64 s[60:61], s2, v21
	s_mov_b32 s2, 0x42b17218
	v_ldexp_f32 v22, v22, v23
	v_cndmask_b32_e64 v22, 0, v22, s[60:61]
	v_mov_b32_e32 v23, 0x7f800000
	v_cmp_nlt_f32_e64 s[60:61], s2, v21
	v_cndmask_b32_e64 v31, v23, v22, s[60:61]
	v_add_f32_e32 v21, 1.0, v31
	v_add_f32_e32 v22, -1.0, v21
	v_sub_f32_e32 v23, v22, v21
	v_add_f32_e32 v23, 1.0, v23
	v_sub_f32_e32 v22, v31, v22
	v_add_f32_e32 v24, v22, v23
	v_frexp_mant_f32_e32 v25, v21
	s_mov_b32 s2, 0x3f2aaaab
	v_cvt_f64_f32_e32 v[22:23], v21
	v_frexp_exp_i32_f64_e32 v22, v[22:23]
	v_cmp_gt_f32_e64 s[60:61], s2, v25
	v_subbrev_co_u32_e64 v28, s[60:61], 0, v22, s[60:61]
	v_sub_u32_e32 v22, 0, v28
	v_ldexp_f32 v21, v21, v22
	v_ldexp_f32 v22, v24, v22
	v_add_f32_e32 v24, -1.0, v21
	v_add_f32_e32 v23, 1.0, v24
	v_sub_f32_e32 v23, v21, v23
	v_add_f32_e32 v25, v22, v23
	v_add_f32_e32 v23, 1.0, v21
	v_add_f32_e32 v26, -1.0, v23
	v_sub_f32_e32 v21, v21, v26
	v_add_f32_e32 v21, v22, v21
	v_add_f32_e32 v34, v23, v21
	v_rcp_f32_e32 v35, v34
	v_sub_f32_e32 v22, v23, v34
	v_add_f32_e32 v23, v24, v25
	v_add_f32_e32 v21, v21, v22
	v_mul_f32_e32 v37, v23, v35
	v_sub_f32_e32 v22, v24, v23
	v_mul_f32_e32 v24, v34, v37
	v_fma_f32 v26, v37, v34, -v24
	v_fmac_f32_e32 v26, v37, v21
	v_add_f32_e32 v36, v25, v22
	v_add_f32_e32 v22, v24, v26
	v_sub_f32_e32 v25, v23, v22
	v_pk_add_f32 v[32:33], v[22:23], v[24:25] neg_lo:[0,1] neg_hi:[0,1]
	v_mov_b32_e32 v27, v22
	v_pk_add_f32 v[22:23], v[32:33], v[26:27] neg_lo:[0,1] neg_hi:[0,1]
	v_add_f32_e32 v23, v36, v23
	v_add_f32_e32 v22, v22, v23
	;; [unrolled: 1-line block ×3, first 2 shown]
	v_mul_f32_e32 v36, v35, v23
	v_mul_f32_e32 v24, v34, v36
	v_fma_f32 v26, v36, v34, -v24
	v_fmac_f32_e32 v26, v36, v21
	v_sub_f32_e32 v21, v25, v23
	v_add_f32_e32 v21, v22, v21
	v_add_f32_e32 v22, v24, v26
	v_sub_f32_e32 v25, v23, v22
	v_pk_add_f32 v[32:33], v[22:23], v[24:25] neg_lo:[0,1] neg_hi:[0,1]
	v_mov_b32_e32 v27, v22
	v_pk_add_f32 v[22:23], v[32:33], v[26:27] neg_lo:[0,1] neg_hi:[0,1]
	v_add_f32_e32 v21, v21, v23
	v_add_f32_e32 v21, v22, v21
	;; [unrolled: 1-line block ×4, first 2 shown]
	v_sub_f32_e32 v23, v22, v37
	v_mul_f32_e32 v21, v35, v21
	v_sub_f32_e32 v23, v36, v23
	v_add_f32_e32 v21, v23, v21
	v_add_f32_e32 v25, v22, v21
	v_mul_f32_e32 v26, v25, v25
	v_mov_b32_e32 v24, 0x3ecc95a3
	v_fmac_f32_e32 v24, 0x3e9b6dac, v26
	v_mov_b32_e32 v23, 0x3f2aaada
	v_fmac_f32_e32 v23, v26, v24
	v_cvt_f32_i32_e32 v24, v28
	v_sub_f32_e32 v22, v25, v22
	v_sub_f32_e32 v21, v21, v22
	v_ldexp_f32 v27, v25, 1
	v_mul_f32_e32 v25, v25, v26
	v_mov_b32_e32 v22, 0x3f317218
	s_mov_b32 s2, 0x3f317218
	v_pk_mul_f32 v[22:23], v[24:25], v[22:23]
	v_fma_f32 v26, v24, s2, -v22
	v_fmac_f32_e32 v26, 0xb102e308, v24
	v_pk_add_f32 v[24:25], v[22:23], v[26:27]
	v_sub_f32_e32 v27, v25, v27
	v_ldexp_f32 v21, v21, 1
	v_sub_f32_e32 v27, v23, v27
	v_add_f32_e32 v33, v21, v27
	v_mov_b32_e32 v32, v22
	v_pk_add_f32 v[22:23], v[24:25], v[22:23] neg_lo:[0,1] neg_hi:[0,1]
	v_pk_add_f32 v[34:35], v[24:25], v[32:33]
	v_mov_b32_e32 v23, v35
	v_mov_b32_e32 v27, v24
	v_pk_add_f32 v[36:37], v[26:27], v[22:23] neg_lo:[0,1] neg_hi:[0,1]
	v_pk_add_f32 v[22:23], v[26:27], v[22:23]
	v_mov_b32_e32 v26, v23
	v_pk_add_f32 v[38:39], v[26:27], v[24:25] neg_lo:[0,1] neg_hi:[0,1]
	v_mov_b32_e32 v21, v38
	v_pk_add_f32 v[40:41], v[34:35], v[20:21] neg_lo:[0,1] neg_hi:[0,1]
	v_mov_b32_e32 v22, v35
	v_mov_b32_e32 v34, v25
	;; [unrolled: 1-line block ×4, first 2 shown]
	v_pk_add_f32 v[22:23], v[22:23], v[34:35] neg_lo:[0,1] neg_hi:[0,1]
	v_mov_b32_e32 v32, v33
	v_mov_b32_e32 v33, v24
	v_pk_add_f32 v[22:23], v[32:33], v[22:23] neg_lo:[0,1] neg_hi:[0,1]
	v_mov_b32_e32 v40, v36
	v_pk_add_f32 v[24:25], v[40:41], v[22:23]
	v_mov_b32_e32 v28, v25
	v_pk_add_f32 v[32:33], v[24:25], v[28:29]
	v_pk_add_f32 v[26:27], v[26:27], v[32:33]
	v_mov_b32_e32 v25, v26
	v_pk_add_f32 v[34:35], v[24:25], v[36:37] neg_lo:[0,1] neg_hi:[0,1]
	v_mov_b32_e32 v23, v32
	v_sub_f32_e32 v21, v24, v34
	v_pk_add_f32 v[22:23], v[22:23], v[34:35] neg_lo:[0,1] neg_hi:[0,1]
	v_sub_f32_e32 v21, v36, v21
	s_mov_b32 s3, 0x7f800000
	v_add_f32_e32 v21, v22, v21
	s_mov_b32 s2, 0x33800000
	v_add_f32_e32 v21, v21, v23
	v_cmp_eq_f32_e64 s[60:61], s3, v31
	v_cmp_lt_f32_e64 s[62:63], |v31|, s2
	v_add_f32_e32 v21, v26, v21
	s_or_b64 s[60:61], s[60:61], s[62:63]
	v_cndmask_b32_e64 v21, v21, v31, s[60:61]
	v_add_f32_e32 v20, v20, v21
	v_cvt_f16_f32_e32 v31, v20
	v_cvt_f32_f16_e32 v33, v31
	v_mov_b32_e32 v32, v31
.LBB411_62:
	s_or_b64 exec, exec, s[0:1]
	v_cvt_f32_f16_sdwa v20, v5 dst_sel:DWORD dst_unused:UNUSED_PAD src0_sel:WORD_1
	v_max_f32_e32 v22, v33, v33
	v_cmp_u_f16_e64 s[62:63], v31, v31
	v_cmp_u_f16_sdwa s[60:61], v5, v5 src0_sel:WORD_1 src1_sel:WORD_1
	v_min_f32_e32 v21, v22, v20
	v_max_f32_e32 v5, v22, v20
	v_cndmask_b32_e64 v21, v21, v33, s[62:63]
	v_cndmask_b32_e64 v5, v5, v33, s[62:63]
	;; [unrolled: 1-line block ×4, first 2 shown]
	v_cmp_neq_f32_e64 s[62:63], v21, v5
	v_cmp_class_f32_e64 s[0:1], v21, s33
	s_or_b64 s[62:63], s[62:63], s[0:1]
	s_and_saveexec_b64 s[0:1], s[62:63]
	s_cbranch_execz .LBB411_64
; %bb.63:
	v_sub_f32_e32 v21, v21, v5
	s_mov_b32 s2, 0x3fb8aa3b
	v_mul_f32_e32 v22, 0x3fb8aa3b, v21
	v_fma_f32 v23, v21, s2, -v22
	v_rndne_f32_e32 v24, v22
	v_fmac_f32_e32 v23, 0x32a5705f, v21
	v_sub_f32_e32 v22, v22, v24
	v_add_f32_e32 v22, v22, v23
	v_exp_f32_e32 v22, v22
	v_cvt_i32_f32_e32 v23, v24
	s_mov_b32 s2, 0xc2ce8ed0
	v_cmp_ngt_f32_e64 s[62:63], s2, v21
	s_mov_b32 s2, 0x42b17218
	v_ldexp_f32 v22, v22, v23
	v_cndmask_b32_e64 v22, 0, v22, s[62:63]
	v_mov_b32_e32 v23, 0x7f800000
	v_cmp_nlt_f32_e64 s[62:63], s2, v21
	v_cndmask_b32_e64 v31, v23, v22, s[62:63]
	v_add_f32_e32 v21, 1.0, v31
	v_add_f32_e32 v22, -1.0, v21
	v_sub_f32_e32 v23, v22, v21
	v_add_f32_e32 v23, 1.0, v23
	v_sub_f32_e32 v22, v31, v22
	v_add_f32_e32 v24, v22, v23
	v_frexp_mant_f32_e32 v25, v21
	s_mov_b32 s2, 0x3f2aaaab
	v_cvt_f64_f32_e32 v[22:23], v21
	v_frexp_exp_i32_f64_e32 v22, v[22:23]
	v_cmp_gt_f32_e64 s[62:63], s2, v25
	v_subbrev_co_u32_e64 v28, s[62:63], 0, v22, s[62:63]
	v_sub_u32_e32 v22, 0, v28
	v_ldexp_f32 v21, v21, v22
	v_ldexp_f32 v22, v24, v22
	v_add_f32_e32 v24, -1.0, v21
	v_add_f32_e32 v23, 1.0, v24
	v_sub_f32_e32 v23, v21, v23
	v_add_f32_e32 v25, v22, v23
	v_add_f32_e32 v23, 1.0, v21
	v_add_f32_e32 v26, -1.0, v23
	v_sub_f32_e32 v21, v21, v26
	v_add_f32_e32 v21, v22, v21
	v_add_f32_e32 v34, v23, v21
	v_rcp_f32_e32 v35, v34
	v_sub_f32_e32 v22, v23, v34
	v_add_f32_e32 v23, v24, v25
	v_add_f32_e32 v21, v21, v22
	v_mul_f32_e32 v37, v23, v35
	v_sub_f32_e32 v22, v24, v23
	v_mul_f32_e32 v24, v34, v37
	v_fma_f32 v26, v37, v34, -v24
	v_fmac_f32_e32 v26, v37, v21
	v_add_f32_e32 v36, v25, v22
	v_add_f32_e32 v22, v24, v26
	v_sub_f32_e32 v25, v23, v22
	v_pk_add_f32 v[32:33], v[22:23], v[24:25] neg_lo:[0,1] neg_hi:[0,1]
	v_mov_b32_e32 v27, v22
	v_pk_add_f32 v[22:23], v[32:33], v[26:27] neg_lo:[0,1] neg_hi:[0,1]
	v_add_f32_e32 v23, v36, v23
	v_add_f32_e32 v22, v22, v23
	;; [unrolled: 1-line block ×3, first 2 shown]
	v_mul_f32_e32 v36, v35, v23
	v_mul_f32_e32 v24, v34, v36
	v_fma_f32 v26, v36, v34, -v24
	v_fmac_f32_e32 v26, v36, v21
	v_sub_f32_e32 v21, v25, v23
	v_add_f32_e32 v21, v22, v21
	v_add_f32_e32 v22, v24, v26
	v_sub_f32_e32 v25, v23, v22
	v_pk_add_f32 v[32:33], v[22:23], v[24:25] neg_lo:[0,1] neg_hi:[0,1]
	v_mov_b32_e32 v27, v22
	v_pk_add_f32 v[22:23], v[32:33], v[26:27] neg_lo:[0,1] neg_hi:[0,1]
	v_add_f32_e32 v21, v21, v23
	v_add_f32_e32 v21, v22, v21
	;; [unrolled: 1-line block ×4, first 2 shown]
	v_sub_f32_e32 v23, v22, v37
	v_mul_f32_e32 v21, v35, v21
	v_sub_f32_e32 v23, v36, v23
	v_add_f32_e32 v21, v23, v21
	v_add_f32_e32 v25, v22, v21
	v_mul_f32_e32 v26, v25, v25
	v_mov_b32_e32 v24, 0x3ecc95a3
	v_fmac_f32_e32 v24, 0x3e9b6dac, v26
	v_mov_b32_e32 v23, 0x3f2aaada
	v_fmac_f32_e32 v23, v26, v24
	v_cvt_f32_i32_e32 v24, v28
	v_sub_f32_e32 v22, v25, v22
	v_sub_f32_e32 v21, v21, v22
	v_ldexp_f32 v27, v25, 1
	v_mul_f32_e32 v25, v25, v26
	v_mov_b32_e32 v22, 0x3f317218
	s_mov_b32 s2, 0x3f317218
	v_pk_mul_f32 v[22:23], v[24:25], v[22:23]
	v_fma_f32 v26, v24, s2, -v22
	v_fmac_f32_e32 v26, 0xb102e308, v24
	v_pk_add_f32 v[24:25], v[22:23], v[26:27]
	v_sub_f32_e32 v27, v25, v27
	v_ldexp_f32 v21, v21, 1
	v_sub_f32_e32 v27, v23, v27
	v_add_f32_e32 v33, v21, v27
	v_mov_b32_e32 v32, v22
	v_pk_add_f32 v[22:23], v[24:25], v[22:23] neg_lo:[0,1] neg_hi:[0,1]
	v_pk_add_f32 v[34:35], v[24:25], v[32:33]
	v_mov_b32_e32 v23, v35
	v_mov_b32_e32 v27, v24
	v_pk_add_f32 v[36:37], v[26:27], v[22:23] neg_lo:[0,1] neg_hi:[0,1]
	v_pk_add_f32 v[22:23], v[26:27], v[22:23]
	v_mov_b32_e32 v26, v23
	v_pk_add_f32 v[38:39], v[26:27], v[24:25] neg_lo:[0,1] neg_hi:[0,1]
	v_mov_b32_e32 v21, v38
	v_pk_add_f32 v[40:41], v[34:35], v[20:21] neg_lo:[0,1] neg_hi:[0,1]
	v_mov_b32_e32 v22, v35
	v_mov_b32_e32 v34, v25
	;; [unrolled: 1-line block ×4, first 2 shown]
	v_pk_add_f32 v[22:23], v[22:23], v[34:35] neg_lo:[0,1] neg_hi:[0,1]
	v_mov_b32_e32 v32, v33
	v_mov_b32_e32 v33, v24
	v_pk_add_f32 v[22:23], v[32:33], v[22:23] neg_lo:[0,1] neg_hi:[0,1]
	v_mov_b32_e32 v40, v36
	v_pk_add_f32 v[24:25], v[40:41], v[22:23]
	v_mov_b32_e32 v28, v25
	v_pk_add_f32 v[32:33], v[24:25], v[28:29]
	v_pk_add_f32 v[26:27], v[26:27], v[32:33]
	v_mov_b32_e32 v25, v26
	v_pk_add_f32 v[34:35], v[24:25], v[36:37] neg_lo:[0,1] neg_hi:[0,1]
	v_mov_b32_e32 v23, v32
	v_sub_f32_e32 v21, v24, v34
	v_pk_add_f32 v[22:23], v[22:23], v[34:35] neg_lo:[0,1] neg_hi:[0,1]
	v_sub_f32_e32 v21, v36, v21
	s_mov_b32 s3, 0x7f800000
	v_add_f32_e32 v21, v22, v21
	s_mov_b32 s2, 0x33800000
	v_add_f32_e32 v21, v21, v23
	v_cmp_eq_f32_e64 s[62:63], s3, v31
	v_cmp_lt_f32_e64 s[64:65], |v31|, s2
	v_add_f32_e32 v21, v26, v21
	s_or_b64 s[62:63], s[62:63], s[64:65]
	v_cndmask_b32_e64 v21, v21, v31, s[62:63]
	v_add_f32_e32 v5, v5, v21
	v_cvt_f16_f32_e32 v31, v5
	v_cvt_f32_f16_e32 v33, v31
	v_mov_b32_e32 v32, v31
.LBB411_64:
	s_or_b64 exec, exec, s[0:1]
	v_cvt_f32_f16_e32 v5, v10
	v_max_f32_e32 v21, v33, v33
	v_cmp_u_f16_e64 s[64:65], v31, v31
	v_cmp_u_f16_e64 s[62:63], v10, v10
	v_min_f32_e32 v22, v21, v5
	v_max_f32_e32 v21, v21, v5
	v_cndmask_b32_e64 v22, v22, v33, s[64:65]
	v_cndmask_b32_e64 v21, v21, v33, s[64:65]
	;; [unrolled: 1-line block ×4, first 2 shown]
	v_cmp_neq_f32_e64 s[64:65], v22, v21
	v_cmp_class_f32_e64 s[0:1], v22, s33
	s_or_b64 s[64:65], s[64:65], s[0:1]
	s_and_saveexec_b64 s[0:1], s[64:65]
	s_cbranch_execz .LBB411_66
; %bb.65:
	v_sub_f32_e32 v22, v22, v21
	s_mov_b32 s2, 0x3fb8aa3b
	v_mul_f32_e32 v23, 0x3fb8aa3b, v22
	v_fma_f32 v24, v22, s2, -v23
	v_rndne_f32_e32 v25, v23
	v_fmac_f32_e32 v24, 0x32a5705f, v22
	v_sub_f32_e32 v23, v23, v25
	v_add_f32_e32 v23, v23, v24
	v_exp_f32_e32 v23, v23
	v_cvt_i32_f32_e32 v24, v25
	s_mov_b32 s2, 0xc2ce8ed0
	v_cmp_ngt_f32_e64 s[64:65], s2, v22
	s_mov_b32 s2, 0x42b17218
	v_ldexp_f32 v23, v23, v24
	v_cndmask_b32_e64 v23, 0, v23, s[64:65]
	v_mov_b32_e32 v24, 0x7f800000
	v_cmp_nlt_f32_e64 s[64:65], s2, v22
	v_cndmask_b32_e64 v31, v24, v23, s[64:65]
	v_add_f32_e32 v24, 1.0, v31
	v_add_f32_e32 v22, -1.0, v24
	v_sub_f32_e32 v23, v22, v24
	v_add_f32_e32 v23, 1.0, v23
	v_sub_f32_e32 v22, v31, v22
	v_add_f32_e32 v25, v22, v23
	v_frexp_mant_f32_e32 v26, v24
	s_mov_b32 s2, 0x3f2aaaab
	v_cvt_f64_f32_e32 v[22:23], v24
	v_frexp_exp_i32_f64_e32 v22, v[22:23]
	v_cmp_gt_f32_e64 s[64:65], s2, v26
	v_subbrev_co_u32_e64 v28, s[64:65], 0, v22, s[64:65]
	v_sub_u32_e32 v22, 0, v28
	v_ldexp_f32 v23, v24, v22
	v_add_f32_e32 v24, -1.0, v23
	v_add_f32_e32 v26, 1.0, v23
	v_ldexp_f32 v22, v25, v22
	v_add_f32_e32 v25, 1.0, v24
	v_add_f32_e32 v27, -1.0, v26
	v_sub_f32_e32 v25, v23, v25
	v_sub_f32_e32 v23, v23, v27
	v_add_f32_e32 v25, v22, v25
	v_add_f32_e32 v22, v22, v23
	;; [unrolled: 1-line block ×3, first 2 shown]
	v_rcp_f32_e32 v36, v34
	v_sub_f32_e32 v23, v26, v34
	v_add_f32_e32 v35, v22, v23
	v_add_f32_e32 v23, v24, v25
	v_mul_f32_e32 v38, v23, v36
	v_sub_f32_e32 v22, v24, v23
	v_mul_f32_e32 v24, v34, v38
	v_fma_f32 v26, v38, v34, -v24
	v_fmac_f32_e32 v26, v38, v35
	v_add_f32_e32 v37, v25, v22
	v_add_f32_e32 v22, v24, v26
	v_sub_f32_e32 v25, v23, v22
	v_pk_add_f32 v[32:33], v[22:23], v[24:25] neg_lo:[0,1] neg_hi:[0,1]
	v_mov_b32_e32 v27, v22
	v_pk_add_f32 v[22:23], v[32:33], v[26:27] neg_lo:[0,1] neg_hi:[0,1]
	v_add_f32_e32 v23, v37, v23
	v_add_f32_e32 v22, v22, v23
	;; [unrolled: 1-line block ×3, first 2 shown]
	v_mul_f32_e32 v37, v36, v23
	v_mul_f32_e32 v24, v34, v37
	v_fma_f32 v26, v37, v34, -v24
	v_fmac_f32_e32 v26, v37, v35
	v_sub_f32_e32 v25, v25, v23
	v_add_f32_e32 v34, v22, v25
	v_add_f32_e32 v22, v24, v26
	v_sub_f32_e32 v25, v23, v22
	v_pk_add_f32 v[32:33], v[22:23], v[24:25] neg_lo:[0,1] neg_hi:[0,1]
	v_mov_b32_e32 v27, v22
	v_pk_add_f32 v[22:23], v[32:33], v[26:27] neg_lo:[0,1] neg_hi:[0,1]
	v_add_f32_e32 v23, v34, v23
	v_add_f32_e32 v22, v22, v23
	;; [unrolled: 1-line block ×4, first 2 shown]
	v_sub_f32_e32 v23, v25, v38
	v_mul_f32_e32 v22, v36, v22
	v_sub_f32_e32 v23, v37, v23
	v_add_f32_e32 v22, v23, v22
	v_add_f32_e32 v26, v25, v22
	v_mul_f32_e32 v32, v26, v26
	v_mov_b32_e32 v24, 0x3ecc95a3
	v_fmac_f32_e32 v24, 0x3e9b6dac, v32
	v_mov_b32_e32 v23, 0x3f2aaada
	v_fmac_f32_e32 v23, v32, v24
	v_cvt_f32_i32_e32 v24, v28
	v_sub_f32_e32 v25, v26, v25
	v_sub_f32_e32 v22, v22, v25
	v_ldexp_f32 v28, v22, 1
	v_mul_f32_e32 v25, v26, v32
	v_mov_b32_e32 v22, 0x3f317218
	s_mov_b32 s2, 0x3f317218
	v_pk_mul_f32 v[22:23], v[24:25], v[22:23]
	v_ldexp_f32 v27, v26, 1
	v_fma_f32 v26, v24, s2, -v22
	v_fmac_f32_e32 v26, 0xb102e308, v24
	v_pk_add_f32 v[24:25], v[22:23], v[26:27]
	v_sub_f32_e32 v27, v25, v27
	v_sub_f32_e32 v27, v23, v27
	v_add_f32_e32 v33, v28, v27
	v_mov_b32_e32 v32, v22
	v_pk_add_f32 v[22:23], v[24:25], v[22:23] neg_lo:[0,1] neg_hi:[0,1]
	v_pk_add_f32 v[34:35], v[24:25], v[32:33]
	v_mov_b32_e32 v23, v35
	v_mov_b32_e32 v27, v24
	v_pk_add_f32 v[36:37], v[26:27], v[22:23] neg_lo:[0,1] neg_hi:[0,1]
	v_pk_add_f32 v[22:23], v[26:27], v[22:23]
	v_mov_b32_e32 v26, v23
	v_pk_add_f32 v[38:39], v[26:27], v[24:25] neg_lo:[0,1] neg_hi:[0,1]
	v_mov_b32_e32 v27, v38
	v_pk_add_f32 v[40:41], v[34:35], v[26:27] neg_lo:[0,1] neg_hi:[0,1]
	v_mov_b32_e32 v22, v35
	v_mov_b32_e32 v34, v25
	;; [unrolled: 1-line block ×4, first 2 shown]
	v_pk_add_f32 v[22:23], v[22:23], v[34:35] neg_lo:[0,1] neg_hi:[0,1]
	v_mov_b32_e32 v32, v33
	v_mov_b32_e32 v33, v24
	v_pk_add_f32 v[22:23], v[32:33], v[22:23] neg_lo:[0,1] neg_hi:[0,1]
	v_mov_b32_e32 v40, v36
	v_pk_add_f32 v[24:25], v[40:41], v[22:23]
	v_mov_b32_e32 v28, v25
	v_pk_add_f32 v[32:33], v[24:25], v[28:29]
	v_pk_add_f32 v[26:27], v[26:27], v[32:33]
	v_mov_b32_e32 v25, v26
	v_pk_add_f32 v[34:35], v[24:25], v[36:37] neg_lo:[0,1] neg_hi:[0,1]
	v_mov_b32_e32 v23, v32
	v_sub_f32_e32 v24, v24, v34
	v_pk_add_f32 v[22:23], v[22:23], v[34:35] neg_lo:[0,1] neg_hi:[0,1]
	v_sub_f32_e32 v24, v36, v24
	s_mov_b32 s3, 0x7f800000
	v_add_f32_e32 v22, v22, v24
	s_mov_b32 s2, 0x33800000
	v_add_f32_e32 v22, v22, v23
	v_cmp_eq_f32_e64 s[64:65], s3, v31
	v_cmp_lt_f32_e64 s[66:67], |v31|, s2
	v_add_f32_e32 v22, v26, v22
	s_or_b64 s[64:65], s[64:65], s[66:67]
	v_cndmask_b32_e64 v22, v22, v31, s[64:65]
	v_add_f32_e32 v21, v21, v22
	v_cvt_f16_f32_e32 v31, v21
	v_cvt_f32_f16_e32 v33, v31
	v_mov_b32_e32 v32, v31
.LBB411_66:
	s_or_b64 exec, exec, s[0:1]
	v_cvt_f32_f16_sdwa v21, v10 dst_sel:DWORD dst_unused:UNUSED_PAD src0_sel:WORD_1
	v_max_f32_e32 v23, v33, v33
	v_cmp_u_f16_e64 s[66:67], v31, v31
	v_cmp_u_f16_sdwa s[64:65], v10, v10 src0_sel:WORD_1 src1_sel:WORD_1
	v_min_f32_e32 v22, v23, v21
	v_max_f32_e32 v10, v23, v21
	v_cndmask_b32_e64 v22, v22, v33, s[66:67]
	v_cndmask_b32_e64 v10, v10, v33, s[66:67]
	;; [unrolled: 1-line block ×4, first 2 shown]
	v_cmp_neq_f32_e64 s[66:67], v22, v10
	v_cmp_class_f32_e64 s[0:1], v22, s33
	s_or_b64 s[66:67], s[66:67], s[0:1]
	s_and_saveexec_b64 s[0:1], s[66:67]
	s_cbranch_execz .LBB411_68
; %bb.67:
	v_sub_f32_e32 v22, v22, v10
	s_mov_b32 s2, 0x3fb8aa3b
	v_mul_f32_e32 v23, 0x3fb8aa3b, v22
	v_fma_f32 v24, v22, s2, -v23
	v_rndne_f32_e32 v25, v23
	v_fmac_f32_e32 v24, 0x32a5705f, v22
	v_sub_f32_e32 v23, v23, v25
	v_add_f32_e32 v23, v23, v24
	v_exp_f32_e32 v23, v23
	v_cvt_i32_f32_e32 v24, v25
	s_mov_b32 s2, 0xc2ce8ed0
	v_cmp_ngt_f32_e64 s[66:67], s2, v22
	s_mov_b32 s2, 0x42b17218
	v_ldexp_f32 v23, v23, v24
	v_cndmask_b32_e64 v23, 0, v23, s[66:67]
	v_mov_b32_e32 v24, 0x7f800000
	v_cmp_nlt_f32_e64 s[66:67], s2, v22
	v_cndmask_b32_e64 v31, v24, v23, s[66:67]
	v_add_f32_e32 v24, 1.0, v31
	v_add_f32_e32 v22, -1.0, v24
	v_sub_f32_e32 v23, v22, v24
	v_add_f32_e32 v23, 1.0, v23
	v_sub_f32_e32 v22, v31, v22
	v_add_f32_e32 v25, v22, v23
	v_frexp_mant_f32_e32 v26, v24
	s_mov_b32 s2, 0x3f2aaaab
	v_cvt_f64_f32_e32 v[22:23], v24
	v_frexp_exp_i32_f64_e32 v22, v[22:23]
	v_cmp_gt_f32_e64 s[66:67], s2, v26
	v_subbrev_co_u32_e64 v28, s[66:67], 0, v22, s[66:67]
	v_sub_u32_e32 v22, 0, v28
	v_ldexp_f32 v23, v24, v22
	v_add_f32_e32 v24, -1.0, v23
	v_add_f32_e32 v26, 1.0, v23
	v_ldexp_f32 v22, v25, v22
	v_add_f32_e32 v25, 1.0, v24
	v_add_f32_e32 v27, -1.0, v26
	v_sub_f32_e32 v25, v23, v25
	v_sub_f32_e32 v23, v23, v27
	v_add_f32_e32 v25, v22, v25
	v_add_f32_e32 v22, v22, v23
	;; [unrolled: 1-line block ×3, first 2 shown]
	v_rcp_f32_e32 v36, v34
	v_sub_f32_e32 v23, v26, v34
	v_add_f32_e32 v35, v22, v23
	v_add_f32_e32 v23, v24, v25
	v_mul_f32_e32 v38, v23, v36
	v_sub_f32_e32 v22, v24, v23
	v_mul_f32_e32 v24, v34, v38
	v_fma_f32 v26, v38, v34, -v24
	v_fmac_f32_e32 v26, v38, v35
	v_add_f32_e32 v37, v25, v22
	v_add_f32_e32 v22, v24, v26
	v_sub_f32_e32 v25, v23, v22
	v_pk_add_f32 v[32:33], v[22:23], v[24:25] neg_lo:[0,1] neg_hi:[0,1]
	v_mov_b32_e32 v27, v22
	v_pk_add_f32 v[22:23], v[32:33], v[26:27] neg_lo:[0,1] neg_hi:[0,1]
	v_add_f32_e32 v23, v37, v23
	v_add_f32_e32 v22, v22, v23
	;; [unrolled: 1-line block ×3, first 2 shown]
	v_mul_f32_e32 v37, v36, v23
	v_mul_f32_e32 v24, v34, v37
	v_fma_f32 v26, v37, v34, -v24
	v_fmac_f32_e32 v26, v37, v35
	v_sub_f32_e32 v25, v25, v23
	v_add_f32_e32 v34, v22, v25
	v_add_f32_e32 v22, v24, v26
	v_sub_f32_e32 v25, v23, v22
	v_pk_add_f32 v[32:33], v[22:23], v[24:25] neg_lo:[0,1] neg_hi:[0,1]
	v_mov_b32_e32 v27, v22
	v_pk_add_f32 v[22:23], v[32:33], v[26:27] neg_lo:[0,1] neg_hi:[0,1]
	v_add_f32_e32 v23, v34, v23
	v_add_f32_e32 v22, v22, v23
	;; [unrolled: 1-line block ×4, first 2 shown]
	v_sub_f32_e32 v23, v25, v38
	v_mul_f32_e32 v22, v36, v22
	v_sub_f32_e32 v23, v37, v23
	v_add_f32_e32 v22, v23, v22
	v_add_f32_e32 v26, v25, v22
	v_mul_f32_e32 v32, v26, v26
	v_mov_b32_e32 v24, 0x3ecc95a3
	v_fmac_f32_e32 v24, 0x3e9b6dac, v32
	v_mov_b32_e32 v23, 0x3f2aaada
	v_fmac_f32_e32 v23, v32, v24
	v_cvt_f32_i32_e32 v24, v28
	v_sub_f32_e32 v25, v26, v25
	v_sub_f32_e32 v22, v22, v25
	v_ldexp_f32 v28, v22, 1
	v_mul_f32_e32 v25, v26, v32
	v_mov_b32_e32 v22, 0x3f317218
	s_mov_b32 s2, 0x3f317218
	v_pk_mul_f32 v[22:23], v[24:25], v[22:23]
	v_ldexp_f32 v27, v26, 1
	v_fma_f32 v26, v24, s2, -v22
	v_fmac_f32_e32 v26, 0xb102e308, v24
	v_pk_add_f32 v[24:25], v[22:23], v[26:27]
	v_sub_f32_e32 v27, v25, v27
	v_sub_f32_e32 v27, v23, v27
	v_add_f32_e32 v33, v28, v27
	v_mov_b32_e32 v32, v22
	v_pk_add_f32 v[22:23], v[24:25], v[22:23] neg_lo:[0,1] neg_hi:[0,1]
	v_pk_add_f32 v[34:35], v[24:25], v[32:33]
	v_mov_b32_e32 v23, v35
	v_mov_b32_e32 v27, v24
	v_pk_add_f32 v[36:37], v[26:27], v[22:23] neg_lo:[0,1] neg_hi:[0,1]
	v_pk_add_f32 v[22:23], v[26:27], v[22:23]
	v_mov_b32_e32 v26, v23
	v_pk_add_f32 v[38:39], v[26:27], v[24:25] neg_lo:[0,1] neg_hi:[0,1]
	v_mov_b32_e32 v27, v38
	v_pk_add_f32 v[40:41], v[34:35], v[26:27] neg_lo:[0,1] neg_hi:[0,1]
	v_mov_b32_e32 v22, v35
	v_mov_b32_e32 v34, v25
	;; [unrolled: 1-line block ×4, first 2 shown]
	v_pk_add_f32 v[22:23], v[22:23], v[34:35] neg_lo:[0,1] neg_hi:[0,1]
	v_mov_b32_e32 v32, v33
	v_mov_b32_e32 v33, v24
	v_pk_add_f32 v[22:23], v[32:33], v[22:23] neg_lo:[0,1] neg_hi:[0,1]
	v_mov_b32_e32 v40, v36
	v_pk_add_f32 v[24:25], v[40:41], v[22:23]
	v_mov_b32_e32 v28, v25
	v_pk_add_f32 v[32:33], v[24:25], v[28:29]
	v_pk_add_f32 v[26:27], v[26:27], v[32:33]
	v_mov_b32_e32 v25, v26
	v_pk_add_f32 v[34:35], v[24:25], v[36:37] neg_lo:[0,1] neg_hi:[0,1]
	v_mov_b32_e32 v23, v32
	v_sub_f32_e32 v24, v24, v34
	v_pk_add_f32 v[22:23], v[22:23], v[34:35] neg_lo:[0,1] neg_hi:[0,1]
	v_sub_f32_e32 v24, v36, v24
	s_mov_b32 s3, 0x7f800000
	v_add_f32_e32 v22, v22, v24
	s_mov_b32 s2, 0x33800000
	v_add_f32_e32 v22, v22, v23
	v_cmp_eq_f32_e64 s[66:67], s3, v31
	v_cmp_lt_f32_e64 s[68:69], |v31|, s2
	v_add_f32_e32 v22, v26, v22
	s_or_b64 s[66:67], s[66:67], s[68:69]
	v_cndmask_b32_e64 v22, v22, v31, s[66:67]
	v_add_f32_e32 v10, v10, v22
	v_cvt_f16_f32_e32 v31, v10
	v_cvt_f32_f16_e32 v33, v31
	v_mov_b32_e32 v32, v31
.LBB411_68:
	s_or_b64 exec, exec, s[0:1]
	v_cvt_f32_f16_e32 v10, v11
	v_max_f32_e32 v22, v33, v33
	v_cmp_u_f16_e64 s[68:69], v31, v31
	v_cmp_u_f16_e64 s[66:67], v11, v11
	v_min_f32_e32 v23, v22, v10
	v_max_f32_e32 v22, v22, v10
	v_cndmask_b32_e64 v23, v23, v33, s[68:69]
	v_cndmask_b32_e64 v22, v22, v33, s[68:69]
	;; [unrolled: 1-line block ×4, first 2 shown]
	v_cmp_neq_f32_e64 s[68:69], v23, v22
	v_cmp_class_f32_e64 s[0:1], v23, s33
	s_or_b64 s[68:69], s[68:69], s[0:1]
	s_and_saveexec_b64 s[0:1], s[68:69]
	s_cbranch_execz .LBB411_70
; %bb.69:
	v_sub_f32_e32 v23, v23, v22
	s_mov_b32 s2, 0x3fb8aa3b
	v_mul_f32_e32 v24, 0x3fb8aa3b, v23
	v_fma_f32 v25, v23, s2, -v24
	v_rndne_f32_e32 v26, v24
	v_fmac_f32_e32 v25, 0x32a5705f, v23
	v_sub_f32_e32 v24, v24, v26
	v_add_f32_e32 v24, v24, v25
	v_exp_f32_e32 v24, v24
	v_cvt_i32_f32_e32 v25, v26
	s_mov_b32 s2, 0xc2ce8ed0
	v_cmp_ngt_f32_e64 s[68:69], s2, v23
	s_mov_b32 s2, 0x42b17218
	v_ldexp_f32 v24, v24, v25
	v_cndmask_b32_e64 v24, 0, v24, s[68:69]
	v_mov_b32_e32 v25, 0x7f800000
	v_cmp_nlt_f32_e64 s[68:69], s2, v23
	v_cndmask_b32_e64 v31, v25, v24, s[68:69]
	v_add_f32_e32 v23, 1.0, v31
	v_add_f32_e32 v24, -1.0, v23
	v_sub_f32_e32 v25, v24, v23
	v_add_f32_e32 v25, 1.0, v25
	v_sub_f32_e32 v24, v31, v24
	v_add_f32_e32 v26, v24, v25
	v_frexp_mant_f32_e32 v27, v23
	s_mov_b32 s2, 0x3f2aaaab
	v_cvt_f64_f32_e32 v[24:25], v23
	v_frexp_exp_i32_f64_e32 v24, v[24:25]
	v_cmp_gt_f32_e64 s[68:69], s2, v27
	v_subbrev_co_u32_e64 v28, s[68:69], 0, v24, s[68:69]
	v_sub_u32_e32 v24, 0, v28
	v_ldexp_f32 v23, v23, v24
	v_ldexp_f32 v24, v26, v24
	v_add_f32_e32 v26, -1.0, v23
	v_add_f32_e32 v25, 1.0, v26
	v_sub_f32_e32 v25, v23, v25
	v_add_f32_e32 v27, v24, v25
	v_add_f32_e32 v25, 1.0, v23
	v_add_f32_e32 v32, -1.0, v25
	v_sub_f32_e32 v23, v23, v32
	v_add_f32_e32 v23, v24, v23
	v_add_f32_e32 v36, v25, v23
	v_rcp_f32_e32 v37, v36
	v_sub_f32_e32 v24, v25, v36
	v_add_f32_e32 v25, v26, v27
	v_add_f32_e32 v23, v23, v24
	v_mul_f32_e32 v39, v25, v37
	v_sub_f32_e32 v24, v26, v25
	v_mul_f32_e32 v26, v36, v39
	v_fma_f32 v32, v39, v36, -v26
	v_fmac_f32_e32 v32, v39, v23
	v_add_f32_e32 v38, v27, v24
	v_add_f32_e32 v24, v26, v32
	v_sub_f32_e32 v27, v25, v24
	v_pk_add_f32 v[34:35], v[24:25], v[26:27] neg_lo:[0,1] neg_hi:[0,1]
	v_mov_b32_e32 v33, v24
	v_pk_add_f32 v[24:25], v[34:35], v[32:33] neg_lo:[0,1] neg_hi:[0,1]
	v_add_f32_e32 v25, v38, v25
	v_add_f32_e32 v24, v24, v25
	;; [unrolled: 1-line block ×3, first 2 shown]
	v_mul_f32_e32 v38, v37, v25
	v_mul_f32_e32 v26, v36, v38
	v_fma_f32 v32, v38, v36, -v26
	v_fmac_f32_e32 v32, v38, v23
	v_sub_f32_e32 v23, v27, v25
	v_add_f32_e32 v23, v24, v23
	v_add_f32_e32 v24, v26, v32
	v_sub_f32_e32 v27, v25, v24
	v_pk_add_f32 v[34:35], v[24:25], v[26:27] neg_lo:[0,1] neg_hi:[0,1]
	v_mov_b32_e32 v33, v24
	v_pk_add_f32 v[24:25], v[34:35], v[32:33] neg_lo:[0,1] neg_hi:[0,1]
	v_add_f32_e32 v23, v23, v25
	v_add_f32_e32 v23, v24, v23
	;; [unrolled: 1-line block ×4, first 2 shown]
	v_sub_f32_e32 v25, v24, v39
	v_mul_f32_e32 v23, v37, v23
	v_sub_f32_e32 v25, v38, v25
	v_add_f32_e32 v23, v25, v23
	v_add_f32_e32 v27, v24, v23
	v_mul_f32_e32 v32, v27, v27
	v_mov_b32_e32 v26, 0x3ecc95a3
	v_fmac_f32_e32 v26, 0x3e9b6dac, v32
	v_mov_b32_e32 v25, 0x3f2aaada
	v_fmac_f32_e32 v25, v32, v26
	v_cvt_f32_i32_e32 v26, v28
	v_sub_f32_e32 v24, v27, v24
	v_sub_f32_e32 v23, v23, v24
	v_ldexp_f32 v33, v27, 1
	v_mul_f32_e32 v27, v27, v32
	v_mov_b32_e32 v24, 0x3f317218
	s_mov_b32 s2, 0x3f317218
	v_pk_mul_f32 v[24:25], v[26:27], v[24:25]
	v_fma_f32 v32, v26, s2, -v24
	v_fmac_f32_e32 v32, 0xb102e308, v26
	v_pk_add_f32 v[26:27], v[24:25], v[32:33]
	v_sub_f32_e32 v28, v27, v33
	v_ldexp_f32 v23, v23, 1
	v_sub_f32_e32 v28, v25, v28
	v_add_f32_e32 v35, v23, v28
	v_mov_b32_e32 v34, v24
	v_pk_add_f32 v[24:25], v[26:27], v[24:25] neg_lo:[0,1] neg_hi:[0,1]
	v_pk_add_f32 v[36:37], v[26:27], v[34:35]
	v_mov_b32_e32 v25, v37
	v_mov_b32_e32 v33, v26
	v_pk_add_f32 v[38:39], v[32:33], v[24:25] neg_lo:[0,1] neg_hi:[0,1]
	v_pk_add_f32 v[24:25], v[32:33], v[24:25]
	v_mov_b32_e32 v28, v25
	v_pk_add_f32 v[32:33], v[28:29], v[26:27] neg_lo:[0,1] neg_hi:[0,1]
	v_mov_b32_e32 v23, v32
	v_pk_add_f32 v[40:41], v[36:37], v[22:23] neg_lo:[0,1] neg_hi:[0,1]
	v_mov_b32_e32 v24, v37
	v_mov_b32_e32 v36, v27
	;; [unrolled: 1-line block ×4, first 2 shown]
	v_pk_add_f32 v[24:25], v[24:25], v[36:37] neg_lo:[0,1] neg_hi:[0,1]
	v_mov_b32_e32 v32, v35
	v_mov_b32_e32 v33, v26
	v_pk_add_f32 v[24:25], v[32:33], v[24:25] neg_lo:[0,1] neg_hi:[0,1]
	v_mov_b32_e32 v40, v38
	v_pk_add_f32 v[26:27], v[40:41], v[24:25]
	v_mov_b32_e32 v32, v27
	v_pk_add_f32 v[32:33], v[26:27], v[32:33]
	v_pk_add_f32 v[34:35], v[28:29], v[32:33]
	v_mov_b32_e32 v27, v34
	v_pk_add_f32 v[36:37], v[26:27], v[38:39] neg_lo:[0,1] neg_hi:[0,1]
	v_mov_b32_e32 v25, v32
	v_sub_f32_e32 v23, v26, v36
	v_pk_add_f32 v[24:25], v[24:25], v[36:37] neg_lo:[0,1] neg_hi:[0,1]
	v_sub_f32_e32 v23, v38, v23
	s_mov_b32 s3, 0x7f800000
	v_add_f32_e32 v23, v24, v23
	s_mov_b32 s2, 0x33800000
	v_add_f32_e32 v23, v23, v25
	v_cmp_eq_f32_e64 s[68:69], s3, v31
	v_cmp_lt_f32_e64 s[70:71], |v31|, s2
	v_add_f32_e32 v23, v34, v23
	s_or_b64 s[68:69], s[68:69], s[70:71]
	v_cndmask_b32_e64 v23, v23, v31, s[68:69]
	v_add_f32_e32 v22, v22, v23
	v_cvt_f16_f32_e32 v31, v22
	v_cvt_f32_f16_e32 v33, v31
	v_mov_b32_e32 v32, v31
.LBB411_70:
	s_or_b64 exec, exec, s[0:1]
	v_cvt_f32_f16_sdwa v22, v11 dst_sel:DWORD dst_unused:UNUSED_PAD src0_sel:WORD_1
	v_max_f32_e32 v24, v33, v33
	v_cmp_u_f16_e64 s[70:71], v31, v31
	v_cmp_u_f16_sdwa s[68:69], v11, v11 src0_sel:WORD_1 src1_sel:WORD_1
	v_min_f32_e32 v23, v24, v22
	v_max_f32_e32 v11, v24, v22
	v_cndmask_b32_e64 v23, v23, v33, s[70:71]
	v_cndmask_b32_e64 v11, v11, v33, s[70:71]
	;; [unrolled: 1-line block ×4, first 2 shown]
	v_cmp_neq_f32_e64 s[70:71], v23, v11
	v_cmp_class_f32_e64 s[0:1], v23, s33
	s_or_b64 s[70:71], s[70:71], s[0:1]
	s_and_saveexec_b64 s[0:1], s[70:71]
	s_cbranch_execz .LBB411_72
; %bb.71:
	v_sub_f32_e32 v23, v23, v11
	s_mov_b32 s2, 0x3fb8aa3b
	v_mul_f32_e32 v24, 0x3fb8aa3b, v23
	v_fma_f32 v25, v23, s2, -v24
	v_rndne_f32_e32 v26, v24
	v_fmac_f32_e32 v25, 0x32a5705f, v23
	v_sub_f32_e32 v24, v24, v26
	v_add_f32_e32 v24, v24, v25
	v_exp_f32_e32 v24, v24
	v_cvt_i32_f32_e32 v25, v26
	s_mov_b32 s2, 0xc2ce8ed0
	v_cmp_ngt_f32_e64 s[70:71], s2, v23
	s_mov_b32 s2, 0x42b17218
	v_ldexp_f32 v24, v24, v25
	v_cndmask_b32_e64 v24, 0, v24, s[70:71]
	v_mov_b32_e32 v25, 0x7f800000
	v_cmp_nlt_f32_e64 s[70:71], s2, v23
	v_cndmask_b32_e64 v31, v25, v24, s[70:71]
	v_add_f32_e32 v23, 1.0, v31
	v_add_f32_e32 v24, -1.0, v23
	v_sub_f32_e32 v25, v24, v23
	v_add_f32_e32 v25, 1.0, v25
	v_sub_f32_e32 v24, v31, v24
	v_add_f32_e32 v26, v24, v25
	v_frexp_mant_f32_e32 v27, v23
	s_mov_b32 s2, 0x3f2aaaab
	v_cvt_f64_f32_e32 v[24:25], v23
	v_frexp_exp_i32_f64_e32 v24, v[24:25]
	v_cmp_gt_f32_e64 s[70:71], s2, v27
	v_subbrev_co_u32_e64 v28, s[70:71], 0, v24, s[70:71]
	v_sub_u32_e32 v24, 0, v28
	v_ldexp_f32 v23, v23, v24
	v_ldexp_f32 v24, v26, v24
	v_add_f32_e32 v26, -1.0, v23
	v_add_f32_e32 v25, 1.0, v26
	v_sub_f32_e32 v25, v23, v25
	v_add_f32_e32 v27, v24, v25
	v_add_f32_e32 v25, 1.0, v23
	v_add_f32_e32 v32, -1.0, v25
	v_sub_f32_e32 v23, v23, v32
	v_add_f32_e32 v23, v24, v23
	v_add_f32_e32 v36, v25, v23
	v_rcp_f32_e32 v37, v36
	v_sub_f32_e32 v24, v25, v36
	v_add_f32_e32 v25, v26, v27
	v_add_f32_e32 v23, v23, v24
	v_mul_f32_e32 v39, v25, v37
	v_sub_f32_e32 v24, v26, v25
	v_mul_f32_e32 v26, v36, v39
	v_fma_f32 v32, v39, v36, -v26
	v_fmac_f32_e32 v32, v39, v23
	v_add_f32_e32 v38, v27, v24
	v_add_f32_e32 v24, v26, v32
	v_sub_f32_e32 v27, v25, v24
	v_pk_add_f32 v[34:35], v[24:25], v[26:27] neg_lo:[0,1] neg_hi:[0,1]
	v_mov_b32_e32 v33, v24
	v_pk_add_f32 v[24:25], v[34:35], v[32:33] neg_lo:[0,1] neg_hi:[0,1]
	v_add_f32_e32 v25, v38, v25
	v_add_f32_e32 v24, v24, v25
	;; [unrolled: 1-line block ×3, first 2 shown]
	v_mul_f32_e32 v38, v37, v25
	v_mul_f32_e32 v26, v36, v38
	v_fma_f32 v32, v38, v36, -v26
	v_fmac_f32_e32 v32, v38, v23
	v_sub_f32_e32 v23, v27, v25
	v_add_f32_e32 v23, v24, v23
	v_add_f32_e32 v24, v26, v32
	v_sub_f32_e32 v27, v25, v24
	v_pk_add_f32 v[34:35], v[24:25], v[26:27] neg_lo:[0,1] neg_hi:[0,1]
	v_mov_b32_e32 v33, v24
	v_pk_add_f32 v[24:25], v[34:35], v[32:33] neg_lo:[0,1] neg_hi:[0,1]
	v_add_f32_e32 v23, v23, v25
	v_add_f32_e32 v23, v24, v23
	;; [unrolled: 1-line block ×4, first 2 shown]
	v_sub_f32_e32 v25, v24, v39
	v_mul_f32_e32 v23, v37, v23
	v_sub_f32_e32 v25, v38, v25
	v_add_f32_e32 v23, v25, v23
	v_add_f32_e32 v27, v24, v23
	v_mul_f32_e32 v32, v27, v27
	v_mov_b32_e32 v26, 0x3ecc95a3
	v_fmac_f32_e32 v26, 0x3e9b6dac, v32
	v_mov_b32_e32 v25, 0x3f2aaada
	v_fmac_f32_e32 v25, v32, v26
	v_cvt_f32_i32_e32 v26, v28
	v_sub_f32_e32 v24, v27, v24
	v_sub_f32_e32 v23, v23, v24
	v_ldexp_f32 v33, v27, 1
	v_mul_f32_e32 v27, v27, v32
	v_mov_b32_e32 v24, 0x3f317218
	s_mov_b32 s2, 0x3f317218
	v_pk_mul_f32 v[24:25], v[26:27], v[24:25]
	v_fma_f32 v32, v26, s2, -v24
	v_fmac_f32_e32 v32, 0xb102e308, v26
	v_pk_add_f32 v[26:27], v[24:25], v[32:33]
	v_sub_f32_e32 v28, v27, v33
	v_ldexp_f32 v23, v23, 1
	v_sub_f32_e32 v28, v25, v28
	v_add_f32_e32 v35, v23, v28
	v_mov_b32_e32 v34, v24
	v_pk_add_f32 v[24:25], v[26:27], v[24:25] neg_lo:[0,1] neg_hi:[0,1]
	v_pk_add_f32 v[36:37], v[26:27], v[34:35]
	v_mov_b32_e32 v25, v37
	v_mov_b32_e32 v33, v26
	v_pk_add_f32 v[38:39], v[32:33], v[24:25] neg_lo:[0,1] neg_hi:[0,1]
	v_pk_add_f32 v[24:25], v[32:33], v[24:25]
	v_mov_b32_e32 v28, v25
	v_pk_add_f32 v[32:33], v[28:29], v[26:27] neg_lo:[0,1] neg_hi:[0,1]
	v_mov_b32_e32 v23, v32
	v_pk_add_f32 v[40:41], v[36:37], v[22:23] neg_lo:[0,1] neg_hi:[0,1]
	v_mov_b32_e32 v24, v37
	v_mov_b32_e32 v36, v27
	;; [unrolled: 1-line block ×4, first 2 shown]
	v_pk_add_f32 v[24:25], v[24:25], v[36:37] neg_lo:[0,1] neg_hi:[0,1]
	v_mov_b32_e32 v32, v35
	v_mov_b32_e32 v33, v26
	v_pk_add_f32 v[24:25], v[32:33], v[24:25] neg_lo:[0,1] neg_hi:[0,1]
	v_mov_b32_e32 v40, v38
	v_pk_add_f32 v[26:27], v[40:41], v[24:25]
	v_mov_b32_e32 v32, v27
	v_pk_add_f32 v[32:33], v[26:27], v[32:33]
	v_pk_add_f32 v[34:35], v[28:29], v[32:33]
	v_mov_b32_e32 v27, v34
	v_pk_add_f32 v[36:37], v[26:27], v[38:39] neg_lo:[0,1] neg_hi:[0,1]
	v_mov_b32_e32 v25, v32
	v_sub_f32_e32 v23, v26, v36
	v_pk_add_f32 v[24:25], v[24:25], v[36:37] neg_lo:[0,1] neg_hi:[0,1]
	v_sub_f32_e32 v23, v38, v23
	s_mov_b32 s3, 0x7f800000
	v_add_f32_e32 v23, v24, v23
	s_mov_b32 s2, 0x33800000
	v_add_f32_e32 v23, v23, v25
	v_cmp_eq_f32_e64 s[70:71], s3, v31
	v_cmp_lt_f32_e64 s[72:73], |v31|, s2
	v_add_f32_e32 v23, v34, v23
	s_or_b64 s[70:71], s[70:71], s[72:73]
	v_cndmask_b32_e64 v23, v23, v31, s[70:71]
	v_add_f32_e32 v11, v11, v23
	v_cvt_f16_f32_e32 v31, v11
	v_cvt_f32_f16_e32 v33, v31
	v_mov_b32_e32 v32, v31
.LBB411_72:
	s_or_b64 exec, exec, s[0:1]
	v_cvt_f32_f16_e32 v11, v12
	v_max_f32_e32 v23, v33, v33
	v_cmp_u_f16_e64 s[72:73], v31, v31
	v_cmp_u_f16_e64 s[70:71], v12, v12
	v_min_f32_e32 v24, v23, v11
	v_max_f32_e32 v23, v23, v11
	v_cndmask_b32_e64 v24, v24, v33, s[72:73]
	v_cndmask_b32_e64 v23, v23, v33, s[72:73]
	v_cndmask_b32_e64 v24, v24, v11, s[70:71]
	v_cndmask_b32_e64 v23, v23, v11, s[70:71]
	v_cmp_neq_f32_e64 s[72:73], v24, v23
	v_cmp_class_f32_e64 s[0:1], v24, s33
	s_or_b64 s[72:73], s[72:73], s[0:1]
	s_and_saveexec_b64 s[0:1], s[72:73]
	s_cbranch_execz .LBB411_74
; %bb.73:
	v_sub_f32_e32 v24, v24, v23
	s_mov_b32 s2, 0x3fb8aa3b
	v_mul_f32_e32 v25, 0x3fb8aa3b, v24
	v_fma_f32 v26, v24, s2, -v25
	v_rndne_f32_e32 v27, v25
	v_fmac_f32_e32 v26, 0x32a5705f, v24
	v_sub_f32_e32 v25, v25, v27
	v_add_f32_e32 v25, v25, v26
	v_exp_f32_e32 v25, v25
	v_cvt_i32_f32_e32 v26, v27
	s_mov_b32 s2, 0xc2ce8ed0
	v_cmp_ngt_f32_e64 s[72:73], s2, v24
	s_mov_b32 s2, 0x42b17218
	v_ldexp_f32 v25, v25, v26
	v_cndmask_b32_e64 v25, 0, v25, s[72:73]
	v_mov_b32_e32 v26, 0x7f800000
	v_cmp_nlt_f32_e64 s[72:73], s2, v24
	v_cndmask_b32_e64 v42, v26, v25, s[72:73]
	v_add_f32_e32 v26, 1.0, v42
	v_add_f32_e32 v24, -1.0, v26
	v_sub_f32_e32 v25, v24, v26
	v_add_f32_e32 v25, 1.0, v25
	v_sub_f32_e32 v24, v42, v24
	v_add_f32_e32 v27, v24, v25
	v_frexp_mant_f32_e32 v28, v26
	s_mov_b32 s2, 0x3f2aaaab
	v_cvt_f64_f32_e32 v[24:25], v26
	v_frexp_exp_i32_f64_e32 v24, v[24:25]
	v_cmp_gt_f32_e64 s[72:73], s2, v28
	v_subbrev_co_u32_e64 v28, s[72:73], 0, v24, s[72:73]
	v_sub_u32_e32 v24, 0, v28
	v_ldexp_f32 v25, v26, v24
	v_add_f32_e32 v26, -1.0, v25
	v_add_f32_e32 v31, 1.0, v25
	v_ldexp_f32 v24, v27, v24
	v_add_f32_e32 v27, 1.0, v26
	v_add_f32_e32 v32, -1.0, v31
	v_sub_f32_e32 v27, v25, v27
	v_sub_f32_e32 v25, v25, v32
	v_add_f32_e32 v27, v24, v27
	v_add_f32_e32 v24, v24, v25
	;; [unrolled: 1-line block ×3, first 2 shown]
	v_rcp_f32_e32 v37, v36
	v_sub_f32_e32 v25, v31, v36
	v_add_f32_e32 v31, v24, v25
	v_add_f32_e32 v25, v26, v27
	v_mul_f32_e32 v39, v25, v37
	v_sub_f32_e32 v24, v26, v25
	v_mul_f32_e32 v26, v36, v39
	v_fma_f32 v32, v39, v36, -v26
	v_fmac_f32_e32 v32, v39, v31
	v_add_f32_e32 v38, v27, v24
	v_add_f32_e32 v24, v26, v32
	v_sub_f32_e32 v27, v25, v24
	v_pk_add_f32 v[34:35], v[24:25], v[26:27] neg_lo:[0,1] neg_hi:[0,1]
	v_mov_b32_e32 v33, v24
	v_pk_add_f32 v[24:25], v[34:35], v[32:33] neg_lo:[0,1] neg_hi:[0,1]
	v_add_f32_e32 v25, v38, v25
	v_add_f32_e32 v24, v24, v25
	;; [unrolled: 1-line block ×3, first 2 shown]
	v_mul_f32_e32 v38, v37, v25
	v_mul_f32_e32 v26, v36, v38
	v_fma_f32 v32, v38, v36, -v26
	v_fmac_f32_e32 v32, v38, v31
	v_sub_f32_e32 v27, v27, v25
	v_add_f32_e32 v31, v24, v27
	v_add_f32_e32 v24, v26, v32
	v_sub_f32_e32 v27, v25, v24
	v_pk_add_f32 v[34:35], v[24:25], v[26:27] neg_lo:[0,1] neg_hi:[0,1]
	v_mov_b32_e32 v33, v24
	v_pk_add_f32 v[24:25], v[34:35], v[32:33] neg_lo:[0,1] neg_hi:[0,1]
	v_add_f32_e32 v25, v31, v25
	v_add_f32_e32 v24, v24, v25
	v_add_f32_e32 v24, v27, v24
	v_add_f32_e32 v27, v39, v38
	v_sub_f32_e32 v25, v27, v39
	v_mul_f32_e32 v24, v37, v24
	v_sub_f32_e32 v25, v38, v25
	v_add_f32_e32 v24, v25, v24
	v_add_f32_e32 v31, v27, v24
	v_mul_f32_e32 v32, v31, v31
	v_mov_b32_e32 v26, 0x3ecc95a3
	v_fmac_f32_e32 v26, 0x3e9b6dac, v32
	v_mov_b32_e32 v25, 0x3f2aaada
	v_fmac_f32_e32 v25, v32, v26
	v_cvt_f32_i32_e32 v26, v28
	v_sub_f32_e32 v27, v31, v27
	v_sub_f32_e32 v24, v24, v27
	v_ldexp_f32 v28, v24, 1
	v_mul_f32_e32 v27, v31, v32
	v_mov_b32_e32 v24, 0x3f317218
	s_mov_b32 s2, 0x3f317218
	v_pk_mul_f32 v[24:25], v[26:27], v[24:25]
	v_fma_f32 v32, v26, s2, -v24
	v_ldexp_f32 v33, v31, 1
	v_fmac_f32_e32 v32, 0xb102e308, v26
	v_pk_add_f32 v[26:27], v[24:25], v[32:33]
	v_sub_f32_e32 v31, v27, v33
	v_sub_f32_e32 v31, v25, v31
	v_add_f32_e32 v35, v28, v31
	v_mov_b32_e32 v34, v24
	v_pk_add_f32 v[24:25], v[26:27], v[24:25] neg_lo:[0,1] neg_hi:[0,1]
	v_pk_add_f32 v[36:37], v[26:27], v[34:35]
	v_mov_b32_e32 v25, v37
	v_mov_b32_e32 v33, v26
	v_pk_add_f32 v[38:39], v[32:33], v[24:25] neg_lo:[0,1] neg_hi:[0,1]
	v_pk_add_f32 v[24:25], v[32:33], v[24:25]
	v_mov_b32_e32 v28, v25
	v_pk_add_f32 v[32:33], v[28:29], v[26:27] neg_lo:[0,1] neg_hi:[0,1]
	v_mov_b32_e32 v31, v32
	v_pk_add_f32 v[40:41], v[36:37], v[30:31] neg_lo:[0,1] neg_hi:[0,1]
	v_mov_b32_e32 v24, v37
	v_mov_b32_e32 v36, v27
	;; [unrolled: 1-line block ×4, first 2 shown]
	v_pk_add_f32 v[24:25], v[24:25], v[36:37] neg_lo:[0,1] neg_hi:[0,1]
	v_mov_b32_e32 v32, v35
	v_mov_b32_e32 v33, v26
	v_pk_add_f32 v[24:25], v[32:33], v[24:25] neg_lo:[0,1] neg_hi:[0,1]
	v_mov_b32_e32 v40, v38
	v_pk_add_f32 v[26:27], v[40:41], v[24:25]
	v_mov_b32_e32 v32, v27
	v_pk_add_f32 v[32:33], v[26:27], v[32:33]
	v_pk_add_f32 v[34:35], v[28:29], v[32:33]
	v_mov_b32_e32 v27, v34
	v_pk_add_f32 v[36:37], v[26:27], v[38:39] neg_lo:[0,1] neg_hi:[0,1]
	v_mov_b32_e32 v25, v32
	v_sub_f32_e32 v26, v26, v36
	v_pk_add_f32 v[24:25], v[24:25], v[36:37] neg_lo:[0,1] neg_hi:[0,1]
	v_sub_f32_e32 v26, v38, v26
	s_mov_b32 s3, 0x7f800000
	v_add_f32_e32 v24, v24, v26
	s_mov_b32 s2, 0x33800000
	v_add_f32_e32 v24, v24, v25
	v_cmp_eq_f32_e64 s[72:73], s3, v42
	v_cmp_lt_f32_e64 s[74:75], |v42|, s2
	v_add_f32_e32 v24, v34, v24
	s_or_b64 s[72:73], s[72:73], s[74:75]
	v_cndmask_b32_e64 v24, v24, v42, s[72:73]
	v_add_f32_e32 v23, v23, v24
	v_cvt_f16_f32_e32 v31, v23
	v_cvt_f32_f16_e32 v33, v31
	v_mov_b32_e32 v32, v31
.LBB411_74:
	s_or_b64 exec, exec, s[0:1]
	v_cvt_f32_f16_sdwa v23, v12 dst_sel:DWORD dst_unused:UNUSED_PAD src0_sel:WORD_1
	v_max_f32_e32 v25, v33, v33
	v_cmp_u_f16_e64 s[74:75], v31, v31
	v_cmp_u_f16_sdwa s[72:73], v12, v12 src0_sel:WORD_1 src1_sel:WORD_1
	v_min_f32_e32 v24, v25, v23
	v_max_f32_e32 v12, v25, v23
	v_cndmask_b32_e64 v24, v24, v33, s[74:75]
	v_cndmask_b32_e64 v12, v12, v33, s[74:75]
	;; [unrolled: 1-line block ×4, first 2 shown]
	v_cmp_neq_f32_e64 s[74:75], v24, v12
	v_cmp_class_f32_e64 s[0:1], v24, s33
	s_or_b64 s[74:75], s[74:75], s[0:1]
	s_and_saveexec_b64 s[0:1], s[74:75]
	s_cbranch_execz .LBB411_76
; %bb.75:
	v_sub_f32_e32 v24, v24, v12
	s_mov_b32 s2, 0x3fb8aa3b
	v_mul_f32_e32 v25, 0x3fb8aa3b, v24
	v_fma_f32 v26, v24, s2, -v25
	v_rndne_f32_e32 v27, v25
	v_fmac_f32_e32 v26, 0x32a5705f, v24
	v_sub_f32_e32 v25, v25, v27
	v_add_f32_e32 v25, v25, v26
	v_exp_f32_e32 v25, v25
	v_cvt_i32_f32_e32 v26, v27
	s_mov_b32 s2, 0xc2ce8ed0
	v_cmp_ngt_f32_e64 s[74:75], s2, v24
	s_mov_b32 s2, 0x42b17218
	v_ldexp_f32 v25, v25, v26
	v_cndmask_b32_e64 v25, 0, v25, s[74:75]
	v_mov_b32_e32 v26, 0x7f800000
	v_cmp_nlt_f32_e64 s[74:75], s2, v24
	v_cndmask_b32_e64 v42, v26, v25, s[74:75]
	v_add_f32_e32 v26, 1.0, v42
	v_add_f32_e32 v24, -1.0, v26
	v_sub_f32_e32 v25, v24, v26
	v_add_f32_e32 v25, 1.0, v25
	v_sub_f32_e32 v24, v42, v24
	v_add_f32_e32 v27, v24, v25
	v_frexp_mant_f32_e32 v28, v26
	s_mov_b32 s2, 0x3f2aaaab
	v_cvt_f64_f32_e32 v[24:25], v26
	v_frexp_exp_i32_f64_e32 v24, v[24:25]
	v_cmp_gt_f32_e64 s[74:75], s2, v28
	v_subbrev_co_u32_e64 v28, s[74:75], 0, v24, s[74:75]
	v_sub_u32_e32 v24, 0, v28
	v_ldexp_f32 v25, v26, v24
	v_add_f32_e32 v26, -1.0, v25
	v_add_f32_e32 v31, 1.0, v25
	v_ldexp_f32 v24, v27, v24
	v_add_f32_e32 v27, 1.0, v26
	v_add_f32_e32 v32, -1.0, v31
	v_sub_f32_e32 v27, v25, v27
	v_sub_f32_e32 v25, v25, v32
	v_add_f32_e32 v27, v24, v27
	v_add_f32_e32 v24, v24, v25
	;; [unrolled: 1-line block ×3, first 2 shown]
	v_rcp_f32_e32 v37, v36
	v_sub_f32_e32 v25, v31, v36
	v_add_f32_e32 v31, v24, v25
	v_add_f32_e32 v25, v26, v27
	v_mul_f32_e32 v39, v25, v37
	v_sub_f32_e32 v24, v26, v25
	v_mul_f32_e32 v26, v36, v39
	v_fma_f32 v32, v39, v36, -v26
	v_fmac_f32_e32 v32, v39, v31
	v_add_f32_e32 v38, v27, v24
	v_add_f32_e32 v24, v26, v32
	v_sub_f32_e32 v27, v25, v24
	v_pk_add_f32 v[34:35], v[24:25], v[26:27] neg_lo:[0,1] neg_hi:[0,1]
	v_mov_b32_e32 v33, v24
	v_pk_add_f32 v[24:25], v[34:35], v[32:33] neg_lo:[0,1] neg_hi:[0,1]
	v_add_f32_e32 v25, v38, v25
	v_add_f32_e32 v24, v24, v25
	;; [unrolled: 1-line block ×3, first 2 shown]
	v_mul_f32_e32 v38, v37, v25
	v_mul_f32_e32 v26, v36, v38
	v_fma_f32 v32, v38, v36, -v26
	v_fmac_f32_e32 v32, v38, v31
	v_sub_f32_e32 v27, v27, v25
	v_add_f32_e32 v31, v24, v27
	v_add_f32_e32 v24, v26, v32
	v_sub_f32_e32 v27, v25, v24
	v_pk_add_f32 v[34:35], v[24:25], v[26:27] neg_lo:[0,1] neg_hi:[0,1]
	v_mov_b32_e32 v33, v24
	v_pk_add_f32 v[24:25], v[34:35], v[32:33] neg_lo:[0,1] neg_hi:[0,1]
	v_add_f32_e32 v25, v31, v25
	v_add_f32_e32 v24, v24, v25
	;; [unrolled: 1-line block ×4, first 2 shown]
	v_sub_f32_e32 v25, v27, v39
	v_mul_f32_e32 v24, v37, v24
	v_sub_f32_e32 v25, v38, v25
	v_add_f32_e32 v24, v25, v24
	v_add_f32_e32 v31, v27, v24
	v_mul_f32_e32 v32, v31, v31
	v_mov_b32_e32 v26, 0x3ecc95a3
	v_fmac_f32_e32 v26, 0x3e9b6dac, v32
	v_mov_b32_e32 v25, 0x3f2aaada
	v_fmac_f32_e32 v25, v32, v26
	v_cvt_f32_i32_e32 v26, v28
	v_sub_f32_e32 v27, v31, v27
	v_sub_f32_e32 v24, v24, v27
	v_ldexp_f32 v28, v24, 1
	v_mul_f32_e32 v27, v31, v32
	v_mov_b32_e32 v24, 0x3f317218
	s_mov_b32 s2, 0x3f317218
	v_pk_mul_f32 v[24:25], v[26:27], v[24:25]
	v_fma_f32 v32, v26, s2, -v24
	v_ldexp_f32 v33, v31, 1
	v_fmac_f32_e32 v32, 0xb102e308, v26
	v_pk_add_f32 v[26:27], v[24:25], v[32:33]
	v_sub_f32_e32 v31, v27, v33
	v_sub_f32_e32 v31, v25, v31
	v_add_f32_e32 v35, v28, v31
	v_mov_b32_e32 v34, v24
	v_pk_add_f32 v[24:25], v[26:27], v[24:25] neg_lo:[0,1] neg_hi:[0,1]
	v_pk_add_f32 v[36:37], v[26:27], v[34:35]
	v_mov_b32_e32 v25, v37
	v_mov_b32_e32 v33, v26
	v_pk_add_f32 v[38:39], v[32:33], v[24:25] neg_lo:[0,1] neg_hi:[0,1]
	v_pk_add_f32 v[24:25], v[32:33], v[24:25]
	v_mov_b32_e32 v28, v25
	v_pk_add_f32 v[32:33], v[28:29], v[26:27] neg_lo:[0,1] neg_hi:[0,1]
	v_mov_b32_e32 v31, v32
	v_pk_add_f32 v[40:41], v[36:37], v[30:31] neg_lo:[0,1] neg_hi:[0,1]
	v_mov_b32_e32 v24, v37
	v_mov_b32_e32 v36, v27
	;; [unrolled: 1-line block ×4, first 2 shown]
	v_pk_add_f32 v[24:25], v[24:25], v[36:37] neg_lo:[0,1] neg_hi:[0,1]
	v_mov_b32_e32 v32, v35
	v_mov_b32_e32 v33, v26
	v_pk_add_f32 v[24:25], v[32:33], v[24:25] neg_lo:[0,1] neg_hi:[0,1]
	v_mov_b32_e32 v40, v38
	v_pk_add_f32 v[26:27], v[40:41], v[24:25]
	v_mov_b32_e32 v32, v27
	v_pk_add_f32 v[32:33], v[26:27], v[32:33]
	v_pk_add_f32 v[34:35], v[28:29], v[32:33]
	v_mov_b32_e32 v27, v34
	v_pk_add_f32 v[36:37], v[26:27], v[38:39] neg_lo:[0,1] neg_hi:[0,1]
	v_mov_b32_e32 v25, v32
	v_sub_f32_e32 v26, v26, v36
	v_pk_add_f32 v[24:25], v[24:25], v[36:37] neg_lo:[0,1] neg_hi:[0,1]
	v_sub_f32_e32 v26, v38, v26
	s_mov_b32 s3, 0x7f800000
	v_add_f32_e32 v24, v24, v26
	s_mov_b32 s2, 0x33800000
	v_add_f32_e32 v24, v24, v25
	v_cmp_eq_f32_e64 s[74:75], s3, v42
	v_cmp_lt_f32_e64 s[76:77], |v42|, s2
	v_add_f32_e32 v24, v34, v24
	s_or_b64 s[74:75], s[74:75], s[76:77]
	v_cndmask_b32_e64 v24, v24, v42, s[74:75]
	v_add_f32_e32 v12, v12, v24
	v_cvt_f16_f32_e32 v31, v12
	v_cvt_f32_f16_e32 v33, v31
	v_mov_b32_e32 v32, v31
.LBB411_76:
	s_or_b64 exec, exec, s[0:1]
	v_cvt_f32_f16_e32 v12, v13
	v_max_f32_e32 v24, v33, v33
	v_cmp_u_f16_e64 s[76:77], v31, v31
	v_cmp_u_f16_e64 s[74:75], v13, v13
	v_min_f32_e32 v25, v24, v12
	v_max_f32_e32 v24, v24, v12
	v_cndmask_b32_e64 v25, v25, v33, s[76:77]
	v_cndmask_b32_e64 v24, v24, v33, s[76:77]
	;; [unrolled: 1-line block ×4, first 2 shown]
	v_cmp_neq_f32_e64 s[76:77], v25, v24
	v_cmp_class_f32_e64 s[0:1], v25, s33
	s_or_b64 s[76:77], s[76:77], s[0:1]
	s_and_saveexec_b64 s[0:1], s[76:77]
	s_cbranch_execz .LBB411_78
; %bb.77:
	v_sub_f32_e32 v25, v25, v24
	s_mov_b32 s2, 0x3fb8aa3b
	v_mul_f32_e32 v26, 0x3fb8aa3b, v25
	v_fma_f32 v27, v25, s2, -v26
	v_rndne_f32_e32 v28, v26
	v_fmac_f32_e32 v27, 0x32a5705f, v25
	v_sub_f32_e32 v26, v26, v28
	v_add_f32_e32 v26, v26, v27
	v_exp_f32_e32 v26, v26
	v_cvt_i32_f32_e32 v27, v28
	s_mov_b32 s2, 0xc2ce8ed0
	v_cmp_ngt_f32_e64 s[76:77], s2, v25
	s_mov_b32 s2, 0x42b17218
	v_ldexp_f32 v26, v26, v27
	v_cndmask_b32_e64 v26, 0, v26, s[76:77]
	v_mov_b32_e32 v27, 0x7f800000
	v_cmp_nlt_f32_e64 s[76:77], s2, v25
	v_cndmask_b32_e64 v31, v27, v26, s[76:77]
	v_add_f32_e32 v25, 1.0, v31
	v_add_f32_e32 v26, -1.0, v25
	v_sub_f32_e32 v27, v26, v25
	v_add_f32_e32 v27, 1.0, v27
	v_sub_f32_e32 v26, v31, v26
	v_add_f32_e32 v28, v26, v27
	v_frexp_mant_f32_e32 v32, v25
	s_mov_b32 s2, 0x3f2aaaab
	v_cvt_f64_f32_e32 v[26:27], v25
	v_frexp_exp_i32_f64_e32 v26, v[26:27]
	v_cmp_gt_f32_e64 s[76:77], s2, v32
	v_subbrev_co_u32_e64 v38, s[76:77], 0, v26, s[76:77]
	v_sub_u32_e32 v26, 0, v38
	v_ldexp_f32 v25, v25, v26
	v_ldexp_f32 v26, v28, v26
	v_add_f32_e32 v28, -1.0, v25
	v_add_f32_e32 v27, 1.0, v28
	v_sub_f32_e32 v27, v25, v27
	v_add_f32_e32 v32, v26, v27
	v_add_f32_e32 v27, 1.0, v25
	v_add_f32_e32 v33, -1.0, v27
	v_sub_f32_e32 v25, v25, v33
	v_add_f32_e32 v25, v26, v25
	v_add_f32_e32 v39, v27, v25
	v_rcp_f32_e32 v40, v39
	v_sub_f32_e32 v26, v27, v39
	v_add_f32_e32 v27, v28, v32
	v_add_f32_e32 v25, v25, v26
	v_sub_f32_e32 v26, v28, v27
	v_mul_f32_e32 v41, v27, v40
	v_add_f32_e32 v28, v32, v26
	v_mul_f32_e32 v32, v39, v41
	v_fma_f32 v34, v41, v39, -v32
	v_fmac_f32_e32 v34, v41, v25
	v_add_f32_e32 v26, v32, v34
	v_sub_f32_e32 v33, v27, v26
	v_pk_add_f32 v[36:37], v[26:27], v[32:33] neg_lo:[0,1] neg_hi:[0,1]
	v_mov_b32_e32 v35, v26
	v_pk_add_f32 v[26:27], v[36:37], v[34:35] neg_lo:[0,1] neg_hi:[0,1]
	v_add_f32_e32 v27, v28, v27
	v_add_f32_e32 v26, v26, v27
	;; [unrolled: 1-line block ×3, first 2 shown]
	v_mul_f32_e32 v28, v40, v27
	v_mul_f32_e32 v32, v39, v28
	v_fma_f32 v34, v28, v39, -v32
	v_fmac_f32_e32 v34, v28, v25
	v_sub_f32_e32 v25, v33, v27
	v_add_f32_e32 v25, v26, v25
	v_add_f32_e32 v26, v32, v34
	v_sub_f32_e32 v33, v27, v26
	v_pk_add_f32 v[36:37], v[26:27], v[32:33] neg_lo:[0,1] neg_hi:[0,1]
	v_mov_b32_e32 v35, v26
	v_pk_add_f32 v[26:27], v[36:37], v[34:35] neg_lo:[0,1] neg_hi:[0,1]
	v_add_f32_e32 v25, v25, v27
	v_add_f32_e32 v25, v26, v25
	;; [unrolled: 1-line block ×4, first 2 shown]
	v_sub_f32_e32 v27, v26, v41
	v_mul_f32_e32 v25, v40, v25
	v_sub_f32_e32 v27, v28, v27
	v_add_f32_e32 v25, v27, v25
	v_add_f32_e32 v28, v26, v25
	v_mul_f32_e32 v33, v28, v28
	v_mov_b32_e32 v32, 0x3ecc95a3
	v_fmac_f32_e32 v32, 0x3e9b6dac, v33
	v_mov_b32_e32 v27, 0x3f2aaada
	v_fmac_f32_e32 v27, v33, v32
	v_cvt_f32_i32_e32 v32, v38
	v_sub_f32_e32 v26, v28, v26
	v_sub_f32_e32 v25, v25, v26
	v_mul_f32_e32 v33, v28, v33
	v_mov_b32_e32 v26, 0x3f317218
	s_mov_b32 s2, 0x3f317218
	v_pk_mul_f32 v[26:27], v[32:33], v[26:27]
	v_fma_f32 v34, v32, s2, -v26
	v_ldexp_f32 v35, v28, 1
	v_fmac_f32_e32 v34, 0xb102e308, v32
	v_pk_add_f32 v[32:33], v[26:27], v[34:35]
	v_sub_f32_e32 v28, v33, v35
	v_ldexp_f32 v25, v25, 1
	v_sub_f32_e32 v28, v27, v28
	v_add_f32_e32 v37, v25, v28
	v_mov_b32_e32 v36, v26
	v_pk_add_f32 v[26:27], v[32:33], v[26:27] neg_lo:[0,1] neg_hi:[0,1]
	v_pk_add_f32 v[38:39], v[32:33], v[36:37]
	v_mov_b32_e32 v27, v39
	v_mov_b32_e32 v35, v32
	v_pk_add_f32 v[40:41], v[34:35], v[26:27] neg_lo:[0,1] neg_hi:[0,1]
	v_pk_add_f32 v[26:27], v[34:35], v[26:27]
	v_mov_b32_e32 v28, v27
	v_pk_add_f32 v[34:35], v[28:29], v[32:33] neg_lo:[0,1] neg_hi:[0,1]
	v_mov_b32_e32 v25, v34
	v_pk_add_f32 v[42:43], v[38:39], v[24:25] neg_lo:[0,1] neg_hi:[0,1]
	v_mov_b32_e32 v26, v39
	v_mov_b32_e32 v38, v33
	;; [unrolled: 1-line block ×4, first 2 shown]
	v_pk_add_f32 v[26:27], v[26:27], v[38:39] neg_lo:[0,1] neg_hi:[0,1]
	v_mov_b32_e32 v34, v37
	v_mov_b32_e32 v35, v32
	v_pk_add_f32 v[26:27], v[34:35], v[26:27] neg_lo:[0,1] neg_hi:[0,1]
	v_mov_b32_e32 v42, v40
	v_pk_add_f32 v[32:33], v[42:43], v[26:27]
	v_mov_b32_e32 v34, v33
	v_pk_add_f32 v[34:35], v[32:33], v[34:35]
	v_pk_add_f32 v[36:37], v[28:29], v[34:35]
	v_mov_b32_e32 v33, v36
	v_pk_add_f32 v[38:39], v[32:33], v[40:41] neg_lo:[0,1] neg_hi:[0,1]
	v_mov_b32_e32 v27, v34
	v_sub_f32_e32 v25, v32, v38
	v_pk_add_f32 v[26:27], v[26:27], v[38:39] neg_lo:[0,1] neg_hi:[0,1]
	v_sub_f32_e32 v25, v40, v25
	s_mov_b32 s3, 0x7f800000
	v_add_f32_e32 v25, v26, v25
	s_mov_b32 s2, 0x33800000
	v_add_f32_e32 v25, v25, v27
	v_cmp_eq_f32_e64 s[76:77], s3, v31
	v_cmp_lt_f32_e64 s[78:79], |v31|, s2
	v_add_f32_e32 v25, v36, v25
	s_or_b64 s[76:77], s[76:77], s[78:79]
	v_cndmask_b32_e64 v25, v25, v31, s[76:77]
	v_add_f32_e32 v24, v24, v25
	v_cvt_f16_f32_e32 v31, v24
	v_cvt_f32_f16_e32 v33, v31
	v_mov_b32_e32 v32, v31
.LBB411_78:
	s_or_b64 exec, exec, s[0:1]
	v_cvt_f32_f16_sdwa v24, v13 dst_sel:DWORD dst_unused:UNUSED_PAD src0_sel:WORD_1
	v_max_f32_e32 v26, v33, v33
	v_cmp_u_f16_e64 s[78:79], v31, v31
	v_cmp_u_f16_sdwa s[76:77], v13, v13 src0_sel:WORD_1 src1_sel:WORD_1
	v_min_f32_e32 v25, v26, v24
	v_max_f32_e32 v13, v26, v24
	v_cndmask_b32_e64 v25, v25, v33, s[78:79]
	v_cndmask_b32_e64 v13, v13, v33, s[78:79]
	;; [unrolled: 1-line block ×4, first 2 shown]
	v_cmp_neq_f32_e64 s[78:79], v25, v13
	v_cmp_class_f32_e64 s[0:1], v25, s33
	s_or_b64 s[78:79], s[78:79], s[0:1]
	s_and_saveexec_b64 s[0:1], s[78:79]
	s_cbranch_execz .LBB411_80
; %bb.79:
	v_sub_f32_e32 v25, v25, v13
	s_mov_b32 s2, 0x3fb8aa3b
	v_mul_f32_e32 v26, 0x3fb8aa3b, v25
	v_fma_f32 v27, v25, s2, -v26
	v_rndne_f32_e32 v28, v26
	v_fmac_f32_e32 v27, 0x32a5705f, v25
	v_sub_f32_e32 v26, v26, v28
	v_add_f32_e32 v26, v26, v27
	v_exp_f32_e32 v26, v26
	v_cvt_i32_f32_e32 v27, v28
	s_mov_b32 s2, 0xc2ce8ed0
	v_cmp_ngt_f32_e64 s[78:79], s2, v25
	s_mov_b32 s2, 0x42b17218
	v_ldexp_f32 v26, v26, v27
	v_cndmask_b32_e64 v26, 0, v26, s[78:79]
	v_mov_b32_e32 v27, 0x7f800000
	v_cmp_nlt_f32_e64 s[78:79], s2, v25
	v_cndmask_b32_e64 v31, v27, v26, s[78:79]
	v_add_f32_e32 v25, 1.0, v31
	v_add_f32_e32 v26, -1.0, v25
	v_sub_f32_e32 v27, v26, v25
	v_add_f32_e32 v27, 1.0, v27
	v_sub_f32_e32 v26, v31, v26
	v_add_f32_e32 v28, v26, v27
	v_frexp_mant_f32_e32 v32, v25
	s_mov_b32 s2, 0x3f2aaaab
	v_cvt_f64_f32_e32 v[26:27], v25
	v_frexp_exp_i32_f64_e32 v26, v[26:27]
	v_cmp_gt_f32_e64 s[78:79], s2, v32
	v_subbrev_co_u32_e64 v38, s[78:79], 0, v26, s[78:79]
	v_sub_u32_e32 v26, 0, v38
	v_ldexp_f32 v25, v25, v26
	v_ldexp_f32 v26, v28, v26
	v_add_f32_e32 v28, -1.0, v25
	v_add_f32_e32 v27, 1.0, v28
	v_sub_f32_e32 v27, v25, v27
	v_add_f32_e32 v32, v26, v27
	v_add_f32_e32 v27, 1.0, v25
	v_add_f32_e32 v33, -1.0, v27
	v_sub_f32_e32 v25, v25, v33
	v_add_f32_e32 v25, v26, v25
	v_add_f32_e32 v39, v27, v25
	v_rcp_f32_e32 v40, v39
	v_sub_f32_e32 v26, v27, v39
	v_add_f32_e32 v27, v28, v32
	v_add_f32_e32 v25, v25, v26
	v_sub_f32_e32 v26, v28, v27
	v_mul_f32_e32 v41, v27, v40
	v_add_f32_e32 v28, v32, v26
	v_mul_f32_e32 v32, v39, v41
	v_fma_f32 v34, v41, v39, -v32
	v_fmac_f32_e32 v34, v41, v25
	v_add_f32_e32 v26, v32, v34
	v_sub_f32_e32 v33, v27, v26
	v_pk_add_f32 v[36:37], v[26:27], v[32:33] neg_lo:[0,1] neg_hi:[0,1]
	v_mov_b32_e32 v35, v26
	v_pk_add_f32 v[26:27], v[36:37], v[34:35] neg_lo:[0,1] neg_hi:[0,1]
	v_add_f32_e32 v27, v28, v27
	v_add_f32_e32 v26, v26, v27
	;; [unrolled: 1-line block ×3, first 2 shown]
	v_mul_f32_e32 v28, v40, v27
	v_mul_f32_e32 v32, v39, v28
	v_fma_f32 v34, v28, v39, -v32
	v_fmac_f32_e32 v34, v28, v25
	v_sub_f32_e32 v25, v33, v27
	v_add_f32_e32 v25, v26, v25
	v_add_f32_e32 v26, v32, v34
	v_sub_f32_e32 v33, v27, v26
	v_pk_add_f32 v[36:37], v[26:27], v[32:33] neg_lo:[0,1] neg_hi:[0,1]
	v_mov_b32_e32 v35, v26
	v_pk_add_f32 v[26:27], v[36:37], v[34:35] neg_lo:[0,1] neg_hi:[0,1]
	v_add_f32_e32 v25, v25, v27
	v_add_f32_e32 v25, v26, v25
	;; [unrolled: 1-line block ×4, first 2 shown]
	v_sub_f32_e32 v27, v26, v41
	v_mul_f32_e32 v25, v40, v25
	v_sub_f32_e32 v27, v28, v27
	v_add_f32_e32 v25, v27, v25
	v_add_f32_e32 v28, v26, v25
	v_mul_f32_e32 v33, v28, v28
	v_mov_b32_e32 v32, 0x3ecc95a3
	v_fmac_f32_e32 v32, 0x3e9b6dac, v33
	v_mov_b32_e32 v27, 0x3f2aaada
	v_fmac_f32_e32 v27, v33, v32
	v_cvt_f32_i32_e32 v32, v38
	v_sub_f32_e32 v26, v28, v26
	v_sub_f32_e32 v25, v25, v26
	v_mul_f32_e32 v33, v28, v33
	v_mov_b32_e32 v26, 0x3f317218
	s_mov_b32 s2, 0x3f317218
	v_pk_mul_f32 v[26:27], v[32:33], v[26:27]
	v_fma_f32 v34, v32, s2, -v26
	v_ldexp_f32 v35, v28, 1
	v_fmac_f32_e32 v34, 0xb102e308, v32
	v_pk_add_f32 v[32:33], v[26:27], v[34:35]
	v_sub_f32_e32 v28, v33, v35
	v_ldexp_f32 v25, v25, 1
	v_sub_f32_e32 v28, v27, v28
	v_add_f32_e32 v37, v25, v28
	v_mov_b32_e32 v36, v26
	v_pk_add_f32 v[26:27], v[32:33], v[26:27] neg_lo:[0,1] neg_hi:[0,1]
	v_pk_add_f32 v[38:39], v[32:33], v[36:37]
	v_mov_b32_e32 v27, v39
	v_mov_b32_e32 v35, v32
	v_pk_add_f32 v[40:41], v[34:35], v[26:27] neg_lo:[0,1] neg_hi:[0,1]
	v_pk_add_f32 v[26:27], v[34:35], v[26:27]
	v_mov_b32_e32 v28, v27
	v_pk_add_f32 v[34:35], v[28:29], v[32:33] neg_lo:[0,1] neg_hi:[0,1]
	v_mov_b32_e32 v25, v34
	v_pk_add_f32 v[42:43], v[38:39], v[24:25] neg_lo:[0,1] neg_hi:[0,1]
	v_mov_b32_e32 v26, v39
	v_mov_b32_e32 v38, v33
	;; [unrolled: 1-line block ×4, first 2 shown]
	v_pk_add_f32 v[26:27], v[26:27], v[38:39] neg_lo:[0,1] neg_hi:[0,1]
	v_mov_b32_e32 v34, v37
	v_mov_b32_e32 v35, v32
	v_pk_add_f32 v[26:27], v[34:35], v[26:27] neg_lo:[0,1] neg_hi:[0,1]
	v_mov_b32_e32 v42, v40
	v_pk_add_f32 v[32:33], v[42:43], v[26:27]
	v_mov_b32_e32 v34, v33
	v_pk_add_f32 v[34:35], v[32:33], v[34:35]
	v_pk_add_f32 v[36:37], v[28:29], v[34:35]
	v_mov_b32_e32 v33, v36
	v_pk_add_f32 v[38:39], v[32:33], v[40:41] neg_lo:[0,1] neg_hi:[0,1]
	v_mov_b32_e32 v27, v34
	v_sub_f32_e32 v25, v32, v38
	v_pk_add_f32 v[26:27], v[26:27], v[38:39] neg_lo:[0,1] neg_hi:[0,1]
	v_sub_f32_e32 v25, v40, v25
	s_mov_b32 s3, 0x7f800000
	v_add_f32_e32 v25, v26, v25
	s_mov_b32 s2, 0x33800000
	v_add_f32_e32 v25, v25, v27
	v_cmp_eq_f32_e64 s[78:79], s3, v31
	v_cmp_lt_f32_e64 s[80:81], |v31|, s2
	v_add_f32_e32 v25, v36, v25
	s_or_b64 s[78:79], s[78:79], s[80:81]
	v_cndmask_b32_e64 v25, v25, v31, s[78:79]
	v_add_f32_e32 v13, v13, v25
	v_cvt_f16_f32_e32 v31, v13
	v_cvt_f32_f16_e32 v33, v31
	v_mov_b32_e32 v32, v31
.LBB411_80:
	s_or_b64 exec, exec, s[0:1]
	v_cvt_f32_f16_e32 v13, v6
	v_max_f32_e32 v25, v33, v33
	v_cmp_u_f16_e64 s[80:81], v31, v31
	v_cmp_u_f16_e64 s[78:79], v6, v6
	v_min_f32_e32 v26, v25, v13
	v_max_f32_e32 v25, v25, v13
	v_cndmask_b32_e64 v26, v26, v33, s[80:81]
	v_cndmask_b32_e64 v25, v25, v33, s[80:81]
	;; [unrolled: 1-line block ×4, first 2 shown]
	v_cmp_neq_f32_e64 s[80:81], v26, v25
	v_cmp_class_f32_e64 s[0:1], v26, s33
	s_or_b64 s[80:81], s[80:81], s[0:1]
	s_and_saveexec_b64 s[0:1], s[80:81]
	s_cbranch_execz .LBB411_82
; %bb.81:
	v_sub_f32_e32 v26, v26, v25
	s_mov_b32 s2, 0x3fb8aa3b
	v_mul_f32_e32 v27, 0x3fb8aa3b, v26
	v_fma_f32 v28, v26, s2, -v27
	v_rndne_f32_e32 v31, v27
	v_fmac_f32_e32 v28, 0x32a5705f, v26
	v_sub_f32_e32 v27, v27, v31
	v_add_f32_e32 v27, v27, v28
	v_exp_f32_e32 v27, v27
	v_cvt_i32_f32_e32 v28, v31
	s_mov_b32 s2, 0xc2ce8ed0
	v_cmp_ngt_f32_e64 s[80:81], s2, v26
	s_mov_b32 s2, 0x42b17218
	v_ldexp_f32 v27, v27, v28
	v_cndmask_b32_e64 v27, 0, v27, s[80:81]
	v_mov_b32_e32 v28, 0x7f800000
	v_cmp_nlt_f32_e64 s[80:81], s2, v26
	v_cndmask_b32_e64 v44, v28, v27, s[80:81]
	v_add_f32_e32 v28, 1.0, v44
	v_add_f32_e32 v26, -1.0, v28
	v_sub_f32_e32 v27, v26, v28
	v_add_f32_e32 v27, 1.0, v27
	v_sub_f32_e32 v26, v44, v26
	v_add_f32_e32 v31, v26, v27
	v_frexp_mant_f32_e32 v32, v28
	s_mov_b32 s2, 0x3f2aaaab
	v_cvt_f64_f32_e32 v[26:27], v28
	v_frexp_exp_i32_f64_e32 v26, v[26:27]
	v_cmp_gt_f32_e64 s[80:81], s2, v32
	v_subbrev_co_u32_e64 v38, s[80:81], 0, v26, s[80:81]
	v_sub_u32_e32 v26, 0, v38
	v_ldexp_f32 v27, v28, v26
	v_add_f32_e32 v28, -1.0, v27
	v_add_f32_e32 v32, 1.0, v27
	v_ldexp_f32 v26, v31, v26
	v_add_f32_e32 v31, 1.0, v28
	v_add_f32_e32 v33, -1.0, v32
	v_sub_f32_e32 v31, v27, v31
	v_sub_f32_e32 v27, v27, v33
	v_add_f32_e32 v31, v26, v31
	v_add_f32_e32 v26, v26, v27
	;; [unrolled: 1-line block ×3, first 2 shown]
	v_rcp_f32_e32 v41, v39
	v_sub_f32_e32 v27, v32, v39
	v_add_f32_e32 v40, v26, v27
	v_add_f32_e32 v27, v28, v31
	v_sub_f32_e32 v26, v28, v27
	v_add_f32_e32 v28, v31, v26
	v_mul_f32_e32 v31, v27, v41
	v_mul_f32_e32 v32, v39, v31
	v_fma_f32 v34, v31, v39, -v32
	v_fmac_f32_e32 v34, v31, v40
	v_add_f32_e32 v26, v32, v34
	v_sub_f32_e32 v33, v27, v26
	v_pk_add_f32 v[36:37], v[26:27], v[32:33] neg_lo:[0,1] neg_hi:[0,1]
	v_mov_b32_e32 v35, v26
	v_pk_add_f32 v[26:27], v[36:37], v[34:35] neg_lo:[0,1] neg_hi:[0,1]
	v_add_f32_e32 v27, v28, v27
	v_add_f32_e32 v26, v26, v27
	;; [unrolled: 1-line block ×3, first 2 shown]
	v_mul_f32_e32 v28, v41, v27
	v_mul_f32_e32 v32, v39, v28
	v_fma_f32 v34, v28, v39, -v32
	v_fmac_f32_e32 v34, v28, v40
	v_sub_f32_e32 v33, v33, v27
	v_add_f32_e32 v39, v26, v33
	v_add_f32_e32 v26, v32, v34
	v_sub_f32_e32 v33, v27, v26
	v_pk_add_f32 v[36:37], v[26:27], v[32:33] neg_lo:[0,1] neg_hi:[0,1]
	v_mov_b32_e32 v35, v26
	v_pk_add_f32 v[26:27], v[36:37], v[34:35] neg_lo:[0,1] neg_hi:[0,1]
	v_add_f32_e32 v27, v39, v27
	v_add_f32_e32 v26, v26, v27
	;; [unrolled: 1-line block ×4, first 2 shown]
	v_sub_f32_e32 v27, v33, v31
	v_mul_f32_e32 v26, v41, v26
	v_sub_f32_e32 v27, v28, v27
	v_add_f32_e32 v26, v27, v26
	v_add_f32_e32 v28, v33, v26
	v_mul_f32_e32 v31, v28, v28
	v_mov_b32_e32 v32, 0x3ecc95a3
	v_fmac_f32_e32 v32, 0x3e9b6dac, v31
	v_mov_b32_e32 v27, 0x3f2aaada
	v_fmac_f32_e32 v27, v31, v32
	v_cvt_f32_i32_e32 v32, v38
	v_sub_f32_e32 v33, v28, v33
	v_sub_f32_e32 v26, v26, v33
	v_ldexp_f32 v36, v26, 1
	v_mul_f32_e32 v33, v28, v31
	v_mov_b32_e32 v26, 0x3f317218
	s_mov_b32 s2, 0x3f317218
	v_pk_mul_f32 v[26:27], v[32:33], v[26:27]
	v_fma_f32 v34, v32, s2, -v26
	v_ldexp_f32 v35, v28, 1
	v_fmac_f32_e32 v34, 0xb102e308, v32
	v_pk_add_f32 v[32:33], v[26:27], v[34:35]
	v_sub_f32_e32 v28, v33, v35
	v_sub_f32_e32 v28, v27, v28
	v_add_f32_e32 v37, v36, v28
	v_mov_b32_e32 v36, v26
	v_pk_add_f32 v[26:27], v[32:33], v[26:27] neg_lo:[0,1] neg_hi:[0,1]
	v_pk_add_f32 v[38:39], v[32:33], v[36:37]
	v_mov_b32_e32 v27, v39
	v_mov_b32_e32 v35, v32
	v_pk_add_f32 v[40:41], v[34:35], v[26:27] neg_lo:[0,1] neg_hi:[0,1]
	v_pk_add_f32 v[26:27], v[34:35], v[26:27]
	v_mov_b32_e32 v28, v27
	v_pk_add_f32 v[34:35], v[28:29], v[32:33] neg_lo:[0,1] neg_hi:[0,1]
	v_mov_b32_e32 v31, v34
	v_pk_add_f32 v[42:43], v[38:39], v[30:31] neg_lo:[0,1] neg_hi:[0,1]
	v_mov_b32_e32 v26, v39
	v_mov_b32_e32 v38, v33
	;; [unrolled: 1-line block ×4, first 2 shown]
	v_pk_add_f32 v[26:27], v[26:27], v[38:39] neg_lo:[0,1] neg_hi:[0,1]
	v_mov_b32_e32 v34, v37
	v_mov_b32_e32 v35, v32
	v_pk_add_f32 v[26:27], v[34:35], v[26:27] neg_lo:[0,1] neg_hi:[0,1]
	v_mov_b32_e32 v42, v40
	v_pk_add_f32 v[32:33], v[42:43], v[26:27]
	v_mov_b32_e32 v34, v33
	v_pk_add_f32 v[34:35], v[32:33], v[34:35]
	v_pk_add_f32 v[36:37], v[28:29], v[34:35]
	v_mov_b32_e32 v33, v36
	v_pk_add_f32 v[38:39], v[32:33], v[40:41] neg_lo:[0,1] neg_hi:[0,1]
	v_mov_b32_e32 v27, v34
	v_sub_f32_e32 v28, v32, v38
	v_pk_add_f32 v[26:27], v[26:27], v[38:39] neg_lo:[0,1] neg_hi:[0,1]
	v_sub_f32_e32 v28, v40, v28
	s_mov_b32 s3, 0x7f800000
	v_add_f32_e32 v26, v26, v28
	s_mov_b32 s2, 0x33800000
	v_add_f32_e32 v26, v26, v27
	v_cmp_eq_f32_e64 s[80:81], s3, v44
	v_cmp_lt_f32_e64 s[82:83], |v44|, s2
	v_add_f32_e32 v26, v36, v26
	s_or_b64 s[80:81], s[80:81], s[82:83]
	v_cndmask_b32_e64 v26, v26, v44, s[80:81]
	v_add_f32_e32 v25, v25, v26
	v_cvt_f16_f32_e32 v31, v25
	v_cvt_f32_f16_e32 v33, v31
	v_mov_b32_e32 v32, v31
.LBB411_82:
	s_or_b64 exec, exec, s[0:1]
	v_cvt_f32_f16_sdwa v25, v6 dst_sel:DWORD dst_unused:UNUSED_PAD src0_sel:WORD_1
	v_max_f32_e32 v27, v33, v33
	v_cmp_u_f16_e64 s[82:83], v31, v31
	v_cmp_u_f16_sdwa s[80:81], v6, v6 src0_sel:WORD_1 src1_sel:WORD_1
	v_min_f32_e32 v26, v27, v25
	v_max_f32_e32 v6, v27, v25
	v_cndmask_b32_e64 v26, v26, v33, s[82:83]
	v_cndmask_b32_e64 v6, v6, v33, s[82:83]
	;; [unrolled: 1-line block ×4, first 2 shown]
	v_cmp_neq_f32_e64 s[82:83], v26, v6
	v_cmp_class_f32_e64 s[0:1], v26, s33
	s_or_b64 s[82:83], s[82:83], s[0:1]
	s_and_saveexec_b64 s[0:1], s[82:83]
	s_cbranch_execz .LBB411_84
; %bb.83:
	v_sub_f32_e32 v26, v26, v6
	s_mov_b32 s2, 0x3fb8aa3b
	v_mul_f32_e32 v27, 0x3fb8aa3b, v26
	v_fma_f32 v28, v26, s2, -v27
	v_rndne_f32_e32 v31, v27
	v_fmac_f32_e32 v28, 0x32a5705f, v26
	v_sub_f32_e32 v27, v27, v31
	v_add_f32_e32 v27, v27, v28
	v_exp_f32_e32 v27, v27
	v_cvt_i32_f32_e32 v28, v31
	s_mov_b32 s2, 0xc2ce8ed0
	v_cmp_ngt_f32_e64 s[82:83], s2, v26
	s_mov_b32 s2, 0x42b17218
	v_ldexp_f32 v27, v27, v28
	v_cndmask_b32_e64 v27, 0, v27, s[82:83]
	v_mov_b32_e32 v28, 0x7f800000
	v_cmp_nlt_f32_e64 s[82:83], s2, v26
	v_cndmask_b32_e64 v44, v28, v27, s[82:83]
	v_add_f32_e32 v28, 1.0, v44
	v_add_f32_e32 v26, -1.0, v28
	v_sub_f32_e32 v27, v26, v28
	v_add_f32_e32 v27, 1.0, v27
	v_sub_f32_e32 v26, v44, v26
	v_add_f32_e32 v31, v26, v27
	v_frexp_mant_f32_e32 v32, v28
	s_mov_b32 s2, 0x3f2aaaab
	v_cvt_f64_f32_e32 v[26:27], v28
	v_frexp_exp_i32_f64_e32 v26, v[26:27]
	v_cmp_gt_f32_e64 s[82:83], s2, v32
	v_subbrev_co_u32_e64 v38, s[82:83], 0, v26, s[82:83]
	v_sub_u32_e32 v26, 0, v38
	v_ldexp_f32 v27, v28, v26
	v_add_f32_e32 v28, -1.0, v27
	v_add_f32_e32 v32, 1.0, v27
	v_ldexp_f32 v26, v31, v26
	v_add_f32_e32 v31, 1.0, v28
	v_add_f32_e32 v33, -1.0, v32
	v_sub_f32_e32 v31, v27, v31
	v_sub_f32_e32 v27, v27, v33
	v_add_f32_e32 v31, v26, v31
	v_add_f32_e32 v26, v26, v27
	v_add_f32_e32 v39, v32, v26
	v_rcp_f32_e32 v41, v39
	v_sub_f32_e32 v27, v32, v39
	v_add_f32_e32 v40, v26, v27
	v_add_f32_e32 v27, v28, v31
	v_sub_f32_e32 v26, v28, v27
	v_add_f32_e32 v28, v31, v26
	v_mul_f32_e32 v31, v27, v41
	v_mul_f32_e32 v32, v39, v31
	v_fma_f32 v34, v31, v39, -v32
	v_fmac_f32_e32 v34, v31, v40
	v_add_f32_e32 v26, v32, v34
	v_sub_f32_e32 v33, v27, v26
	v_pk_add_f32 v[36:37], v[26:27], v[32:33] neg_lo:[0,1] neg_hi:[0,1]
	v_mov_b32_e32 v35, v26
	v_pk_add_f32 v[26:27], v[36:37], v[34:35] neg_lo:[0,1] neg_hi:[0,1]
	v_add_f32_e32 v27, v28, v27
	v_add_f32_e32 v26, v26, v27
	;; [unrolled: 1-line block ×3, first 2 shown]
	v_mul_f32_e32 v28, v41, v27
	v_mul_f32_e32 v32, v39, v28
	v_fma_f32 v34, v28, v39, -v32
	v_fmac_f32_e32 v34, v28, v40
	v_sub_f32_e32 v33, v33, v27
	v_add_f32_e32 v39, v26, v33
	v_add_f32_e32 v26, v32, v34
	v_sub_f32_e32 v33, v27, v26
	v_pk_add_f32 v[36:37], v[26:27], v[32:33] neg_lo:[0,1] neg_hi:[0,1]
	v_mov_b32_e32 v35, v26
	v_pk_add_f32 v[26:27], v[36:37], v[34:35] neg_lo:[0,1] neg_hi:[0,1]
	v_add_f32_e32 v27, v39, v27
	v_add_f32_e32 v26, v26, v27
	;; [unrolled: 1-line block ×4, first 2 shown]
	v_sub_f32_e32 v27, v33, v31
	v_mul_f32_e32 v26, v41, v26
	v_sub_f32_e32 v27, v28, v27
	v_add_f32_e32 v26, v27, v26
	v_add_f32_e32 v28, v33, v26
	v_mul_f32_e32 v31, v28, v28
	v_mov_b32_e32 v32, 0x3ecc95a3
	v_fmac_f32_e32 v32, 0x3e9b6dac, v31
	v_mov_b32_e32 v27, 0x3f2aaada
	v_fmac_f32_e32 v27, v31, v32
	v_cvt_f32_i32_e32 v32, v38
	v_sub_f32_e32 v33, v28, v33
	v_sub_f32_e32 v26, v26, v33
	v_ldexp_f32 v36, v26, 1
	v_mul_f32_e32 v33, v28, v31
	v_mov_b32_e32 v26, 0x3f317218
	s_mov_b32 s2, 0x3f317218
	v_pk_mul_f32 v[26:27], v[32:33], v[26:27]
	v_fma_f32 v34, v32, s2, -v26
	v_ldexp_f32 v35, v28, 1
	v_fmac_f32_e32 v34, 0xb102e308, v32
	v_pk_add_f32 v[32:33], v[26:27], v[34:35]
	v_sub_f32_e32 v28, v33, v35
	v_sub_f32_e32 v28, v27, v28
	v_add_f32_e32 v37, v36, v28
	v_mov_b32_e32 v36, v26
	v_pk_add_f32 v[26:27], v[32:33], v[26:27] neg_lo:[0,1] neg_hi:[0,1]
	v_pk_add_f32 v[38:39], v[32:33], v[36:37]
	v_mov_b32_e32 v27, v39
	v_mov_b32_e32 v35, v32
	v_pk_add_f32 v[40:41], v[34:35], v[26:27] neg_lo:[0,1] neg_hi:[0,1]
	v_pk_add_f32 v[26:27], v[34:35], v[26:27]
	v_mov_b32_e32 v28, v27
	v_pk_add_f32 v[34:35], v[28:29], v[32:33] neg_lo:[0,1] neg_hi:[0,1]
	v_mov_b32_e32 v31, v34
	v_pk_add_f32 v[42:43], v[38:39], v[30:31] neg_lo:[0,1] neg_hi:[0,1]
	v_mov_b32_e32 v26, v39
	v_mov_b32_e32 v38, v33
	;; [unrolled: 1-line block ×4, first 2 shown]
	v_pk_add_f32 v[26:27], v[26:27], v[38:39] neg_lo:[0,1] neg_hi:[0,1]
	v_mov_b32_e32 v34, v37
	v_mov_b32_e32 v35, v32
	v_pk_add_f32 v[26:27], v[34:35], v[26:27] neg_lo:[0,1] neg_hi:[0,1]
	v_mov_b32_e32 v42, v40
	v_pk_add_f32 v[32:33], v[42:43], v[26:27]
	v_mov_b32_e32 v34, v33
	v_pk_add_f32 v[34:35], v[32:33], v[34:35]
	v_pk_add_f32 v[36:37], v[28:29], v[34:35]
	v_mov_b32_e32 v33, v36
	v_pk_add_f32 v[38:39], v[32:33], v[40:41] neg_lo:[0,1] neg_hi:[0,1]
	v_mov_b32_e32 v27, v34
	v_sub_f32_e32 v28, v32, v38
	v_pk_add_f32 v[26:27], v[26:27], v[38:39] neg_lo:[0,1] neg_hi:[0,1]
	v_sub_f32_e32 v28, v40, v28
	s_mov_b32 s3, 0x7f800000
	v_add_f32_e32 v26, v26, v28
	s_mov_b32 s2, 0x33800000
	v_add_f32_e32 v26, v26, v27
	v_cmp_eq_f32_e64 s[82:83], s3, v44
	v_cmp_lt_f32_e64 s[84:85], |v44|, s2
	v_add_f32_e32 v26, v36, v26
	s_or_b64 s[82:83], s[82:83], s[84:85]
	v_cndmask_b32_e64 v26, v26, v44, s[82:83]
	v_add_f32_e32 v6, v6, v26
	v_cvt_f16_f32_e32 v31, v6
	v_cvt_f32_f16_e32 v33, v31
	v_mov_b32_e32 v32, v31
.LBB411_84:
	s_or_b64 exec, exec, s[0:1]
	v_cvt_f32_f16_e32 v6, v7
	v_max_f32_e32 v26, v33, v33
	v_cmp_u_f16_e64 s[84:85], v31, v31
	v_cmp_u_f16_e64 s[82:83], v7, v7
	v_min_f32_e32 v27, v26, v6
	v_max_f32_e32 v26, v26, v6
	v_cndmask_b32_e64 v27, v27, v33, s[84:85]
	v_cndmask_b32_e64 v26, v26, v33, s[84:85]
	;; [unrolled: 1-line block ×4, first 2 shown]
	v_cmp_neq_f32_e64 s[84:85], v27, v26
	v_cmp_class_f32_e64 s[0:1], v27, s33
	s_or_b64 s[84:85], s[84:85], s[0:1]
	s_and_saveexec_b64 s[0:1], s[84:85]
	s_cbranch_execz .LBB411_86
; %bb.85:
	v_sub_f32_e32 v27, v27, v26
	s_mov_b32 s2, 0x3fb8aa3b
	v_mul_f32_e32 v28, 0x3fb8aa3b, v27
	v_fma_f32 v31, v27, s2, -v28
	v_rndne_f32_e32 v32, v28
	v_fmac_f32_e32 v31, 0x32a5705f, v27
	v_sub_f32_e32 v28, v28, v32
	v_add_f32_e32 v28, v28, v31
	v_exp_f32_e32 v28, v28
	v_cvt_i32_f32_e32 v31, v32
	s_mov_b32 s2, 0xc2ce8ed0
	v_cmp_ngt_f32_e64 s[84:85], s2, v27
	s_mov_b32 s2, 0x42b17218
	v_ldexp_f32 v28, v28, v31
	v_cndmask_b32_e64 v28, 0, v28, s[84:85]
	v_mov_b32_e32 v31, 0x7f800000
	v_cmp_nlt_f32_e64 s[84:85], s2, v27
	v_cndmask_b32_e64 v31, v31, v28, s[84:85]
	v_add_f32_e32 v27, 1.0, v31
	v_add_f32_e32 v28, -1.0, v27
	v_sub_f32_e32 v32, v28, v27
	v_add_f32_e32 v32, 1.0, v32
	v_sub_f32_e32 v28, v31, v28
	v_add_f32_e32 v28, v28, v32
	v_frexp_mant_f32_e32 v34, v27
	s_mov_b32 s2, 0x3f2aaaab
	v_cvt_f64_f32_e32 v[32:33], v27
	v_frexp_exp_i32_f64_e32 v32, v[32:33]
	v_cmp_gt_f32_e64 s[84:85], s2, v34
	v_subbrev_co_u32_e64 v40, s[84:85], 0, v32, s[84:85]
	v_sub_u32_e32 v32, 0, v40
	v_ldexp_f32 v27, v27, v32
	v_ldexp_f32 v28, v28, v32
	v_add_f32_e32 v32, -1.0, v27
	v_add_f32_e32 v33, 1.0, v32
	v_sub_f32_e32 v33, v27, v33
	v_add_f32_e32 v34, v28, v33
	v_add_f32_e32 v33, 1.0, v27
	v_add_f32_e32 v35, -1.0, v33
	v_sub_f32_e32 v27, v27, v35
	v_add_f32_e32 v27, v28, v27
	v_add_f32_e32 v28, v33, v27
	v_rcp_f32_e32 v41, v28
	v_sub_f32_e32 v33, v33, v28
	v_add_f32_e32 v27, v27, v33
	v_add_f32_e32 v33, v32, v34
	v_sub_f32_e32 v32, v32, v33
	v_mul_f32_e32 v43, v33, v41
	v_add_f32_e32 v42, v34, v32
	v_mul_f32_e32 v34, v28, v43
	v_fma_f32 v36, v43, v28, -v34
	v_fmac_f32_e32 v36, v43, v27
	v_add_f32_e32 v32, v34, v36
	v_sub_f32_e32 v35, v33, v32
	v_pk_add_f32 v[38:39], v[32:33], v[34:35] neg_lo:[0,1] neg_hi:[0,1]
	v_mov_b32_e32 v37, v32
	v_pk_add_f32 v[32:33], v[38:39], v[36:37] neg_lo:[0,1] neg_hi:[0,1]
	v_add_f32_e32 v33, v42, v33
	v_add_f32_e32 v32, v32, v33
	;; [unrolled: 1-line block ×3, first 2 shown]
	v_mul_f32_e32 v42, v41, v33
	v_mul_f32_e32 v34, v28, v42
	v_fma_f32 v36, v42, v28, -v34
	v_fmac_f32_e32 v36, v42, v27
	v_sub_f32_e32 v27, v35, v33
	v_add_f32_e32 v27, v32, v27
	v_add_f32_e32 v32, v34, v36
	v_sub_f32_e32 v35, v33, v32
	v_pk_add_f32 v[38:39], v[32:33], v[34:35] neg_lo:[0,1] neg_hi:[0,1]
	v_mov_b32_e32 v37, v32
	v_pk_add_f32 v[32:33], v[38:39], v[36:37] neg_lo:[0,1] neg_hi:[0,1]
	v_add_f32_e32 v27, v27, v33
	v_add_f32_e32 v27, v32, v27
	;; [unrolled: 1-line block ×4, first 2 shown]
	v_sub_f32_e32 v32, v28, v43
	v_mul_f32_e32 v27, v41, v27
	v_sub_f32_e32 v32, v42, v32
	v_add_f32_e32 v27, v32, v27
	v_add_f32_e32 v32, v28, v27
	v_mul_f32_e32 v35, v32, v32
	v_mov_b32_e32 v34, 0x3ecc95a3
	v_fmac_f32_e32 v34, 0x3e9b6dac, v35
	v_mov_b32_e32 v33, 0x3f2aaada
	v_fmac_f32_e32 v33, v35, v34
	v_cvt_f32_i32_e32 v34, v40
	v_sub_f32_e32 v28, v32, v28
	v_ldexp_f32 v37, v32, 1
	v_mul_f32_e32 v35, v32, v35
	v_mov_b32_e32 v32, 0x3f317218
	s_mov_b32 s2, 0x3f317218
	v_pk_mul_f32 v[32:33], v[34:35], v[32:33]
	v_fma_f32 v36, v34, s2, -v32
	v_fmac_f32_e32 v36, 0xb102e308, v34
	v_pk_add_f32 v[34:35], v[32:33], v[36:37]
	v_sub_f32_e32 v27, v27, v28
	v_sub_f32_e32 v28, v35, v37
	v_ldexp_f32 v27, v27, 1
	v_sub_f32_e32 v28, v33, v28
	v_add_f32_e32 v39, v27, v28
	v_mov_b32_e32 v38, v32
	v_pk_add_f32 v[32:33], v[34:35], v[32:33] neg_lo:[0,1] neg_hi:[0,1]
	v_pk_add_f32 v[40:41], v[34:35], v[38:39]
	v_mov_b32_e32 v33, v41
	v_mov_b32_e32 v37, v34
	v_pk_add_f32 v[42:43], v[36:37], v[32:33] neg_lo:[0,1] neg_hi:[0,1]
	v_pk_add_f32 v[32:33], v[36:37], v[32:33]
	v_mov_b32_e32 v28, v33
	v_pk_add_f32 v[36:37], v[28:29], v[34:35] neg_lo:[0,1] neg_hi:[0,1]
	v_mov_b32_e32 v27, v36
	v_pk_add_f32 v[44:45], v[40:41], v[26:27] neg_lo:[0,1] neg_hi:[0,1]
	v_mov_b32_e32 v32, v41
	v_mov_b32_e32 v40, v35
	;; [unrolled: 1-line block ×4, first 2 shown]
	v_pk_add_f32 v[32:33], v[32:33], v[40:41] neg_lo:[0,1] neg_hi:[0,1]
	v_mov_b32_e32 v36, v39
	v_mov_b32_e32 v37, v34
	v_pk_add_f32 v[32:33], v[36:37], v[32:33] neg_lo:[0,1] neg_hi:[0,1]
	v_mov_b32_e32 v44, v42
	v_pk_add_f32 v[34:35], v[44:45], v[32:33]
	v_mov_b32_e32 v36, v35
	v_pk_add_f32 v[36:37], v[34:35], v[36:37]
	v_pk_add_f32 v[38:39], v[28:29], v[36:37]
	v_mov_b32_e32 v35, v38
	v_pk_add_f32 v[40:41], v[34:35], v[42:43] neg_lo:[0,1] neg_hi:[0,1]
	v_mov_b32_e32 v33, v36
	v_sub_f32_e32 v27, v34, v40
	v_pk_add_f32 v[32:33], v[32:33], v[40:41] neg_lo:[0,1] neg_hi:[0,1]
	v_sub_f32_e32 v27, v42, v27
	s_mov_b32 s3, 0x7f800000
	v_add_f32_e32 v27, v32, v27
	s_mov_b32 s2, 0x33800000
	v_add_f32_e32 v27, v27, v33
	v_cmp_eq_f32_e64 s[84:85], s3, v31
	v_cmp_lt_f32_e64 s[86:87], |v31|, s2
	v_add_f32_e32 v27, v38, v27
	s_or_b64 s[84:85], s[84:85], s[86:87]
	v_cndmask_b32_e64 v27, v27, v31, s[84:85]
	v_add_f32_e32 v26, v26, v27
	v_cvt_f16_f32_e32 v31, v26
	v_cvt_f32_f16_e32 v33, v31
	v_mov_b32_e32 v32, v31
.LBB411_86:
	s_or_b64 exec, exec, s[0:1]
	v_cvt_f32_f16_sdwa v26, v7 dst_sel:DWORD dst_unused:UNUSED_PAD src0_sel:WORD_1
	v_max_f32_e32 v28, v33, v33
	v_cmp_u_f16_e64 s[86:87], v31, v31
	v_cmp_u_f16_sdwa s[84:85], v7, v7 src0_sel:WORD_1 src1_sel:WORD_1
	v_min_f32_e32 v27, v28, v26
	v_max_f32_e32 v7, v28, v26
	v_cndmask_b32_e64 v27, v27, v33, s[86:87]
	v_cndmask_b32_e64 v7, v7, v33, s[86:87]
	;; [unrolled: 1-line block ×4, first 2 shown]
	v_cmp_neq_f32_e64 s[86:87], v27, v7
	v_cmp_class_f32_e64 s[0:1], v27, s33
	s_or_b64 s[86:87], s[86:87], s[0:1]
	s_and_saveexec_b64 s[0:1], s[86:87]
	s_cbranch_execz .LBB411_88
; %bb.87:
	v_sub_f32_e32 v27, v27, v7
	s_mov_b32 s2, 0x3fb8aa3b
	v_mul_f32_e32 v28, 0x3fb8aa3b, v27
	v_fma_f32 v31, v27, s2, -v28
	v_rndne_f32_e32 v32, v28
	v_fmac_f32_e32 v31, 0x32a5705f, v27
	v_sub_f32_e32 v28, v28, v32
	v_add_f32_e32 v28, v28, v31
	v_exp_f32_e32 v28, v28
	v_cvt_i32_f32_e32 v31, v32
	s_mov_b32 s2, 0xc2ce8ed0
	v_cmp_ngt_f32_e64 s[86:87], s2, v27
	s_mov_b32 s2, 0x42b17218
	v_ldexp_f32 v28, v28, v31
	v_cndmask_b32_e64 v28, 0, v28, s[86:87]
	v_mov_b32_e32 v31, 0x7f800000
	v_cmp_nlt_f32_e64 s[86:87], s2, v27
	v_cndmask_b32_e64 v31, v31, v28, s[86:87]
	v_add_f32_e32 v27, 1.0, v31
	v_add_f32_e32 v28, -1.0, v27
	v_sub_f32_e32 v32, v28, v27
	v_add_f32_e32 v32, 1.0, v32
	v_sub_f32_e32 v28, v31, v28
	v_add_f32_e32 v28, v28, v32
	v_frexp_mant_f32_e32 v34, v27
	s_mov_b32 s2, 0x3f2aaaab
	v_cvt_f64_f32_e32 v[32:33], v27
	v_frexp_exp_i32_f64_e32 v32, v[32:33]
	v_cmp_gt_f32_e64 s[86:87], s2, v34
	v_subbrev_co_u32_e64 v40, s[86:87], 0, v32, s[86:87]
	v_sub_u32_e32 v32, 0, v40
	v_ldexp_f32 v27, v27, v32
	v_ldexp_f32 v28, v28, v32
	v_add_f32_e32 v32, -1.0, v27
	v_add_f32_e32 v33, 1.0, v32
	v_sub_f32_e32 v33, v27, v33
	v_add_f32_e32 v34, v28, v33
	v_add_f32_e32 v33, 1.0, v27
	v_add_f32_e32 v35, -1.0, v33
	v_sub_f32_e32 v27, v27, v35
	v_add_f32_e32 v27, v28, v27
	v_add_f32_e32 v28, v33, v27
	v_rcp_f32_e32 v41, v28
	v_sub_f32_e32 v33, v33, v28
	v_add_f32_e32 v27, v27, v33
	v_add_f32_e32 v33, v32, v34
	v_sub_f32_e32 v32, v32, v33
	v_mul_f32_e32 v43, v33, v41
	v_add_f32_e32 v42, v34, v32
	v_mul_f32_e32 v34, v28, v43
	v_fma_f32 v36, v43, v28, -v34
	v_fmac_f32_e32 v36, v43, v27
	v_add_f32_e32 v32, v34, v36
	v_sub_f32_e32 v35, v33, v32
	v_pk_add_f32 v[38:39], v[32:33], v[34:35] neg_lo:[0,1] neg_hi:[0,1]
	v_mov_b32_e32 v37, v32
	v_pk_add_f32 v[32:33], v[38:39], v[36:37] neg_lo:[0,1] neg_hi:[0,1]
	v_add_f32_e32 v33, v42, v33
	v_add_f32_e32 v32, v32, v33
	;; [unrolled: 1-line block ×3, first 2 shown]
	v_mul_f32_e32 v42, v41, v33
	v_mul_f32_e32 v34, v28, v42
	v_fma_f32 v36, v42, v28, -v34
	v_fmac_f32_e32 v36, v42, v27
	v_sub_f32_e32 v27, v35, v33
	v_add_f32_e32 v27, v32, v27
	v_add_f32_e32 v32, v34, v36
	v_sub_f32_e32 v35, v33, v32
	v_pk_add_f32 v[38:39], v[32:33], v[34:35] neg_lo:[0,1] neg_hi:[0,1]
	v_mov_b32_e32 v37, v32
	v_pk_add_f32 v[32:33], v[38:39], v[36:37] neg_lo:[0,1] neg_hi:[0,1]
	v_add_f32_e32 v27, v27, v33
	v_add_f32_e32 v27, v32, v27
	;; [unrolled: 1-line block ×4, first 2 shown]
	v_sub_f32_e32 v32, v28, v43
	v_mul_f32_e32 v27, v41, v27
	v_sub_f32_e32 v32, v42, v32
	v_add_f32_e32 v27, v32, v27
	v_add_f32_e32 v32, v28, v27
	v_mul_f32_e32 v35, v32, v32
	v_mov_b32_e32 v34, 0x3ecc95a3
	v_fmac_f32_e32 v34, 0x3e9b6dac, v35
	v_mov_b32_e32 v33, 0x3f2aaada
	v_fmac_f32_e32 v33, v35, v34
	v_cvt_f32_i32_e32 v34, v40
	v_sub_f32_e32 v28, v32, v28
	v_ldexp_f32 v37, v32, 1
	v_mul_f32_e32 v35, v32, v35
	v_mov_b32_e32 v32, 0x3f317218
	s_mov_b32 s2, 0x3f317218
	v_pk_mul_f32 v[32:33], v[34:35], v[32:33]
	v_fma_f32 v36, v34, s2, -v32
	v_fmac_f32_e32 v36, 0xb102e308, v34
	v_pk_add_f32 v[34:35], v[32:33], v[36:37]
	v_sub_f32_e32 v27, v27, v28
	v_sub_f32_e32 v28, v35, v37
	v_ldexp_f32 v27, v27, 1
	v_sub_f32_e32 v28, v33, v28
	v_add_f32_e32 v39, v27, v28
	v_mov_b32_e32 v38, v32
	v_pk_add_f32 v[32:33], v[34:35], v[32:33] neg_lo:[0,1] neg_hi:[0,1]
	v_pk_add_f32 v[40:41], v[34:35], v[38:39]
	v_mov_b32_e32 v33, v41
	v_mov_b32_e32 v37, v34
	v_pk_add_f32 v[42:43], v[36:37], v[32:33] neg_lo:[0,1] neg_hi:[0,1]
	v_pk_add_f32 v[32:33], v[36:37], v[32:33]
	v_mov_b32_e32 v28, v33
	v_pk_add_f32 v[36:37], v[28:29], v[34:35] neg_lo:[0,1] neg_hi:[0,1]
	v_mov_b32_e32 v27, v36
	v_pk_add_f32 v[44:45], v[40:41], v[26:27] neg_lo:[0,1] neg_hi:[0,1]
	v_mov_b32_e32 v32, v41
	v_mov_b32_e32 v40, v35
	;; [unrolled: 1-line block ×4, first 2 shown]
	v_pk_add_f32 v[32:33], v[32:33], v[40:41] neg_lo:[0,1] neg_hi:[0,1]
	v_mov_b32_e32 v36, v39
	v_mov_b32_e32 v37, v34
	v_pk_add_f32 v[32:33], v[36:37], v[32:33] neg_lo:[0,1] neg_hi:[0,1]
	v_mov_b32_e32 v44, v42
	v_pk_add_f32 v[34:35], v[44:45], v[32:33]
	v_mov_b32_e32 v36, v35
	v_pk_add_f32 v[36:37], v[34:35], v[36:37]
	v_pk_add_f32 v[38:39], v[28:29], v[36:37]
	v_mov_b32_e32 v35, v38
	v_pk_add_f32 v[40:41], v[34:35], v[42:43] neg_lo:[0,1] neg_hi:[0,1]
	v_mov_b32_e32 v33, v36
	v_sub_f32_e32 v27, v34, v40
	v_pk_add_f32 v[32:33], v[32:33], v[40:41] neg_lo:[0,1] neg_hi:[0,1]
	v_sub_f32_e32 v27, v42, v27
	s_mov_b32 s3, 0x7f800000
	v_add_f32_e32 v27, v32, v27
	s_mov_b32 s2, 0x33800000
	v_add_f32_e32 v27, v27, v33
	v_cmp_eq_f32_e64 s[86:87], s3, v31
	v_cmp_lt_f32_e64 s[88:89], |v31|, s2
	v_add_f32_e32 v27, v38, v27
	s_or_b64 s[86:87], s[86:87], s[88:89]
	v_cndmask_b32_e64 v27, v27, v31, s[86:87]
	v_add_f32_e32 v7, v7, v27
	v_cvt_f16_f32_e32 v31, v7
	v_cvt_f32_f16_e32 v33, v31
	v_mov_b32_e32 v32, v31
.LBB411_88:
	s_or_b64 exec, exec, s[0:1]
	v_cvt_f32_f16_e32 v7, v8
	v_max_f32_e32 v27, v33, v33
	v_cmp_u_f16_e64 s[88:89], v31, v31
	v_cmp_u_f16_e64 s[86:87], v8, v8
	v_min_f32_e32 v28, v27, v7
	v_max_f32_e32 v27, v27, v7
	v_cndmask_b32_e64 v28, v28, v33, s[88:89]
	v_cndmask_b32_e64 v27, v27, v33, s[88:89]
	;; [unrolled: 1-line block ×4, first 2 shown]
	v_cmp_neq_f32_e64 s[88:89], v28, v27
	v_cmp_class_f32_e64 s[0:1], v28, s33
	s_or_b64 s[88:89], s[88:89], s[0:1]
	s_and_saveexec_b64 s[0:1], s[88:89]
	s_cbranch_execz .LBB411_90
; %bb.89:
	v_sub_f32_e32 v28, v28, v27
	s_mov_b32 s2, 0x3fb8aa3b
	v_mul_f32_e32 v31, 0x3fb8aa3b, v28
	v_fma_f32 v32, v28, s2, -v31
	v_rndne_f32_e32 v33, v31
	v_fmac_f32_e32 v32, 0x32a5705f, v28
	v_sub_f32_e32 v31, v31, v33
	v_add_f32_e32 v31, v31, v32
	v_exp_f32_e32 v31, v31
	v_cvt_i32_f32_e32 v32, v33
	s_mov_b32 s2, 0xc2ce8ed0
	v_cmp_ngt_f32_e64 s[88:89], s2, v28
	s_mov_b32 s2, 0x42b17218
	v_ldexp_f32 v31, v31, v32
	v_cndmask_b32_e64 v31, 0, v31, s[88:89]
	v_mov_b32_e32 v32, 0x7f800000
	v_cmp_nlt_f32_e64 s[88:89], s2, v28
	v_cndmask_b32_e64 v46, v32, v31, s[88:89]
	v_add_f32_e32 v28, 1.0, v46
	v_add_f32_e32 v31, -1.0, v28
	v_sub_f32_e32 v32, v31, v28
	v_add_f32_e32 v32, 1.0, v32
	v_sub_f32_e32 v31, v46, v31
	v_add_f32_e32 v31, v31, v32
	v_frexp_mant_f32_e32 v34, v28
	s_mov_b32 s2, 0x3f2aaaab
	v_cvt_f64_f32_e32 v[32:33], v28
	v_frexp_exp_i32_f64_e32 v32, v[32:33]
	v_cmp_gt_f32_e64 s[88:89], s2, v34
	v_subbrev_co_u32_e64 v40, s[88:89], 0, v32, s[88:89]
	v_sub_u32_e32 v32, 0, v40
	v_ldexp_f32 v28, v28, v32
	v_ldexp_f32 v31, v31, v32
	v_add_f32_e32 v32, -1.0, v28
	v_add_f32_e32 v33, 1.0, v32
	v_sub_f32_e32 v33, v28, v33
	v_add_f32_e32 v34, v31, v33
	v_add_f32_e32 v33, 1.0, v28
	v_add_f32_e32 v35, -1.0, v33
	v_sub_f32_e32 v28, v28, v35
	v_add_f32_e32 v28, v31, v28
	v_add_f32_e32 v31, v33, v28
	v_rcp_f32_e32 v41, v31
	v_sub_f32_e32 v33, v33, v31
	v_add_f32_e32 v28, v28, v33
	v_add_f32_e32 v33, v32, v34
	v_sub_f32_e32 v32, v32, v33
	v_mul_f32_e32 v43, v33, v41
	v_add_f32_e32 v42, v34, v32
	v_mul_f32_e32 v34, v31, v43
	v_fma_f32 v36, v43, v31, -v34
	v_fmac_f32_e32 v36, v43, v28
	v_add_f32_e32 v32, v34, v36
	v_sub_f32_e32 v35, v33, v32
	v_pk_add_f32 v[38:39], v[32:33], v[34:35] neg_lo:[0,1] neg_hi:[0,1]
	v_mov_b32_e32 v37, v32
	v_pk_add_f32 v[32:33], v[38:39], v[36:37] neg_lo:[0,1] neg_hi:[0,1]
	v_add_f32_e32 v33, v42, v33
	v_add_f32_e32 v32, v32, v33
	;; [unrolled: 1-line block ×3, first 2 shown]
	v_mul_f32_e32 v42, v41, v33
	v_mul_f32_e32 v34, v31, v42
	v_fma_f32 v36, v42, v31, -v34
	v_fmac_f32_e32 v36, v42, v28
	v_sub_f32_e32 v28, v35, v33
	v_add_f32_e32 v28, v32, v28
	v_add_f32_e32 v32, v34, v36
	v_sub_f32_e32 v35, v33, v32
	v_pk_add_f32 v[38:39], v[32:33], v[34:35] neg_lo:[0,1] neg_hi:[0,1]
	v_mov_b32_e32 v37, v32
	v_pk_add_f32 v[32:33], v[38:39], v[36:37] neg_lo:[0,1] neg_hi:[0,1]
	v_add_f32_e32 v28, v28, v33
	v_add_f32_e32 v28, v32, v28
	;; [unrolled: 1-line block ×4, first 2 shown]
	v_sub_f32_e32 v32, v31, v43
	v_mul_f32_e32 v28, v41, v28
	v_sub_f32_e32 v32, v42, v32
	v_add_f32_e32 v28, v32, v28
	v_add_f32_e32 v32, v31, v28
	v_mul_f32_e32 v35, v32, v32
	v_mov_b32_e32 v34, 0x3ecc95a3
	v_fmac_f32_e32 v34, 0x3e9b6dac, v35
	v_mov_b32_e32 v33, 0x3f2aaada
	v_fmac_f32_e32 v33, v35, v34
	v_cvt_f32_i32_e32 v34, v40
	v_sub_f32_e32 v31, v32, v31
	v_ldexp_f32 v37, v32, 1
	v_mul_f32_e32 v35, v32, v35
	v_mov_b32_e32 v32, 0x3f317218
	s_mov_b32 s2, 0x3f317218
	v_pk_mul_f32 v[32:33], v[34:35], v[32:33]
	v_fma_f32 v36, v34, s2, -v32
	v_fmac_f32_e32 v36, 0xb102e308, v34
	v_pk_add_f32 v[34:35], v[32:33], v[36:37]
	v_sub_f32_e32 v28, v28, v31
	v_sub_f32_e32 v31, v35, v37
	v_ldexp_f32 v28, v28, 1
	v_sub_f32_e32 v31, v33, v31
	v_add_f32_e32 v39, v28, v31
	v_mov_b32_e32 v38, v32
	v_pk_add_f32 v[32:33], v[34:35], v[32:33] neg_lo:[0,1] neg_hi:[0,1]
	v_pk_add_f32 v[40:41], v[34:35], v[38:39]
	v_mov_b32_e32 v33, v41
	v_mov_b32_e32 v37, v34
	v_pk_add_f32 v[42:43], v[36:37], v[32:33] neg_lo:[0,1] neg_hi:[0,1]
	v_pk_add_f32 v[32:33], v[36:37], v[32:33]
	v_mov_b32_e32 v28, v33
	v_pk_add_f32 v[36:37], v[28:29], v[34:35] neg_lo:[0,1] neg_hi:[0,1]
	v_mov_b32_e32 v31, v36
	v_pk_add_f32 v[44:45], v[40:41], v[30:31] neg_lo:[0,1] neg_hi:[0,1]
	v_mov_b32_e32 v32, v41
	v_mov_b32_e32 v40, v35
	;; [unrolled: 1-line block ×4, first 2 shown]
	v_pk_add_f32 v[32:33], v[32:33], v[40:41] neg_lo:[0,1] neg_hi:[0,1]
	v_mov_b32_e32 v36, v39
	v_mov_b32_e32 v37, v34
	v_pk_add_f32 v[32:33], v[36:37], v[32:33] neg_lo:[0,1] neg_hi:[0,1]
	v_mov_b32_e32 v44, v42
	v_pk_add_f32 v[34:35], v[44:45], v[32:33]
	v_mov_b32_e32 v36, v35
	v_pk_add_f32 v[36:37], v[34:35], v[36:37]
	v_pk_add_f32 v[38:39], v[28:29], v[36:37]
	v_mov_b32_e32 v35, v38
	v_pk_add_f32 v[40:41], v[34:35], v[42:43] neg_lo:[0,1] neg_hi:[0,1]
	v_mov_b32_e32 v33, v36
	v_sub_f32_e32 v28, v34, v40
	v_pk_add_f32 v[32:33], v[32:33], v[40:41] neg_lo:[0,1] neg_hi:[0,1]
	v_sub_f32_e32 v28, v42, v28
	s_mov_b32 s3, 0x7f800000
	v_add_f32_e32 v28, v32, v28
	s_mov_b32 s2, 0x33800000
	v_add_f32_e32 v28, v28, v33
	v_cmp_eq_f32_e64 s[88:89], s3, v46
	v_cmp_lt_f32_e64 s[90:91], |v46|, s2
	v_add_f32_e32 v28, v38, v28
	s_or_b64 s[88:89], s[88:89], s[90:91]
	v_cndmask_b32_e64 v28, v28, v46, s[88:89]
	v_add_f32_e32 v27, v27, v28
	v_cvt_f16_f32_e32 v31, v27
	v_cvt_f32_f16_e32 v33, v31
	v_mov_b32_e32 v32, v31
.LBB411_90:
	s_or_b64 exec, exec, s[0:1]
	v_cvt_f32_f16_sdwa v27, v8 dst_sel:DWORD dst_unused:UNUSED_PAD src0_sel:WORD_1
	v_max_f32_e32 v34, v33, v33
	v_cmp_u_f16_e64 s[90:91], v31, v31
	v_cmp_u_f16_sdwa s[88:89], v8, v8 src0_sel:WORD_1 src1_sel:WORD_1
	v_min_f32_e32 v28, v34, v27
	v_max_f32_e32 v8, v34, v27
	v_cndmask_b32_e64 v28, v28, v33, s[90:91]
	v_cndmask_b32_e64 v8, v8, v33, s[90:91]
	;; [unrolled: 1-line block ×4, first 2 shown]
	v_cmp_neq_f32_e64 s[90:91], v28, v8
	v_cmp_class_f32_e64 s[0:1], v28, s33
	s_or_b64 s[90:91], s[90:91], s[0:1]
	s_and_saveexec_b64 s[0:1], s[90:91]
	s_cbranch_execz .LBB411_92
; %bb.91:
	v_sub_f32_e32 v28, v28, v8
	s_mov_b32 s2, 0x3fb8aa3b
	v_mul_f32_e32 v31, 0x3fb8aa3b, v28
	v_fma_f32 v32, v28, s2, -v31
	v_rndne_f32_e32 v33, v31
	v_fmac_f32_e32 v32, 0x32a5705f, v28
	v_sub_f32_e32 v31, v31, v33
	v_add_f32_e32 v31, v31, v32
	v_exp_f32_e32 v31, v31
	v_cvt_i32_f32_e32 v32, v33
	s_mov_b32 s2, 0xc2ce8ed0
	v_cmp_ngt_f32_e64 s[90:91], s2, v28
	s_mov_b32 s2, 0x42b17218
	v_ldexp_f32 v31, v31, v32
	v_cndmask_b32_e64 v31, 0, v31, s[90:91]
	v_mov_b32_e32 v32, 0x7f800000
	v_cmp_nlt_f32_e64 s[90:91], s2, v28
	v_cndmask_b32_e64 v46, v32, v31, s[90:91]
	v_add_f32_e32 v28, 1.0, v46
	v_add_f32_e32 v31, -1.0, v28
	v_sub_f32_e32 v32, v31, v28
	v_add_f32_e32 v32, 1.0, v32
	v_sub_f32_e32 v31, v46, v31
	v_add_f32_e32 v31, v31, v32
	v_frexp_mant_f32_e32 v34, v28
	s_mov_b32 s2, 0x3f2aaaab
	v_cvt_f64_f32_e32 v[32:33], v28
	v_frexp_exp_i32_f64_e32 v32, v[32:33]
	v_cmp_gt_f32_e64 s[90:91], s2, v34
	v_subbrev_co_u32_e64 v40, s[90:91], 0, v32, s[90:91]
	v_sub_u32_e32 v32, 0, v40
	v_ldexp_f32 v28, v28, v32
	v_ldexp_f32 v31, v31, v32
	v_add_f32_e32 v32, -1.0, v28
	v_add_f32_e32 v33, 1.0, v32
	v_sub_f32_e32 v33, v28, v33
	v_add_f32_e32 v34, v31, v33
	v_add_f32_e32 v33, 1.0, v28
	v_add_f32_e32 v35, -1.0, v33
	v_sub_f32_e32 v28, v28, v35
	v_add_f32_e32 v28, v31, v28
	v_add_f32_e32 v31, v33, v28
	v_rcp_f32_e32 v41, v31
	v_sub_f32_e32 v33, v33, v31
	v_add_f32_e32 v28, v28, v33
	v_add_f32_e32 v33, v32, v34
	v_sub_f32_e32 v32, v32, v33
	v_mul_f32_e32 v43, v33, v41
	v_add_f32_e32 v42, v34, v32
	v_mul_f32_e32 v34, v31, v43
	v_fma_f32 v36, v43, v31, -v34
	v_fmac_f32_e32 v36, v43, v28
	v_add_f32_e32 v32, v34, v36
	v_sub_f32_e32 v35, v33, v32
	v_pk_add_f32 v[38:39], v[32:33], v[34:35] neg_lo:[0,1] neg_hi:[0,1]
	v_mov_b32_e32 v37, v32
	v_pk_add_f32 v[32:33], v[38:39], v[36:37] neg_lo:[0,1] neg_hi:[0,1]
	v_add_f32_e32 v33, v42, v33
	v_add_f32_e32 v32, v32, v33
	;; [unrolled: 1-line block ×3, first 2 shown]
	v_mul_f32_e32 v42, v41, v33
	v_mul_f32_e32 v34, v31, v42
	v_fma_f32 v36, v42, v31, -v34
	v_fmac_f32_e32 v36, v42, v28
	v_sub_f32_e32 v28, v35, v33
	v_add_f32_e32 v28, v32, v28
	v_add_f32_e32 v32, v34, v36
	v_sub_f32_e32 v35, v33, v32
	v_pk_add_f32 v[38:39], v[32:33], v[34:35] neg_lo:[0,1] neg_hi:[0,1]
	v_mov_b32_e32 v37, v32
	v_pk_add_f32 v[32:33], v[38:39], v[36:37] neg_lo:[0,1] neg_hi:[0,1]
	v_add_f32_e32 v28, v28, v33
	v_add_f32_e32 v28, v32, v28
	;; [unrolled: 1-line block ×4, first 2 shown]
	v_sub_f32_e32 v32, v31, v43
	v_mul_f32_e32 v28, v41, v28
	v_sub_f32_e32 v32, v42, v32
	v_add_f32_e32 v28, v32, v28
	v_add_f32_e32 v32, v31, v28
	v_mul_f32_e32 v35, v32, v32
	v_mov_b32_e32 v34, 0x3ecc95a3
	v_fmac_f32_e32 v34, 0x3e9b6dac, v35
	v_mov_b32_e32 v33, 0x3f2aaada
	v_fmac_f32_e32 v33, v35, v34
	v_cvt_f32_i32_e32 v34, v40
	v_sub_f32_e32 v31, v32, v31
	v_ldexp_f32 v37, v32, 1
	v_mul_f32_e32 v35, v32, v35
	v_mov_b32_e32 v32, 0x3f317218
	s_mov_b32 s2, 0x3f317218
	v_pk_mul_f32 v[32:33], v[34:35], v[32:33]
	v_fma_f32 v36, v34, s2, -v32
	v_fmac_f32_e32 v36, 0xb102e308, v34
	v_pk_add_f32 v[34:35], v[32:33], v[36:37]
	v_sub_f32_e32 v28, v28, v31
	v_sub_f32_e32 v31, v35, v37
	v_ldexp_f32 v28, v28, 1
	v_sub_f32_e32 v31, v33, v31
	v_add_f32_e32 v39, v28, v31
	v_mov_b32_e32 v38, v32
	v_pk_add_f32 v[32:33], v[34:35], v[32:33] neg_lo:[0,1] neg_hi:[0,1]
	v_pk_add_f32 v[40:41], v[34:35], v[38:39]
	v_mov_b32_e32 v33, v41
	v_mov_b32_e32 v37, v34
	v_pk_add_f32 v[42:43], v[36:37], v[32:33] neg_lo:[0,1] neg_hi:[0,1]
	v_pk_add_f32 v[32:33], v[36:37], v[32:33]
	v_mov_b32_e32 v28, v33
	v_pk_add_f32 v[36:37], v[28:29], v[34:35] neg_lo:[0,1] neg_hi:[0,1]
	v_mov_b32_e32 v31, v36
	v_pk_add_f32 v[44:45], v[40:41], v[30:31] neg_lo:[0,1] neg_hi:[0,1]
	v_mov_b32_e32 v32, v41
	v_mov_b32_e32 v40, v35
	;; [unrolled: 1-line block ×4, first 2 shown]
	v_pk_add_f32 v[32:33], v[32:33], v[40:41] neg_lo:[0,1] neg_hi:[0,1]
	v_mov_b32_e32 v36, v39
	v_mov_b32_e32 v37, v34
	v_pk_add_f32 v[32:33], v[36:37], v[32:33] neg_lo:[0,1] neg_hi:[0,1]
	v_mov_b32_e32 v44, v42
	v_pk_add_f32 v[34:35], v[44:45], v[32:33]
	v_mov_b32_e32 v36, v35
	v_pk_add_f32 v[36:37], v[34:35], v[36:37]
	v_pk_add_f32 v[38:39], v[28:29], v[36:37]
	v_mov_b32_e32 v35, v38
	v_pk_add_f32 v[40:41], v[34:35], v[42:43] neg_lo:[0,1] neg_hi:[0,1]
	v_mov_b32_e32 v33, v36
	v_sub_f32_e32 v28, v34, v40
	v_pk_add_f32 v[32:33], v[32:33], v[40:41] neg_lo:[0,1] neg_hi:[0,1]
	v_sub_f32_e32 v28, v42, v28
	s_mov_b32 s3, 0x7f800000
	v_add_f32_e32 v28, v32, v28
	s_mov_b32 s2, 0x33800000
	v_add_f32_e32 v28, v28, v33
	v_cmp_eq_f32_e64 s[90:91], s3, v46
	v_cmp_lt_f32_e64 s[92:93], |v46|, s2
	v_add_f32_e32 v28, v38, v28
	s_or_b64 s[90:91], s[90:91], s[92:93]
	v_cndmask_b32_e64 v28, v28, v46, s[90:91]
	v_add_f32_e32 v8, v8, v28
	v_cvt_f16_f32_e32 v31, v8
	v_cvt_f32_f16_e32 v33, v31
	v_mov_b32_e32 v32, v31
.LBB411_92:
	s_or_b64 exec, exec, s[0:1]
	v_cvt_f32_f16_e32 v8, v9
	v_max_f32_e32 v28, v33, v33
	v_cmp_u_f16_e64 s[92:93], v31, v31
	v_cmp_u_f16_e64 s[90:91], v9, v9
	v_min_f32_e32 v34, v28, v8
	v_max_f32_e32 v28, v28, v8
	v_cndmask_b32_e64 v34, v34, v33, s[92:93]
	v_cndmask_b32_e64 v28, v28, v33, s[92:93]
	;; [unrolled: 1-line block ×4, first 2 shown]
	v_cmp_neq_f32_e64 s[92:93], v34, v28
	v_cmp_class_f32_e64 s[0:1], v34, s33
	s_or_b64 s[92:93], s[92:93], s[0:1]
	s_and_saveexec_b64 s[0:1], s[92:93]
	s_cbranch_execz .LBB411_94
; %bb.93:
	v_sub_f32_e32 v31, v34, v28
	s_mov_b32 s2, 0x3fb8aa3b
	v_mul_f32_e32 v32, 0x3fb8aa3b, v31
	v_fma_f32 v33, v31, s2, -v32
	v_rndne_f32_e32 v34, v32
	v_fmac_f32_e32 v33, 0x32a5705f, v31
	v_sub_f32_e32 v32, v32, v34
	v_add_f32_e32 v32, v32, v33
	v_exp_f32_e32 v32, v32
	v_cvt_i32_f32_e32 v33, v34
	s_mov_b32 s2, 0xc2ce8ed0
	v_cmp_ngt_f32_e64 s[92:93], s2, v31
	s_mov_b32 s2, 0x42b17218
	v_ldexp_f32 v32, v32, v33
	v_cndmask_b32_e64 v32, 0, v32, s[92:93]
	v_mov_b32_e32 v33, 0x7f800000
	v_cmp_nlt_f32_e64 s[92:93], s2, v31
	v_cndmask_b32_e64 v48, v33, v32, s[92:93]
	v_add_f32_e32 v31, 1.0, v48
	v_add_f32_e32 v32, -1.0, v31
	v_sub_f32_e32 v33, v32, v31
	v_add_f32_e32 v33, 1.0, v33
	v_sub_f32_e32 v32, v48, v32
	v_add_f32_e32 v34, v32, v33
	v_frexp_mant_f32_e32 v35, v31
	s_mov_b32 s2, 0x3f2aaaab
	v_cvt_f64_f32_e32 v[32:33], v31
	v_frexp_exp_i32_f64_e32 v32, v[32:33]
	v_cmp_gt_f32_e64 s[92:93], s2, v35
	v_subbrev_co_u32_e64 v40, s[92:93], 0, v32, s[92:93]
	v_sub_u32_e32 v32, 0, v40
	v_ldexp_f32 v31, v31, v32
	v_ldexp_f32 v32, v34, v32
	v_add_f32_e32 v34, -1.0, v31
	v_add_f32_e32 v33, 1.0, v34
	v_sub_f32_e32 v33, v31, v33
	v_add_f32_e32 v35, v32, v33
	v_add_f32_e32 v33, 1.0, v31
	v_add_f32_e32 v36, -1.0, v33
	v_sub_f32_e32 v31, v31, v36
	v_add_f32_e32 v31, v32, v31
	v_add_f32_e32 v41, v33, v31
	v_rcp_f32_e32 v42, v41
	v_sub_f32_e32 v32, v33, v41
	v_add_f32_e32 v33, v34, v35
	v_add_f32_e32 v31, v31, v32
	v_mul_f32_e32 v44, v33, v42
	v_sub_f32_e32 v32, v34, v33
	v_mul_f32_e32 v34, v41, v44
	v_fma_f32 v36, v44, v41, -v34
	v_fmac_f32_e32 v36, v44, v31
	v_add_f32_e32 v43, v35, v32
	v_add_f32_e32 v32, v34, v36
	v_sub_f32_e32 v35, v33, v32
	v_pk_add_f32 v[38:39], v[32:33], v[34:35] neg_lo:[0,1] neg_hi:[0,1]
	v_mov_b32_e32 v37, v32
	v_pk_add_f32 v[32:33], v[38:39], v[36:37] neg_lo:[0,1] neg_hi:[0,1]
	v_add_f32_e32 v33, v43, v33
	v_add_f32_e32 v32, v32, v33
	;; [unrolled: 1-line block ×3, first 2 shown]
	v_mul_f32_e32 v43, v42, v33
	v_mul_f32_e32 v34, v41, v43
	v_fma_f32 v36, v43, v41, -v34
	v_fmac_f32_e32 v36, v43, v31
	v_sub_f32_e32 v31, v35, v33
	v_add_f32_e32 v31, v32, v31
	v_add_f32_e32 v32, v34, v36
	v_sub_f32_e32 v35, v33, v32
	v_pk_add_f32 v[38:39], v[32:33], v[34:35] neg_lo:[0,1] neg_hi:[0,1]
	v_mov_b32_e32 v37, v32
	v_pk_add_f32 v[32:33], v[38:39], v[36:37] neg_lo:[0,1] neg_hi:[0,1]
	v_add_f32_e32 v31, v31, v33
	v_add_f32_e32 v31, v32, v31
	;; [unrolled: 1-line block ×4, first 2 shown]
	v_sub_f32_e32 v33, v32, v44
	v_mul_f32_e32 v31, v42, v31
	v_sub_f32_e32 v33, v43, v33
	v_add_f32_e32 v31, v33, v31
	v_add_f32_e32 v35, v32, v31
	v_mul_f32_e32 v36, v35, v35
	v_mov_b32_e32 v34, 0x3ecc95a3
	v_fmac_f32_e32 v34, 0x3e9b6dac, v36
	v_mov_b32_e32 v33, 0x3f2aaada
	v_fmac_f32_e32 v33, v36, v34
	v_cvt_f32_i32_e32 v34, v40
	v_sub_f32_e32 v32, v35, v32
	v_sub_f32_e32 v31, v31, v32
	v_ldexp_f32 v37, v35, 1
	v_mul_f32_e32 v35, v35, v36
	v_mov_b32_e32 v32, 0x3f317218
	s_mov_b32 s2, 0x3f317218
	v_pk_mul_f32 v[32:33], v[34:35], v[32:33]
	v_fma_f32 v36, v34, s2, -v32
	v_fmac_f32_e32 v36, 0xb102e308, v34
	v_pk_add_f32 v[34:35], v[32:33], v[36:37]
	v_sub_f32_e32 v37, v35, v37
	v_ldexp_f32 v31, v31, 1
	v_sub_f32_e32 v37, v33, v37
	v_add_f32_e32 v39, v31, v37
	v_mov_b32_e32 v38, v32
	v_pk_add_f32 v[32:33], v[34:35], v[32:33] neg_lo:[0,1] neg_hi:[0,1]
	v_pk_add_f32 v[40:41], v[34:35], v[38:39]
	v_mov_b32_e32 v33, v41
	v_mov_b32_e32 v37, v34
	v_pk_add_f32 v[42:43], v[36:37], v[32:33] neg_lo:[0,1] neg_hi:[0,1]
	v_pk_add_f32 v[32:33], v[36:37], v[32:33]
	v_mov_b32_e32 v36, v33
	v_pk_add_f32 v[44:45], v[36:37], v[34:35] neg_lo:[0,1] neg_hi:[0,1]
	v_mov_b32_e32 v31, v44
	v_pk_add_f32 v[46:47], v[40:41], v[30:31] neg_lo:[0,1] neg_hi:[0,1]
	v_mov_b32_e32 v32, v41
	v_mov_b32_e32 v40, v35
	;; [unrolled: 1-line block ×4, first 2 shown]
	v_pk_add_f32 v[32:33], v[32:33], v[40:41] neg_lo:[0,1] neg_hi:[0,1]
	v_mov_b32_e32 v38, v39
	v_mov_b32_e32 v39, v34
	v_pk_add_f32 v[32:33], v[38:39], v[32:33] neg_lo:[0,1] neg_hi:[0,1]
	v_mov_b32_e32 v46, v42
	v_pk_add_f32 v[34:35], v[46:47], v[32:33]
	v_mov_b32_e32 v38, v35
	v_pk_add_f32 v[38:39], v[34:35], v[38:39]
	v_pk_add_f32 v[36:37], v[36:37], v[38:39]
	v_mov_b32_e32 v35, v36
	v_pk_add_f32 v[40:41], v[34:35], v[42:43] neg_lo:[0,1] neg_hi:[0,1]
	v_mov_b32_e32 v33, v38
	v_sub_f32_e32 v31, v34, v40
	v_pk_add_f32 v[32:33], v[32:33], v[40:41] neg_lo:[0,1] neg_hi:[0,1]
	v_sub_f32_e32 v31, v42, v31
	s_mov_b32 s3, 0x7f800000
	v_add_f32_e32 v31, v32, v31
	s_mov_b32 s2, 0x33800000
	v_add_f32_e32 v31, v31, v33
	v_cmp_eq_f32_e64 s[92:93], s3, v48
	v_cmp_lt_f32_e64 vcc, |v48|, s2
	v_add_f32_e32 v31, v36, v31
	s_or_b64 s[92:93], s[92:93], vcc
	v_cndmask_b32_e64 v31, v31, v48, s[92:93]
	v_add_f32_e32 v28, v28, v31
	v_cvt_f16_f32_e32 v31, v28
	v_cvt_f32_f16_e32 v33, v31
	v_mov_b32_e32 v32, v31
.LBB411_94:
	s_or_b64 exec, exec, s[0:1]
	v_cvt_f32_f16_sdwa v28, v9 dst_sel:DWORD dst_unused:UNUSED_PAD src0_sel:WORD_1
	v_max_f32_e32 v34, v33, v33
	v_cmp_u_f16_e32 vcc, v31, v31
	v_cmp_u_f16_sdwa s[92:93], v9, v9 src0_sel:WORD_1 src1_sel:WORD_1
	v_min_f32_e32 v9, v34, v28
	v_cndmask_b32_e32 v9, v9, v33, vcc
	v_cndmask_b32_e64 v31, v9, v28, s[92:93]
	v_max_f32_e32 v9, v34, v28
	v_cndmask_b32_e32 v9, v9, v33, vcc
	v_cndmask_b32_e64 v9, v9, v28, s[92:93]
	s_movk_i32 s0, 0x1f8
	v_cmp_neq_f32_e32 vcc, v31, v9
	v_cmp_class_f32_e64 s[0:1], v31, s0
	s_or_b64 vcc, vcc, s[0:1]
	s_and_saveexec_b64 s[0:1], vcc
	s_cbranch_execz .LBB411_96
; %bb.95:
	v_sub_f32_e32 v31, v31, v9
	s_mov_b32 s2, 0x3fb8aa3b
	v_mul_f32_e32 v32, 0x3fb8aa3b, v31
	v_fma_f32 v33, v31, s2, -v32
	v_rndne_f32_e32 v34, v32
	v_fmac_f32_e32 v33, 0x32a5705f, v31
	v_sub_f32_e32 v32, v32, v34
	v_add_f32_e32 v32, v32, v33
	v_exp_f32_e32 v32, v32
	v_cvt_i32_f32_e32 v33, v34
	s_mov_b32 s2, 0xc2ce8ed0
	v_cmp_ngt_f32_e32 vcc, s2, v31
	s_mov_b32 s2, 0x42b17218
	v_ldexp_f32 v32, v32, v33
	v_cndmask_b32_e32 v32, 0, v32, vcc
	v_mov_b32_e32 v33, 0x7f800000
	v_cmp_nlt_f32_e32 vcc, s2, v31
	v_cndmask_b32_e32 v48, v33, v32, vcc
	v_add_f32_e32 v31, 1.0, v48
	v_add_f32_e32 v32, -1.0, v31
	v_sub_f32_e32 v33, v32, v31
	v_add_f32_e32 v33, 1.0, v33
	v_sub_f32_e32 v32, v48, v32
	v_add_f32_e32 v34, v32, v33
	v_frexp_mant_f32_e32 v35, v31
	s_mov_b32 s2, 0x3f2aaaab
	v_cvt_f64_f32_e32 v[32:33], v31
	v_frexp_exp_i32_f64_e32 v32, v[32:33]
	v_cmp_gt_f32_e32 vcc, s2, v35
	v_subbrev_co_u32_e32 v40, vcc, 0, v32, vcc
	v_sub_u32_e32 v32, 0, v40
	v_ldexp_f32 v31, v31, v32
	v_ldexp_f32 v32, v34, v32
	v_add_f32_e32 v34, -1.0, v31
	v_add_f32_e32 v33, 1.0, v34
	v_sub_f32_e32 v33, v31, v33
	v_add_f32_e32 v35, v32, v33
	v_add_f32_e32 v33, 1.0, v31
	v_add_f32_e32 v36, -1.0, v33
	v_sub_f32_e32 v31, v31, v36
	v_add_f32_e32 v31, v32, v31
	v_add_f32_e32 v41, v33, v31
	v_rcp_f32_e32 v42, v41
	v_sub_f32_e32 v32, v33, v41
	v_add_f32_e32 v33, v34, v35
	v_add_f32_e32 v31, v31, v32
	v_mul_f32_e32 v44, v33, v42
	v_sub_f32_e32 v32, v34, v33
	v_mul_f32_e32 v34, v41, v44
	v_fma_f32 v36, v44, v41, -v34
	v_fmac_f32_e32 v36, v44, v31
	v_add_f32_e32 v43, v35, v32
	v_add_f32_e32 v32, v34, v36
	v_sub_f32_e32 v35, v33, v32
	v_pk_add_f32 v[38:39], v[32:33], v[34:35] neg_lo:[0,1] neg_hi:[0,1]
	v_mov_b32_e32 v37, v32
	v_pk_add_f32 v[32:33], v[38:39], v[36:37] neg_lo:[0,1] neg_hi:[0,1]
	v_add_f32_e32 v33, v43, v33
	v_add_f32_e32 v32, v32, v33
	;; [unrolled: 1-line block ×3, first 2 shown]
	v_mul_f32_e32 v43, v42, v33
	v_mul_f32_e32 v34, v41, v43
	v_fma_f32 v36, v43, v41, -v34
	v_fmac_f32_e32 v36, v43, v31
	v_sub_f32_e32 v31, v35, v33
	v_add_f32_e32 v31, v32, v31
	v_add_f32_e32 v32, v34, v36
	v_sub_f32_e32 v35, v33, v32
	v_pk_add_f32 v[38:39], v[32:33], v[34:35] neg_lo:[0,1] neg_hi:[0,1]
	v_mov_b32_e32 v37, v32
	v_pk_add_f32 v[32:33], v[38:39], v[36:37] neg_lo:[0,1] neg_hi:[0,1]
	v_add_f32_e32 v31, v31, v33
	v_add_f32_e32 v31, v32, v31
	;; [unrolled: 1-line block ×4, first 2 shown]
	v_sub_f32_e32 v33, v32, v44
	v_mul_f32_e32 v31, v42, v31
	v_sub_f32_e32 v33, v43, v33
	v_add_f32_e32 v31, v33, v31
	v_add_f32_e32 v35, v32, v31
	v_mul_f32_e32 v36, v35, v35
	v_mov_b32_e32 v34, 0x3ecc95a3
	v_fmac_f32_e32 v34, 0x3e9b6dac, v36
	v_mov_b32_e32 v33, 0x3f2aaada
	v_fmac_f32_e32 v33, v36, v34
	v_cvt_f32_i32_e32 v34, v40
	v_sub_f32_e32 v32, v35, v32
	v_sub_f32_e32 v31, v31, v32
	v_ldexp_f32 v37, v35, 1
	v_mul_f32_e32 v35, v35, v36
	v_mov_b32_e32 v32, 0x3f317218
	s_mov_b32 s2, 0x3f317218
	v_pk_mul_f32 v[32:33], v[34:35], v[32:33]
	v_fma_f32 v36, v34, s2, -v32
	v_fmac_f32_e32 v36, 0xb102e308, v34
	v_pk_add_f32 v[34:35], v[32:33], v[36:37]
	v_sub_f32_e32 v37, v35, v37
	v_ldexp_f32 v31, v31, 1
	v_sub_f32_e32 v37, v33, v37
	v_add_f32_e32 v39, v31, v37
	v_mov_b32_e32 v38, v32
	v_pk_add_f32 v[32:33], v[34:35], v[32:33] neg_lo:[0,1] neg_hi:[0,1]
	v_pk_add_f32 v[40:41], v[34:35], v[38:39]
	v_mov_b32_e32 v33, v41
	v_mov_b32_e32 v37, v34
	v_pk_add_f32 v[42:43], v[36:37], v[32:33] neg_lo:[0,1] neg_hi:[0,1]
	v_pk_add_f32 v[32:33], v[36:37], v[32:33]
	v_mov_b32_e32 v36, v33
	v_pk_add_f32 v[44:45], v[36:37], v[34:35] neg_lo:[0,1] neg_hi:[0,1]
	v_mov_b32_e32 v31, v44
	v_pk_add_f32 v[46:47], v[40:41], v[30:31] neg_lo:[0,1] neg_hi:[0,1]
	v_mov_b32_e32 v32, v41
	v_mov_b32_e32 v40, v35
	;; [unrolled: 1-line block ×4, first 2 shown]
	v_pk_add_f32 v[32:33], v[32:33], v[40:41] neg_lo:[0,1] neg_hi:[0,1]
	v_mov_b32_e32 v38, v39
	v_mov_b32_e32 v39, v34
	v_pk_add_f32 v[32:33], v[38:39], v[32:33] neg_lo:[0,1] neg_hi:[0,1]
	v_mov_b32_e32 v46, v42
	v_pk_add_f32 v[34:35], v[46:47], v[32:33]
	v_mov_b32_e32 v38, v35
	v_pk_add_f32 v[38:39], v[34:35], v[38:39]
	v_pk_add_f32 v[36:37], v[36:37], v[38:39]
	v_mov_b32_e32 v35, v36
	v_pk_add_f32 v[40:41], v[34:35], v[42:43] neg_lo:[0,1] neg_hi:[0,1]
	v_mov_b32_e32 v33, v38
	v_sub_f32_e32 v31, v34, v40
	v_pk_add_f32 v[32:33], v[32:33], v[40:41] neg_lo:[0,1] neg_hi:[0,1]
	v_sub_f32_e32 v31, v42, v31
	s_mov_b32 s3, 0x7f800000
	v_add_f32_e32 v31, v32, v31
	s_mov_b32 s2, 0x33800000
	v_add_f32_e32 v31, v31, v33
	v_cmp_eq_f32_e32 vcc, s3, v48
	v_cmp_lt_f32_e64 s[2:3], |v48|, s2
	v_add_f32_e32 v31, v36, v31
	s_or_b64 vcc, vcc, s[2:3]
	v_cndmask_b32_e32 v31, v31, v48, vcc
	v_add_f32_e32 v9, v9, v31
	v_cvt_f16_f32_e32 v32, v9
.LBB411_96:
	s_or_b64 exec, exec, s[0:1]
	s_load_dwordx2 s[0:1], s[4:5], 0x18
	v_mbcnt_lo_u32_b32 v9, -1, 0
	v_mbcnt_hi_u32_b32 v31, -1, v9
	v_and_b32_e32 v33, 15, v31
	v_and_b32_e32 v34, 0xffff, v32
	s_waitcnt lgkmcnt(0)
	v_writelane_b32 v51, s0, 8
	v_cmp_ne_u32_e32 vcc, 0, v33
	v_mov_b32_dpp v35, v34 row_shr:1 row_mask:0xf bank_mask:0xf
	v_writelane_b32 v51, s1, 9
	s_and_saveexec_b64 s[0:1], vcc
	s_cbranch_execz .LBB411_100
; %bb.97:
	v_cvt_f32_f16_e32 v9, v35
	v_cvt_f32_f16_e32 v34, v32
	v_cmp_u_f16_e32 vcc, v35, v35
	v_cmp_u_f16_e64 s[4:5], v32, v32
	s_movk_i32 s2, 0x1f8
	v_min_f32_e32 v32, v9, v34
	v_max_f32_e32 v36, v9, v34
	v_cndmask_b32_e32 v32, v32, v9, vcc
	v_cndmask_b32_e32 v9, v36, v9, vcc
	v_cndmask_b32_e64 v32, v32, v34, s[4:5]
	v_cndmask_b32_e64 v9, v9, v34, s[4:5]
	v_cmp_neq_f32_e32 vcc, v32, v9
	v_cmp_class_f32_e64 s[2:3], v32, s2
	s_or_b64 s[2:3], vcc, s[2:3]
	s_and_saveexec_b64 s[4:5], s[2:3]
	s_cbranch_execz .LBB411_99
; %bb.98:
	v_sub_f32_e32 v32, v32, v9
	s_mov_b32 s2, 0x3fb8aa3b
	v_mul_f32_e32 v34, 0x3fb8aa3b, v32
	v_fma_f32 v35, v32, s2, -v34
	v_rndne_f32_e32 v36, v34
	v_fmac_f32_e32 v35, 0x32a5705f, v32
	v_sub_f32_e32 v34, v34, v36
	v_add_f32_e32 v34, v34, v35
	v_exp_f32_e32 v34, v34
	v_cvt_i32_f32_e32 v35, v36
	s_mov_b32 s2, 0xc2ce8ed0
	v_cmp_ngt_f32_e32 vcc, s2, v32
	s_mov_b32 s2, 0x42b17218
	v_ldexp_f32 v34, v34, v35
	v_cndmask_b32_e32 v34, 0, v34, vcc
	v_mov_b32_e32 v35, 0x7f800000
	v_cmp_nlt_f32_e32 vcc, s2, v32
	v_cndmask_b32_e32 v48, v35, v34, vcc
	v_add_f32_e32 v32, 1.0, v48
	v_add_f32_e32 v34, -1.0, v32
	v_sub_f32_e32 v35, v34, v32
	v_add_f32_e32 v35, 1.0, v35
	v_sub_f32_e32 v34, v48, v34
	v_add_f32_e32 v36, v34, v35
	v_frexp_mant_f32_e32 v37, v32
	s_mov_b32 s2, 0x3f2aaaab
	v_cvt_f64_f32_e32 v[34:35], v32
	v_frexp_exp_i32_f64_e32 v34, v[34:35]
	v_cmp_gt_f32_e32 vcc, s2, v37
	v_subbrev_co_u32_e32 v42, vcc, 0, v34, vcc
	v_sub_u32_e32 v34, 0, v42
	v_ldexp_f32 v32, v32, v34
	v_ldexp_f32 v34, v36, v34
	v_add_f32_e32 v36, -1.0, v32
	v_add_f32_e32 v35, 1.0, v36
	v_sub_f32_e32 v35, v32, v35
	v_add_f32_e32 v37, v34, v35
	v_add_f32_e32 v35, 1.0, v32
	v_add_f32_e32 v38, -1.0, v35
	v_sub_f32_e32 v32, v32, v38
	v_add_f32_e32 v32, v34, v32
	v_add_f32_e32 v43, v35, v32
	v_rcp_f32_e32 v44, v43
	v_sub_f32_e32 v34, v35, v43
	v_add_f32_e32 v35, v36, v37
	v_add_f32_e32 v32, v32, v34
	v_mul_f32_e32 v46, v35, v44
	v_sub_f32_e32 v34, v36, v35
	v_mul_f32_e32 v36, v43, v46
	v_fma_f32 v38, v46, v43, -v36
	v_fmac_f32_e32 v38, v46, v32
	v_add_f32_e32 v45, v37, v34
	v_add_f32_e32 v34, v36, v38
	v_sub_f32_e32 v37, v35, v34
	v_pk_add_f32 v[40:41], v[34:35], v[36:37] neg_lo:[0,1] neg_hi:[0,1]
	v_mov_b32_e32 v39, v34
	v_pk_add_f32 v[34:35], v[40:41], v[38:39] neg_lo:[0,1] neg_hi:[0,1]
	v_add_f32_e32 v35, v45, v35
	v_add_f32_e32 v34, v34, v35
	v_add_f32_e32 v35, v37, v34
	v_mul_f32_e32 v45, v44, v35
	v_mul_f32_e32 v36, v43, v45
	v_fma_f32 v38, v45, v43, -v36
	v_fmac_f32_e32 v38, v45, v32
	v_sub_f32_e32 v32, v37, v35
	v_add_f32_e32 v32, v34, v32
	v_add_f32_e32 v34, v36, v38
	v_sub_f32_e32 v37, v35, v34
	v_pk_add_f32 v[40:41], v[34:35], v[36:37] neg_lo:[0,1] neg_hi:[0,1]
	v_mov_b32_e32 v39, v34
	v_pk_add_f32 v[34:35], v[40:41], v[38:39] neg_lo:[0,1] neg_hi:[0,1]
	v_add_f32_e32 v32, v32, v35
	v_add_f32_e32 v32, v34, v32
	;; [unrolled: 1-line block ×4, first 2 shown]
	v_sub_f32_e32 v35, v34, v46
	v_mul_f32_e32 v32, v44, v32
	v_sub_f32_e32 v35, v45, v35
	v_add_f32_e32 v32, v35, v32
	v_add_f32_e32 v37, v34, v32
	v_mul_f32_e32 v38, v37, v37
	v_mov_b32_e32 v36, 0x3ecc95a3
	v_fmac_f32_e32 v36, 0x3e9b6dac, v38
	v_mov_b32_e32 v35, 0x3f2aaada
	v_fmac_f32_e32 v35, v38, v36
	v_cvt_f32_i32_e32 v36, v42
	v_sub_f32_e32 v34, v37, v34
	v_sub_f32_e32 v32, v32, v34
	v_ldexp_f32 v39, v37, 1
	v_mul_f32_e32 v37, v37, v38
	v_mov_b32_e32 v34, 0x3f317218
	s_mov_b32 s2, 0x3f317218
	v_pk_mul_f32 v[34:35], v[36:37], v[34:35]
	v_fma_f32 v38, v36, s2, -v34
	v_fmac_f32_e32 v38, 0xb102e308, v36
	v_pk_add_f32 v[36:37], v[34:35], v[38:39]
	v_sub_f32_e32 v39, v37, v39
	v_ldexp_f32 v32, v32, 1
	v_sub_f32_e32 v39, v35, v39
	v_add_f32_e32 v41, v32, v39
	v_mov_b32_e32 v40, v34
	v_pk_add_f32 v[34:35], v[36:37], v[34:35] neg_lo:[0,1] neg_hi:[0,1]
	v_pk_add_f32 v[42:43], v[36:37], v[40:41]
	v_mov_b32_e32 v35, v43
	v_mov_b32_e32 v39, v36
	v_pk_add_f32 v[44:45], v[38:39], v[34:35] neg_lo:[0,1] neg_hi:[0,1]
	v_pk_add_f32 v[34:35], v[38:39], v[34:35]
	v_mov_b32_e32 v32, v35
	v_pk_add_f32 v[38:39], v[32:33], v[36:37] neg_lo:[0,1] neg_hi:[0,1]
	v_mov_b32_e32 v39, v38
	v_pk_add_f32 v[46:47], v[42:43], v[38:39] neg_lo:[0,1] neg_hi:[0,1]
	v_mov_b32_e32 v34, v43
	v_mov_b32_e32 v42, v37
	;; [unrolled: 1-line block ×4, first 2 shown]
	v_pk_add_f32 v[34:35], v[34:35], v[42:43] neg_lo:[0,1] neg_hi:[0,1]
	v_mov_b32_e32 v38, v41
	v_mov_b32_e32 v39, v36
	v_pk_add_f32 v[34:35], v[38:39], v[34:35] neg_lo:[0,1] neg_hi:[0,1]
	v_mov_b32_e32 v46, v44
	v_pk_add_f32 v[36:37], v[46:47], v[34:35]
	v_mov_b32_e32 v38, v37
	v_pk_add_f32 v[38:39], v[36:37], v[38:39]
	v_pk_add_f32 v[40:41], v[32:33], v[38:39]
	v_mov_b32_e32 v37, v40
	v_pk_add_f32 v[42:43], v[36:37], v[44:45] neg_lo:[0,1] neg_hi:[0,1]
	v_mov_b32_e32 v35, v38
	v_sub_f32_e32 v32, v36, v42
	v_pk_add_f32 v[34:35], v[34:35], v[42:43] neg_lo:[0,1] neg_hi:[0,1]
	v_sub_f32_e32 v32, v44, v32
	s_mov_b32 s3, 0x7f800000
	v_add_f32_e32 v32, v34, v32
	s_mov_b32 s2, 0x33800000
	v_add_f32_e32 v32, v32, v35
	v_cmp_eq_f32_e32 vcc, s3, v48
	v_cmp_lt_f32_e64 s[2:3], |v48|, s2
	v_add_f32_e32 v32, v40, v32
	s_or_b64 vcc, vcc, s[2:3]
	v_cndmask_b32_e32 v32, v32, v48, vcc
	v_add_f32_e32 v9, v9, v32
	v_cvt_f16_f32_e32 v35, v9
.LBB411_99:
	s_or_b64 exec, exec, s[4:5]
	v_and_b32_e32 v34, 0xffff, v35
	v_mov_b32_e32 v32, v35
.LBB411_100:
	s_or_b64 exec, exec, s[0:1]
	v_mul_u32_u24_e32 v9, 46, v0
	v_mov_b32_dpp v35, v34 row_shr:2 row_mask:0xf bank_mask:0xf
	v_cmp_lt_u32_e32 vcc, 1, v33
	s_and_saveexec_b64 s[0:1], vcc
	s_cbranch_execz .LBB411_104
; %bb.101:
	v_cvt_f32_f16_e32 v36, v35
	v_cvt_f32_f16_e32 v37, v32
	v_cmp_u_f16_e32 vcc, v35, v35
	v_cmp_u_f16_e64 s[4:5], v32, v32
	s_movk_i32 s2, 0x1f8
	v_min_f32_e32 v32, v36, v37
	v_cndmask_b32_e32 v32, v32, v36, vcc
	v_cndmask_b32_e64 v34, v32, v37, s[4:5]
	v_max_f32_e32 v32, v36, v37
	v_cndmask_b32_e32 v32, v32, v36, vcc
	v_cndmask_b32_e64 v32, v32, v37, s[4:5]
	v_cmp_neq_f32_e32 vcc, v34, v32
	v_cmp_class_f32_e64 s[2:3], v34, s2
	s_or_b64 s[2:3], vcc, s[2:3]
	s_and_saveexec_b64 s[4:5], s[2:3]
	s_cbranch_execz .LBB411_103
; %bb.102:
	v_sub_f32_e32 v34, v34, v32
	s_mov_b32 s2, 0x3fb8aa3b
	v_mul_f32_e32 v35, 0x3fb8aa3b, v34
	v_fma_f32 v36, v34, s2, -v35
	v_rndne_f32_e32 v37, v35
	v_fmac_f32_e32 v36, 0x32a5705f, v34
	v_sub_f32_e32 v35, v35, v37
	v_add_f32_e32 v35, v35, v36
	v_exp_f32_e32 v35, v35
	v_cvt_i32_f32_e32 v36, v37
	s_mov_b32 s2, 0xc2ce8ed0
	v_cmp_ngt_f32_e32 vcc, s2, v34
	s_mov_b32 s2, 0x42b17218
	v_ldexp_f32 v35, v35, v36
	v_cndmask_b32_e32 v35, 0, v35, vcc
	v_mov_b32_e32 v36, 0x7f800000
	v_cmp_nlt_f32_e32 vcc, s2, v34
	v_cndmask_b32_e32 v50, v36, v35, vcc
	v_add_f32_e32 v36, 1.0, v50
	v_add_f32_e32 v34, -1.0, v36
	v_sub_f32_e32 v35, v34, v36
	v_add_f32_e32 v35, 1.0, v35
	v_sub_f32_e32 v34, v50, v34
	v_add_f32_e32 v37, v34, v35
	v_frexp_mant_f32_e32 v38, v36
	s_mov_b32 s2, 0x3f2aaaab
	v_cvt_f64_f32_e32 v[34:35], v36
	v_frexp_exp_i32_f64_e32 v34, v[34:35]
	v_cmp_gt_f32_e32 vcc, s2, v38
	v_subbrev_co_u32_e32 v42, vcc, 0, v34, vcc
	v_sub_u32_e32 v34, 0, v42
	v_ldexp_f32 v35, v36, v34
	v_add_f32_e32 v36, -1.0, v35
	v_add_f32_e32 v38, 1.0, v35
	v_ldexp_f32 v34, v37, v34
	v_add_f32_e32 v37, 1.0, v36
	v_add_f32_e32 v39, -1.0, v38
	v_sub_f32_e32 v37, v35, v37
	v_sub_f32_e32 v35, v35, v39
	v_add_f32_e32 v37, v34, v37
	v_add_f32_e32 v34, v34, v35
	v_add_f32_e32 v43, v38, v34
	v_rcp_f32_e32 v45, v43
	v_sub_f32_e32 v35, v38, v43
	v_add_f32_e32 v44, v34, v35
	v_add_f32_e32 v35, v36, v37
	v_mul_f32_e32 v47, v35, v45
	v_sub_f32_e32 v34, v36, v35
	v_mul_f32_e32 v36, v43, v47
	v_fma_f32 v38, v47, v43, -v36
	v_fmac_f32_e32 v38, v47, v44
	v_add_f32_e32 v46, v37, v34
	v_add_f32_e32 v34, v36, v38
	v_sub_f32_e32 v37, v35, v34
	v_pk_add_f32 v[40:41], v[34:35], v[36:37] neg_lo:[0,1] neg_hi:[0,1]
	v_mov_b32_e32 v39, v34
	v_pk_add_f32 v[34:35], v[40:41], v[38:39] neg_lo:[0,1] neg_hi:[0,1]
	v_add_f32_e32 v35, v46, v35
	v_add_f32_e32 v34, v34, v35
	;; [unrolled: 1-line block ×3, first 2 shown]
	v_mul_f32_e32 v46, v45, v35
	v_mul_f32_e32 v36, v43, v46
	v_fma_f32 v38, v46, v43, -v36
	v_fmac_f32_e32 v38, v46, v44
	v_sub_f32_e32 v37, v37, v35
	v_add_f32_e32 v43, v34, v37
	v_add_f32_e32 v34, v36, v38
	v_sub_f32_e32 v37, v35, v34
	v_pk_add_f32 v[40:41], v[34:35], v[36:37] neg_lo:[0,1] neg_hi:[0,1]
	v_mov_b32_e32 v39, v34
	v_pk_add_f32 v[34:35], v[40:41], v[38:39] neg_lo:[0,1] neg_hi:[0,1]
	v_add_f32_e32 v35, v43, v35
	v_add_f32_e32 v34, v34, v35
	;; [unrolled: 1-line block ×4, first 2 shown]
	v_sub_f32_e32 v35, v37, v47
	v_mul_f32_e32 v34, v45, v34
	v_sub_f32_e32 v35, v46, v35
	v_add_f32_e32 v34, v35, v34
	v_add_f32_e32 v38, v37, v34
	v_mul_f32_e32 v40, v38, v38
	v_mov_b32_e32 v36, 0x3ecc95a3
	v_fmac_f32_e32 v36, 0x3e9b6dac, v40
	v_mov_b32_e32 v35, 0x3f2aaada
	v_fmac_f32_e32 v35, v40, v36
	v_cvt_f32_i32_e32 v36, v42
	v_sub_f32_e32 v37, v38, v37
	v_sub_f32_e32 v34, v34, v37
	v_ldexp_f32 v41, v34, 1
	v_mul_f32_e32 v37, v38, v40
	v_mov_b32_e32 v34, 0x3f317218
	s_mov_b32 s2, 0x3f317218
	v_pk_mul_f32 v[34:35], v[36:37], v[34:35]
	v_ldexp_f32 v39, v38, 1
	v_fma_f32 v38, v36, s2, -v34
	v_fmac_f32_e32 v38, 0xb102e308, v36
	v_pk_add_f32 v[36:37], v[34:35], v[38:39]
	v_sub_f32_e32 v39, v37, v39
	v_sub_f32_e32 v39, v35, v39
	v_add_f32_e32 v41, v41, v39
	v_mov_b32_e32 v40, v34
	v_pk_add_f32 v[34:35], v[36:37], v[34:35] neg_lo:[0,1] neg_hi:[0,1]
	v_pk_add_f32 v[42:43], v[36:37], v[40:41]
	v_mov_b32_e32 v35, v43
	v_mov_b32_e32 v39, v36
	v_pk_add_f32 v[44:45], v[38:39], v[34:35] neg_lo:[0,1] neg_hi:[0,1]
	v_pk_add_f32 v[34:35], v[38:39], v[34:35]
	v_mov_b32_e32 v38, v35
	v_pk_add_f32 v[46:47], v[38:39], v[36:37] neg_lo:[0,1] neg_hi:[0,1]
	v_mov_b32_e32 v39, v46
	v_pk_add_f32 v[48:49], v[42:43], v[38:39] neg_lo:[0,1] neg_hi:[0,1]
	v_mov_b32_e32 v34, v43
	v_mov_b32_e32 v42, v37
	;; [unrolled: 1-line block ×4, first 2 shown]
	v_pk_add_f32 v[34:35], v[34:35], v[42:43] neg_lo:[0,1] neg_hi:[0,1]
	v_mov_b32_e32 v40, v41
	v_mov_b32_e32 v41, v36
	v_pk_add_f32 v[34:35], v[40:41], v[34:35] neg_lo:[0,1] neg_hi:[0,1]
	v_mov_b32_e32 v48, v44
	v_pk_add_f32 v[36:37], v[48:49], v[34:35]
	v_mov_b32_e32 v40, v37
	v_pk_add_f32 v[40:41], v[36:37], v[40:41]
	v_pk_add_f32 v[38:39], v[38:39], v[40:41]
	v_mov_b32_e32 v37, v38
	v_pk_add_f32 v[42:43], v[36:37], v[44:45] neg_lo:[0,1] neg_hi:[0,1]
	v_mov_b32_e32 v35, v40
	v_sub_f32_e32 v36, v36, v42
	v_pk_add_f32 v[34:35], v[34:35], v[42:43] neg_lo:[0,1] neg_hi:[0,1]
	v_sub_f32_e32 v36, v44, v36
	s_mov_b32 s3, 0x7f800000
	v_add_f32_e32 v34, v34, v36
	s_mov_b32 s2, 0x33800000
	v_add_f32_e32 v34, v34, v35
	v_cmp_eq_f32_e32 vcc, s3, v50
	v_cmp_lt_f32_e64 s[2:3], |v50|, s2
	v_add_f32_e32 v34, v38, v34
	s_or_b64 vcc, vcc, s[2:3]
	v_cndmask_b32_e32 v34, v34, v50, vcc
	v_add_f32_e32 v32, v32, v34
	v_cvt_f16_f32_e32 v35, v32
.LBB411_103:
	s_or_b64 exec, exec, s[4:5]
	v_and_b32_e32 v34, 0xffff, v35
	v_mov_b32_e32 v32, v35
.LBB411_104:
	s_or_b64 exec, exec, s[0:1]
	v_mov_b32_dpp v35, v34 row_shr:4 row_mask:0xf bank_mask:0xf
	v_cmp_lt_u32_e32 vcc, 3, v33
	s_and_saveexec_b64 s[0:1], vcc
	s_cbranch_execz .LBB411_108
; %bb.105:
	v_cvt_f32_f16_e32 v36, v35
	v_cvt_f32_f16_e32 v37, v32
	v_cmp_u_f16_e32 vcc, v35, v35
	v_cmp_u_f16_e64 s[4:5], v32, v32
	s_movk_i32 s2, 0x1f8
	v_min_f32_e32 v32, v36, v37
	v_cndmask_b32_e32 v32, v32, v36, vcc
	v_cndmask_b32_e64 v34, v32, v37, s[4:5]
	v_max_f32_e32 v32, v36, v37
	v_cndmask_b32_e32 v32, v32, v36, vcc
	v_cndmask_b32_e64 v32, v32, v37, s[4:5]
	v_cmp_neq_f32_e32 vcc, v34, v32
	v_cmp_class_f32_e64 s[2:3], v34, s2
	s_or_b64 s[2:3], vcc, s[2:3]
	s_and_saveexec_b64 s[4:5], s[2:3]
	s_cbranch_execz .LBB411_107
; %bb.106:
	v_sub_f32_e32 v34, v34, v32
	s_mov_b32 s2, 0x3fb8aa3b
	v_mul_f32_e32 v35, 0x3fb8aa3b, v34
	v_fma_f32 v36, v34, s2, -v35
	v_rndne_f32_e32 v37, v35
	v_fmac_f32_e32 v36, 0x32a5705f, v34
	v_sub_f32_e32 v35, v35, v37
	v_add_f32_e32 v35, v35, v36
	v_exp_f32_e32 v35, v35
	v_cvt_i32_f32_e32 v36, v37
	s_mov_b32 s2, 0xc2ce8ed0
	v_cmp_ngt_f32_e32 vcc, s2, v34
	s_mov_b32 s2, 0x42b17218
	v_ldexp_f32 v35, v35, v36
	v_cndmask_b32_e32 v35, 0, v35, vcc
	v_mov_b32_e32 v36, 0x7f800000
	v_cmp_nlt_f32_e32 vcc, s2, v34
	v_cndmask_b32_e32 v50, v36, v35, vcc
	v_add_f32_e32 v36, 1.0, v50
	v_add_f32_e32 v34, -1.0, v36
	v_sub_f32_e32 v35, v34, v36
	v_add_f32_e32 v35, 1.0, v35
	v_sub_f32_e32 v34, v50, v34
	v_add_f32_e32 v37, v34, v35
	v_frexp_mant_f32_e32 v38, v36
	s_mov_b32 s2, 0x3f2aaaab
	v_cvt_f64_f32_e32 v[34:35], v36
	v_frexp_exp_i32_f64_e32 v34, v[34:35]
	v_cmp_gt_f32_e32 vcc, s2, v38
	v_subbrev_co_u32_e32 v42, vcc, 0, v34, vcc
	v_sub_u32_e32 v34, 0, v42
	v_ldexp_f32 v35, v36, v34
	v_add_f32_e32 v36, -1.0, v35
	v_add_f32_e32 v38, 1.0, v35
	v_ldexp_f32 v34, v37, v34
	v_add_f32_e32 v37, 1.0, v36
	v_add_f32_e32 v39, -1.0, v38
	v_sub_f32_e32 v37, v35, v37
	v_sub_f32_e32 v35, v35, v39
	v_add_f32_e32 v37, v34, v37
	v_add_f32_e32 v34, v34, v35
	;; [unrolled: 1-line block ×3, first 2 shown]
	v_rcp_f32_e32 v45, v43
	v_sub_f32_e32 v35, v38, v43
	v_add_f32_e32 v44, v34, v35
	v_add_f32_e32 v35, v36, v37
	v_mul_f32_e32 v47, v35, v45
	v_sub_f32_e32 v34, v36, v35
	v_mul_f32_e32 v36, v43, v47
	v_fma_f32 v38, v47, v43, -v36
	v_fmac_f32_e32 v38, v47, v44
	v_add_f32_e32 v46, v37, v34
	v_add_f32_e32 v34, v36, v38
	v_sub_f32_e32 v37, v35, v34
	v_pk_add_f32 v[40:41], v[34:35], v[36:37] neg_lo:[0,1] neg_hi:[0,1]
	v_mov_b32_e32 v39, v34
	v_pk_add_f32 v[34:35], v[40:41], v[38:39] neg_lo:[0,1] neg_hi:[0,1]
	v_add_f32_e32 v35, v46, v35
	v_add_f32_e32 v34, v34, v35
	v_add_f32_e32 v35, v37, v34
	v_mul_f32_e32 v46, v45, v35
	v_mul_f32_e32 v36, v43, v46
	v_fma_f32 v38, v46, v43, -v36
	v_fmac_f32_e32 v38, v46, v44
	v_sub_f32_e32 v37, v37, v35
	v_add_f32_e32 v43, v34, v37
	v_add_f32_e32 v34, v36, v38
	v_sub_f32_e32 v37, v35, v34
	v_pk_add_f32 v[40:41], v[34:35], v[36:37] neg_lo:[0,1] neg_hi:[0,1]
	v_mov_b32_e32 v39, v34
	v_pk_add_f32 v[34:35], v[40:41], v[38:39] neg_lo:[0,1] neg_hi:[0,1]
	v_add_f32_e32 v35, v43, v35
	v_add_f32_e32 v34, v34, v35
	;; [unrolled: 1-line block ×4, first 2 shown]
	v_sub_f32_e32 v35, v37, v47
	v_mul_f32_e32 v34, v45, v34
	v_sub_f32_e32 v35, v46, v35
	v_add_f32_e32 v34, v35, v34
	v_add_f32_e32 v38, v37, v34
	v_mul_f32_e32 v40, v38, v38
	v_mov_b32_e32 v36, 0x3ecc95a3
	v_fmac_f32_e32 v36, 0x3e9b6dac, v40
	v_mov_b32_e32 v35, 0x3f2aaada
	v_fmac_f32_e32 v35, v40, v36
	v_cvt_f32_i32_e32 v36, v42
	v_sub_f32_e32 v37, v38, v37
	v_sub_f32_e32 v34, v34, v37
	v_ldexp_f32 v41, v34, 1
	v_mul_f32_e32 v37, v38, v40
	v_mov_b32_e32 v34, 0x3f317218
	s_mov_b32 s2, 0x3f317218
	v_pk_mul_f32 v[34:35], v[36:37], v[34:35]
	v_ldexp_f32 v39, v38, 1
	v_fma_f32 v38, v36, s2, -v34
	v_fmac_f32_e32 v38, 0xb102e308, v36
	v_pk_add_f32 v[36:37], v[34:35], v[38:39]
	v_sub_f32_e32 v39, v37, v39
	v_sub_f32_e32 v39, v35, v39
	v_add_f32_e32 v41, v41, v39
	v_mov_b32_e32 v40, v34
	v_pk_add_f32 v[34:35], v[36:37], v[34:35] neg_lo:[0,1] neg_hi:[0,1]
	v_pk_add_f32 v[42:43], v[36:37], v[40:41]
	v_mov_b32_e32 v35, v43
	v_mov_b32_e32 v39, v36
	v_pk_add_f32 v[44:45], v[38:39], v[34:35] neg_lo:[0,1] neg_hi:[0,1]
	v_pk_add_f32 v[34:35], v[38:39], v[34:35]
	v_mov_b32_e32 v38, v35
	v_pk_add_f32 v[46:47], v[38:39], v[36:37] neg_lo:[0,1] neg_hi:[0,1]
	v_mov_b32_e32 v39, v46
	v_pk_add_f32 v[48:49], v[42:43], v[38:39] neg_lo:[0,1] neg_hi:[0,1]
	v_mov_b32_e32 v34, v43
	v_mov_b32_e32 v42, v37
	;; [unrolled: 1-line block ×4, first 2 shown]
	v_pk_add_f32 v[34:35], v[34:35], v[42:43] neg_lo:[0,1] neg_hi:[0,1]
	v_mov_b32_e32 v40, v41
	v_mov_b32_e32 v41, v36
	v_pk_add_f32 v[34:35], v[40:41], v[34:35] neg_lo:[0,1] neg_hi:[0,1]
	v_mov_b32_e32 v48, v44
	v_pk_add_f32 v[36:37], v[48:49], v[34:35]
	v_mov_b32_e32 v40, v37
	v_pk_add_f32 v[40:41], v[36:37], v[40:41]
	v_pk_add_f32 v[38:39], v[38:39], v[40:41]
	v_mov_b32_e32 v37, v38
	v_pk_add_f32 v[42:43], v[36:37], v[44:45] neg_lo:[0,1] neg_hi:[0,1]
	v_mov_b32_e32 v35, v40
	v_sub_f32_e32 v36, v36, v42
	v_pk_add_f32 v[34:35], v[34:35], v[42:43] neg_lo:[0,1] neg_hi:[0,1]
	v_sub_f32_e32 v36, v44, v36
	s_mov_b32 s3, 0x7f800000
	v_add_f32_e32 v34, v34, v36
	s_mov_b32 s2, 0x33800000
	v_add_f32_e32 v34, v34, v35
	v_cmp_eq_f32_e32 vcc, s3, v50
	v_cmp_lt_f32_e64 s[2:3], |v50|, s2
	v_add_f32_e32 v34, v38, v34
	s_or_b64 vcc, vcc, s[2:3]
	v_cndmask_b32_e32 v34, v34, v50, vcc
	v_add_f32_e32 v32, v32, v34
	v_cvt_f16_f32_e32 v35, v32
.LBB411_107:
	s_or_b64 exec, exec, s[4:5]
	v_and_b32_e32 v34, 0xffff, v35
	v_mov_b32_e32 v32, v35
.LBB411_108:
	s_or_b64 exec, exec, s[0:1]
	v_mov_b32_dpp v35, v34 row_shr:8 row_mask:0xf bank_mask:0xf
	v_cmp_lt_u32_e32 vcc, 7, v33
	s_and_saveexec_b64 s[0:1], vcc
	s_cbranch_execz .LBB411_112
; %bb.109:
	v_cvt_f32_f16_e32 v34, v35
	v_cvt_f32_f16_e32 v36, v32
	v_cmp_u_f16_e32 vcc, v35, v35
	v_cmp_u_f16_e64 s[4:5], v32, v32
	s_movk_i32 s2, 0x1f8
	v_min_f32_e32 v32, v34, v36
	v_cndmask_b32_e32 v32, v32, v34, vcc
	v_cndmask_b32_e64 v33, v32, v36, s[4:5]
	v_max_f32_e32 v32, v34, v36
	v_cndmask_b32_e32 v32, v32, v34, vcc
	v_cndmask_b32_e64 v32, v32, v36, s[4:5]
	v_cmp_neq_f32_e32 vcc, v33, v32
	v_cmp_class_f32_e64 s[2:3], v33, s2
	s_or_b64 s[2:3], vcc, s[2:3]
	s_and_saveexec_b64 s[4:5], s[2:3]
	s_cbranch_execz .LBB411_111
; %bb.110:
	v_sub_f32_e32 v33, v33, v32
	s_mov_b32 s2, 0x3fb8aa3b
	v_mul_f32_e32 v34, 0x3fb8aa3b, v33
	v_fma_f32 v35, v33, s2, -v34
	v_rndne_f32_e32 v36, v34
	v_fmac_f32_e32 v35, 0x32a5705f, v33
	v_sub_f32_e32 v34, v34, v36
	v_add_f32_e32 v34, v34, v35
	v_exp_f32_e32 v34, v34
	v_cvt_i32_f32_e32 v35, v36
	s_mov_b32 s2, 0xc2ce8ed0
	v_cmp_ngt_f32_e32 vcc, s2, v33
	s_mov_b32 s2, 0x42b17218
	v_ldexp_f32 v34, v34, v35
	v_cndmask_b32_e32 v34, 0, v34, vcc
	v_mov_b32_e32 v35, 0x7f800000
	v_cmp_nlt_f32_e32 vcc, s2, v33
	v_cndmask_b32_e32 v50, v35, v34, vcc
	v_add_f32_e32 v33, 1.0, v50
	v_add_f32_e32 v34, -1.0, v33
	v_sub_f32_e32 v35, v34, v33
	v_add_f32_e32 v35, 1.0, v35
	v_sub_f32_e32 v34, v50, v34
	v_add_f32_e32 v36, v34, v35
	v_frexp_mant_f32_e32 v37, v33
	s_mov_b32 s2, 0x3f2aaaab
	v_cvt_f64_f32_e32 v[34:35], v33
	v_frexp_exp_i32_f64_e32 v34, v[34:35]
	v_cmp_gt_f32_e32 vcc, s2, v37
	v_subbrev_co_u32_e32 v42, vcc, 0, v34, vcc
	v_sub_u32_e32 v34, 0, v42
	v_ldexp_f32 v33, v33, v34
	v_ldexp_f32 v34, v36, v34
	v_add_f32_e32 v36, -1.0, v33
	v_add_f32_e32 v35, 1.0, v36
	v_sub_f32_e32 v35, v33, v35
	v_add_f32_e32 v37, v34, v35
	v_add_f32_e32 v35, 1.0, v33
	v_add_f32_e32 v38, -1.0, v35
	v_sub_f32_e32 v33, v33, v38
	v_add_f32_e32 v33, v34, v33
	v_add_f32_e32 v43, v35, v33
	v_rcp_f32_e32 v44, v43
	v_sub_f32_e32 v34, v35, v43
	v_add_f32_e32 v35, v36, v37
	v_add_f32_e32 v33, v33, v34
	v_mul_f32_e32 v46, v35, v44
	v_sub_f32_e32 v34, v36, v35
	v_mul_f32_e32 v36, v43, v46
	v_fma_f32 v38, v46, v43, -v36
	v_fmac_f32_e32 v38, v46, v33
	v_add_f32_e32 v45, v37, v34
	v_add_f32_e32 v34, v36, v38
	v_sub_f32_e32 v37, v35, v34
	v_pk_add_f32 v[40:41], v[34:35], v[36:37] neg_lo:[0,1] neg_hi:[0,1]
	v_mov_b32_e32 v39, v34
	v_pk_add_f32 v[34:35], v[40:41], v[38:39] neg_lo:[0,1] neg_hi:[0,1]
	v_add_f32_e32 v35, v45, v35
	v_add_f32_e32 v34, v34, v35
	;; [unrolled: 1-line block ×3, first 2 shown]
	v_mul_f32_e32 v45, v44, v35
	v_mul_f32_e32 v36, v43, v45
	v_fma_f32 v38, v45, v43, -v36
	v_fmac_f32_e32 v38, v45, v33
	v_sub_f32_e32 v33, v37, v35
	v_add_f32_e32 v33, v34, v33
	v_add_f32_e32 v34, v36, v38
	v_sub_f32_e32 v37, v35, v34
	v_pk_add_f32 v[40:41], v[34:35], v[36:37] neg_lo:[0,1] neg_hi:[0,1]
	v_mov_b32_e32 v39, v34
	v_pk_add_f32 v[34:35], v[40:41], v[38:39] neg_lo:[0,1] neg_hi:[0,1]
	v_add_f32_e32 v33, v33, v35
	v_add_f32_e32 v33, v34, v33
	;; [unrolled: 1-line block ×4, first 2 shown]
	v_sub_f32_e32 v35, v34, v46
	v_mul_f32_e32 v33, v44, v33
	v_sub_f32_e32 v35, v45, v35
	v_add_f32_e32 v33, v35, v33
	v_add_f32_e32 v37, v34, v33
	v_mul_f32_e32 v38, v37, v37
	v_mov_b32_e32 v36, 0x3ecc95a3
	v_fmac_f32_e32 v36, 0x3e9b6dac, v38
	v_mov_b32_e32 v35, 0x3f2aaada
	v_fmac_f32_e32 v35, v38, v36
	v_cvt_f32_i32_e32 v36, v42
	v_sub_f32_e32 v34, v37, v34
	v_sub_f32_e32 v33, v33, v34
	v_ldexp_f32 v39, v37, 1
	v_mul_f32_e32 v37, v37, v38
	v_mov_b32_e32 v34, 0x3f317218
	s_mov_b32 s2, 0x3f317218
	v_pk_mul_f32 v[34:35], v[36:37], v[34:35]
	v_fma_f32 v38, v36, s2, -v34
	v_fmac_f32_e32 v38, 0xb102e308, v36
	v_pk_add_f32 v[36:37], v[34:35], v[38:39]
	v_sub_f32_e32 v39, v37, v39
	v_ldexp_f32 v33, v33, 1
	v_sub_f32_e32 v39, v35, v39
	v_add_f32_e32 v41, v33, v39
	v_mov_b32_e32 v40, v34
	v_pk_add_f32 v[34:35], v[36:37], v[34:35] neg_lo:[0,1] neg_hi:[0,1]
	v_pk_add_f32 v[42:43], v[36:37], v[40:41]
	v_mov_b32_e32 v35, v43
	v_mov_b32_e32 v39, v36
	v_pk_add_f32 v[44:45], v[38:39], v[34:35] neg_lo:[0,1] neg_hi:[0,1]
	v_pk_add_f32 v[34:35], v[38:39], v[34:35]
	v_mov_b32_e32 v38, v35
	v_pk_add_f32 v[46:47], v[38:39], v[36:37] neg_lo:[0,1] neg_hi:[0,1]
	v_mov_b32_e32 v33, v46
	v_pk_add_f32 v[48:49], v[42:43], v[32:33] neg_lo:[0,1] neg_hi:[0,1]
	v_mov_b32_e32 v34, v43
	v_mov_b32_e32 v42, v37
	;; [unrolled: 1-line block ×4, first 2 shown]
	v_pk_add_f32 v[34:35], v[34:35], v[42:43] neg_lo:[0,1] neg_hi:[0,1]
	v_mov_b32_e32 v40, v41
	v_mov_b32_e32 v41, v36
	v_pk_add_f32 v[34:35], v[40:41], v[34:35] neg_lo:[0,1] neg_hi:[0,1]
	v_mov_b32_e32 v48, v44
	v_pk_add_f32 v[36:37], v[48:49], v[34:35]
	v_mov_b32_e32 v40, v37
	v_pk_add_f32 v[40:41], v[36:37], v[40:41]
	v_pk_add_f32 v[38:39], v[38:39], v[40:41]
	v_mov_b32_e32 v37, v38
	v_pk_add_f32 v[42:43], v[36:37], v[44:45] neg_lo:[0,1] neg_hi:[0,1]
	v_mov_b32_e32 v35, v40
	v_sub_f32_e32 v33, v36, v42
	v_pk_add_f32 v[34:35], v[34:35], v[42:43] neg_lo:[0,1] neg_hi:[0,1]
	v_sub_f32_e32 v33, v44, v33
	s_mov_b32 s3, 0x7f800000
	v_add_f32_e32 v33, v34, v33
	s_mov_b32 s2, 0x33800000
	v_add_f32_e32 v33, v33, v35
	v_cmp_eq_f32_e32 vcc, s3, v50
	v_cmp_lt_f32_e64 s[2:3], |v50|, s2
	v_add_f32_e32 v33, v38, v33
	s_or_b64 vcc, vcc, s[2:3]
	v_cndmask_b32_e32 v33, v33, v50, vcc
	v_add_f32_e32 v32, v32, v33
	v_cvt_f16_f32_e32 v35, v32
.LBB411_111:
	s_or_b64 exec, exec, s[4:5]
	v_and_b32_e32 v34, 0xffff, v35
	v_mov_b32_e32 v32, v35
.LBB411_112:
	s_or_b64 exec, exec, s[0:1]
	v_and_b32_e32 v35, 16, v31
	v_mov_b32_dpp v33, v34 row_bcast:15 row_mask:0xf bank_mask:0xf
	v_cmp_ne_u32_e32 vcc, 0, v35
	s_and_saveexec_b64 s[0:1], vcc
	s_cbranch_execz .LBB411_116
; %bb.113:
	v_cvt_f32_f16_e32 v35, v33
	v_cvt_f32_f16_e32 v36, v32
	v_cmp_u_f16_e32 vcc, v33, v33
	v_cmp_u_f16_e64 s[4:5], v32, v32
	s_movk_i32 s2, 0x1f8
	v_min_f32_e32 v32, v35, v36
	v_cndmask_b32_e32 v32, v32, v35, vcc
	v_cndmask_b32_e64 v34, v32, v36, s[4:5]
	v_max_f32_e32 v32, v35, v36
	v_cndmask_b32_e32 v32, v32, v35, vcc
	v_cndmask_b32_e64 v32, v32, v36, s[4:5]
	v_cmp_neq_f32_e32 vcc, v34, v32
	v_cmp_class_f32_e64 s[2:3], v34, s2
	s_or_b64 s[2:3], vcc, s[2:3]
	s_and_saveexec_b64 s[4:5], s[2:3]
	s_cbranch_execz .LBB411_115
; %bb.114:
	v_sub_f32_e32 v33, v34, v32
	s_mov_b32 s2, 0x3fb8aa3b
	v_mul_f32_e32 v34, 0x3fb8aa3b, v33
	v_fma_f32 v35, v33, s2, -v34
	v_rndne_f32_e32 v36, v34
	v_fmac_f32_e32 v35, 0x32a5705f, v33
	v_sub_f32_e32 v34, v34, v36
	v_add_f32_e32 v34, v34, v35
	v_exp_f32_e32 v34, v34
	v_cvt_i32_f32_e32 v35, v36
	s_mov_b32 s2, 0xc2ce8ed0
	v_cmp_ngt_f32_e32 vcc, s2, v33
	s_mov_b32 s2, 0x42b17218
	v_ldexp_f32 v34, v34, v35
	v_cndmask_b32_e32 v34, 0, v34, vcc
	v_mov_b32_e32 v35, 0x7f800000
	v_cmp_nlt_f32_e32 vcc, s2, v33
	v_cndmask_b32_e32 v50, v35, v34, vcc
	v_add_f32_e32 v33, 1.0, v50
	v_add_f32_e32 v34, -1.0, v33
	v_sub_f32_e32 v35, v34, v33
	v_add_f32_e32 v35, 1.0, v35
	v_sub_f32_e32 v34, v50, v34
	v_add_f32_e32 v36, v34, v35
	v_frexp_mant_f32_e32 v37, v33
	s_mov_b32 s2, 0x3f2aaaab
	v_cvt_f64_f32_e32 v[34:35], v33
	v_frexp_exp_i32_f64_e32 v34, v[34:35]
	v_cmp_gt_f32_e32 vcc, s2, v37
	v_subbrev_co_u32_e32 v42, vcc, 0, v34, vcc
	v_sub_u32_e32 v34, 0, v42
	v_ldexp_f32 v33, v33, v34
	v_ldexp_f32 v34, v36, v34
	v_add_f32_e32 v36, -1.0, v33
	v_add_f32_e32 v35, 1.0, v36
	v_sub_f32_e32 v35, v33, v35
	v_add_f32_e32 v37, v34, v35
	v_add_f32_e32 v35, 1.0, v33
	v_add_f32_e32 v38, -1.0, v35
	v_sub_f32_e32 v33, v33, v38
	v_add_f32_e32 v33, v34, v33
	v_add_f32_e32 v43, v35, v33
	v_rcp_f32_e32 v44, v43
	v_sub_f32_e32 v34, v35, v43
	v_add_f32_e32 v35, v36, v37
	v_add_f32_e32 v33, v33, v34
	v_mul_f32_e32 v46, v35, v44
	v_sub_f32_e32 v34, v36, v35
	v_mul_f32_e32 v36, v43, v46
	v_fma_f32 v38, v46, v43, -v36
	v_fmac_f32_e32 v38, v46, v33
	v_add_f32_e32 v45, v37, v34
	v_add_f32_e32 v34, v36, v38
	v_sub_f32_e32 v37, v35, v34
	v_pk_add_f32 v[40:41], v[34:35], v[36:37] neg_lo:[0,1] neg_hi:[0,1]
	v_mov_b32_e32 v39, v34
	v_pk_add_f32 v[34:35], v[40:41], v[38:39] neg_lo:[0,1] neg_hi:[0,1]
	v_add_f32_e32 v35, v45, v35
	v_add_f32_e32 v34, v34, v35
	;; [unrolled: 1-line block ×3, first 2 shown]
	v_mul_f32_e32 v45, v44, v35
	v_mul_f32_e32 v36, v43, v45
	v_fma_f32 v38, v45, v43, -v36
	v_fmac_f32_e32 v38, v45, v33
	v_sub_f32_e32 v33, v37, v35
	v_add_f32_e32 v33, v34, v33
	v_add_f32_e32 v34, v36, v38
	v_sub_f32_e32 v37, v35, v34
	v_pk_add_f32 v[40:41], v[34:35], v[36:37] neg_lo:[0,1] neg_hi:[0,1]
	v_mov_b32_e32 v39, v34
	v_pk_add_f32 v[34:35], v[40:41], v[38:39] neg_lo:[0,1] neg_hi:[0,1]
	v_add_f32_e32 v33, v33, v35
	v_add_f32_e32 v33, v34, v33
	;; [unrolled: 1-line block ×4, first 2 shown]
	v_sub_f32_e32 v35, v34, v46
	v_mul_f32_e32 v33, v44, v33
	v_sub_f32_e32 v35, v45, v35
	v_add_f32_e32 v33, v35, v33
	v_add_f32_e32 v37, v34, v33
	v_mul_f32_e32 v38, v37, v37
	v_mov_b32_e32 v36, 0x3ecc95a3
	v_fmac_f32_e32 v36, 0x3e9b6dac, v38
	v_mov_b32_e32 v35, 0x3f2aaada
	v_fmac_f32_e32 v35, v38, v36
	v_cvt_f32_i32_e32 v36, v42
	v_sub_f32_e32 v34, v37, v34
	v_sub_f32_e32 v33, v33, v34
	v_ldexp_f32 v39, v37, 1
	v_mul_f32_e32 v37, v37, v38
	v_mov_b32_e32 v34, 0x3f317218
	s_mov_b32 s2, 0x3f317218
	v_pk_mul_f32 v[34:35], v[36:37], v[34:35]
	v_fma_f32 v38, v36, s2, -v34
	v_fmac_f32_e32 v38, 0xb102e308, v36
	v_pk_add_f32 v[36:37], v[34:35], v[38:39]
	v_sub_f32_e32 v39, v37, v39
	v_ldexp_f32 v33, v33, 1
	v_sub_f32_e32 v39, v35, v39
	v_add_f32_e32 v41, v33, v39
	v_mov_b32_e32 v40, v34
	v_pk_add_f32 v[34:35], v[36:37], v[34:35] neg_lo:[0,1] neg_hi:[0,1]
	v_pk_add_f32 v[42:43], v[36:37], v[40:41]
	v_mov_b32_e32 v35, v43
	v_mov_b32_e32 v39, v36
	v_pk_add_f32 v[44:45], v[38:39], v[34:35] neg_lo:[0,1] neg_hi:[0,1]
	v_pk_add_f32 v[34:35], v[38:39], v[34:35]
	v_mov_b32_e32 v38, v35
	v_pk_add_f32 v[46:47], v[38:39], v[36:37] neg_lo:[0,1] neg_hi:[0,1]
	v_mov_b32_e32 v33, v46
	v_pk_add_f32 v[48:49], v[42:43], v[32:33] neg_lo:[0,1] neg_hi:[0,1]
	v_mov_b32_e32 v34, v43
	v_mov_b32_e32 v42, v37
	;; [unrolled: 1-line block ×4, first 2 shown]
	v_pk_add_f32 v[34:35], v[34:35], v[42:43] neg_lo:[0,1] neg_hi:[0,1]
	v_mov_b32_e32 v40, v41
	v_mov_b32_e32 v41, v36
	v_pk_add_f32 v[34:35], v[40:41], v[34:35] neg_lo:[0,1] neg_hi:[0,1]
	v_mov_b32_e32 v48, v44
	v_pk_add_f32 v[36:37], v[48:49], v[34:35]
	v_mov_b32_e32 v40, v37
	v_pk_add_f32 v[40:41], v[36:37], v[40:41]
	v_pk_add_f32 v[38:39], v[38:39], v[40:41]
	v_mov_b32_e32 v37, v38
	v_pk_add_f32 v[42:43], v[36:37], v[44:45] neg_lo:[0,1] neg_hi:[0,1]
	v_mov_b32_e32 v35, v40
	v_sub_f32_e32 v33, v36, v42
	v_pk_add_f32 v[34:35], v[34:35], v[42:43] neg_lo:[0,1] neg_hi:[0,1]
	v_sub_f32_e32 v33, v44, v33
	s_mov_b32 s3, 0x7f800000
	v_add_f32_e32 v33, v34, v33
	s_mov_b32 s2, 0x33800000
	v_add_f32_e32 v33, v33, v35
	v_cmp_eq_f32_e32 vcc, s3, v50
	v_cmp_lt_f32_e64 s[2:3], |v50|, s2
	v_add_f32_e32 v33, v38, v33
	s_or_b64 vcc, vcc, s[2:3]
	v_cndmask_b32_e32 v33, v33, v50, vcc
	v_add_f32_e32 v32, v32, v33
	v_cvt_f16_f32_e32 v33, v32
.LBB411_115:
	s_or_b64 exec, exec, s[4:5]
	v_and_b32_e32 v34, 0xffff, v33
	v_mov_b32_e32 v32, v33
.LBB411_116:
	s_or_b64 exec, exec, s[0:1]
	v_mov_b32_dpp v33, v34 row_bcast:31 row_mask:0xf bank_mask:0xf
	v_cmp_lt_u32_e32 vcc, 31, v31
	s_and_saveexec_b64 s[0:1], vcc
	s_cbranch_execz .LBB411_120
; %bb.117:
	v_cvt_f32_f16_e32 v35, v33
	v_cvt_f32_f16_e32 v36, v32
	v_cmp_u_f16_e32 vcc, v33, v33
	v_cmp_u_f16_e64 s[4:5], v32, v32
	s_movk_i32 s2, 0x1f8
	v_min_f32_e32 v32, v35, v36
	v_cndmask_b32_e32 v32, v32, v35, vcc
	v_cndmask_b32_e64 v34, v32, v36, s[4:5]
	v_max_f32_e32 v32, v35, v36
	v_cndmask_b32_e32 v32, v32, v35, vcc
	v_cndmask_b32_e64 v32, v32, v36, s[4:5]
	v_cmp_neq_f32_e32 vcc, v34, v32
	v_cmp_class_f32_e64 s[2:3], v34, s2
	s_or_b64 s[2:3], vcc, s[2:3]
	s_and_saveexec_b64 s[4:5], s[2:3]
	s_cbranch_execz .LBB411_119
; %bb.118:
	v_sub_f32_e32 v33, v34, v32
	s_mov_b32 s2, 0x3fb8aa3b
	v_mul_f32_e32 v34, 0x3fb8aa3b, v33
	v_fma_f32 v35, v33, s2, -v34
	v_rndne_f32_e32 v36, v34
	v_fmac_f32_e32 v35, 0x32a5705f, v33
	v_sub_f32_e32 v34, v34, v36
	v_add_f32_e32 v34, v34, v35
	v_exp_f32_e32 v34, v34
	v_cvt_i32_f32_e32 v35, v36
	s_mov_b32 s2, 0xc2ce8ed0
	v_cmp_ngt_f32_e32 vcc, s2, v33
	s_mov_b32 s2, 0x42b17218
	v_ldexp_f32 v34, v34, v35
	v_cndmask_b32_e32 v34, 0, v34, vcc
	v_mov_b32_e32 v35, 0x7f800000
	v_cmp_nlt_f32_e32 vcc, s2, v33
	v_cndmask_b32_e32 v50, v35, v34, vcc
	v_add_f32_e32 v33, 1.0, v50
	v_add_f32_e32 v34, -1.0, v33
	v_sub_f32_e32 v35, v34, v33
	v_add_f32_e32 v35, 1.0, v35
	v_sub_f32_e32 v34, v50, v34
	v_add_f32_e32 v36, v34, v35
	v_frexp_mant_f32_e32 v37, v33
	s_mov_b32 s2, 0x3f2aaaab
	v_cvt_f64_f32_e32 v[34:35], v33
	v_frexp_exp_i32_f64_e32 v34, v[34:35]
	v_cmp_gt_f32_e32 vcc, s2, v37
	v_subbrev_co_u32_e32 v42, vcc, 0, v34, vcc
	v_sub_u32_e32 v34, 0, v42
	v_ldexp_f32 v33, v33, v34
	v_ldexp_f32 v34, v36, v34
	v_add_f32_e32 v36, -1.0, v33
	v_add_f32_e32 v35, 1.0, v36
	v_sub_f32_e32 v35, v33, v35
	v_add_f32_e32 v37, v34, v35
	v_add_f32_e32 v35, 1.0, v33
	v_add_f32_e32 v38, -1.0, v35
	v_sub_f32_e32 v33, v33, v38
	v_add_f32_e32 v33, v34, v33
	v_add_f32_e32 v43, v35, v33
	v_rcp_f32_e32 v44, v43
	v_sub_f32_e32 v34, v35, v43
	v_add_f32_e32 v35, v36, v37
	v_add_f32_e32 v33, v33, v34
	v_mul_f32_e32 v46, v35, v44
	v_sub_f32_e32 v34, v36, v35
	v_mul_f32_e32 v36, v43, v46
	v_fma_f32 v38, v46, v43, -v36
	v_fmac_f32_e32 v38, v46, v33
	v_add_f32_e32 v45, v37, v34
	v_add_f32_e32 v34, v36, v38
	v_sub_f32_e32 v37, v35, v34
	v_pk_add_f32 v[40:41], v[34:35], v[36:37] neg_lo:[0,1] neg_hi:[0,1]
	v_mov_b32_e32 v39, v34
	v_pk_add_f32 v[34:35], v[40:41], v[38:39] neg_lo:[0,1] neg_hi:[0,1]
	v_add_f32_e32 v35, v45, v35
	v_add_f32_e32 v34, v34, v35
	;; [unrolled: 1-line block ×3, first 2 shown]
	v_mul_f32_e32 v45, v44, v35
	v_mul_f32_e32 v36, v43, v45
	v_fma_f32 v38, v45, v43, -v36
	v_fmac_f32_e32 v38, v45, v33
	v_sub_f32_e32 v33, v37, v35
	v_add_f32_e32 v33, v34, v33
	v_add_f32_e32 v34, v36, v38
	v_sub_f32_e32 v37, v35, v34
	v_pk_add_f32 v[40:41], v[34:35], v[36:37] neg_lo:[0,1] neg_hi:[0,1]
	v_mov_b32_e32 v39, v34
	v_pk_add_f32 v[34:35], v[40:41], v[38:39] neg_lo:[0,1] neg_hi:[0,1]
	v_add_f32_e32 v33, v33, v35
	v_add_f32_e32 v33, v34, v33
	;; [unrolled: 1-line block ×4, first 2 shown]
	v_sub_f32_e32 v35, v34, v46
	v_mul_f32_e32 v33, v44, v33
	v_sub_f32_e32 v35, v45, v35
	v_add_f32_e32 v33, v35, v33
	v_add_f32_e32 v37, v34, v33
	v_mul_f32_e32 v38, v37, v37
	v_mov_b32_e32 v36, 0x3ecc95a3
	v_fmac_f32_e32 v36, 0x3e9b6dac, v38
	v_mov_b32_e32 v35, 0x3f2aaada
	v_fmac_f32_e32 v35, v38, v36
	v_cvt_f32_i32_e32 v36, v42
	v_sub_f32_e32 v34, v37, v34
	v_sub_f32_e32 v33, v33, v34
	v_ldexp_f32 v39, v37, 1
	v_mul_f32_e32 v37, v37, v38
	v_mov_b32_e32 v34, 0x3f317218
	s_mov_b32 s2, 0x3f317218
	v_pk_mul_f32 v[34:35], v[36:37], v[34:35]
	v_fma_f32 v38, v36, s2, -v34
	v_fmac_f32_e32 v38, 0xb102e308, v36
	v_pk_add_f32 v[36:37], v[34:35], v[38:39]
	v_sub_f32_e32 v39, v37, v39
	v_ldexp_f32 v33, v33, 1
	v_sub_f32_e32 v39, v35, v39
	v_add_f32_e32 v41, v33, v39
	v_mov_b32_e32 v40, v34
	v_pk_add_f32 v[34:35], v[36:37], v[34:35] neg_lo:[0,1] neg_hi:[0,1]
	v_pk_add_f32 v[42:43], v[36:37], v[40:41]
	v_mov_b32_e32 v35, v43
	v_mov_b32_e32 v39, v36
	v_pk_add_f32 v[44:45], v[38:39], v[34:35] neg_lo:[0,1] neg_hi:[0,1]
	v_pk_add_f32 v[34:35], v[38:39], v[34:35]
	v_mov_b32_e32 v38, v35
	v_pk_add_f32 v[46:47], v[38:39], v[36:37] neg_lo:[0,1] neg_hi:[0,1]
	v_mov_b32_e32 v33, v46
	v_pk_add_f32 v[48:49], v[42:43], v[32:33] neg_lo:[0,1] neg_hi:[0,1]
	v_mov_b32_e32 v34, v43
	v_mov_b32_e32 v42, v37
	;; [unrolled: 1-line block ×4, first 2 shown]
	v_pk_add_f32 v[34:35], v[34:35], v[42:43] neg_lo:[0,1] neg_hi:[0,1]
	v_mov_b32_e32 v40, v41
	v_mov_b32_e32 v41, v36
	v_pk_add_f32 v[34:35], v[40:41], v[34:35] neg_lo:[0,1] neg_hi:[0,1]
	v_mov_b32_e32 v48, v44
	v_pk_add_f32 v[36:37], v[48:49], v[34:35]
	v_mov_b32_e32 v40, v37
	v_pk_add_f32 v[40:41], v[36:37], v[40:41]
	v_pk_add_f32 v[38:39], v[38:39], v[40:41]
	v_mov_b32_e32 v37, v38
	v_pk_add_f32 v[42:43], v[36:37], v[44:45] neg_lo:[0,1] neg_hi:[0,1]
	v_mov_b32_e32 v35, v40
	v_sub_f32_e32 v33, v36, v42
	v_pk_add_f32 v[34:35], v[34:35], v[42:43] neg_lo:[0,1] neg_hi:[0,1]
	v_sub_f32_e32 v33, v44, v33
	s_mov_b32 s3, 0x7f800000
	v_add_f32_e32 v33, v34, v33
	s_mov_b32 s2, 0x33800000
	v_add_f32_e32 v33, v33, v35
	v_cmp_eq_f32_e32 vcc, s3, v50
	v_cmp_lt_f32_e64 s[2:3], |v50|, s2
	v_add_f32_e32 v33, v38, v33
	s_or_b64 vcc, vcc, s[2:3]
	v_cndmask_b32_e32 v33, v33, v50, vcc
	v_add_f32_e32 v32, v32, v33
	v_cvt_f16_f32_e32 v33, v32
.LBB411_119:
	s_or_b64 exec, exec, s[4:5]
	v_mov_b32_e32 v32, v33
.LBB411_120:
	s_or_b64 exec, exec, s[0:1]
	v_cmp_eq_u32_e32 vcc, 63, v0
	s_and_saveexec_b64 s[0:1], vcc
	s_cbranch_execz .LBB411_122
; %bb.121:
	v_mov_b32_e32 v33, 0
	ds_write_b16 v33, v32
.LBB411_122:
	s_or_b64 exec, exec, s[0:1]
	v_add_u32_e32 v33, -1, v31
	v_and_b32_e32 v34, 64, v31
	v_cmp_lt_i32_e32 vcc, v33, v34
	v_cndmask_b32_e32 v31, v33, v31, vcc
	v_and_b32_e32 v32, 0xffff, v32
	v_lshlrev_b32_e32 v31, 2, v31
	ds_bpermute_b32 v32, v31, v32
	v_cmp_ne_u32_e32 vcc, 0, v0
	v_mov_b32_e32 v31, v2
	s_waitcnt lgkmcnt(0)
	; wave barrier
	s_waitcnt lgkmcnt(0)
	s_and_saveexec_b64 s[4:5], vcc
	s_cbranch_execz .LBB411_126
; %bb.123:
	v_cvt_f32_f16_e32 v33, v32
	v_max_f32_e32 v2, v15, v15
	v_cmp_u_f16_e32 vcc, v32, v32
	s_movk_i32 s0, 0x1f8
	v_min_f32_e32 v29, v33, v2
	v_max_f32_e32 v2, v33, v2
	v_cndmask_b32_e32 v29, v29, v33, vcc
	v_cndmask_b32_e32 v2, v2, v33, vcc
	v_cndmask_b32_e64 v29, v29, v15, s[94:95]
	v_cndmask_b32_e64 v2, v2, v15, s[94:95]
	v_cmp_neq_f32_e32 vcc, v29, v2
	v_cmp_class_f32_e64 s[0:1], v29, s0
	s_or_b64 s[2:3], vcc, s[0:1]
	s_and_saveexec_b64 s[0:1], s[2:3]
	s_cbranch_execz .LBB411_125
; %bb.124:
	v_sub_f32_e32 v15, v29, v2
	s_mov_b32 s2, 0x3fb8aa3b
	v_mul_f32_e32 v29, 0x3fb8aa3b, v15
	v_fma_f32 v30, v15, s2, -v29
	v_rndne_f32_e32 v31, v29
	v_fmac_f32_e32 v30, 0x32a5705f, v15
	v_sub_f32_e32 v29, v29, v31
	v_add_f32_e32 v29, v29, v30
	v_exp_f32_e32 v29, v29
	v_cvt_i32_f32_e32 v30, v31
	s_mov_b32 s2, 0xc2ce8ed0
	v_cmp_ngt_f32_e32 vcc, s2, v15
	s_mov_b32 s2, 0x42b17218
	v_ldexp_f32 v29, v29, v30
	v_cndmask_b32_e32 v29, 0, v29, vcc
	v_mov_b32_e32 v30, 0x7f800000
	v_cmp_nlt_f32_e32 vcc, s2, v15
	v_cndmask_b32_e32 v29, v30, v29, vcc
	v_add_f32_e32 v15, 1.0, v29
	v_add_f32_e32 v30, -1.0, v15
	v_sub_f32_e32 v31, v30, v15
	v_add_f32_e32 v31, 1.0, v31
	v_sub_f32_e32 v30, v29, v30
	v_add_f32_e32 v32, v30, v31
	v_frexp_mant_f32_e32 v33, v15
	s_mov_b32 s2, 0x3f2aaaab
	v_cvt_f64_f32_e32 v[30:31], v15
	v_frexp_exp_i32_f64_e32 v30, v[30:31]
	v_cmp_gt_f32_e32 vcc, s2, v33
	v_subbrev_co_u32_e32 v38, vcc, 0, v30, vcc
	v_sub_u32_e32 v30, 0, v38
	v_ldexp_f32 v15, v15, v30
	v_ldexp_f32 v30, v32, v30
	v_add_f32_e32 v32, -1.0, v15
	v_add_f32_e32 v31, 1.0, v32
	v_sub_f32_e32 v31, v15, v31
	v_add_f32_e32 v33, v30, v31
	v_add_f32_e32 v31, 1.0, v15
	v_add_f32_e32 v34, -1.0, v31
	v_sub_f32_e32 v15, v15, v34
	v_add_f32_e32 v15, v30, v15
	v_add_f32_e32 v39, v31, v15
	v_rcp_f32_e32 v40, v39
	v_sub_f32_e32 v30, v31, v39
	v_add_f32_e32 v31, v32, v33
	v_add_f32_e32 v15, v15, v30
	v_mul_f32_e32 v42, v31, v40
	v_sub_f32_e32 v30, v32, v31
	v_mul_f32_e32 v32, v39, v42
	v_fma_f32 v34, v42, v39, -v32
	v_fmac_f32_e32 v34, v42, v15
	v_add_f32_e32 v41, v33, v30
	v_add_f32_e32 v30, v32, v34
	v_sub_f32_e32 v33, v31, v30
	v_pk_add_f32 v[36:37], v[30:31], v[32:33] neg_lo:[0,1] neg_hi:[0,1]
	v_mov_b32_e32 v35, v30
	v_pk_add_f32 v[30:31], v[36:37], v[34:35] neg_lo:[0,1] neg_hi:[0,1]
	v_add_f32_e32 v31, v41, v31
	v_add_f32_e32 v30, v30, v31
	;; [unrolled: 1-line block ×3, first 2 shown]
	v_mul_f32_e32 v41, v40, v31
	v_mul_f32_e32 v32, v39, v41
	v_fma_f32 v34, v41, v39, -v32
	v_fmac_f32_e32 v34, v41, v15
	v_sub_f32_e32 v15, v33, v31
	v_add_f32_e32 v15, v30, v15
	v_add_f32_e32 v30, v32, v34
	v_sub_f32_e32 v33, v31, v30
	v_pk_add_f32 v[36:37], v[30:31], v[32:33] neg_lo:[0,1] neg_hi:[0,1]
	v_mov_b32_e32 v35, v30
	v_pk_add_f32 v[30:31], v[36:37], v[34:35] neg_lo:[0,1] neg_hi:[0,1]
	v_add_f32_e32 v15, v15, v31
	v_add_f32_e32 v15, v30, v15
	;; [unrolled: 1-line block ×4, first 2 shown]
	v_sub_f32_e32 v31, v30, v42
	v_mul_f32_e32 v15, v40, v15
	v_sub_f32_e32 v31, v41, v31
	v_add_f32_e32 v15, v31, v15
	v_add_f32_e32 v33, v30, v15
	v_mul_f32_e32 v34, v33, v33
	v_mov_b32_e32 v32, 0x3ecc95a3
	v_fmac_f32_e32 v32, 0x3e9b6dac, v34
	v_mov_b32_e32 v31, 0x3f2aaada
	v_fmac_f32_e32 v31, v34, v32
	v_cvt_f32_i32_e32 v32, v38
	v_sub_f32_e32 v30, v33, v30
	v_sub_f32_e32 v15, v15, v30
	v_ldexp_f32 v35, v33, 1
	v_mul_f32_e32 v33, v33, v34
	v_mov_b32_e32 v30, 0x3f317218
	s_mov_b32 s2, 0x3f317218
	v_pk_mul_f32 v[30:31], v[32:33], v[30:31]
	v_fma_f32 v34, v32, s2, -v30
	v_fmac_f32_e32 v34, 0xb102e308, v32
	v_pk_add_f32 v[32:33], v[30:31], v[34:35]
	v_sub_f32_e32 v35, v33, v35
	v_ldexp_f32 v15, v15, 1
	v_sub_f32_e32 v35, v31, v35
	v_add_f32_e32 v37, v15, v35
	v_mov_b32_e32 v36, v30
	v_pk_add_f32 v[30:31], v[32:33], v[30:31] neg_lo:[0,1] neg_hi:[0,1]
	v_pk_add_f32 v[38:39], v[32:33], v[36:37]
	v_mov_b32_e32 v31, v39
	v_mov_b32_e32 v35, v32
	v_pk_add_f32 v[40:41], v[34:35], v[30:31] neg_lo:[0,1] neg_hi:[0,1]
	v_pk_add_f32 v[30:31], v[34:35], v[30:31]
	v_mov_b32_e32 v34, v31
	v_pk_add_f32 v[42:43], v[34:35], v[32:33] neg_lo:[0,1] neg_hi:[0,1]
	v_mov_b32_e32 v15, v42
	v_pk_add_f32 v[44:45], v[38:39], v[14:15] neg_lo:[0,1] neg_hi:[0,1]
	v_mov_b32_e32 v30, v39
	v_mov_b32_e32 v38, v33
	;; [unrolled: 1-line block ×4, first 2 shown]
	v_pk_add_f32 v[30:31], v[30:31], v[38:39] neg_lo:[0,1] neg_hi:[0,1]
	v_mov_b32_e32 v36, v37
	v_mov_b32_e32 v37, v32
	v_pk_add_f32 v[30:31], v[36:37], v[30:31] neg_lo:[0,1] neg_hi:[0,1]
	v_mov_b32_e32 v44, v40
	v_pk_add_f32 v[32:33], v[44:45], v[30:31]
	v_mov_b32_e32 v36, v33
	v_pk_add_f32 v[36:37], v[32:33], v[36:37]
	v_pk_add_f32 v[34:35], v[34:35], v[36:37]
	v_mov_b32_e32 v33, v34
	v_pk_add_f32 v[38:39], v[32:33], v[40:41] neg_lo:[0,1] neg_hi:[0,1]
	v_mov_b32_e32 v31, v36
	v_sub_f32_e32 v15, v32, v38
	v_pk_add_f32 v[30:31], v[30:31], v[38:39] neg_lo:[0,1] neg_hi:[0,1]
	v_sub_f32_e32 v15, v40, v15
	s_mov_b32 s3, 0x7f800000
	v_add_f32_e32 v15, v30, v15
	s_mov_b32 s2, 0x33800000
	v_add_f32_e32 v15, v15, v31
	v_cmp_eq_f32_e32 vcc, s3, v29
	v_cmp_lt_f32_e64 s[2:3], |v29|, s2
	v_add_f32_e32 v15, v34, v15
	s_or_b64 vcc, vcc, s[2:3]
	v_cndmask_b32_e32 v15, v15, v29, vcc
	v_add_f32_e32 v2, v2, v15
	v_cvt_f16_f32_e32 v32, v2
	v_cvt_f32_f16_e32 v33, v32
.LBB411_125:
	s_or_b64 exec, exec, s[0:1]
	v_max_f32_e32 v2, v16, v16
	v_max_f32_e32 v15, v33, v33
	v_min_f32_e32 v29, v15, v2
	v_max_f32_e32 v30, v15, v2
	v_mov_b32_e32 v2, v32
	v_mov_b32_e32 v31, v32
	;; [unrolled: 1-line block ×3, first 2 shown]
	;;#ASMSTART
	;;#ASMEND
.LBB411_126:
	s_or_b64 exec, exec, s[4:5]
	v_cmp_u_f16_e32 vcc, v31, v31
	v_cndmask_b32_e32 v29, v29, v15, vcc
	v_cndmask_b32_e64 v32, v29, v16, s[48:49]
	v_cndmask_b32_e32 v29, v30, v15, vcc
	v_cndmask_b32_e64 v29, v29, v16, s[48:49]
	s_movk_i32 s4, 0x1f8
	v_cmp_neq_f32_e32 vcc, v32, v29
	v_cmp_class_f32_e64 s[0:1], v32, s4
	s_or_b64 s[2:3], vcc, s[0:1]
	v_mov_b32_e32 v16, v2
	s_and_saveexec_b64 s[0:1], s[2:3]
	s_cbranch_execz .LBB411_128
; %bb.127:
	v_sub_f32_e32 v15, v32, v29
	s_mov_b32 s2, 0x3fb8aa3b
	v_mul_f32_e32 v16, 0x3fb8aa3b, v15
	v_fma_f32 v30, v15, s2, -v16
	v_rndne_f32_e32 v31, v16
	v_fmac_f32_e32 v30, 0x32a5705f, v15
	v_sub_f32_e32 v16, v16, v31
	v_add_f32_e32 v16, v16, v30
	v_exp_f32_e32 v16, v16
	v_cvt_i32_f32_e32 v30, v31
	s_mov_b32 s2, 0xc2ce8ed0
	v_cmp_ngt_f32_e32 vcc, s2, v15
	s_mov_b32 s2, 0x42b17218
	v_ldexp_f32 v16, v16, v30
	v_cndmask_b32_e32 v16, 0, v16, vcc
	v_mov_b32_e32 v30, 0x7f800000
	v_cmp_nlt_f32_e32 vcc, s2, v15
	v_cndmask_b32_e32 v44, v30, v16, vcc
	v_add_f32_e32 v15, 1.0, v44
	v_add_f32_e32 v16, -1.0, v15
	v_sub_f32_e32 v30, v16, v15
	v_add_f32_e32 v30, 1.0, v30
	v_sub_f32_e32 v16, v44, v16
	v_add_f32_e32 v16, v16, v30
	v_frexp_mant_f32_e32 v32, v15
	s_mov_b32 s2, 0x3f2aaaab
	v_cvt_f64_f32_e32 v[30:31], v15
	v_frexp_exp_i32_f64_e32 v30, v[30:31]
	v_cmp_gt_f32_e32 vcc, s2, v32
	v_subbrev_co_u32_e32 v38, vcc, 0, v30, vcc
	v_sub_u32_e32 v30, 0, v38
	v_ldexp_f32 v15, v15, v30
	v_ldexp_f32 v16, v16, v30
	v_add_f32_e32 v30, -1.0, v15
	v_add_f32_e32 v31, 1.0, v30
	v_sub_f32_e32 v31, v15, v31
	v_add_f32_e32 v32, v16, v31
	v_add_f32_e32 v31, 1.0, v15
	v_add_f32_e32 v33, -1.0, v31
	v_sub_f32_e32 v15, v15, v33
	v_add_f32_e32 v15, v16, v15
	v_add_f32_e32 v16, v31, v15
	v_rcp_f32_e32 v39, v16
	v_sub_f32_e32 v31, v31, v16
	v_add_f32_e32 v15, v15, v31
	v_add_f32_e32 v31, v30, v32
	v_sub_f32_e32 v30, v30, v31
	v_mul_f32_e32 v41, v31, v39
	v_add_f32_e32 v40, v32, v30
	v_mul_f32_e32 v32, v16, v41
	v_fma_f32 v34, v41, v16, -v32
	v_fmac_f32_e32 v34, v41, v15
	v_add_f32_e32 v30, v32, v34
	v_sub_f32_e32 v33, v31, v30
	v_pk_add_f32 v[36:37], v[30:31], v[32:33] neg_lo:[0,1] neg_hi:[0,1]
	v_mov_b32_e32 v35, v30
	v_pk_add_f32 v[30:31], v[36:37], v[34:35] neg_lo:[0,1] neg_hi:[0,1]
	v_add_f32_e32 v31, v40, v31
	v_add_f32_e32 v30, v30, v31
	;; [unrolled: 1-line block ×3, first 2 shown]
	v_mul_f32_e32 v40, v39, v31
	v_mul_f32_e32 v32, v16, v40
	v_fma_f32 v34, v40, v16, -v32
	v_fmac_f32_e32 v34, v40, v15
	v_sub_f32_e32 v15, v33, v31
	v_add_f32_e32 v15, v30, v15
	v_add_f32_e32 v30, v32, v34
	v_sub_f32_e32 v33, v31, v30
	v_pk_add_f32 v[36:37], v[30:31], v[32:33] neg_lo:[0,1] neg_hi:[0,1]
	v_mov_b32_e32 v35, v30
	v_pk_add_f32 v[30:31], v[36:37], v[34:35] neg_lo:[0,1] neg_hi:[0,1]
	v_add_f32_e32 v15, v15, v31
	v_add_f32_e32 v15, v30, v15
	;; [unrolled: 1-line block ×4, first 2 shown]
	v_sub_f32_e32 v30, v16, v41
	v_mul_f32_e32 v15, v39, v15
	v_sub_f32_e32 v30, v40, v30
	v_add_f32_e32 v15, v30, v15
	v_add_f32_e32 v30, v16, v15
	v_mul_f32_e32 v33, v30, v30
	v_mov_b32_e32 v32, 0x3ecc95a3
	v_fmac_f32_e32 v32, 0x3e9b6dac, v33
	v_mov_b32_e32 v31, 0x3f2aaada
	v_fmac_f32_e32 v31, v33, v32
	v_cvt_f32_i32_e32 v32, v38
	v_sub_f32_e32 v16, v30, v16
	v_ldexp_f32 v35, v30, 1
	v_mul_f32_e32 v33, v30, v33
	v_mov_b32_e32 v30, 0x3f317218
	s_mov_b32 s2, 0x3f317218
	v_pk_mul_f32 v[30:31], v[32:33], v[30:31]
	v_fma_f32 v34, v32, s2, -v30
	v_fmac_f32_e32 v34, 0xb102e308, v32
	v_pk_add_f32 v[32:33], v[30:31], v[34:35]
	v_sub_f32_e32 v15, v15, v16
	v_sub_f32_e32 v16, v33, v35
	v_ldexp_f32 v15, v15, 1
	v_sub_f32_e32 v16, v31, v16
	v_add_f32_e32 v37, v15, v16
	v_mov_b32_e32 v36, v30
	v_pk_add_f32 v[30:31], v[32:33], v[30:31] neg_lo:[0,1] neg_hi:[0,1]
	v_pk_add_f32 v[38:39], v[32:33], v[36:37]
	v_mov_b32_e32 v31, v39
	v_mov_b32_e32 v35, v32
	v_pk_add_f32 v[40:41], v[34:35], v[30:31] neg_lo:[0,1] neg_hi:[0,1]
	v_pk_add_f32 v[30:31], v[34:35], v[30:31]
	v_mov_b32_e32 v16, v31
	v_pk_add_f32 v[34:35], v[16:17], v[32:33] neg_lo:[0,1] neg_hi:[0,1]
	v_mov_b32_e32 v15, v34
	v_pk_add_f32 v[42:43], v[38:39], v[14:15] neg_lo:[0,1] neg_hi:[0,1]
	v_mov_b32_e32 v30, v39
	v_mov_b32_e32 v38, v33
	v_mov_b32_e32 v39, v34
	v_mov_b32_e32 v41, v31
	v_pk_add_f32 v[30:31], v[30:31], v[38:39] neg_lo:[0,1] neg_hi:[0,1]
	v_mov_b32_e32 v34, v37
	v_mov_b32_e32 v35, v32
	v_pk_add_f32 v[30:31], v[34:35], v[30:31] neg_lo:[0,1] neg_hi:[0,1]
	v_mov_b32_e32 v42, v40
	v_pk_add_f32 v[32:33], v[42:43], v[30:31]
	v_mov_b32_e32 v34, v33
	v_pk_add_f32 v[34:35], v[32:33], v[34:35]
	v_pk_add_f32 v[36:37], v[16:17], v[34:35]
	v_mov_b32_e32 v33, v36
	v_pk_add_f32 v[38:39], v[32:33], v[40:41] neg_lo:[0,1] neg_hi:[0,1]
	v_mov_b32_e32 v31, v34
	v_sub_f32_e32 v15, v32, v38
	v_pk_add_f32 v[30:31], v[30:31], v[38:39] neg_lo:[0,1] neg_hi:[0,1]
	v_sub_f32_e32 v15, v40, v15
	s_mov_b32 s3, 0x7f800000
	v_add_f32_e32 v15, v30, v15
	s_mov_b32 s2, 0x33800000
	v_add_f32_e32 v15, v15, v31
	v_cmp_eq_f32_e32 vcc, s3, v44
	v_cmp_lt_f32_e64 s[2:3], |v44|, s2
	v_add_f32_e32 v15, v36, v15
	s_or_b64 vcc, vcc, s[2:3]
	v_cndmask_b32_e32 v15, v15, v44, vcc
	v_add_f32_e32 v15, v29, v15
	v_cvt_f16_f32_e32 v31, v15
	v_cvt_f32_f16_e32 v15, v31
	v_mov_b32_e32 v16, v31
.LBB411_128:
	s_or_b64 exec, exec, s[0:1]
	v_max_f32_e32 v29, v17, v17
	v_max_f32_e32 v32, v15, v15
	v_min_f32_e32 v30, v32, v29
	v_cmp_u_f16_e32 vcc, v31, v31
	v_max_f32_e32 v29, v32, v29
	v_cndmask_b32_e32 v30, v30, v15, vcc
	v_cndmask_b32_e32 v29, v29, v15, vcc
	v_cndmask_b32_e64 v30, v30, v17, s[50:51]
	v_cndmask_b32_e64 v29, v29, v17, s[50:51]
	v_cmp_neq_f32_e32 vcc, v30, v29
	v_cmp_class_f32_e64 s[0:1], v30, s4
	s_or_b64 s[2:3], vcc, s[0:1]
	v_mov_b32_e32 v17, v16
	s_and_saveexec_b64 s[0:1], s[2:3]
	s_cbranch_execz .LBB411_130
; %bb.129:
	v_sub_f32_e32 v15, v30, v29
	s_mov_b32 s2, 0x3fb8aa3b
	v_mul_f32_e32 v17, 0x3fb8aa3b, v15
	v_fma_f32 v30, v15, s2, -v17
	v_rndne_f32_e32 v31, v17
	v_fmac_f32_e32 v30, 0x32a5705f, v15
	v_sub_f32_e32 v17, v17, v31
	v_add_f32_e32 v17, v17, v30
	v_exp_f32_e32 v17, v17
	v_cvt_i32_f32_e32 v30, v31
	s_mov_b32 s2, 0xc2ce8ed0
	v_cmp_ngt_f32_e32 vcc, s2, v15
	s_mov_b32 s2, 0x42b17218
	v_ldexp_f32 v17, v17, v30
	v_cndmask_b32_e32 v17, 0, v17, vcc
	v_mov_b32_e32 v30, 0x7f800000
	v_cmp_nlt_f32_e32 vcc, s2, v15
	v_cndmask_b32_e32 v17, v30, v17, vcc
	v_add_f32_e32 v15, 1.0, v17
	v_add_f32_e32 v30, -1.0, v15
	v_sub_f32_e32 v31, v30, v15
	v_add_f32_e32 v31, 1.0, v31
	v_sub_f32_e32 v30, v17, v30
	v_add_f32_e32 v32, v30, v31
	v_frexp_mant_f32_e32 v33, v15
	s_mov_b32 s2, 0x3f2aaaab
	v_cvt_f64_f32_e32 v[30:31], v15
	v_frexp_exp_i32_f64_e32 v30, v[30:31]
	v_cmp_gt_f32_e32 vcc, s2, v33
	v_subbrev_co_u32_e32 v38, vcc, 0, v30, vcc
	v_sub_u32_e32 v30, 0, v38
	v_ldexp_f32 v15, v15, v30
	v_ldexp_f32 v30, v32, v30
	v_add_f32_e32 v32, -1.0, v15
	v_add_f32_e32 v31, 1.0, v32
	v_sub_f32_e32 v31, v15, v31
	v_add_f32_e32 v33, v30, v31
	v_add_f32_e32 v31, 1.0, v15
	v_add_f32_e32 v34, -1.0, v31
	v_sub_f32_e32 v15, v15, v34
	v_add_f32_e32 v15, v30, v15
	v_add_f32_e32 v39, v31, v15
	v_rcp_f32_e32 v40, v39
	v_sub_f32_e32 v30, v31, v39
	v_add_f32_e32 v31, v32, v33
	v_add_f32_e32 v15, v15, v30
	v_mul_f32_e32 v42, v31, v40
	v_sub_f32_e32 v30, v32, v31
	v_mul_f32_e32 v32, v39, v42
	v_fma_f32 v34, v42, v39, -v32
	v_fmac_f32_e32 v34, v42, v15
	v_add_f32_e32 v41, v33, v30
	v_add_f32_e32 v30, v32, v34
	v_sub_f32_e32 v33, v31, v30
	v_pk_add_f32 v[36:37], v[30:31], v[32:33] neg_lo:[0,1] neg_hi:[0,1]
	v_mov_b32_e32 v35, v30
	v_pk_add_f32 v[30:31], v[36:37], v[34:35] neg_lo:[0,1] neg_hi:[0,1]
	v_add_f32_e32 v31, v41, v31
	v_add_f32_e32 v30, v30, v31
	;; [unrolled: 1-line block ×3, first 2 shown]
	v_mul_f32_e32 v41, v40, v31
	v_mul_f32_e32 v32, v39, v41
	v_fma_f32 v34, v41, v39, -v32
	v_fmac_f32_e32 v34, v41, v15
	v_sub_f32_e32 v15, v33, v31
	v_add_f32_e32 v15, v30, v15
	v_add_f32_e32 v30, v32, v34
	v_sub_f32_e32 v33, v31, v30
	v_pk_add_f32 v[36:37], v[30:31], v[32:33] neg_lo:[0,1] neg_hi:[0,1]
	v_mov_b32_e32 v35, v30
	v_pk_add_f32 v[30:31], v[36:37], v[34:35] neg_lo:[0,1] neg_hi:[0,1]
	v_add_f32_e32 v15, v15, v31
	v_add_f32_e32 v15, v30, v15
	;; [unrolled: 1-line block ×4, first 2 shown]
	v_sub_f32_e32 v31, v30, v42
	v_mul_f32_e32 v15, v40, v15
	v_sub_f32_e32 v31, v41, v31
	v_add_f32_e32 v15, v31, v15
	v_add_f32_e32 v33, v30, v15
	v_mul_f32_e32 v34, v33, v33
	v_mov_b32_e32 v32, 0x3ecc95a3
	v_fmac_f32_e32 v32, 0x3e9b6dac, v34
	v_mov_b32_e32 v31, 0x3f2aaada
	v_fmac_f32_e32 v31, v34, v32
	v_cvt_f32_i32_e32 v32, v38
	v_sub_f32_e32 v30, v33, v30
	v_sub_f32_e32 v15, v15, v30
	v_ldexp_f32 v35, v33, 1
	v_mul_f32_e32 v33, v33, v34
	v_mov_b32_e32 v30, 0x3f317218
	s_mov_b32 s2, 0x3f317218
	v_pk_mul_f32 v[30:31], v[32:33], v[30:31]
	v_fma_f32 v34, v32, s2, -v30
	v_fmac_f32_e32 v34, 0xb102e308, v32
	v_pk_add_f32 v[32:33], v[30:31], v[34:35]
	v_sub_f32_e32 v35, v33, v35
	v_ldexp_f32 v15, v15, 1
	v_sub_f32_e32 v35, v31, v35
	v_add_f32_e32 v37, v15, v35
	v_mov_b32_e32 v36, v30
	v_pk_add_f32 v[30:31], v[32:33], v[30:31] neg_lo:[0,1] neg_hi:[0,1]
	v_pk_add_f32 v[38:39], v[32:33], v[36:37]
	v_mov_b32_e32 v31, v39
	v_mov_b32_e32 v35, v32
	v_pk_add_f32 v[40:41], v[34:35], v[30:31] neg_lo:[0,1] neg_hi:[0,1]
	v_pk_add_f32 v[30:31], v[34:35], v[30:31]
	v_mov_b32_e32 v34, v31
	v_pk_add_f32 v[42:43], v[34:35], v[32:33] neg_lo:[0,1] neg_hi:[0,1]
	v_mov_b32_e32 v15, v42
	v_pk_add_f32 v[44:45], v[38:39], v[14:15] neg_lo:[0,1] neg_hi:[0,1]
	v_mov_b32_e32 v30, v39
	v_mov_b32_e32 v38, v33
	;; [unrolled: 1-line block ×4, first 2 shown]
	v_pk_add_f32 v[30:31], v[30:31], v[38:39] neg_lo:[0,1] neg_hi:[0,1]
	v_mov_b32_e32 v36, v37
	v_mov_b32_e32 v37, v32
	v_pk_add_f32 v[30:31], v[36:37], v[30:31] neg_lo:[0,1] neg_hi:[0,1]
	v_mov_b32_e32 v44, v40
	v_pk_add_f32 v[32:33], v[44:45], v[30:31]
	v_mov_b32_e32 v36, v33
	v_pk_add_f32 v[36:37], v[32:33], v[36:37]
	v_pk_add_f32 v[34:35], v[34:35], v[36:37]
	v_mov_b32_e32 v33, v34
	v_pk_add_f32 v[38:39], v[32:33], v[40:41] neg_lo:[0,1] neg_hi:[0,1]
	v_mov_b32_e32 v31, v36
	v_sub_f32_e32 v15, v32, v38
	v_pk_add_f32 v[30:31], v[30:31], v[38:39] neg_lo:[0,1] neg_hi:[0,1]
	v_sub_f32_e32 v15, v40, v15
	s_mov_b32 s3, 0x7f800000
	v_add_f32_e32 v15, v30, v15
	s_mov_b32 s2, 0x33800000
	v_add_f32_e32 v15, v15, v31
	v_cmp_eq_f32_e32 vcc, s3, v17
	v_cmp_lt_f32_e64 s[2:3], |v17|, s2
	v_add_f32_e32 v15, v34, v15
	s_or_b64 vcc, vcc, s[2:3]
	v_cndmask_b32_e32 v15, v15, v17, vcc
	v_add_f32_e32 v15, v29, v15
	v_cvt_f16_f32_e32 v31, v15
	v_cvt_f32_f16_e32 v15, v31
	v_mov_b32_e32 v17, v31
.LBB411_130:
	s_or_b64 exec, exec, s[0:1]
	v_max_f32_e32 v29, v18, v18
	v_max_f32_e32 v32, v15, v15
	v_min_f32_e32 v30, v32, v29
	v_cmp_u_f16_e32 vcc, v31, v31
	v_max_f32_e32 v29, v32, v29
	v_cndmask_b32_e32 v30, v30, v15, vcc
	v_cndmask_b32_e32 v29, v29, v15, vcc
	v_cndmask_b32_e64 v30, v30, v18, s[52:53]
	v_cndmask_b32_e64 v29, v29, v18, s[52:53]
	v_cmp_neq_f32_e32 vcc, v30, v29
	v_cmp_class_f32_e64 s[0:1], v30, s4
	s_or_b64 s[2:3], vcc, s[0:1]
	v_mov_b32_e32 v18, v17
	s_and_saveexec_b64 s[0:1], s[2:3]
	s_cbranch_execz .LBB411_132
; %bb.131:
	v_sub_f32_e32 v15, v30, v29
	s_mov_b32 s2, 0x3fb8aa3b
	v_mul_f32_e32 v18, 0x3fb8aa3b, v15
	v_fma_f32 v30, v15, s2, -v18
	v_rndne_f32_e32 v31, v18
	v_fmac_f32_e32 v30, 0x32a5705f, v15
	v_sub_f32_e32 v18, v18, v31
	v_add_f32_e32 v18, v18, v30
	v_exp_f32_e32 v18, v18
	v_cvt_i32_f32_e32 v30, v31
	s_mov_b32 s2, 0xc2ce8ed0
	v_cmp_ngt_f32_e32 vcc, s2, v15
	s_mov_b32 s2, 0x42b17218
	v_ldexp_f32 v18, v18, v30
	v_cndmask_b32_e32 v18, 0, v18, vcc
	v_mov_b32_e32 v30, 0x7f800000
	v_cmp_nlt_f32_e32 vcc, s2, v15
	v_cndmask_b32_e32 v44, v30, v18, vcc
	v_add_f32_e32 v15, 1.0, v44
	v_add_f32_e32 v18, -1.0, v15
	v_sub_f32_e32 v30, v18, v15
	v_add_f32_e32 v30, 1.0, v30
	v_sub_f32_e32 v18, v44, v18
	v_add_f32_e32 v18, v18, v30
	v_frexp_mant_f32_e32 v32, v15
	s_mov_b32 s2, 0x3f2aaaab
	v_cvt_f64_f32_e32 v[30:31], v15
	v_frexp_exp_i32_f64_e32 v30, v[30:31]
	v_cmp_gt_f32_e32 vcc, s2, v32
	v_subbrev_co_u32_e32 v38, vcc, 0, v30, vcc
	v_sub_u32_e32 v30, 0, v38
	v_ldexp_f32 v15, v15, v30
	v_ldexp_f32 v18, v18, v30
	v_add_f32_e32 v30, -1.0, v15
	v_add_f32_e32 v31, 1.0, v30
	v_sub_f32_e32 v31, v15, v31
	v_add_f32_e32 v32, v18, v31
	v_add_f32_e32 v31, 1.0, v15
	v_add_f32_e32 v33, -1.0, v31
	v_sub_f32_e32 v15, v15, v33
	v_add_f32_e32 v15, v18, v15
	v_add_f32_e32 v18, v31, v15
	v_rcp_f32_e32 v39, v18
	v_sub_f32_e32 v31, v31, v18
	v_add_f32_e32 v15, v15, v31
	v_add_f32_e32 v31, v30, v32
	v_sub_f32_e32 v30, v30, v31
	v_mul_f32_e32 v41, v31, v39
	v_add_f32_e32 v40, v32, v30
	v_mul_f32_e32 v32, v18, v41
	v_fma_f32 v34, v41, v18, -v32
	v_fmac_f32_e32 v34, v41, v15
	v_add_f32_e32 v30, v32, v34
	v_sub_f32_e32 v33, v31, v30
	v_pk_add_f32 v[36:37], v[30:31], v[32:33] neg_lo:[0,1] neg_hi:[0,1]
	v_mov_b32_e32 v35, v30
	v_pk_add_f32 v[30:31], v[36:37], v[34:35] neg_lo:[0,1] neg_hi:[0,1]
	v_add_f32_e32 v31, v40, v31
	v_add_f32_e32 v30, v30, v31
	;; [unrolled: 1-line block ×3, first 2 shown]
	v_mul_f32_e32 v40, v39, v31
	v_mul_f32_e32 v32, v18, v40
	v_fma_f32 v34, v40, v18, -v32
	v_fmac_f32_e32 v34, v40, v15
	v_sub_f32_e32 v15, v33, v31
	v_add_f32_e32 v15, v30, v15
	v_add_f32_e32 v30, v32, v34
	v_sub_f32_e32 v33, v31, v30
	v_pk_add_f32 v[36:37], v[30:31], v[32:33] neg_lo:[0,1] neg_hi:[0,1]
	v_mov_b32_e32 v35, v30
	v_pk_add_f32 v[30:31], v[36:37], v[34:35] neg_lo:[0,1] neg_hi:[0,1]
	v_add_f32_e32 v15, v15, v31
	v_add_f32_e32 v15, v30, v15
	v_add_f32_e32 v18, v41, v40
	v_add_f32_e32 v15, v33, v15
	v_sub_f32_e32 v30, v18, v41
	v_mul_f32_e32 v15, v39, v15
	v_sub_f32_e32 v30, v40, v30
	v_add_f32_e32 v15, v30, v15
	v_add_f32_e32 v30, v18, v15
	v_mul_f32_e32 v33, v30, v30
	v_mov_b32_e32 v32, 0x3ecc95a3
	v_fmac_f32_e32 v32, 0x3e9b6dac, v33
	v_mov_b32_e32 v31, 0x3f2aaada
	v_fmac_f32_e32 v31, v33, v32
	v_cvt_f32_i32_e32 v32, v38
	v_sub_f32_e32 v18, v30, v18
	v_ldexp_f32 v35, v30, 1
	v_mul_f32_e32 v33, v30, v33
	v_mov_b32_e32 v30, 0x3f317218
	s_mov_b32 s2, 0x3f317218
	v_pk_mul_f32 v[30:31], v[32:33], v[30:31]
	v_fma_f32 v34, v32, s2, -v30
	v_fmac_f32_e32 v34, 0xb102e308, v32
	v_pk_add_f32 v[32:33], v[30:31], v[34:35]
	v_sub_f32_e32 v15, v15, v18
	v_sub_f32_e32 v18, v33, v35
	v_ldexp_f32 v15, v15, 1
	v_sub_f32_e32 v18, v31, v18
	v_add_f32_e32 v37, v15, v18
	v_mov_b32_e32 v36, v30
	v_pk_add_f32 v[30:31], v[32:33], v[30:31] neg_lo:[0,1] neg_hi:[0,1]
	v_pk_add_f32 v[38:39], v[32:33], v[36:37]
	v_mov_b32_e32 v31, v39
	v_mov_b32_e32 v35, v32
	v_pk_add_f32 v[40:41], v[34:35], v[30:31] neg_lo:[0,1] neg_hi:[0,1]
	v_pk_add_f32 v[30:31], v[34:35], v[30:31]
	v_mov_b32_e32 v18, v31
	v_pk_add_f32 v[34:35], v[18:19], v[32:33] neg_lo:[0,1] neg_hi:[0,1]
	v_mov_b32_e32 v15, v34
	v_pk_add_f32 v[42:43], v[38:39], v[14:15] neg_lo:[0,1] neg_hi:[0,1]
	v_mov_b32_e32 v30, v39
	v_mov_b32_e32 v38, v33
	;; [unrolled: 1-line block ×4, first 2 shown]
	v_pk_add_f32 v[30:31], v[30:31], v[38:39] neg_lo:[0,1] neg_hi:[0,1]
	v_mov_b32_e32 v34, v37
	v_mov_b32_e32 v35, v32
	v_pk_add_f32 v[30:31], v[34:35], v[30:31] neg_lo:[0,1] neg_hi:[0,1]
	v_mov_b32_e32 v42, v40
	v_pk_add_f32 v[32:33], v[42:43], v[30:31]
	v_mov_b32_e32 v34, v33
	v_pk_add_f32 v[34:35], v[32:33], v[34:35]
	v_pk_add_f32 v[36:37], v[18:19], v[34:35]
	v_mov_b32_e32 v33, v36
	v_pk_add_f32 v[38:39], v[32:33], v[40:41] neg_lo:[0,1] neg_hi:[0,1]
	v_mov_b32_e32 v31, v34
	v_sub_f32_e32 v15, v32, v38
	v_pk_add_f32 v[30:31], v[30:31], v[38:39] neg_lo:[0,1] neg_hi:[0,1]
	v_sub_f32_e32 v15, v40, v15
	s_mov_b32 s3, 0x7f800000
	v_add_f32_e32 v15, v30, v15
	s_mov_b32 s2, 0x33800000
	v_add_f32_e32 v15, v15, v31
	v_cmp_eq_f32_e32 vcc, s3, v44
	v_cmp_lt_f32_e64 s[2:3], |v44|, s2
	v_add_f32_e32 v15, v36, v15
	s_or_b64 vcc, vcc, s[2:3]
	v_cndmask_b32_e32 v15, v15, v44, vcc
	v_add_f32_e32 v15, v29, v15
	v_cvt_f16_f32_e32 v31, v15
	v_cvt_f32_f16_e32 v15, v31
	v_mov_b32_e32 v18, v31
.LBB411_132:
	s_or_b64 exec, exec, s[0:1]
	v_max_f32_e32 v29, v3, v3
	v_max_f32_e32 v32, v15, v15
	v_min_f32_e32 v30, v32, v29
	v_cmp_u_f16_e32 vcc, v31, v31
	v_max_f32_e32 v29, v32, v29
	v_cndmask_b32_e32 v30, v30, v15, vcc
	v_cndmask_b32_e32 v29, v29, v15, vcc
	v_cndmask_b32_e64 v30, v30, v3, s[54:55]
	v_cndmask_b32_e64 v29, v29, v3, s[54:55]
	v_cmp_neq_f32_e32 vcc, v30, v29
	v_cmp_class_f32_e64 s[0:1], v30, s4
	s_or_b64 s[2:3], vcc, s[0:1]
	v_mov_b32_e32 v3, v18
	s_and_saveexec_b64 s[0:1], s[2:3]
	s_cbranch_execz .LBB411_134
; %bb.133:
	v_sub_f32_e32 v3, v30, v29
	s_mov_b32 s2, 0x3fb8aa3b
	v_mul_f32_e32 v15, 0x3fb8aa3b, v3
	v_fma_f32 v30, v3, s2, -v15
	v_rndne_f32_e32 v31, v15
	v_fmac_f32_e32 v30, 0x32a5705f, v3
	v_sub_f32_e32 v15, v15, v31
	v_add_f32_e32 v15, v15, v30
	v_exp_f32_e32 v15, v15
	v_cvt_i32_f32_e32 v30, v31
	s_mov_b32 s2, 0xc2ce8ed0
	v_cmp_ngt_f32_e32 vcc, s2, v3
	s_mov_b32 s2, 0x42b17218
	v_ldexp_f32 v15, v15, v30
	v_cndmask_b32_e32 v15, 0, v15, vcc
	v_mov_b32_e32 v30, 0x7f800000
	v_cmp_nlt_f32_e32 vcc, s2, v3
	v_cndmask_b32_e32 v15, v30, v15, vcc
	v_add_f32_e32 v3, 1.0, v15
	v_add_f32_e32 v30, -1.0, v3
	v_sub_f32_e32 v31, v30, v3
	v_add_f32_e32 v31, 1.0, v31
	v_sub_f32_e32 v30, v15, v30
	v_add_f32_e32 v32, v30, v31
	v_frexp_mant_f32_e32 v33, v3
	s_mov_b32 s2, 0x3f2aaaab
	v_cvt_f64_f32_e32 v[30:31], v3
	v_frexp_exp_i32_f64_e32 v30, v[30:31]
	v_cmp_gt_f32_e32 vcc, s2, v33
	v_subbrev_co_u32_e32 v38, vcc, 0, v30, vcc
	v_sub_u32_e32 v30, 0, v38
	v_ldexp_f32 v3, v3, v30
	v_ldexp_f32 v30, v32, v30
	v_add_f32_e32 v32, -1.0, v3
	v_add_f32_e32 v31, 1.0, v32
	v_sub_f32_e32 v31, v3, v31
	v_add_f32_e32 v33, v30, v31
	v_add_f32_e32 v31, 1.0, v3
	v_add_f32_e32 v34, -1.0, v31
	v_sub_f32_e32 v3, v3, v34
	v_add_f32_e32 v3, v30, v3
	v_add_f32_e32 v39, v31, v3
	v_rcp_f32_e32 v40, v39
	v_sub_f32_e32 v30, v31, v39
	v_add_f32_e32 v31, v32, v33
	v_add_f32_e32 v3, v3, v30
	v_mul_f32_e32 v42, v31, v40
	v_sub_f32_e32 v30, v32, v31
	v_mul_f32_e32 v32, v39, v42
	v_fma_f32 v34, v42, v39, -v32
	v_fmac_f32_e32 v34, v42, v3
	v_add_f32_e32 v41, v33, v30
	v_add_f32_e32 v30, v32, v34
	v_sub_f32_e32 v33, v31, v30
	v_pk_add_f32 v[36:37], v[30:31], v[32:33] neg_lo:[0,1] neg_hi:[0,1]
	v_mov_b32_e32 v35, v30
	v_pk_add_f32 v[30:31], v[36:37], v[34:35] neg_lo:[0,1] neg_hi:[0,1]
	v_add_f32_e32 v31, v41, v31
	v_add_f32_e32 v30, v30, v31
	v_add_f32_e32 v31, v33, v30
	v_mul_f32_e32 v41, v40, v31
	v_mul_f32_e32 v32, v39, v41
	v_fma_f32 v34, v41, v39, -v32
	v_fmac_f32_e32 v34, v41, v3
	v_sub_f32_e32 v3, v33, v31
	v_add_f32_e32 v3, v30, v3
	v_add_f32_e32 v30, v32, v34
	v_sub_f32_e32 v33, v31, v30
	v_pk_add_f32 v[36:37], v[30:31], v[32:33] neg_lo:[0,1] neg_hi:[0,1]
	v_mov_b32_e32 v35, v30
	v_pk_add_f32 v[30:31], v[36:37], v[34:35] neg_lo:[0,1] neg_hi:[0,1]
	v_add_f32_e32 v3, v3, v31
	v_add_f32_e32 v3, v30, v3
	;; [unrolled: 1-line block ×4, first 2 shown]
	v_sub_f32_e32 v31, v30, v42
	v_mul_f32_e32 v3, v40, v3
	v_sub_f32_e32 v31, v41, v31
	v_add_f32_e32 v3, v31, v3
	v_add_f32_e32 v33, v30, v3
	v_mul_f32_e32 v34, v33, v33
	v_mov_b32_e32 v32, 0x3ecc95a3
	v_fmac_f32_e32 v32, 0x3e9b6dac, v34
	v_mov_b32_e32 v31, 0x3f2aaada
	v_fmac_f32_e32 v31, v34, v32
	v_cvt_f32_i32_e32 v32, v38
	v_sub_f32_e32 v30, v33, v30
	v_sub_f32_e32 v3, v3, v30
	v_ldexp_f32 v35, v33, 1
	v_mul_f32_e32 v33, v33, v34
	v_mov_b32_e32 v30, 0x3f317218
	s_mov_b32 s2, 0x3f317218
	v_pk_mul_f32 v[30:31], v[32:33], v[30:31]
	v_fma_f32 v34, v32, s2, -v30
	v_fmac_f32_e32 v34, 0xb102e308, v32
	v_pk_add_f32 v[32:33], v[30:31], v[34:35]
	v_sub_f32_e32 v35, v33, v35
	v_ldexp_f32 v3, v3, 1
	v_sub_f32_e32 v35, v31, v35
	v_add_f32_e32 v37, v3, v35
	v_mov_b32_e32 v36, v30
	v_pk_add_f32 v[30:31], v[32:33], v[30:31] neg_lo:[0,1] neg_hi:[0,1]
	v_pk_add_f32 v[38:39], v[32:33], v[36:37]
	v_mov_b32_e32 v31, v39
	v_mov_b32_e32 v35, v32
	v_pk_add_f32 v[40:41], v[34:35], v[30:31] neg_lo:[0,1] neg_hi:[0,1]
	v_pk_add_f32 v[30:31], v[34:35], v[30:31]
	v_mov_b32_e32 v34, v31
	v_pk_add_f32 v[42:43], v[34:35], v[32:33] neg_lo:[0,1] neg_hi:[0,1]
	v_mov_b32_e32 v3, v42
	v_pk_add_f32 v[44:45], v[38:39], v[2:3] neg_lo:[0,1] neg_hi:[0,1]
	v_mov_b32_e32 v30, v39
	v_mov_b32_e32 v38, v33
	;; [unrolled: 1-line block ×4, first 2 shown]
	v_pk_add_f32 v[30:31], v[30:31], v[38:39] neg_lo:[0,1] neg_hi:[0,1]
	v_mov_b32_e32 v36, v37
	v_mov_b32_e32 v37, v32
	v_pk_add_f32 v[30:31], v[36:37], v[30:31] neg_lo:[0,1] neg_hi:[0,1]
	v_mov_b32_e32 v44, v40
	v_pk_add_f32 v[32:33], v[44:45], v[30:31]
	v_mov_b32_e32 v36, v33
	v_pk_add_f32 v[36:37], v[32:33], v[36:37]
	v_pk_add_f32 v[34:35], v[34:35], v[36:37]
	v_mov_b32_e32 v33, v34
	v_pk_add_f32 v[38:39], v[32:33], v[40:41] neg_lo:[0,1] neg_hi:[0,1]
	v_mov_b32_e32 v31, v36
	v_sub_f32_e32 v3, v32, v38
	v_pk_add_f32 v[30:31], v[30:31], v[38:39] neg_lo:[0,1] neg_hi:[0,1]
	v_sub_f32_e32 v3, v40, v3
	s_mov_b32 s3, 0x7f800000
	v_add_f32_e32 v3, v30, v3
	s_mov_b32 s2, 0x33800000
	v_add_f32_e32 v3, v3, v31
	v_cmp_eq_f32_e32 vcc, s3, v15
	v_cmp_lt_f32_e64 s[2:3], |v15|, s2
	v_add_f32_e32 v3, v34, v3
	s_or_b64 vcc, vcc, s[2:3]
	v_cndmask_b32_e32 v3, v3, v15, vcc
	v_add_f32_e32 v3, v29, v3
	v_cvt_f16_f32_e32 v31, v3
	v_cvt_f32_f16_e32 v15, v31
	v_mov_b32_e32 v3, v31
.LBB411_134:
	s_or_b64 exec, exec, s[0:1]
	v_max_f32_e32 v29, v19, v19
	v_max_f32_e32 v32, v15, v15
	v_min_f32_e32 v30, v32, v29
	v_cmp_u_f16_e32 vcc, v31, v31
	v_max_f32_e32 v29, v32, v29
	v_cndmask_b32_e32 v30, v30, v15, vcc
	v_cndmask_b32_e32 v29, v29, v15, vcc
	v_cndmask_b32_e64 v30, v30, v19, s[56:57]
	v_cndmask_b32_e64 v29, v29, v19, s[56:57]
	v_cmp_neq_f32_e32 vcc, v30, v29
	v_cmp_class_f32_e64 s[0:1], v30, s4
	s_or_b64 s[2:3], vcc, s[0:1]
	v_mov_b32_e32 v19, v3
	s_and_saveexec_b64 s[0:1], s[2:3]
	s_cbranch_execz .LBB411_136
; %bb.135:
	v_sub_f32_e32 v15, v30, v29
	s_mov_b32 s2, 0x3fb8aa3b
	v_mul_f32_e32 v19, 0x3fb8aa3b, v15
	v_fma_f32 v30, v15, s2, -v19
	v_rndne_f32_e32 v31, v19
	v_fmac_f32_e32 v30, 0x32a5705f, v15
	v_sub_f32_e32 v19, v19, v31
	v_add_f32_e32 v19, v19, v30
	v_exp_f32_e32 v19, v19
	v_cvt_i32_f32_e32 v30, v31
	s_mov_b32 s2, 0xc2ce8ed0
	v_cmp_ngt_f32_e32 vcc, s2, v15
	s_mov_b32 s2, 0x42b17218
	v_ldexp_f32 v19, v19, v30
	v_cndmask_b32_e32 v19, 0, v19, vcc
	v_mov_b32_e32 v30, 0x7f800000
	v_cmp_nlt_f32_e32 vcc, s2, v15
	v_cndmask_b32_e32 v19, v30, v19, vcc
	v_add_f32_e32 v15, 1.0, v19
	v_add_f32_e32 v30, -1.0, v15
	v_sub_f32_e32 v31, v30, v15
	v_add_f32_e32 v31, 1.0, v31
	v_sub_f32_e32 v30, v19, v30
	v_add_f32_e32 v32, v30, v31
	v_frexp_mant_f32_e32 v33, v15
	s_mov_b32 s2, 0x3f2aaaab
	v_cvt_f64_f32_e32 v[30:31], v15
	v_frexp_exp_i32_f64_e32 v30, v[30:31]
	v_cmp_gt_f32_e32 vcc, s2, v33
	v_subbrev_co_u32_e32 v38, vcc, 0, v30, vcc
	v_sub_u32_e32 v30, 0, v38
	v_ldexp_f32 v15, v15, v30
	v_ldexp_f32 v30, v32, v30
	v_add_f32_e32 v32, -1.0, v15
	v_add_f32_e32 v31, 1.0, v32
	v_sub_f32_e32 v31, v15, v31
	v_add_f32_e32 v33, v30, v31
	v_add_f32_e32 v31, 1.0, v15
	v_add_f32_e32 v34, -1.0, v31
	v_sub_f32_e32 v15, v15, v34
	v_add_f32_e32 v15, v30, v15
	v_add_f32_e32 v39, v31, v15
	v_rcp_f32_e32 v40, v39
	v_sub_f32_e32 v30, v31, v39
	v_add_f32_e32 v31, v32, v33
	v_add_f32_e32 v15, v15, v30
	v_mul_f32_e32 v42, v31, v40
	v_sub_f32_e32 v30, v32, v31
	v_mul_f32_e32 v32, v39, v42
	v_fma_f32 v34, v42, v39, -v32
	v_fmac_f32_e32 v34, v42, v15
	v_add_f32_e32 v41, v33, v30
	v_add_f32_e32 v30, v32, v34
	v_sub_f32_e32 v33, v31, v30
	v_pk_add_f32 v[36:37], v[30:31], v[32:33] neg_lo:[0,1] neg_hi:[0,1]
	v_mov_b32_e32 v35, v30
	v_pk_add_f32 v[30:31], v[36:37], v[34:35] neg_lo:[0,1] neg_hi:[0,1]
	v_add_f32_e32 v31, v41, v31
	v_add_f32_e32 v30, v30, v31
	v_add_f32_e32 v31, v33, v30
	v_mul_f32_e32 v41, v40, v31
	v_mul_f32_e32 v32, v39, v41
	v_fma_f32 v34, v41, v39, -v32
	v_fmac_f32_e32 v34, v41, v15
	v_sub_f32_e32 v15, v33, v31
	v_add_f32_e32 v15, v30, v15
	v_add_f32_e32 v30, v32, v34
	v_sub_f32_e32 v33, v31, v30
	v_pk_add_f32 v[36:37], v[30:31], v[32:33] neg_lo:[0,1] neg_hi:[0,1]
	v_mov_b32_e32 v35, v30
	v_pk_add_f32 v[30:31], v[36:37], v[34:35] neg_lo:[0,1] neg_hi:[0,1]
	v_add_f32_e32 v15, v15, v31
	v_add_f32_e32 v15, v30, v15
	;; [unrolled: 1-line block ×4, first 2 shown]
	v_sub_f32_e32 v31, v30, v42
	v_mul_f32_e32 v15, v40, v15
	v_sub_f32_e32 v31, v41, v31
	v_add_f32_e32 v15, v31, v15
	v_add_f32_e32 v33, v30, v15
	v_mul_f32_e32 v34, v33, v33
	v_mov_b32_e32 v32, 0x3ecc95a3
	v_fmac_f32_e32 v32, 0x3e9b6dac, v34
	v_mov_b32_e32 v31, 0x3f2aaada
	v_fmac_f32_e32 v31, v34, v32
	v_cvt_f32_i32_e32 v32, v38
	v_sub_f32_e32 v30, v33, v30
	v_sub_f32_e32 v15, v15, v30
	v_ldexp_f32 v35, v33, 1
	v_mul_f32_e32 v33, v33, v34
	v_mov_b32_e32 v30, 0x3f317218
	s_mov_b32 s2, 0x3f317218
	v_pk_mul_f32 v[30:31], v[32:33], v[30:31]
	v_fma_f32 v34, v32, s2, -v30
	v_fmac_f32_e32 v34, 0xb102e308, v32
	v_pk_add_f32 v[32:33], v[30:31], v[34:35]
	v_sub_f32_e32 v35, v33, v35
	v_ldexp_f32 v15, v15, 1
	v_sub_f32_e32 v35, v31, v35
	v_add_f32_e32 v37, v15, v35
	v_mov_b32_e32 v36, v30
	v_pk_add_f32 v[30:31], v[32:33], v[30:31] neg_lo:[0,1] neg_hi:[0,1]
	v_pk_add_f32 v[38:39], v[32:33], v[36:37]
	v_mov_b32_e32 v31, v39
	v_mov_b32_e32 v35, v32
	v_pk_add_f32 v[40:41], v[34:35], v[30:31] neg_lo:[0,1] neg_hi:[0,1]
	v_pk_add_f32 v[30:31], v[34:35], v[30:31]
	v_mov_b32_e32 v34, v31
	v_pk_add_f32 v[42:43], v[34:35], v[32:33] neg_lo:[0,1] neg_hi:[0,1]
	v_mov_b32_e32 v15, v42
	v_pk_add_f32 v[44:45], v[38:39], v[14:15] neg_lo:[0,1] neg_hi:[0,1]
	v_mov_b32_e32 v30, v39
	v_mov_b32_e32 v38, v33
	v_mov_b32_e32 v39, v42
	v_mov_b32_e32 v41, v31
	v_pk_add_f32 v[30:31], v[30:31], v[38:39] neg_lo:[0,1] neg_hi:[0,1]
	v_mov_b32_e32 v36, v37
	v_mov_b32_e32 v37, v32
	v_pk_add_f32 v[30:31], v[36:37], v[30:31] neg_lo:[0,1] neg_hi:[0,1]
	v_mov_b32_e32 v44, v40
	v_pk_add_f32 v[32:33], v[44:45], v[30:31]
	v_mov_b32_e32 v36, v33
	v_pk_add_f32 v[36:37], v[32:33], v[36:37]
	v_pk_add_f32 v[34:35], v[34:35], v[36:37]
	v_mov_b32_e32 v33, v34
	v_pk_add_f32 v[38:39], v[32:33], v[40:41] neg_lo:[0,1] neg_hi:[0,1]
	v_mov_b32_e32 v31, v36
	v_sub_f32_e32 v15, v32, v38
	v_pk_add_f32 v[30:31], v[30:31], v[38:39] neg_lo:[0,1] neg_hi:[0,1]
	v_sub_f32_e32 v15, v40, v15
	s_mov_b32 s3, 0x7f800000
	v_add_f32_e32 v15, v30, v15
	s_mov_b32 s2, 0x33800000
	v_add_f32_e32 v15, v15, v31
	v_cmp_eq_f32_e32 vcc, s3, v19
	v_cmp_lt_f32_e64 s[2:3], |v19|, s2
	v_add_f32_e32 v15, v34, v15
	s_or_b64 vcc, vcc, s[2:3]
	v_cndmask_b32_e32 v15, v15, v19, vcc
	v_add_f32_e32 v15, v29, v15
	v_cvt_f16_f32_e32 v31, v15
	v_cvt_f32_f16_e32 v15, v31
	v_mov_b32_e32 v19, v31
.LBB411_136:
	s_or_b64 exec, exec, s[0:1]
	v_max_f32_e32 v29, v4, v4
	v_max_f32_e32 v32, v15, v15
	v_min_f32_e32 v30, v32, v29
	v_cmp_u_f16_e32 vcc, v31, v31
	v_max_f32_e32 v29, v32, v29
	v_cndmask_b32_e32 v30, v30, v15, vcc
	v_cndmask_b32_e32 v29, v29, v15, vcc
	v_cndmask_b32_e64 v30, v30, v4, s[58:59]
	v_cndmask_b32_e64 v29, v29, v4, s[58:59]
	v_cmp_neq_f32_e32 vcc, v30, v29
	v_cmp_class_f32_e64 s[0:1], v30, s4
	s_or_b64 s[2:3], vcc, s[0:1]
	v_mov_b32_e32 v4, v19
	s_and_saveexec_b64 s[0:1], s[2:3]
	s_cbranch_execz .LBB411_138
; %bb.137:
	v_sub_f32_e32 v4, v30, v29
	s_mov_b32 s2, 0x3fb8aa3b
	v_mul_f32_e32 v15, 0x3fb8aa3b, v4
	v_fma_f32 v30, v4, s2, -v15
	v_rndne_f32_e32 v31, v15
	v_fmac_f32_e32 v30, 0x32a5705f, v4
	v_sub_f32_e32 v15, v15, v31
	v_add_f32_e32 v15, v15, v30
	v_exp_f32_e32 v15, v15
	v_cvt_i32_f32_e32 v30, v31
	s_mov_b32 s2, 0xc2ce8ed0
	v_cmp_ngt_f32_e32 vcc, s2, v4
	s_mov_b32 s2, 0x42b17218
	v_ldexp_f32 v15, v15, v30
	v_cndmask_b32_e32 v15, 0, v15, vcc
	v_mov_b32_e32 v30, 0x7f800000
	v_cmp_nlt_f32_e32 vcc, s2, v4
	v_cndmask_b32_e32 v44, v30, v15, vcc
	v_add_f32_e32 v4, 1.0, v44
	v_add_f32_e32 v15, -1.0, v4
	v_sub_f32_e32 v30, v15, v4
	v_add_f32_e32 v30, 1.0, v30
	v_sub_f32_e32 v15, v44, v15
	v_add_f32_e32 v15, v15, v30
	v_frexp_mant_f32_e32 v32, v4
	s_mov_b32 s2, 0x3f2aaaab
	v_cvt_f64_f32_e32 v[30:31], v4
	v_frexp_exp_i32_f64_e32 v30, v[30:31]
	v_cmp_gt_f32_e32 vcc, s2, v32
	v_subbrev_co_u32_e32 v38, vcc, 0, v30, vcc
	v_sub_u32_e32 v30, 0, v38
	v_ldexp_f32 v4, v4, v30
	v_ldexp_f32 v15, v15, v30
	v_add_f32_e32 v30, -1.0, v4
	v_add_f32_e32 v31, 1.0, v30
	v_sub_f32_e32 v31, v4, v31
	v_add_f32_e32 v32, v15, v31
	v_add_f32_e32 v31, 1.0, v4
	v_add_f32_e32 v33, -1.0, v31
	v_sub_f32_e32 v4, v4, v33
	v_add_f32_e32 v4, v15, v4
	v_add_f32_e32 v15, v31, v4
	v_rcp_f32_e32 v39, v15
	v_sub_f32_e32 v31, v31, v15
	v_add_f32_e32 v4, v4, v31
	v_add_f32_e32 v31, v30, v32
	v_sub_f32_e32 v30, v30, v31
	v_mul_f32_e32 v41, v31, v39
	v_add_f32_e32 v40, v32, v30
	v_mul_f32_e32 v32, v15, v41
	v_fma_f32 v34, v41, v15, -v32
	v_fmac_f32_e32 v34, v41, v4
	v_add_f32_e32 v30, v32, v34
	v_sub_f32_e32 v33, v31, v30
	v_pk_add_f32 v[36:37], v[30:31], v[32:33] neg_lo:[0,1] neg_hi:[0,1]
	v_mov_b32_e32 v35, v30
	v_pk_add_f32 v[30:31], v[36:37], v[34:35] neg_lo:[0,1] neg_hi:[0,1]
	v_add_f32_e32 v31, v40, v31
	v_add_f32_e32 v30, v30, v31
	;; [unrolled: 1-line block ×3, first 2 shown]
	v_mul_f32_e32 v40, v39, v31
	v_mul_f32_e32 v32, v15, v40
	v_fma_f32 v34, v40, v15, -v32
	v_fmac_f32_e32 v34, v40, v4
	v_sub_f32_e32 v4, v33, v31
	v_add_f32_e32 v4, v30, v4
	v_add_f32_e32 v30, v32, v34
	v_sub_f32_e32 v33, v31, v30
	v_pk_add_f32 v[36:37], v[30:31], v[32:33] neg_lo:[0,1] neg_hi:[0,1]
	v_mov_b32_e32 v35, v30
	v_pk_add_f32 v[30:31], v[36:37], v[34:35] neg_lo:[0,1] neg_hi:[0,1]
	v_add_f32_e32 v4, v4, v31
	v_add_f32_e32 v4, v30, v4
	;; [unrolled: 1-line block ×4, first 2 shown]
	v_sub_f32_e32 v30, v15, v41
	v_mul_f32_e32 v4, v39, v4
	v_sub_f32_e32 v30, v40, v30
	v_add_f32_e32 v4, v30, v4
	v_add_f32_e32 v30, v15, v4
	v_mul_f32_e32 v33, v30, v30
	v_mov_b32_e32 v32, 0x3ecc95a3
	v_fmac_f32_e32 v32, 0x3e9b6dac, v33
	v_mov_b32_e32 v31, 0x3f2aaada
	v_fmac_f32_e32 v31, v33, v32
	v_cvt_f32_i32_e32 v32, v38
	v_sub_f32_e32 v15, v30, v15
	v_ldexp_f32 v35, v30, 1
	v_mul_f32_e32 v33, v30, v33
	v_mov_b32_e32 v30, 0x3f317218
	s_mov_b32 s2, 0x3f317218
	v_pk_mul_f32 v[30:31], v[32:33], v[30:31]
	v_fma_f32 v34, v32, s2, -v30
	v_fmac_f32_e32 v34, 0xb102e308, v32
	v_pk_add_f32 v[32:33], v[30:31], v[34:35]
	v_sub_f32_e32 v4, v4, v15
	v_sub_f32_e32 v15, v33, v35
	v_ldexp_f32 v4, v4, 1
	v_sub_f32_e32 v15, v31, v15
	v_add_f32_e32 v37, v4, v15
	v_mov_b32_e32 v36, v30
	v_pk_add_f32 v[30:31], v[32:33], v[30:31] neg_lo:[0,1] neg_hi:[0,1]
	v_pk_add_f32 v[38:39], v[32:33], v[36:37]
	v_mov_b32_e32 v31, v39
	v_mov_b32_e32 v35, v32
	v_pk_add_f32 v[40:41], v[34:35], v[30:31] neg_lo:[0,1] neg_hi:[0,1]
	v_pk_add_f32 v[30:31], v[34:35], v[30:31]
	v_mov_b32_e32 v4, v31
	v_pk_add_f32 v[34:35], v[4:5], v[32:33] neg_lo:[0,1] neg_hi:[0,1]
	v_mov_b32_e32 v15, v34
	v_pk_add_f32 v[42:43], v[38:39], v[14:15] neg_lo:[0,1] neg_hi:[0,1]
	v_mov_b32_e32 v30, v39
	v_mov_b32_e32 v38, v33
	v_mov_b32_e32 v39, v34
	v_mov_b32_e32 v41, v31
	v_pk_add_f32 v[30:31], v[30:31], v[38:39] neg_lo:[0,1] neg_hi:[0,1]
	v_mov_b32_e32 v34, v37
	v_mov_b32_e32 v35, v32
	v_pk_add_f32 v[30:31], v[34:35], v[30:31] neg_lo:[0,1] neg_hi:[0,1]
	v_mov_b32_e32 v42, v40
	v_pk_add_f32 v[32:33], v[42:43], v[30:31]
	v_mov_b32_e32 v34, v33
	v_pk_add_f32 v[34:35], v[32:33], v[34:35]
	v_pk_add_f32 v[36:37], v[4:5], v[34:35]
	v_mov_b32_e32 v33, v36
	v_pk_add_f32 v[38:39], v[32:33], v[40:41] neg_lo:[0,1] neg_hi:[0,1]
	v_mov_b32_e32 v31, v34
	v_sub_f32_e32 v4, v32, v38
	v_pk_add_f32 v[30:31], v[30:31], v[38:39] neg_lo:[0,1] neg_hi:[0,1]
	v_sub_f32_e32 v4, v40, v4
	s_mov_b32 s3, 0x7f800000
	v_add_f32_e32 v4, v30, v4
	s_mov_b32 s2, 0x33800000
	v_add_f32_e32 v4, v4, v31
	v_cmp_eq_f32_e32 vcc, s3, v44
	v_cmp_lt_f32_e64 s[2:3], |v44|, s2
	v_add_f32_e32 v4, v36, v4
	s_or_b64 vcc, vcc, s[2:3]
	v_cndmask_b32_e32 v4, v4, v44, vcc
	v_add_f32_e32 v4, v29, v4
	v_cvt_f16_f32_e32 v31, v4
	v_cvt_f32_f16_e32 v15, v31
	v_mov_b32_e32 v4, v31
.LBB411_138:
	s_or_b64 exec, exec, s[0:1]
	v_max_f32_e32 v29, v20, v20
	v_max_f32_e32 v32, v15, v15
	v_min_f32_e32 v30, v32, v29
	v_cmp_u_f16_e32 vcc, v31, v31
	v_max_f32_e32 v29, v32, v29
	v_cndmask_b32_e32 v30, v30, v15, vcc
	v_cndmask_b32_e32 v29, v29, v15, vcc
	v_cndmask_b32_e64 v30, v30, v20, s[60:61]
	v_cndmask_b32_e64 v29, v29, v20, s[60:61]
	v_cmp_neq_f32_e32 vcc, v30, v29
	v_cmp_class_f32_e64 s[0:1], v30, s4
	s_or_b64 s[2:3], vcc, s[0:1]
	v_mov_b32_e32 v20, v4
	s_and_saveexec_b64 s[0:1], s[2:3]
	s_cbranch_execz .LBB411_140
; %bb.139:
	v_sub_f32_e32 v15, v30, v29
	s_mov_b32 s2, 0x3fb8aa3b
	v_mul_f32_e32 v20, 0x3fb8aa3b, v15
	v_fma_f32 v30, v15, s2, -v20
	v_rndne_f32_e32 v31, v20
	v_fmac_f32_e32 v30, 0x32a5705f, v15
	v_sub_f32_e32 v20, v20, v31
	v_add_f32_e32 v20, v20, v30
	v_exp_f32_e32 v20, v20
	v_cvt_i32_f32_e32 v30, v31
	s_mov_b32 s2, 0xc2ce8ed0
	v_cmp_ngt_f32_e32 vcc, s2, v15
	s_mov_b32 s2, 0x42b17218
	v_ldexp_f32 v20, v20, v30
	v_cndmask_b32_e32 v20, 0, v20, vcc
	v_mov_b32_e32 v30, 0x7f800000
	v_cmp_nlt_f32_e32 vcc, s2, v15
	v_cndmask_b32_e32 v44, v30, v20, vcc
	v_add_f32_e32 v15, 1.0, v44
	v_add_f32_e32 v20, -1.0, v15
	v_sub_f32_e32 v30, v20, v15
	v_add_f32_e32 v30, 1.0, v30
	v_sub_f32_e32 v20, v44, v20
	v_add_f32_e32 v20, v20, v30
	v_frexp_mant_f32_e32 v32, v15
	s_mov_b32 s2, 0x3f2aaaab
	v_cvt_f64_f32_e32 v[30:31], v15
	v_frexp_exp_i32_f64_e32 v30, v[30:31]
	v_cmp_gt_f32_e32 vcc, s2, v32
	v_subbrev_co_u32_e32 v38, vcc, 0, v30, vcc
	v_sub_u32_e32 v30, 0, v38
	v_ldexp_f32 v15, v15, v30
	v_ldexp_f32 v20, v20, v30
	v_add_f32_e32 v30, -1.0, v15
	v_add_f32_e32 v31, 1.0, v30
	v_sub_f32_e32 v31, v15, v31
	v_add_f32_e32 v32, v20, v31
	v_add_f32_e32 v31, 1.0, v15
	v_add_f32_e32 v33, -1.0, v31
	v_sub_f32_e32 v15, v15, v33
	v_add_f32_e32 v15, v20, v15
	v_add_f32_e32 v20, v31, v15
	v_rcp_f32_e32 v39, v20
	v_sub_f32_e32 v31, v31, v20
	v_add_f32_e32 v15, v15, v31
	v_add_f32_e32 v31, v30, v32
	v_sub_f32_e32 v30, v30, v31
	v_mul_f32_e32 v41, v31, v39
	v_add_f32_e32 v40, v32, v30
	v_mul_f32_e32 v32, v20, v41
	v_fma_f32 v34, v41, v20, -v32
	v_fmac_f32_e32 v34, v41, v15
	v_add_f32_e32 v30, v32, v34
	v_sub_f32_e32 v33, v31, v30
	v_pk_add_f32 v[36:37], v[30:31], v[32:33] neg_lo:[0,1] neg_hi:[0,1]
	v_mov_b32_e32 v35, v30
	v_pk_add_f32 v[30:31], v[36:37], v[34:35] neg_lo:[0,1] neg_hi:[0,1]
	v_add_f32_e32 v31, v40, v31
	v_add_f32_e32 v30, v30, v31
	;; [unrolled: 1-line block ×3, first 2 shown]
	v_mul_f32_e32 v40, v39, v31
	v_mul_f32_e32 v32, v20, v40
	v_fma_f32 v34, v40, v20, -v32
	v_fmac_f32_e32 v34, v40, v15
	v_sub_f32_e32 v15, v33, v31
	v_add_f32_e32 v15, v30, v15
	v_add_f32_e32 v30, v32, v34
	v_sub_f32_e32 v33, v31, v30
	v_pk_add_f32 v[36:37], v[30:31], v[32:33] neg_lo:[0,1] neg_hi:[0,1]
	v_mov_b32_e32 v35, v30
	v_pk_add_f32 v[30:31], v[36:37], v[34:35] neg_lo:[0,1] neg_hi:[0,1]
	v_add_f32_e32 v15, v15, v31
	v_add_f32_e32 v15, v30, v15
	;; [unrolled: 1-line block ×4, first 2 shown]
	v_sub_f32_e32 v30, v20, v41
	v_mul_f32_e32 v15, v39, v15
	v_sub_f32_e32 v30, v40, v30
	v_add_f32_e32 v15, v30, v15
	v_add_f32_e32 v30, v20, v15
	v_mul_f32_e32 v33, v30, v30
	v_mov_b32_e32 v32, 0x3ecc95a3
	v_fmac_f32_e32 v32, 0x3e9b6dac, v33
	v_mov_b32_e32 v31, 0x3f2aaada
	v_fmac_f32_e32 v31, v33, v32
	v_cvt_f32_i32_e32 v32, v38
	v_sub_f32_e32 v20, v30, v20
	v_ldexp_f32 v35, v30, 1
	v_mul_f32_e32 v33, v30, v33
	v_mov_b32_e32 v30, 0x3f317218
	s_mov_b32 s2, 0x3f317218
	v_pk_mul_f32 v[30:31], v[32:33], v[30:31]
	v_fma_f32 v34, v32, s2, -v30
	v_fmac_f32_e32 v34, 0xb102e308, v32
	v_pk_add_f32 v[32:33], v[30:31], v[34:35]
	v_sub_f32_e32 v15, v15, v20
	v_sub_f32_e32 v20, v33, v35
	v_ldexp_f32 v15, v15, 1
	v_sub_f32_e32 v20, v31, v20
	v_add_f32_e32 v37, v15, v20
	v_mov_b32_e32 v36, v30
	v_pk_add_f32 v[30:31], v[32:33], v[30:31] neg_lo:[0,1] neg_hi:[0,1]
	v_pk_add_f32 v[38:39], v[32:33], v[36:37]
	v_mov_b32_e32 v31, v39
	v_mov_b32_e32 v35, v32
	v_pk_add_f32 v[40:41], v[34:35], v[30:31] neg_lo:[0,1] neg_hi:[0,1]
	v_pk_add_f32 v[30:31], v[34:35], v[30:31]
	v_mov_b32_e32 v20, v31
	v_pk_add_f32 v[34:35], v[20:21], v[32:33] neg_lo:[0,1] neg_hi:[0,1]
	v_mov_b32_e32 v15, v34
	v_pk_add_f32 v[42:43], v[38:39], v[14:15] neg_lo:[0,1] neg_hi:[0,1]
	v_mov_b32_e32 v30, v39
	v_mov_b32_e32 v38, v33
	;; [unrolled: 1-line block ×4, first 2 shown]
	v_pk_add_f32 v[30:31], v[30:31], v[38:39] neg_lo:[0,1] neg_hi:[0,1]
	v_mov_b32_e32 v34, v37
	v_mov_b32_e32 v35, v32
	v_pk_add_f32 v[30:31], v[34:35], v[30:31] neg_lo:[0,1] neg_hi:[0,1]
	v_mov_b32_e32 v42, v40
	v_pk_add_f32 v[32:33], v[42:43], v[30:31]
	v_mov_b32_e32 v34, v33
	v_pk_add_f32 v[34:35], v[32:33], v[34:35]
	v_pk_add_f32 v[36:37], v[20:21], v[34:35]
	v_mov_b32_e32 v33, v36
	v_pk_add_f32 v[38:39], v[32:33], v[40:41] neg_lo:[0,1] neg_hi:[0,1]
	v_mov_b32_e32 v31, v34
	v_sub_f32_e32 v15, v32, v38
	v_pk_add_f32 v[30:31], v[30:31], v[38:39] neg_lo:[0,1] neg_hi:[0,1]
	v_sub_f32_e32 v15, v40, v15
	s_mov_b32 s3, 0x7f800000
	v_add_f32_e32 v15, v30, v15
	s_mov_b32 s2, 0x33800000
	v_add_f32_e32 v15, v15, v31
	v_cmp_eq_f32_e32 vcc, s3, v44
	v_cmp_lt_f32_e64 s[2:3], |v44|, s2
	v_add_f32_e32 v15, v36, v15
	s_or_b64 vcc, vcc, s[2:3]
	v_cndmask_b32_e32 v15, v15, v44, vcc
	v_add_f32_e32 v15, v29, v15
	v_cvt_f16_f32_e32 v31, v15
	v_cvt_f32_f16_e32 v15, v31
	v_mov_b32_e32 v20, v31
.LBB411_140:
	s_or_b64 exec, exec, s[0:1]
	v_max_f32_e32 v29, v5, v5
	v_max_f32_e32 v32, v15, v15
	v_min_f32_e32 v30, v32, v29
	v_cmp_u_f16_e32 vcc, v31, v31
	v_max_f32_e32 v29, v32, v29
	v_cndmask_b32_e32 v30, v30, v15, vcc
	v_cndmask_b32_e32 v29, v29, v15, vcc
	v_cndmask_b32_e64 v30, v30, v5, s[62:63]
	v_cndmask_b32_e64 v29, v29, v5, s[62:63]
	v_cmp_neq_f32_e32 vcc, v30, v29
	v_cmp_class_f32_e64 s[0:1], v30, s4
	s_or_b64 s[2:3], vcc, s[0:1]
	v_mov_b32_e32 v5, v20
	s_and_saveexec_b64 s[0:1], s[2:3]
	s_cbranch_execz .LBB411_142
; %bb.141:
	v_sub_f32_e32 v5, v30, v29
	s_mov_b32 s2, 0x3fb8aa3b
	v_mul_f32_e32 v15, 0x3fb8aa3b, v5
	v_fma_f32 v30, v5, s2, -v15
	v_rndne_f32_e32 v31, v15
	v_fmac_f32_e32 v30, 0x32a5705f, v5
	v_sub_f32_e32 v15, v15, v31
	v_add_f32_e32 v15, v15, v30
	v_exp_f32_e32 v15, v15
	v_cvt_i32_f32_e32 v30, v31
	s_mov_b32 s2, 0xc2ce8ed0
	v_cmp_ngt_f32_e32 vcc, s2, v5
	s_mov_b32 s2, 0x42b17218
	v_ldexp_f32 v15, v15, v30
	v_cndmask_b32_e32 v15, 0, v15, vcc
	v_mov_b32_e32 v30, 0x7f800000
	v_cmp_nlt_f32_e32 vcc, s2, v5
	v_cndmask_b32_e32 v15, v30, v15, vcc
	v_add_f32_e32 v5, 1.0, v15
	v_add_f32_e32 v30, -1.0, v5
	v_sub_f32_e32 v31, v30, v5
	v_add_f32_e32 v31, 1.0, v31
	v_sub_f32_e32 v30, v15, v30
	v_add_f32_e32 v32, v30, v31
	v_frexp_mant_f32_e32 v33, v5
	s_mov_b32 s2, 0x3f2aaaab
	v_cvt_f64_f32_e32 v[30:31], v5
	v_frexp_exp_i32_f64_e32 v30, v[30:31]
	v_cmp_gt_f32_e32 vcc, s2, v33
	v_subbrev_co_u32_e32 v38, vcc, 0, v30, vcc
	v_sub_u32_e32 v30, 0, v38
	v_ldexp_f32 v5, v5, v30
	v_ldexp_f32 v30, v32, v30
	v_add_f32_e32 v32, -1.0, v5
	v_add_f32_e32 v31, 1.0, v32
	v_sub_f32_e32 v31, v5, v31
	v_add_f32_e32 v33, v30, v31
	v_add_f32_e32 v31, 1.0, v5
	v_add_f32_e32 v34, -1.0, v31
	v_sub_f32_e32 v5, v5, v34
	v_add_f32_e32 v5, v30, v5
	v_add_f32_e32 v39, v31, v5
	v_rcp_f32_e32 v40, v39
	v_sub_f32_e32 v30, v31, v39
	v_add_f32_e32 v31, v32, v33
	v_add_f32_e32 v5, v5, v30
	v_mul_f32_e32 v42, v31, v40
	v_sub_f32_e32 v30, v32, v31
	v_mul_f32_e32 v32, v39, v42
	v_fma_f32 v34, v42, v39, -v32
	v_fmac_f32_e32 v34, v42, v5
	v_add_f32_e32 v41, v33, v30
	v_add_f32_e32 v30, v32, v34
	v_sub_f32_e32 v33, v31, v30
	v_pk_add_f32 v[36:37], v[30:31], v[32:33] neg_lo:[0,1] neg_hi:[0,1]
	v_mov_b32_e32 v35, v30
	v_pk_add_f32 v[30:31], v[36:37], v[34:35] neg_lo:[0,1] neg_hi:[0,1]
	v_add_f32_e32 v31, v41, v31
	v_add_f32_e32 v30, v30, v31
	;; [unrolled: 1-line block ×3, first 2 shown]
	v_mul_f32_e32 v41, v40, v31
	v_mul_f32_e32 v32, v39, v41
	v_fma_f32 v34, v41, v39, -v32
	v_fmac_f32_e32 v34, v41, v5
	v_sub_f32_e32 v5, v33, v31
	v_add_f32_e32 v5, v30, v5
	v_add_f32_e32 v30, v32, v34
	v_sub_f32_e32 v33, v31, v30
	v_pk_add_f32 v[36:37], v[30:31], v[32:33] neg_lo:[0,1] neg_hi:[0,1]
	v_mov_b32_e32 v35, v30
	v_pk_add_f32 v[30:31], v[36:37], v[34:35] neg_lo:[0,1] neg_hi:[0,1]
	v_add_f32_e32 v5, v5, v31
	v_add_f32_e32 v5, v30, v5
	;; [unrolled: 1-line block ×4, first 2 shown]
	v_sub_f32_e32 v31, v30, v42
	v_mul_f32_e32 v5, v40, v5
	v_sub_f32_e32 v31, v41, v31
	v_add_f32_e32 v5, v31, v5
	v_add_f32_e32 v33, v30, v5
	v_mul_f32_e32 v34, v33, v33
	v_mov_b32_e32 v32, 0x3ecc95a3
	v_fmac_f32_e32 v32, 0x3e9b6dac, v34
	v_mov_b32_e32 v31, 0x3f2aaada
	v_fmac_f32_e32 v31, v34, v32
	v_cvt_f32_i32_e32 v32, v38
	v_sub_f32_e32 v30, v33, v30
	v_sub_f32_e32 v5, v5, v30
	v_ldexp_f32 v35, v33, 1
	v_mul_f32_e32 v33, v33, v34
	v_mov_b32_e32 v30, 0x3f317218
	s_mov_b32 s2, 0x3f317218
	v_pk_mul_f32 v[30:31], v[32:33], v[30:31]
	v_fma_f32 v34, v32, s2, -v30
	v_fmac_f32_e32 v34, 0xb102e308, v32
	v_pk_add_f32 v[32:33], v[30:31], v[34:35]
	v_sub_f32_e32 v35, v33, v35
	v_ldexp_f32 v5, v5, 1
	v_sub_f32_e32 v35, v31, v35
	v_add_f32_e32 v37, v5, v35
	v_mov_b32_e32 v36, v30
	v_pk_add_f32 v[30:31], v[32:33], v[30:31] neg_lo:[0,1] neg_hi:[0,1]
	v_pk_add_f32 v[38:39], v[32:33], v[36:37]
	v_mov_b32_e32 v31, v39
	v_mov_b32_e32 v35, v32
	v_pk_add_f32 v[40:41], v[34:35], v[30:31] neg_lo:[0,1] neg_hi:[0,1]
	v_pk_add_f32 v[30:31], v[34:35], v[30:31]
	v_mov_b32_e32 v34, v31
	v_pk_add_f32 v[42:43], v[34:35], v[32:33] neg_lo:[0,1] neg_hi:[0,1]
	v_mov_b32_e32 v5, v42
	v_pk_add_f32 v[44:45], v[38:39], v[4:5] neg_lo:[0,1] neg_hi:[0,1]
	v_mov_b32_e32 v30, v39
	v_mov_b32_e32 v38, v33
	;; [unrolled: 1-line block ×4, first 2 shown]
	v_pk_add_f32 v[30:31], v[30:31], v[38:39] neg_lo:[0,1] neg_hi:[0,1]
	v_mov_b32_e32 v36, v37
	v_mov_b32_e32 v37, v32
	v_pk_add_f32 v[30:31], v[36:37], v[30:31] neg_lo:[0,1] neg_hi:[0,1]
	v_mov_b32_e32 v44, v40
	v_pk_add_f32 v[32:33], v[44:45], v[30:31]
	v_mov_b32_e32 v36, v33
	v_pk_add_f32 v[36:37], v[32:33], v[36:37]
	v_pk_add_f32 v[34:35], v[34:35], v[36:37]
	v_mov_b32_e32 v33, v34
	v_pk_add_f32 v[38:39], v[32:33], v[40:41] neg_lo:[0,1] neg_hi:[0,1]
	v_mov_b32_e32 v31, v36
	v_sub_f32_e32 v5, v32, v38
	v_pk_add_f32 v[30:31], v[30:31], v[38:39] neg_lo:[0,1] neg_hi:[0,1]
	v_sub_f32_e32 v5, v40, v5
	s_mov_b32 s3, 0x7f800000
	v_add_f32_e32 v5, v30, v5
	s_mov_b32 s2, 0x33800000
	v_add_f32_e32 v5, v5, v31
	v_cmp_eq_f32_e32 vcc, s3, v15
	v_cmp_lt_f32_e64 s[2:3], |v15|, s2
	v_add_f32_e32 v5, v34, v5
	s_or_b64 vcc, vcc, s[2:3]
	v_cndmask_b32_e32 v5, v5, v15, vcc
	v_add_f32_e32 v5, v29, v5
	v_cvt_f16_f32_e32 v31, v5
	v_cvt_f32_f16_e32 v15, v31
	v_mov_b32_e32 v5, v31
.LBB411_142:
	s_or_b64 exec, exec, s[0:1]
	v_max_f32_e32 v29, v21, v21
	v_max_f32_e32 v32, v15, v15
	v_min_f32_e32 v30, v32, v29
	v_cmp_u_f16_e32 vcc, v31, v31
	v_max_f32_e32 v29, v32, v29
	v_cndmask_b32_e32 v30, v30, v15, vcc
	v_cndmask_b32_e32 v29, v29, v15, vcc
	v_cndmask_b32_e64 v30, v30, v21, s[64:65]
	v_cndmask_b32_e64 v29, v29, v21, s[64:65]
	v_cmp_neq_f32_e32 vcc, v30, v29
	v_cmp_class_f32_e64 s[0:1], v30, s4
	s_or_b64 s[2:3], vcc, s[0:1]
	v_mov_b32_e32 v21, v5
	s_and_saveexec_b64 s[0:1], s[2:3]
	s_cbranch_execz .LBB411_144
; %bb.143:
	v_sub_f32_e32 v15, v30, v29
	s_mov_b32 s2, 0x3fb8aa3b
	v_mul_f32_e32 v21, 0x3fb8aa3b, v15
	v_fma_f32 v30, v15, s2, -v21
	v_rndne_f32_e32 v31, v21
	v_fmac_f32_e32 v30, 0x32a5705f, v15
	v_sub_f32_e32 v21, v21, v31
	v_add_f32_e32 v21, v21, v30
	v_exp_f32_e32 v21, v21
	v_cvt_i32_f32_e32 v30, v31
	s_mov_b32 s2, 0xc2ce8ed0
	v_cmp_ngt_f32_e32 vcc, s2, v15
	s_mov_b32 s2, 0x42b17218
	v_ldexp_f32 v21, v21, v30
	v_cndmask_b32_e32 v21, 0, v21, vcc
	v_mov_b32_e32 v30, 0x7f800000
	v_cmp_nlt_f32_e32 vcc, s2, v15
	v_cndmask_b32_e32 v21, v30, v21, vcc
	v_add_f32_e32 v15, 1.0, v21
	v_add_f32_e32 v30, -1.0, v15
	v_sub_f32_e32 v31, v30, v15
	v_add_f32_e32 v31, 1.0, v31
	v_sub_f32_e32 v30, v21, v30
	v_add_f32_e32 v32, v30, v31
	v_frexp_mant_f32_e32 v33, v15
	s_mov_b32 s2, 0x3f2aaaab
	v_cvt_f64_f32_e32 v[30:31], v15
	v_frexp_exp_i32_f64_e32 v30, v[30:31]
	v_cmp_gt_f32_e32 vcc, s2, v33
	v_subbrev_co_u32_e32 v38, vcc, 0, v30, vcc
	v_sub_u32_e32 v30, 0, v38
	v_ldexp_f32 v15, v15, v30
	v_ldexp_f32 v30, v32, v30
	v_add_f32_e32 v32, -1.0, v15
	v_add_f32_e32 v31, 1.0, v32
	v_sub_f32_e32 v31, v15, v31
	v_add_f32_e32 v33, v30, v31
	v_add_f32_e32 v31, 1.0, v15
	v_add_f32_e32 v34, -1.0, v31
	v_sub_f32_e32 v15, v15, v34
	v_add_f32_e32 v15, v30, v15
	v_add_f32_e32 v39, v31, v15
	v_rcp_f32_e32 v40, v39
	v_sub_f32_e32 v30, v31, v39
	v_add_f32_e32 v31, v32, v33
	v_add_f32_e32 v15, v15, v30
	v_mul_f32_e32 v42, v31, v40
	v_sub_f32_e32 v30, v32, v31
	v_mul_f32_e32 v32, v39, v42
	v_fma_f32 v34, v42, v39, -v32
	v_fmac_f32_e32 v34, v42, v15
	v_add_f32_e32 v41, v33, v30
	v_add_f32_e32 v30, v32, v34
	v_sub_f32_e32 v33, v31, v30
	v_pk_add_f32 v[36:37], v[30:31], v[32:33] neg_lo:[0,1] neg_hi:[0,1]
	v_mov_b32_e32 v35, v30
	v_pk_add_f32 v[30:31], v[36:37], v[34:35] neg_lo:[0,1] neg_hi:[0,1]
	v_add_f32_e32 v31, v41, v31
	v_add_f32_e32 v30, v30, v31
	;; [unrolled: 1-line block ×3, first 2 shown]
	v_mul_f32_e32 v41, v40, v31
	v_mul_f32_e32 v32, v39, v41
	v_fma_f32 v34, v41, v39, -v32
	v_fmac_f32_e32 v34, v41, v15
	v_sub_f32_e32 v15, v33, v31
	v_add_f32_e32 v15, v30, v15
	v_add_f32_e32 v30, v32, v34
	v_sub_f32_e32 v33, v31, v30
	v_pk_add_f32 v[36:37], v[30:31], v[32:33] neg_lo:[0,1] neg_hi:[0,1]
	v_mov_b32_e32 v35, v30
	v_pk_add_f32 v[30:31], v[36:37], v[34:35] neg_lo:[0,1] neg_hi:[0,1]
	v_add_f32_e32 v15, v15, v31
	v_add_f32_e32 v15, v30, v15
	;; [unrolled: 1-line block ×4, first 2 shown]
	v_sub_f32_e32 v31, v30, v42
	v_mul_f32_e32 v15, v40, v15
	v_sub_f32_e32 v31, v41, v31
	v_add_f32_e32 v15, v31, v15
	v_add_f32_e32 v33, v30, v15
	v_mul_f32_e32 v34, v33, v33
	v_mov_b32_e32 v32, 0x3ecc95a3
	v_fmac_f32_e32 v32, 0x3e9b6dac, v34
	v_mov_b32_e32 v31, 0x3f2aaada
	v_fmac_f32_e32 v31, v34, v32
	v_cvt_f32_i32_e32 v32, v38
	v_sub_f32_e32 v30, v33, v30
	v_sub_f32_e32 v15, v15, v30
	v_ldexp_f32 v35, v33, 1
	v_mul_f32_e32 v33, v33, v34
	v_mov_b32_e32 v30, 0x3f317218
	s_mov_b32 s2, 0x3f317218
	v_pk_mul_f32 v[30:31], v[32:33], v[30:31]
	v_fma_f32 v34, v32, s2, -v30
	v_fmac_f32_e32 v34, 0xb102e308, v32
	v_pk_add_f32 v[32:33], v[30:31], v[34:35]
	v_sub_f32_e32 v35, v33, v35
	v_ldexp_f32 v15, v15, 1
	v_sub_f32_e32 v35, v31, v35
	v_add_f32_e32 v37, v15, v35
	v_mov_b32_e32 v36, v30
	v_pk_add_f32 v[30:31], v[32:33], v[30:31] neg_lo:[0,1] neg_hi:[0,1]
	v_pk_add_f32 v[38:39], v[32:33], v[36:37]
	v_mov_b32_e32 v31, v39
	v_mov_b32_e32 v35, v32
	v_pk_add_f32 v[40:41], v[34:35], v[30:31] neg_lo:[0,1] neg_hi:[0,1]
	v_pk_add_f32 v[30:31], v[34:35], v[30:31]
	v_mov_b32_e32 v34, v31
	v_pk_add_f32 v[42:43], v[34:35], v[32:33] neg_lo:[0,1] neg_hi:[0,1]
	v_mov_b32_e32 v15, v42
	v_pk_add_f32 v[44:45], v[38:39], v[14:15] neg_lo:[0,1] neg_hi:[0,1]
	v_mov_b32_e32 v30, v39
	v_mov_b32_e32 v38, v33
	;; [unrolled: 1-line block ×4, first 2 shown]
	v_pk_add_f32 v[30:31], v[30:31], v[38:39] neg_lo:[0,1] neg_hi:[0,1]
	v_mov_b32_e32 v36, v37
	v_mov_b32_e32 v37, v32
	v_pk_add_f32 v[30:31], v[36:37], v[30:31] neg_lo:[0,1] neg_hi:[0,1]
	v_mov_b32_e32 v44, v40
	v_pk_add_f32 v[32:33], v[44:45], v[30:31]
	v_mov_b32_e32 v36, v33
	v_pk_add_f32 v[36:37], v[32:33], v[36:37]
	v_pk_add_f32 v[34:35], v[34:35], v[36:37]
	v_mov_b32_e32 v33, v34
	v_pk_add_f32 v[38:39], v[32:33], v[40:41] neg_lo:[0,1] neg_hi:[0,1]
	v_mov_b32_e32 v31, v36
	v_sub_f32_e32 v15, v32, v38
	v_pk_add_f32 v[30:31], v[30:31], v[38:39] neg_lo:[0,1] neg_hi:[0,1]
	v_sub_f32_e32 v15, v40, v15
	s_mov_b32 s3, 0x7f800000
	v_add_f32_e32 v15, v30, v15
	s_mov_b32 s2, 0x33800000
	v_add_f32_e32 v15, v15, v31
	v_cmp_eq_f32_e32 vcc, s3, v21
	v_cmp_lt_f32_e64 s[2:3], |v21|, s2
	v_add_f32_e32 v15, v34, v15
	s_or_b64 vcc, vcc, s[2:3]
	v_cndmask_b32_e32 v15, v15, v21, vcc
	v_add_f32_e32 v15, v29, v15
	v_cvt_f16_f32_e32 v31, v15
	v_cvt_f32_f16_e32 v15, v31
	v_mov_b32_e32 v21, v31
.LBB411_144:
	s_or_b64 exec, exec, s[0:1]
	v_max_f32_e32 v29, v10, v10
	v_max_f32_e32 v32, v15, v15
	v_min_f32_e32 v30, v32, v29
	v_cmp_u_f16_e32 vcc, v31, v31
	v_max_f32_e32 v29, v32, v29
	v_cndmask_b32_e32 v30, v30, v15, vcc
	v_cndmask_b32_e32 v29, v29, v15, vcc
	v_cndmask_b32_e64 v30, v30, v10, s[66:67]
	v_cndmask_b32_e64 v29, v29, v10, s[66:67]
	v_cmp_neq_f32_e32 vcc, v30, v29
	v_cmp_class_f32_e64 s[0:1], v30, s4
	s_or_b64 s[2:3], vcc, s[0:1]
	v_mov_b32_e32 v10, v21
	s_and_saveexec_b64 s[0:1], s[2:3]
	s_cbranch_execz .LBB411_146
; %bb.145:
	v_sub_f32_e32 v10, v30, v29
	s_mov_b32 s2, 0x3fb8aa3b
	v_mul_f32_e32 v15, 0x3fb8aa3b, v10
	v_fma_f32 v30, v10, s2, -v15
	v_rndne_f32_e32 v31, v15
	v_fmac_f32_e32 v30, 0x32a5705f, v10
	v_sub_f32_e32 v15, v15, v31
	v_add_f32_e32 v15, v15, v30
	v_exp_f32_e32 v15, v15
	v_cvt_i32_f32_e32 v30, v31
	s_mov_b32 s2, 0xc2ce8ed0
	v_cmp_ngt_f32_e32 vcc, s2, v10
	s_mov_b32 s2, 0x42b17218
	v_ldexp_f32 v15, v15, v30
	v_cndmask_b32_e32 v15, 0, v15, vcc
	v_mov_b32_e32 v30, 0x7f800000
	v_cmp_nlt_f32_e32 vcc, s2, v10
	v_cndmask_b32_e32 v44, v30, v15, vcc
	v_add_f32_e32 v10, 1.0, v44
	v_add_f32_e32 v15, -1.0, v10
	v_sub_f32_e32 v30, v15, v10
	v_add_f32_e32 v30, 1.0, v30
	v_sub_f32_e32 v15, v44, v15
	v_add_f32_e32 v15, v15, v30
	v_frexp_mant_f32_e32 v32, v10
	s_mov_b32 s2, 0x3f2aaaab
	v_cvt_f64_f32_e32 v[30:31], v10
	v_frexp_exp_i32_f64_e32 v30, v[30:31]
	v_cmp_gt_f32_e32 vcc, s2, v32
	v_subbrev_co_u32_e32 v38, vcc, 0, v30, vcc
	v_sub_u32_e32 v30, 0, v38
	v_ldexp_f32 v10, v10, v30
	v_ldexp_f32 v15, v15, v30
	v_add_f32_e32 v30, -1.0, v10
	v_add_f32_e32 v31, 1.0, v30
	v_sub_f32_e32 v31, v10, v31
	v_add_f32_e32 v32, v15, v31
	v_add_f32_e32 v31, 1.0, v10
	v_add_f32_e32 v33, -1.0, v31
	v_sub_f32_e32 v10, v10, v33
	v_add_f32_e32 v10, v15, v10
	v_add_f32_e32 v15, v31, v10
	v_rcp_f32_e32 v39, v15
	v_sub_f32_e32 v31, v31, v15
	v_add_f32_e32 v10, v10, v31
	v_add_f32_e32 v31, v30, v32
	v_sub_f32_e32 v30, v30, v31
	v_mul_f32_e32 v41, v31, v39
	v_add_f32_e32 v40, v32, v30
	v_mul_f32_e32 v32, v15, v41
	v_fma_f32 v34, v41, v15, -v32
	v_fmac_f32_e32 v34, v41, v10
	v_add_f32_e32 v30, v32, v34
	v_sub_f32_e32 v33, v31, v30
	v_pk_add_f32 v[36:37], v[30:31], v[32:33] neg_lo:[0,1] neg_hi:[0,1]
	v_mov_b32_e32 v35, v30
	v_pk_add_f32 v[30:31], v[36:37], v[34:35] neg_lo:[0,1] neg_hi:[0,1]
	v_add_f32_e32 v31, v40, v31
	v_add_f32_e32 v30, v30, v31
	v_add_f32_e32 v31, v33, v30
	v_mul_f32_e32 v40, v39, v31
	v_mul_f32_e32 v32, v15, v40
	v_fma_f32 v34, v40, v15, -v32
	v_fmac_f32_e32 v34, v40, v10
	v_sub_f32_e32 v10, v33, v31
	v_add_f32_e32 v10, v30, v10
	v_add_f32_e32 v30, v32, v34
	v_sub_f32_e32 v33, v31, v30
	v_pk_add_f32 v[36:37], v[30:31], v[32:33] neg_lo:[0,1] neg_hi:[0,1]
	v_mov_b32_e32 v35, v30
	v_pk_add_f32 v[30:31], v[36:37], v[34:35] neg_lo:[0,1] neg_hi:[0,1]
	v_add_f32_e32 v10, v10, v31
	v_add_f32_e32 v10, v30, v10
	;; [unrolled: 1-line block ×4, first 2 shown]
	v_sub_f32_e32 v30, v15, v41
	v_mul_f32_e32 v10, v39, v10
	v_sub_f32_e32 v30, v40, v30
	v_add_f32_e32 v10, v30, v10
	v_add_f32_e32 v30, v15, v10
	v_mul_f32_e32 v33, v30, v30
	v_mov_b32_e32 v32, 0x3ecc95a3
	v_fmac_f32_e32 v32, 0x3e9b6dac, v33
	v_mov_b32_e32 v31, 0x3f2aaada
	v_fmac_f32_e32 v31, v33, v32
	v_cvt_f32_i32_e32 v32, v38
	v_sub_f32_e32 v15, v30, v15
	v_ldexp_f32 v35, v30, 1
	v_mul_f32_e32 v33, v30, v33
	v_mov_b32_e32 v30, 0x3f317218
	s_mov_b32 s2, 0x3f317218
	v_pk_mul_f32 v[30:31], v[32:33], v[30:31]
	v_fma_f32 v34, v32, s2, -v30
	v_fmac_f32_e32 v34, 0xb102e308, v32
	v_pk_add_f32 v[32:33], v[30:31], v[34:35]
	v_sub_f32_e32 v10, v10, v15
	v_sub_f32_e32 v15, v33, v35
	v_ldexp_f32 v10, v10, 1
	v_sub_f32_e32 v15, v31, v15
	v_add_f32_e32 v37, v10, v15
	v_mov_b32_e32 v36, v30
	v_pk_add_f32 v[30:31], v[32:33], v[30:31] neg_lo:[0,1] neg_hi:[0,1]
	v_pk_add_f32 v[38:39], v[32:33], v[36:37]
	v_mov_b32_e32 v31, v39
	v_mov_b32_e32 v35, v32
	v_pk_add_f32 v[40:41], v[34:35], v[30:31] neg_lo:[0,1] neg_hi:[0,1]
	v_pk_add_f32 v[30:31], v[34:35], v[30:31]
	v_mov_b32_e32 v10, v31
	v_pk_add_f32 v[34:35], v[10:11], v[32:33] neg_lo:[0,1] neg_hi:[0,1]
	v_mov_b32_e32 v15, v34
	v_pk_add_f32 v[42:43], v[38:39], v[14:15] neg_lo:[0,1] neg_hi:[0,1]
	v_mov_b32_e32 v30, v39
	v_mov_b32_e32 v38, v33
	;; [unrolled: 1-line block ×4, first 2 shown]
	v_pk_add_f32 v[30:31], v[30:31], v[38:39] neg_lo:[0,1] neg_hi:[0,1]
	v_mov_b32_e32 v34, v37
	v_mov_b32_e32 v35, v32
	v_pk_add_f32 v[30:31], v[34:35], v[30:31] neg_lo:[0,1] neg_hi:[0,1]
	v_mov_b32_e32 v42, v40
	v_pk_add_f32 v[32:33], v[42:43], v[30:31]
	v_mov_b32_e32 v34, v33
	v_pk_add_f32 v[34:35], v[32:33], v[34:35]
	v_pk_add_f32 v[36:37], v[10:11], v[34:35]
	v_mov_b32_e32 v33, v36
	v_pk_add_f32 v[38:39], v[32:33], v[40:41] neg_lo:[0,1] neg_hi:[0,1]
	v_mov_b32_e32 v31, v34
	v_sub_f32_e32 v10, v32, v38
	v_pk_add_f32 v[30:31], v[30:31], v[38:39] neg_lo:[0,1] neg_hi:[0,1]
	v_sub_f32_e32 v10, v40, v10
	s_mov_b32 s3, 0x7f800000
	v_add_f32_e32 v10, v30, v10
	s_mov_b32 s2, 0x33800000
	v_add_f32_e32 v10, v10, v31
	v_cmp_eq_f32_e32 vcc, s3, v44
	v_cmp_lt_f32_e64 s[2:3], |v44|, s2
	v_add_f32_e32 v10, v36, v10
	s_or_b64 vcc, vcc, s[2:3]
	v_cndmask_b32_e32 v10, v10, v44, vcc
	v_add_f32_e32 v10, v29, v10
	v_cvt_f16_f32_e32 v31, v10
	v_cvt_f32_f16_e32 v15, v31
	v_mov_b32_e32 v10, v31
.LBB411_146:
	s_or_b64 exec, exec, s[0:1]
	v_max_f32_e32 v29, v22, v22
	v_max_f32_e32 v32, v15, v15
	v_min_f32_e32 v30, v32, v29
	v_cmp_u_f16_e32 vcc, v31, v31
	v_max_f32_e32 v29, v32, v29
	v_cndmask_b32_e32 v30, v30, v15, vcc
	v_cndmask_b32_e32 v29, v29, v15, vcc
	v_cndmask_b32_e64 v30, v30, v22, s[68:69]
	v_cndmask_b32_e64 v29, v29, v22, s[68:69]
	v_cmp_neq_f32_e32 vcc, v30, v29
	v_cmp_class_f32_e64 s[0:1], v30, s4
	s_or_b64 s[2:3], vcc, s[0:1]
	v_mov_b32_e32 v22, v10
	s_and_saveexec_b64 s[0:1], s[2:3]
	s_cbranch_execz .LBB411_148
; %bb.147:
	v_sub_f32_e32 v15, v30, v29
	s_mov_b32 s2, 0x3fb8aa3b
	v_mul_f32_e32 v22, 0x3fb8aa3b, v15
	v_fma_f32 v30, v15, s2, -v22
	v_rndne_f32_e32 v31, v22
	v_fmac_f32_e32 v30, 0x32a5705f, v15
	v_sub_f32_e32 v22, v22, v31
	v_add_f32_e32 v22, v22, v30
	v_exp_f32_e32 v22, v22
	v_cvt_i32_f32_e32 v30, v31
	s_mov_b32 s2, 0xc2ce8ed0
	v_cmp_ngt_f32_e32 vcc, s2, v15
	s_mov_b32 s2, 0x42b17218
	v_ldexp_f32 v22, v22, v30
	v_cndmask_b32_e32 v22, 0, v22, vcc
	v_mov_b32_e32 v30, 0x7f800000
	v_cmp_nlt_f32_e32 vcc, s2, v15
	v_cndmask_b32_e32 v44, v30, v22, vcc
	v_add_f32_e32 v15, 1.0, v44
	v_add_f32_e32 v22, -1.0, v15
	v_sub_f32_e32 v30, v22, v15
	v_add_f32_e32 v30, 1.0, v30
	v_sub_f32_e32 v22, v44, v22
	v_add_f32_e32 v22, v22, v30
	v_frexp_mant_f32_e32 v32, v15
	s_mov_b32 s2, 0x3f2aaaab
	v_cvt_f64_f32_e32 v[30:31], v15
	v_frexp_exp_i32_f64_e32 v30, v[30:31]
	v_cmp_gt_f32_e32 vcc, s2, v32
	v_subbrev_co_u32_e32 v38, vcc, 0, v30, vcc
	v_sub_u32_e32 v30, 0, v38
	v_ldexp_f32 v15, v15, v30
	v_ldexp_f32 v22, v22, v30
	v_add_f32_e32 v30, -1.0, v15
	v_add_f32_e32 v31, 1.0, v30
	v_sub_f32_e32 v31, v15, v31
	v_add_f32_e32 v32, v22, v31
	v_add_f32_e32 v31, 1.0, v15
	v_add_f32_e32 v33, -1.0, v31
	v_sub_f32_e32 v15, v15, v33
	v_add_f32_e32 v15, v22, v15
	v_add_f32_e32 v22, v31, v15
	v_rcp_f32_e32 v39, v22
	v_sub_f32_e32 v31, v31, v22
	v_add_f32_e32 v15, v15, v31
	v_add_f32_e32 v31, v30, v32
	v_sub_f32_e32 v30, v30, v31
	v_mul_f32_e32 v41, v31, v39
	v_add_f32_e32 v40, v32, v30
	v_mul_f32_e32 v32, v22, v41
	v_fma_f32 v34, v41, v22, -v32
	v_fmac_f32_e32 v34, v41, v15
	v_add_f32_e32 v30, v32, v34
	v_sub_f32_e32 v33, v31, v30
	v_pk_add_f32 v[36:37], v[30:31], v[32:33] neg_lo:[0,1] neg_hi:[0,1]
	v_mov_b32_e32 v35, v30
	v_pk_add_f32 v[30:31], v[36:37], v[34:35] neg_lo:[0,1] neg_hi:[0,1]
	v_add_f32_e32 v31, v40, v31
	v_add_f32_e32 v30, v30, v31
	;; [unrolled: 1-line block ×3, first 2 shown]
	v_mul_f32_e32 v40, v39, v31
	v_mul_f32_e32 v32, v22, v40
	v_fma_f32 v34, v40, v22, -v32
	v_fmac_f32_e32 v34, v40, v15
	v_sub_f32_e32 v15, v33, v31
	v_add_f32_e32 v15, v30, v15
	v_add_f32_e32 v30, v32, v34
	v_sub_f32_e32 v33, v31, v30
	v_pk_add_f32 v[36:37], v[30:31], v[32:33] neg_lo:[0,1] neg_hi:[0,1]
	v_mov_b32_e32 v35, v30
	v_pk_add_f32 v[30:31], v[36:37], v[34:35] neg_lo:[0,1] neg_hi:[0,1]
	v_add_f32_e32 v15, v15, v31
	v_add_f32_e32 v15, v30, v15
	;; [unrolled: 1-line block ×4, first 2 shown]
	v_sub_f32_e32 v30, v22, v41
	v_mul_f32_e32 v15, v39, v15
	v_sub_f32_e32 v30, v40, v30
	v_add_f32_e32 v15, v30, v15
	v_add_f32_e32 v30, v22, v15
	v_mul_f32_e32 v33, v30, v30
	v_mov_b32_e32 v32, 0x3ecc95a3
	v_fmac_f32_e32 v32, 0x3e9b6dac, v33
	v_mov_b32_e32 v31, 0x3f2aaada
	v_fmac_f32_e32 v31, v33, v32
	v_cvt_f32_i32_e32 v32, v38
	v_sub_f32_e32 v22, v30, v22
	v_ldexp_f32 v35, v30, 1
	v_mul_f32_e32 v33, v30, v33
	v_mov_b32_e32 v30, 0x3f317218
	s_mov_b32 s2, 0x3f317218
	v_pk_mul_f32 v[30:31], v[32:33], v[30:31]
	v_fma_f32 v34, v32, s2, -v30
	v_fmac_f32_e32 v34, 0xb102e308, v32
	v_pk_add_f32 v[32:33], v[30:31], v[34:35]
	v_sub_f32_e32 v15, v15, v22
	v_sub_f32_e32 v22, v33, v35
	v_ldexp_f32 v15, v15, 1
	v_sub_f32_e32 v22, v31, v22
	v_add_f32_e32 v37, v15, v22
	v_mov_b32_e32 v36, v30
	v_pk_add_f32 v[30:31], v[32:33], v[30:31] neg_lo:[0,1] neg_hi:[0,1]
	v_pk_add_f32 v[38:39], v[32:33], v[36:37]
	v_mov_b32_e32 v31, v39
	v_mov_b32_e32 v35, v32
	v_pk_add_f32 v[40:41], v[34:35], v[30:31] neg_lo:[0,1] neg_hi:[0,1]
	v_pk_add_f32 v[30:31], v[34:35], v[30:31]
	v_mov_b32_e32 v22, v31
	v_pk_add_f32 v[34:35], v[22:23], v[32:33] neg_lo:[0,1] neg_hi:[0,1]
	v_mov_b32_e32 v15, v34
	v_pk_add_f32 v[42:43], v[38:39], v[14:15] neg_lo:[0,1] neg_hi:[0,1]
	v_mov_b32_e32 v30, v39
	v_mov_b32_e32 v38, v33
	;; [unrolled: 1-line block ×4, first 2 shown]
	v_pk_add_f32 v[30:31], v[30:31], v[38:39] neg_lo:[0,1] neg_hi:[0,1]
	v_mov_b32_e32 v34, v37
	v_mov_b32_e32 v35, v32
	v_pk_add_f32 v[30:31], v[34:35], v[30:31] neg_lo:[0,1] neg_hi:[0,1]
	v_mov_b32_e32 v42, v40
	v_pk_add_f32 v[32:33], v[42:43], v[30:31]
	v_mov_b32_e32 v34, v33
	v_pk_add_f32 v[34:35], v[32:33], v[34:35]
	v_pk_add_f32 v[36:37], v[22:23], v[34:35]
	v_mov_b32_e32 v33, v36
	v_pk_add_f32 v[38:39], v[32:33], v[40:41] neg_lo:[0,1] neg_hi:[0,1]
	v_mov_b32_e32 v31, v34
	v_sub_f32_e32 v15, v32, v38
	v_pk_add_f32 v[30:31], v[30:31], v[38:39] neg_lo:[0,1] neg_hi:[0,1]
	v_sub_f32_e32 v15, v40, v15
	s_mov_b32 s3, 0x7f800000
	v_add_f32_e32 v15, v30, v15
	s_mov_b32 s2, 0x33800000
	v_add_f32_e32 v15, v15, v31
	v_cmp_eq_f32_e32 vcc, s3, v44
	v_cmp_lt_f32_e64 s[2:3], |v44|, s2
	v_add_f32_e32 v15, v36, v15
	s_or_b64 vcc, vcc, s[2:3]
	v_cndmask_b32_e32 v15, v15, v44, vcc
	v_add_f32_e32 v15, v29, v15
	v_cvt_f16_f32_e32 v31, v15
	v_cvt_f32_f16_e32 v15, v31
	v_mov_b32_e32 v22, v31
.LBB411_148:
	s_or_b64 exec, exec, s[0:1]
	v_max_f32_e32 v29, v11, v11
	v_max_f32_e32 v32, v15, v15
	v_min_f32_e32 v30, v32, v29
	v_cmp_u_f16_e32 vcc, v31, v31
	v_max_f32_e32 v29, v32, v29
	v_cndmask_b32_e32 v30, v30, v15, vcc
	v_cndmask_b32_e32 v29, v29, v15, vcc
	v_cndmask_b32_e64 v30, v30, v11, s[70:71]
	v_cndmask_b32_e64 v29, v29, v11, s[70:71]
	v_cmp_neq_f32_e32 vcc, v30, v29
	v_cmp_class_f32_e64 s[0:1], v30, s4
	s_or_b64 s[2:3], vcc, s[0:1]
	v_mov_b32_e32 v11, v22
	s_and_saveexec_b64 s[0:1], s[2:3]
	s_cbranch_execz .LBB411_150
; %bb.149:
	v_sub_f32_e32 v11, v30, v29
	s_mov_b32 s2, 0x3fb8aa3b
	v_mul_f32_e32 v15, 0x3fb8aa3b, v11
	v_fma_f32 v30, v11, s2, -v15
	v_rndne_f32_e32 v31, v15
	v_fmac_f32_e32 v30, 0x32a5705f, v11
	v_sub_f32_e32 v15, v15, v31
	v_add_f32_e32 v15, v15, v30
	v_exp_f32_e32 v15, v15
	v_cvt_i32_f32_e32 v30, v31
	s_mov_b32 s2, 0xc2ce8ed0
	v_cmp_ngt_f32_e32 vcc, s2, v11
	s_mov_b32 s2, 0x42b17218
	v_ldexp_f32 v15, v15, v30
	v_cndmask_b32_e32 v15, 0, v15, vcc
	v_mov_b32_e32 v30, 0x7f800000
	v_cmp_nlt_f32_e32 vcc, s2, v11
	v_cndmask_b32_e32 v15, v30, v15, vcc
	v_add_f32_e32 v11, 1.0, v15
	v_add_f32_e32 v30, -1.0, v11
	v_sub_f32_e32 v31, v30, v11
	v_add_f32_e32 v31, 1.0, v31
	v_sub_f32_e32 v30, v15, v30
	v_add_f32_e32 v32, v30, v31
	v_frexp_mant_f32_e32 v33, v11
	s_mov_b32 s2, 0x3f2aaaab
	v_cvt_f64_f32_e32 v[30:31], v11
	v_frexp_exp_i32_f64_e32 v30, v[30:31]
	v_cmp_gt_f32_e32 vcc, s2, v33
	v_subbrev_co_u32_e32 v38, vcc, 0, v30, vcc
	v_sub_u32_e32 v30, 0, v38
	v_ldexp_f32 v11, v11, v30
	v_ldexp_f32 v30, v32, v30
	v_add_f32_e32 v32, -1.0, v11
	v_add_f32_e32 v31, 1.0, v32
	v_sub_f32_e32 v31, v11, v31
	v_add_f32_e32 v33, v30, v31
	v_add_f32_e32 v31, 1.0, v11
	v_add_f32_e32 v34, -1.0, v31
	v_sub_f32_e32 v11, v11, v34
	v_add_f32_e32 v11, v30, v11
	v_add_f32_e32 v39, v31, v11
	v_rcp_f32_e32 v40, v39
	v_sub_f32_e32 v30, v31, v39
	v_add_f32_e32 v31, v32, v33
	v_add_f32_e32 v11, v11, v30
	v_mul_f32_e32 v42, v31, v40
	v_sub_f32_e32 v30, v32, v31
	v_mul_f32_e32 v32, v39, v42
	v_fma_f32 v34, v42, v39, -v32
	v_fmac_f32_e32 v34, v42, v11
	v_add_f32_e32 v41, v33, v30
	v_add_f32_e32 v30, v32, v34
	v_sub_f32_e32 v33, v31, v30
	v_pk_add_f32 v[36:37], v[30:31], v[32:33] neg_lo:[0,1] neg_hi:[0,1]
	v_mov_b32_e32 v35, v30
	v_pk_add_f32 v[30:31], v[36:37], v[34:35] neg_lo:[0,1] neg_hi:[0,1]
	v_add_f32_e32 v31, v41, v31
	v_add_f32_e32 v30, v30, v31
	;; [unrolled: 1-line block ×3, first 2 shown]
	v_mul_f32_e32 v41, v40, v31
	v_mul_f32_e32 v32, v39, v41
	v_fma_f32 v34, v41, v39, -v32
	v_fmac_f32_e32 v34, v41, v11
	v_sub_f32_e32 v11, v33, v31
	v_add_f32_e32 v11, v30, v11
	v_add_f32_e32 v30, v32, v34
	v_sub_f32_e32 v33, v31, v30
	v_pk_add_f32 v[36:37], v[30:31], v[32:33] neg_lo:[0,1] neg_hi:[0,1]
	v_mov_b32_e32 v35, v30
	v_pk_add_f32 v[30:31], v[36:37], v[34:35] neg_lo:[0,1] neg_hi:[0,1]
	v_add_f32_e32 v11, v11, v31
	v_add_f32_e32 v11, v30, v11
	;; [unrolled: 1-line block ×4, first 2 shown]
	v_sub_f32_e32 v31, v30, v42
	v_mul_f32_e32 v11, v40, v11
	v_sub_f32_e32 v31, v41, v31
	v_add_f32_e32 v11, v31, v11
	v_add_f32_e32 v33, v30, v11
	v_mul_f32_e32 v34, v33, v33
	v_mov_b32_e32 v32, 0x3ecc95a3
	v_fmac_f32_e32 v32, 0x3e9b6dac, v34
	v_mov_b32_e32 v31, 0x3f2aaada
	v_fmac_f32_e32 v31, v34, v32
	v_cvt_f32_i32_e32 v32, v38
	v_sub_f32_e32 v30, v33, v30
	v_sub_f32_e32 v11, v11, v30
	v_ldexp_f32 v35, v33, 1
	v_mul_f32_e32 v33, v33, v34
	v_mov_b32_e32 v30, 0x3f317218
	s_mov_b32 s2, 0x3f317218
	v_pk_mul_f32 v[30:31], v[32:33], v[30:31]
	v_fma_f32 v34, v32, s2, -v30
	v_fmac_f32_e32 v34, 0xb102e308, v32
	v_pk_add_f32 v[32:33], v[30:31], v[34:35]
	v_sub_f32_e32 v35, v33, v35
	v_ldexp_f32 v11, v11, 1
	v_sub_f32_e32 v35, v31, v35
	v_add_f32_e32 v37, v11, v35
	v_mov_b32_e32 v36, v30
	v_pk_add_f32 v[30:31], v[32:33], v[30:31] neg_lo:[0,1] neg_hi:[0,1]
	v_pk_add_f32 v[38:39], v[32:33], v[36:37]
	v_mov_b32_e32 v31, v39
	v_mov_b32_e32 v35, v32
	v_pk_add_f32 v[40:41], v[34:35], v[30:31] neg_lo:[0,1] neg_hi:[0,1]
	v_pk_add_f32 v[30:31], v[34:35], v[30:31]
	v_mov_b32_e32 v34, v31
	v_pk_add_f32 v[42:43], v[34:35], v[32:33] neg_lo:[0,1] neg_hi:[0,1]
	v_mov_b32_e32 v11, v42
	v_pk_add_f32 v[44:45], v[38:39], v[10:11] neg_lo:[0,1] neg_hi:[0,1]
	v_mov_b32_e32 v30, v39
	v_mov_b32_e32 v38, v33
	;; [unrolled: 1-line block ×4, first 2 shown]
	v_pk_add_f32 v[30:31], v[30:31], v[38:39] neg_lo:[0,1] neg_hi:[0,1]
	v_mov_b32_e32 v36, v37
	v_mov_b32_e32 v37, v32
	v_pk_add_f32 v[30:31], v[36:37], v[30:31] neg_lo:[0,1] neg_hi:[0,1]
	v_mov_b32_e32 v44, v40
	v_pk_add_f32 v[32:33], v[44:45], v[30:31]
	v_mov_b32_e32 v36, v33
	v_pk_add_f32 v[36:37], v[32:33], v[36:37]
	v_pk_add_f32 v[34:35], v[34:35], v[36:37]
	v_mov_b32_e32 v33, v34
	v_pk_add_f32 v[38:39], v[32:33], v[40:41] neg_lo:[0,1] neg_hi:[0,1]
	v_mov_b32_e32 v31, v36
	v_sub_f32_e32 v11, v32, v38
	v_pk_add_f32 v[30:31], v[30:31], v[38:39] neg_lo:[0,1] neg_hi:[0,1]
	v_sub_f32_e32 v11, v40, v11
	s_mov_b32 s3, 0x7f800000
	v_add_f32_e32 v11, v30, v11
	s_mov_b32 s2, 0x33800000
	v_add_f32_e32 v11, v11, v31
	v_cmp_eq_f32_e32 vcc, s3, v15
	v_cmp_lt_f32_e64 s[2:3], |v15|, s2
	v_add_f32_e32 v11, v34, v11
	s_or_b64 vcc, vcc, s[2:3]
	v_cndmask_b32_e32 v11, v11, v15, vcc
	v_add_f32_e32 v11, v29, v11
	v_cvt_f16_f32_e32 v31, v11
	v_cvt_f32_f16_e32 v15, v31
	v_mov_b32_e32 v11, v31
.LBB411_150:
	s_or_b64 exec, exec, s[0:1]
	v_max_f32_e32 v29, v23, v23
	v_max_f32_e32 v32, v15, v15
	v_min_f32_e32 v30, v32, v29
	v_cmp_u_f16_e32 vcc, v31, v31
	v_max_f32_e32 v29, v32, v29
	v_cndmask_b32_e32 v30, v30, v15, vcc
	v_cndmask_b32_e32 v29, v29, v15, vcc
	v_cndmask_b32_e64 v30, v30, v23, s[72:73]
	v_cndmask_b32_e64 v29, v29, v23, s[72:73]
	v_cmp_neq_f32_e32 vcc, v30, v29
	v_cmp_class_f32_e64 s[0:1], v30, s4
	s_or_b64 s[2:3], vcc, s[0:1]
	v_mov_b32_e32 v23, v11
	s_and_saveexec_b64 s[0:1], s[2:3]
	s_cbranch_execz .LBB411_152
; %bb.151:
	v_sub_f32_e32 v15, v30, v29
	s_mov_b32 s2, 0x3fb8aa3b
	v_mul_f32_e32 v23, 0x3fb8aa3b, v15
	v_fma_f32 v30, v15, s2, -v23
	v_rndne_f32_e32 v31, v23
	v_fmac_f32_e32 v30, 0x32a5705f, v15
	v_sub_f32_e32 v23, v23, v31
	v_add_f32_e32 v23, v23, v30
	v_exp_f32_e32 v23, v23
	v_cvt_i32_f32_e32 v30, v31
	s_mov_b32 s2, 0xc2ce8ed0
	v_cmp_ngt_f32_e32 vcc, s2, v15
	s_mov_b32 s2, 0x42b17218
	v_ldexp_f32 v23, v23, v30
	v_cndmask_b32_e32 v23, 0, v23, vcc
	v_mov_b32_e32 v30, 0x7f800000
	v_cmp_nlt_f32_e32 vcc, s2, v15
	v_cndmask_b32_e32 v23, v30, v23, vcc
	v_add_f32_e32 v15, 1.0, v23
	v_add_f32_e32 v30, -1.0, v15
	v_sub_f32_e32 v31, v30, v15
	v_add_f32_e32 v31, 1.0, v31
	v_sub_f32_e32 v30, v23, v30
	v_add_f32_e32 v32, v30, v31
	v_frexp_mant_f32_e32 v33, v15
	s_mov_b32 s2, 0x3f2aaaab
	v_cvt_f64_f32_e32 v[30:31], v15
	v_frexp_exp_i32_f64_e32 v30, v[30:31]
	v_cmp_gt_f32_e32 vcc, s2, v33
	v_subbrev_co_u32_e32 v38, vcc, 0, v30, vcc
	v_sub_u32_e32 v30, 0, v38
	v_ldexp_f32 v15, v15, v30
	v_ldexp_f32 v30, v32, v30
	v_add_f32_e32 v32, -1.0, v15
	v_add_f32_e32 v31, 1.0, v32
	v_sub_f32_e32 v31, v15, v31
	v_add_f32_e32 v33, v30, v31
	v_add_f32_e32 v31, 1.0, v15
	v_add_f32_e32 v34, -1.0, v31
	v_sub_f32_e32 v15, v15, v34
	v_add_f32_e32 v15, v30, v15
	v_add_f32_e32 v39, v31, v15
	v_rcp_f32_e32 v40, v39
	v_sub_f32_e32 v30, v31, v39
	v_add_f32_e32 v31, v32, v33
	v_add_f32_e32 v15, v15, v30
	v_mul_f32_e32 v42, v31, v40
	v_sub_f32_e32 v30, v32, v31
	v_mul_f32_e32 v32, v39, v42
	v_fma_f32 v34, v42, v39, -v32
	v_fmac_f32_e32 v34, v42, v15
	v_add_f32_e32 v41, v33, v30
	v_add_f32_e32 v30, v32, v34
	v_sub_f32_e32 v33, v31, v30
	v_pk_add_f32 v[36:37], v[30:31], v[32:33] neg_lo:[0,1] neg_hi:[0,1]
	v_mov_b32_e32 v35, v30
	v_pk_add_f32 v[30:31], v[36:37], v[34:35] neg_lo:[0,1] neg_hi:[0,1]
	v_add_f32_e32 v31, v41, v31
	v_add_f32_e32 v30, v30, v31
	v_add_f32_e32 v31, v33, v30
	v_mul_f32_e32 v41, v40, v31
	v_mul_f32_e32 v32, v39, v41
	v_fma_f32 v34, v41, v39, -v32
	v_fmac_f32_e32 v34, v41, v15
	v_sub_f32_e32 v15, v33, v31
	v_add_f32_e32 v15, v30, v15
	v_add_f32_e32 v30, v32, v34
	v_sub_f32_e32 v33, v31, v30
	v_pk_add_f32 v[36:37], v[30:31], v[32:33] neg_lo:[0,1] neg_hi:[0,1]
	v_mov_b32_e32 v35, v30
	v_pk_add_f32 v[30:31], v[36:37], v[34:35] neg_lo:[0,1] neg_hi:[0,1]
	v_add_f32_e32 v15, v15, v31
	v_add_f32_e32 v15, v30, v15
	;; [unrolled: 1-line block ×4, first 2 shown]
	v_sub_f32_e32 v31, v30, v42
	v_mul_f32_e32 v15, v40, v15
	v_sub_f32_e32 v31, v41, v31
	v_add_f32_e32 v15, v31, v15
	v_add_f32_e32 v33, v30, v15
	v_mul_f32_e32 v34, v33, v33
	v_mov_b32_e32 v32, 0x3ecc95a3
	v_fmac_f32_e32 v32, 0x3e9b6dac, v34
	v_mov_b32_e32 v31, 0x3f2aaada
	v_fmac_f32_e32 v31, v34, v32
	v_cvt_f32_i32_e32 v32, v38
	v_sub_f32_e32 v30, v33, v30
	v_sub_f32_e32 v15, v15, v30
	v_ldexp_f32 v35, v33, 1
	v_mul_f32_e32 v33, v33, v34
	v_mov_b32_e32 v30, 0x3f317218
	s_mov_b32 s2, 0x3f317218
	v_pk_mul_f32 v[30:31], v[32:33], v[30:31]
	v_fma_f32 v34, v32, s2, -v30
	v_fmac_f32_e32 v34, 0xb102e308, v32
	v_pk_add_f32 v[32:33], v[30:31], v[34:35]
	v_sub_f32_e32 v35, v33, v35
	v_ldexp_f32 v15, v15, 1
	v_sub_f32_e32 v35, v31, v35
	v_add_f32_e32 v37, v15, v35
	v_mov_b32_e32 v36, v30
	v_pk_add_f32 v[30:31], v[32:33], v[30:31] neg_lo:[0,1] neg_hi:[0,1]
	v_pk_add_f32 v[38:39], v[32:33], v[36:37]
	v_mov_b32_e32 v31, v39
	v_mov_b32_e32 v35, v32
	v_pk_add_f32 v[40:41], v[34:35], v[30:31] neg_lo:[0,1] neg_hi:[0,1]
	v_pk_add_f32 v[30:31], v[34:35], v[30:31]
	v_mov_b32_e32 v34, v31
	v_pk_add_f32 v[42:43], v[34:35], v[32:33] neg_lo:[0,1] neg_hi:[0,1]
	v_mov_b32_e32 v15, v42
	v_pk_add_f32 v[44:45], v[38:39], v[14:15] neg_lo:[0,1] neg_hi:[0,1]
	v_mov_b32_e32 v30, v39
	v_mov_b32_e32 v38, v33
	;; [unrolled: 1-line block ×4, first 2 shown]
	v_pk_add_f32 v[30:31], v[30:31], v[38:39] neg_lo:[0,1] neg_hi:[0,1]
	v_mov_b32_e32 v36, v37
	v_mov_b32_e32 v37, v32
	v_pk_add_f32 v[30:31], v[36:37], v[30:31] neg_lo:[0,1] neg_hi:[0,1]
	v_mov_b32_e32 v44, v40
	v_pk_add_f32 v[32:33], v[44:45], v[30:31]
	v_mov_b32_e32 v36, v33
	v_pk_add_f32 v[36:37], v[32:33], v[36:37]
	v_pk_add_f32 v[34:35], v[34:35], v[36:37]
	v_mov_b32_e32 v33, v34
	v_pk_add_f32 v[38:39], v[32:33], v[40:41] neg_lo:[0,1] neg_hi:[0,1]
	v_mov_b32_e32 v31, v36
	v_sub_f32_e32 v15, v32, v38
	v_pk_add_f32 v[30:31], v[30:31], v[38:39] neg_lo:[0,1] neg_hi:[0,1]
	v_sub_f32_e32 v15, v40, v15
	s_mov_b32 s3, 0x7f800000
	v_add_f32_e32 v15, v30, v15
	s_mov_b32 s2, 0x33800000
	v_add_f32_e32 v15, v15, v31
	v_cmp_eq_f32_e32 vcc, s3, v23
	v_cmp_lt_f32_e64 s[2:3], |v23|, s2
	v_add_f32_e32 v15, v34, v15
	s_or_b64 vcc, vcc, s[2:3]
	v_cndmask_b32_e32 v15, v15, v23, vcc
	v_add_f32_e32 v15, v29, v15
	v_cvt_f16_f32_e32 v31, v15
	v_cvt_f32_f16_e32 v15, v31
	v_mov_b32_e32 v23, v31
.LBB411_152:
	s_or_b64 exec, exec, s[0:1]
	v_max_f32_e32 v29, v12, v12
	v_max_f32_e32 v32, v15, v15
	v_min_f32_e32 v30, v32, v29
	v_cmp_u_f16_e32 vcc, v31, v31
	v_max_f32_e32 v29, v32, v29
	v_cndmask_b32_e32 v30, v30, v15, vcc
	v_cndmask_b32_e32 v29, v29, v15, vcc
	v_cndmask_b32_e64 v30, v30, v12, s[74:75]
	v_cndmask_b32_e64 v29, v29, v12, s[74:75]
	v_cmp_neq_f32_e32 vcc, v30, v29
	v_cmp_class_f32_e64 s[0:1], v30, s4
	s_or_b64 s[2:3], vcc, s[0:1]
	v_mov_b32_e32 v12, v23
	s_and_saveexec_b64 s[0:1], s[2:3]
	s_cbranch_execz .LBB411_154
; %bb.153:
	v_sub_f32_e32 v12, v30, v29
	s_mov_b32 s2, 0x3fb8aa3b
	v_mul_f32_e32 v15, 0x3fb8aa3b, v12
	v_fma_f32 v30, v12, s2, -v15
	v_rndne_f32_e32 v31, v15
	v_fmac_f32_e32 v30, 0x32a5705f, v12
	v_sub_f32_e32 v15, v15, v31
	v_add_f32_e32 v15, v15, v30
	v_exp_f32_e32 v15, v15
	v_cvt_i32_f32_e32 v30, v31
	s_mov_b32 s2, 0xc2ce8ed0
	v_cmp_ngt_f32_e32 vcc, s2, v12
	s_mov_b32 s2, 0x42b17218
	v_ldexp_f32 v15, v15, v30
	v_cndmask_b32_e32 v15, 0, v15, vcc
	v_mov_b32_e32 v30, 0x7f800000
	v_cmp_nlt_f32_e32 vcc, s2, v12
	v_cndmask_b32_e32 v44, v30, v15, vcc
	v_add_f32_e32 v12, 1.0, v44
	v_add_f32_e32 v15, -1.0, v12
	v_sub_f32_e32 v30, v15, v12
	v_add_f32_e32 v30, 1.0, v30
	v_sub_f32_e32 v15, v44, v15
	v_add_f32_e32 v15, v15, v30
	v_frexp_mant_f32_e32 v32, v12
	s_mov_b32 s2, 0x3f2aaaab
	v_cvt_f64_f32_e32 v[30:31], v12
	v_frexp_exp_i32_f64_e32 v30, v[30:31]
	v_cmp_gt_f32_e32 vcc, s2, v32
	v_subbrev_co_u32_e32 v38, vcc, 0, v30, vcc
	v_sub_u32_e32 v30, 0, v38
	v_ldexp_f32 v12, v12, v30
	v_ldexp_f32 v15, v15, v30
	v_add_f32_e32 v30, -1.0, v12
	v_add_f32_e32 v31, 1.0, v30
	v_sub_f32_e32 v31, v12, v31
	v_add_f32_e32 v32, v15, v31
	v_add_f32_e32 v31, 1.0, v12
	v_add_f32_e32 v33, -1.0, v31
	v_sub_f32_e32 v12, v12, v33
	v_add_f32_e32 v12, v15, v12
	v_add_f32_e32 v15, v31, v12
	v_rcp_f32_e32 v39, v15
	v_sub_f32_e32 v31, v31, v15
	v_add_f32_e32 v12, v12, v31
	v_add_f32_e32 v31, v30, v32
	v_sub_f32_e32 v30, v30, v31
	v_mul_f32_e32 v41, v31, v39
	v_add_f32_e32 v40, v32, v30
	v_mul_f32_e32 v32, v15, v41
	v_fma_f32 v34, v41, v15, -v32
	v_fmac_f32_e32 v34, v41, v12
	v_add_f32_e32 v30, v32, v34
	v_sub_f32_e32 v33, v31, v30
	v_pk_add_f32 v[36:37], v[30:31], v[32:33] neg_lo:[0,1] neg_hi:[0,1]
	v_mov_b32_e32 v35, v30
	v_pk_add_f32 v[30:31], v[36:37], v[34:35] neg_lo:[0,1] neg_hi:[0,1]
	v_add_f32_e32 v31, v40, v31
	v_add_f32_e32 v30, v30, v31
	;; [unrolled: 1-line block ×3, first 2 shown]
	v_mul_f32_e32 v40, v39, v31
	v_mul_f32_e32 v32, v15, v40
	v_fma_f32 v34, v40, v15, -v32
	v_fmac_f32_e32 v34, v40, v12
	v_sub_f32_e32 v12, v33, v31
	v_add_f32_e32 v12, v30, v12
	v_add_f32_e32 v30, v32, v34
	v_sub_f32_e32 v33, v31, v30
	v_pk_add_f32 v[36:37], v[30:31], v[32:33] neg_lo:[0,1] neg_hi:[0,1]
	v_mov_b32_e32 v35, v30
	v_pk_add_f32 v[30:31], v[36:37], v[34:35] neg_lo:[0,1] neg_hi:[0,1]
	v_add_f32_e32 v12, v12, v31
	v_add_f32_e32 v12, v30, v12
	;; [unrolled: 1-line block ×4, first 2 shown]
	v_sub_f32_e32 v30, v15, v41
	v_mul_f32_e32 v12, v39, v12
	v_sub_f32_e32 v30, v40, v30
	v_add_f32_e32 v12, v30, v12
	v_add_f32_e32 v30, v15, v12
	v_mul_f32_e32 v33, v30, v30
	v_mov_b32_e32 v32, 0x3ecc95a3
	v_fmac_f32_e32 v32, 0x3e9b6dac, v33
	v_mov_b32_e32 v31, 0x3f2aaada
	v_fmac_f32_e32 v31, v33, v32
	v_cvt_f32_i32_e32 v32, v38
	v_sub_f32_e32 v15, v30, v15
	v_ldexp_f32 v35, v30, 1
	v_mul_f32_e32 v33, v30, v33
	v_mov_b32_e32 v30, 0x3f317218
	s_mov_b32 s2, 0x3f317218
	v_pk_mul_f32 v[30:31], v[32:33], v[30:31]
	v_fma_f32 v34, v32, s2, -v30
	v_fmac_f32_e32 v34, 0xb102e308, v32
	v_pk_add_f32 v[32:33], v[30:31], v[34:35]
	v_sub_f32_e32 v12, v12, v15
	v_sub_f32_e32 v15, v33, v35
	v_ldexp_f32 v12, v12, 1
	v_sub_f32_e32 v15, v31, v15
	v_add_f32_e32 v37, v12, v15
	v_mov_b32_e32 v36, v30
	v_pk_add_f32 v[30:31], v[32:33], v[30:31] neg_lo:[0,1] neg_hi:[0,1]
	v_pk_add_f32 v[38:39], v[32:33], v[36:37]
	v_mov_b32_e32 v31, v39
	v_mov_b32_e32 v35, v32
	v_pk_add_f32 v[40:41], v[34:35], v[30:31] neg_lo:[0,1] neg_hi:[0,1]
	v_pk_add_f32 v[30:31], v[34:35], v[30:31]
	v_mov_b32_e32 v12, v31
	v_pk_add_f32 v[34:35], v[12:13], v[32:33] neg_lo:[0,1] neg_hi:[0,1]
	v_mov_b32_e32 v15, v34
	v_pk_add_f32 v[42:43], v[38:39], v[14:15] neg_lo:[0,1] neg_hi:[0,1]
	v_mov_b32_e32 v30, v39
	v_mov_b32_e32 v38, v33
	;; [unrolled: 1-line block ×4, first 2 shown]
	v_pk_add_f32 v[30:31], v[30:31], v[38:39] neg_lo:[0,1] neg_hi:[0,1]
	v_mov_b32_e32 v34, v37
	v_mov_b32_e32 v35, v32
	v_pk_add_f32 v[30:31], v[34:35], v[30:31] neg_lo:[0,1] neg_hi:[0,1]
	v_mov_b32_e32 v42, v40
	v_pk_add_f32 v[32:33], v[42:43], v[30:31]
	v_mov_b32_e32 v34, v33
	v_pk_add_f32 v[34:35], v[32:33], v[34:35]
	v_pk_add_f32 v[36:37], v[12:13], v[34:35]
	v_mov_b32_e32 v33, v36
	v_pk_add_f32 v[38:39], v[32:33], v[40:41] neg_lo:[0,1] neg_hi:[0,1]
	v_mov_b32_e32 v31, v34
	v_sub_f32_e32 v12, v32, v38
	v_pk_add_f32 v[30:31], v[30:31], v[38:39] neg_lo:[0,1] neg_hi:[0,1]
	v_sub_f32_e32 v12, v40, v12
	s_mov_b32 s3, 0x7f800000
	v_add_f32_e32 v12, v30, v12
	s_mov_b32 s2, 0x33800000
	v_add_f32_e32 v12, v12, v31
	v_cmp_eq_f32_e32 vcc, s3, v44
	v_cmp_lt_f32_e64 s[2:3], |v44|, s2
	v_add_f32_e32 v12, v36, v12
	s_or_b64 vcc, vcc, s[2:3]
	v_cndmask_b32_e32 v12, v12, v44, vcc
	v_add_f32_e32 v12, v29, v12
	v_cvt_f16_f32_e32 v31, v12
	v_cvt_f32_f16_e32 v15, v31
	v_mov_b32_e32 v12, v31
.LBB411_154:
	s_or_b64 exec, exec, s[0:1]
	v_max_f32_e32 v29, v24, v24
	v_max_f32_e32 v32, v15, v15
	v_min_f32_e32 v30, v32, v29
	v_cmp_u_f16_e32 vcc, v31, v31
	v_max_f32_e32 v29, v32, v29
	v_cndmask_b32_e32 v30, v30, v15, vcc
	v_cndmask_b32_e32 v29, v29, v15, vcc
	v_cndmask_b32_e64 v30, v30, v24, s[76:77]
	v_cndmask_b32_e64 v29, v29, v24, s[76:77]
	v_cmp_neq_f32_e32 vcc, v30, v29
	v_cmp_class_f32_e64 s[0:1], v30, s4
	s_or_b64 s[2:3], vcc, s[0:1]
	v_mov_b32_e32 v24, v12
	s_and_saveexec_b64 s[0:1], s[2:3]
	s_cbranch_execz .LBB411_156
; %bb.155:
	v_sub_f32_e32 v15, v30, v29
	s_mov_b32 s2, 0x3fb8aa3b
	v_mul_f32_e32 v24, 0x3fb8aa3b, v15
	v_fma_f32 v30, v15, s2, -v24
	v_rndne_f32_e32 v31, v24
	v_fmac_f32_e32 v30, 0x32a5705f, v15
	v_sub_f32_e32 v24, v24, v31
	v_add_f32_e32 v24, v24, v30
	v_exp_f32_e32 v24, v24
	v_cvt_i32_f32_e32 v30, v31
	s_mov_b32 s2, 0xc2ce8ed0
	v_cmp_ngt_f32_e32 vcc, s2, v15
	s_mov_b32 s2, 0x42b17218
	v_ldexp_f32 v24, v24, v30
	v_cndmask_b32_e32 v24, 0, v24, vcc
	v_mov_b32_e32 v30, 0x7f800000
	v_cmp_nlt_f32_e32 vcc, s2, v15
	v_cndmask_b32_e32 v44, v30, v24, vcc
	v_add_f32_e32 v15, 1.0, v44
	v_add_f32_e32 v24, -1.0, v15
	v_sub_f32_e32 v30, v24, v15
	v_add_f32_e32 v30, 1.0, v30
	v_sub_f32_e32 v24, v44, v24
	v_add_f32_e32 v24, v24, v30
	v_frexp_mant_f32_e32 v32, v15
	s_mov_b32 s2, 0x3f2aaaab
	v_cvt_f64_f32_e32 v[30:31], v15
	v_frexp_exp_i32_f64_e32 v30, v[30:31]
	v_cmp_gt_f32_e32 vcc, s2, v32
	v_subbrev_co_u32_e32 v38, vcc, 0, v30, vcc
	v_sub_u32_e32 v30, 0, v38
	v_ldexp_f32 v15, v15, v30
	v_ldexp_f32 v24, v24, v30
	v_add_f32_e32 v30, -1.0, v15
	v_add_f32_e32 v31, 1.0, v30
	v_sub_f32_e32 v31, v15, v31
	v_add_f32_e32 v32, v24, v31
	v_add_f32_e32 v31, 1.0, v15
	v_add_f32_e32 v33, -1.0, v31
	v_sub_f32_e32 v15, v15, v33
	v_add_f32_e32 v15, v24, v15
	v_add_f32_e32 v24, v31, v15
	v_rcp_f32_e32 v39, v24
	v_sub_f32_e32 v31, v31, v24
	v_add_f32_e32 v15, v15, v31
	v_add_f32_e32 v31, v30, v32
	v_sub_f32_e32 v30, v30, v31
	v_mul_f32_e32 v41, v31, v39
	v_add_f32_e32 v40, v32, v30
	v_mul_f32_e32 v32, v24, v41
	v_fma_f32 v34, v41, v24, -v32
	v_fmac_f32_e32 v34, v41, v15
	v_add_f32_e32 v30, v32, v34
	v_sub_f32_e32 v33, v31, v30
	v_pk_add_f32 v[36:37], v[30:31], v[32:33] neg_lo:[0,1] neg_hi:[0,1]
	v_mov_b32_e32 v35, v30
	v_pk_add_f32 v[30:31], v[36:37], v[34:35] neg_lo:[0,1] neg_hi:[0,1]
	v_add_f32_e32 v31, v40, v31
	v_add_f32_e32 v30, v30, v31
	v_add_f32_e32 v31, v33, v30
	v_mul_f32_e32 v40, v39, v31
	v_mul_f32_e32 v32, v24, v40
	v_fma_f32 v34, v40, v24, -v32
	v_fmac_f32_e32 v34, v40, v15
	v_sub_f32_e32 v15, v33, v31
	v_add_f32_e32 v15, v30, v15
	v_add_f32_e32 v30, v32, v34
	v_sub_f32_e32 v33, v31, v30
	v_pk_add_f32 v[36:37], v[30:31], v[32:33] neg_lo:[0,1] neg_hi:[0,1]
	v_mov_b32_e32 v35, v30
	v_pk_add_f32 v[30:31], v[36:37], v[34:35] neg_lo:[0,1] neg_hi:[0,1]
	v_add_f32_e32 v15, v15, v31
	v_add_f32_e32 v15, v30, v15
	;; [unrolled: 1-line block ×4, first 2 shown]
	v_sub_f32_e32 v30, v24, v41
	v_mul_f32_e32 v15, v39, v15
	v_sub_f32_e32 v30, v40, v30
	v_add_f32_e32 v15, v30, v15
	v_add_f32_e32 v30, v24, v15
	v_mul_f32_e32 v33, v30, v30
	v_mov_b32_e32 v32, 0x3ecc95a3
	v_fmac_f32_e32 v32, 0x3e9b6dac, v33
	v_mov_b32_e32 v31, 0x3f2aaada
	v_fmac_f32_e32 v31, v33, v32
	v_cvt_f32_i32_e32 v32, v38
	v_sub_f32_e32 v24, v30, v24
	v_ldexp_f32 v35, v30, 1
	v_mul_f32_e32 v33, v30, v33
	v_mov_b32_e32 v30, 0x3f317218
	s_mov_b32 s2, 0x3f317218
	v_pk_mul_f32 v[30:31], v[32:33], v[30:31]
	v_fma_f32 v34, v32, s2, -v30
	v_fmac_f32_e32 v34, 0xb102e308, v32
	v_pk_add_f32 v[32:33], v[30:31], v[34:35]
	v_sub_f32_e32 v15, v15, v24
	v_sub_f32_e32 v24, v33, v35
	v_ldexp_f32 v15, v15, 1
	v_sub_f32_e32 v24, v31, v24
	v_add_f32_e32 v37, v15, v24
	v_mov_b32_e32 v36, v30
	v_pk_add_f32 v[30:31], v[32:33], v[30:31] neg_lo:[0,1] neg_hi:[0,1]
	v_pk_add_f32 v[38:39], v[32:33], v[36:37]
	v_mov_b32_e32 v31, v39
	v_mov_b32_e32 v35, v32
	v_pk_add_f32 v[40:41], v[34:35], v[30:31] neg_lo:[0,1] neg_hi:[0,1]
	v_pk_add_f32 v[30:31], v[34:35], v[30:31]
	v_mov_b32_e32 v24, v31
	v_pk_add_f32 v[34:35], v[24:25], v[32:33] neg_lo:[0,1] neg_hi:[0,1]
	v_mov_b32_e32 v15, v34
	v_pk_add_f32 v[42:43], v[38:39], v[14:15] neg_lo:[0,1] neg_hi:[0,1]
	v_mov_b32_e32 v30, v39
	v_mov_b32_e32 v38, v33
	;; [unrolled: 1-line block ×4, first 2 shown]
	v_pk_add_f32 v[30:31], v[30:31], v[38:39] neg_lo:[0,1] neg_hi:[0,1]
	v_mov_b32_e32 v34, v37
	v_mov_b32_e32 v35, v32
	v_pk_add_f32 v[30:31], v[34:35], v[30:31] neg_lo:[0,1] neg_hi:[0,1]
	v_mov_b32_e32 v42, v40
	v_pk_add_f32 v[32:33], v[42:43], v[30:31]
	v_mov_b32_e32 v34, v33
	v_pk_add_f32 v[34:35], v[32:33], v[34:35]
	v_pk_add_f32 v[36:37], v[24:25], v[34:35]
	v_mov_b32_e32 v33, v36
	v_pk_add_f32 v[38:39], v[32:33], v[40:41] neg_lo:[0,1] neg_hi:[0,1]
	v_mov_b32_e32 v31, v34
	v_sub_f32_e32 v15, v32, v38
	v_pk_add_f32 v[30:31], v[30:31], v[38:39] neg_lo:[0,1] neg_hi:[0,1]
	v_sub_f32_e32 v15, v40, v15
	s_mov_b32 s3, 0x7f800000
	v_add_f32_e32 v15, v30, v15
	s_mov_b32 s2, 0x33800000
	v_add_f32_e32 v15, v15, v31
	v_cmp_eq_f32_e32 vcc, s3, v44
	v_cmp_lt_f32_e64 s[2:3], |v44|, s2
	v_add_f32_e32 v15, v36, v15
	s_or_b64 vcc, vcc, s[2:3]
	v_cndmask_b32_e32 v15, v15, v44, vcc
	v_add_f32_e32 v15, v29, v15
	v_cvt_f16_f32_e32 v31, v15
	v_cvt_f32_f16_e32 v15, v31
	v_mov_b32_e32 v24, v31
.LBB411_156:
	s_or_b64 exec, exec, s[0:1]
	v_max_f32_e32 v29, v13, v13
	v_max_f32_e32 v32, v15, v15
	v_min_f32_e32 v30, v32, v29
	v_cmp_u_f16_e32 vcc, v31, v31
	v_max_f32_e32 v29, v32, v29
	v_cndmask_b32_e32 v30, v30, v15, vcc
	v_cndmask_b32_e32 v29, v29, v15, vcc
	v_cndmask_b32_e64 v30, v30, v13, s[78:79]
	v_cndmask_b32_e64 v29, v29, v13, s[78:79]
	v_cmp_neq_f32_e32 vcc, v30, v29
	v_cmp_class_f32_e64 s[0:1], v30, s4
	s_or_b64 s[2:3], vcc, s[0:1]
	v_mov_b32_e32 v13, v24
	s_and_saveexec_b64 s[0:1], s[2:3]
	s_cbranch_execz .LBB411_158
; %bb.157:
	v_sub_f32_e32 v13, v30, v29
	s_mov_b32 s2, 0x3fb8aa3b
	v_mul_f32_e32 v15, 0x3fb8aa3b, v13
	v_fma_f32 v30, v13, s2, -v15
	v_rndne_f32_e32 v31, v15
	v_fmac_f32_e32 v30, 0x32a5705f, v13
	v_sub_f32_e32 v15, v15, v31
	v_add_f32_e32 v15, v15, v30
	v_exp_f32_e32 v15, v15
	v_cvt_i32_f32_e32 v30, v31
	s_mov_b32 s2, 0xc2ce8ed0
	v_cmp_ngt_f32_e32 vcc, s2, v13
	s_mov_b32 s2, 0x42b17218
	v_ldexp_f32 v15, v15, v30
	v_cndmask_b32_e32 v15, 0, v15, vcc
	v_mov_b32_e32 v30, 0x7f800000
	v_cmp_nlt_f32_e32 vcc, s2, v13
	v_cndmask_b32_e32 v15, v30, v15, vcc
	v_add_f32_e32 v13, 1.0, v15
	v_add_f32_e32 v30, -1.0, v13
	v_sub_f32_e32 v31, v30, v13
	v_add_f32_e32 v31, 1.0, v31
	v_sub_f32_e32 v30, v15, v30
	v_add_f32_e32 v32, v30, v31
	v_frexp_mant_f32_e32 v33, v13
	s_mov_b32 s2, 0x3f2aaaab
	v_cvt_f64_f32_e32 v[30:31], v13
	v_frexp_exp_i32_f64_e32 v30, v[30:31]
	v_cmp_gt_f32_e32 vcc, s2, v33
	v_subbrev_co_u32_e32 v38, vcc, 0, v30, vcc
	v_sub_u32_e32 v30, 0, v38
	v_ldexp_f32 v13, v13, v30
	v_ldexp_f32 v30, v32, v30
	v_add_f32_e32 v32, -1.0, v13
	v_add_f32_e32 v31, 1.0, v32
	v_sub_f32_e32 v31, v13, v31
	v_add_f32_e32 v33, v30, v31
	v_add_f32_e32 v31, 1.0, v13
	v_add_f32_e32 v34, -1.0, v31
	v_sub_f32_e32 v13, v13, v34
	v_add_f32_e32 v13, v30, v13
	v_add_f32_e32 v39, v31, v13
	v_rcp_f32_e32 v40, v39
	v_sub_f32_e32 v30, v31, v39
	v_add_f32_e32 v31, v32, v33
	v_add_f32_e32 v13, v13, v30
	v_mul_f32_e32 v42, v31, v40
	v_sub_f32_e32 v30, v32, v31
	v_mul_f32_e32 v32, v39, v42
	v_fma_f32 v34, v42, v39, -v32
	v_fmac_f32_e32 v34, v42, v13
	v_add_f32_e32 v41, v33, v30
	v_add_f32_e32 v30, v32, v34
	v_sub_f32_e32 v33, v31, v30
	v_pk_add_f32 v[36:37], v[30:31], v[32:33] neg_lo:[0,1] neg_hi:[0,1]
	v_mov_b32_e32 v35, v30
	v_pk_add_f32 v[30:31], v[36:37], v[34:35] neg_lo:[0,1] neg_hi:[0,1]
	v_add_f32_e32 v31, v41, v31
	v_add_f32_e32 v30, v30, v31
	;; [unrolled: 1-line block ×3, first 2 shown]
	v_mul_f32_e32 v41, v40, v31
	v_mul_f32_e32 v32, v39, v41
	v_fma_f32 v34, v41, v39, -v32
	v_fmac_f32_e32 v34, v41, v13
	v_sub_f32_e32 v13, v33, v31
	v_add_f32_e32 v13, v30, v13
	v_add_f32_e32 v30, v32, v34
	v_sub_f32_e32 v33, v31, v30
	v_pk_add_f32 v[36:37], v[30:31], v[32:33] neg_lo:[0,1] neg_hi:[0,1]
	v_mov_b32_e32 v35, v30
	v_pk_add_f32 v[30:31], v[36:37], v[34:35] neg_lo:[0,1] neg_hi:[0,1]
	v_add_f32_e32 v13, v13, v31
	v_add_f32_e32 v13, v30, v13
	v_add_f32_e32 v30, v42, v41
	v_add_f32_e32 v13, v33, v13
	v_sub_f32_e32 v31, v30, v42
	v_mul_f32_e32 v13, v40, v13
	v_sub_f32_e32 v31, v41, v31
	v_add_f32_e32 v13, v31, v13
	v_add_f32_e32 v33, v30, v13
	v_mul_f32_e32 v34, v33, v33
	v_mov_b32_e32 v32, 0x3ecc95a3
	v_fmac_f32_e32 v32, 0x3e9b6dac, v34
	v_mov_b32_e32 v31, 0x3f2aaada
	v_fmac_f32_e32 v31, v34, v32
	v_cvt_f32_i32_e32 v32, v38
	v_sub_f32_e32 v30, v33, v30
	v_sub_f32_e32 v13, v13, v30
	v_ldexp_f32 v35, v33, 1
	v_mul_f32_e32 v33, v33, v34
	v_mov_b32_e32 v30, 0x3f317218
	s_mov_b32 s2, 0x3f317218
	v_pk_mul_f32 v[30:31], v[32:33], v[30:31]
	v_fma_f32 v34, v32, s2, -v30
	v_fmac_f32_e32 v34, 0xb102e308, v32
	v_pk_add_f32 v[32:33], v[30:31], v[34:35]
	v_sub_f32_e32 v35, v33, v35
	v_ldexp_f32 v13, v13, 1
	v_sub_f32_e32 v35, v31, v35
	v_add_f32_e32 v37, v13, v35
	v_mov_b32_e32 v36, v30
	v_pk_add_f32 v[30:31], v[32:33], v[30:31] neg_lo:[0,1] neg_hi:[0,1]
	v_pk_add_f32 v[38:39], v[32:33], v[36:37]
	v_mov_b32_e32 v31, v39
	v_mov_b32_e32 v35, v32
	v_pk_add_f32 v[40:41], v[34:35], v[30:31] neg_lo:[0,1] neg_hi:[0,1]
	v_pk_add_f32 v[30:31], v[34:35], v[30:31]
	v_mov_b32_e32 v34, v31
	v_pk_add_f32 v[42:43], v[34:35], v[32:33] neg_lo:[0,1] neg_hi:[0,1]
	v_mov_b32_e32 v13, v42
	v_pk_add_f32 v[44:45], v[38:39], v[12:13] neg_lo:[0,1] neg_hi:[0,1]
	v_mov_b32_e32 v30, v39
	v_mov_b32_e32 v38, v33
	;; [unrolled: 1-line block ×4, first 2 shown]
	v_pk_add_f32 v[30:31], v[30:31], v[38:39] neg_lo:[0,1] neg_hi:[0,1]
	v_mov_b32_e32 v36, v37
	v_mov_b32_e32 v37, v32
	v_pk_add_f32 v[30:31], v[36:37], v[30:31] neg_lo:[0,1] neg_hi:[0,1]
	v_mov_b32_e32 v44, v40
	v_pk_add_f32 v[32:33], v[44:45], v[30:31]
	v_mov_b32_e32 v36, v33
	v_pk_add_f32 v[36:37], v[32:33], v[36:37]
	v_pk_add_f32 v[34:35], v[34:35], v[36:37]
	v_mov_b32_e32 v33, v34
	v_pk_add_f32 v[38:39], v[32:33], v[40:41] neg_lo:[0,1] neg_hi:[0,1]
	v_mov_b32_e32 v31, v36
	v_sub_f32_e32 v13, v32, v38
	v_pk_add_f32 v[30:31], v[30:31], v[38:39] neg_lo:[0,1] neg_hi:[0,1]
	v_sub_f32_e32 v13, v40, v13
	s_mov_b32 s3, 0x7f800000
	v_add_f32_e32 v13, v30, v13
	s_mov_b32 s2, 0x33800000
	v_add_f32_e32 v13, v13, v31
	v_cmp_eq_f32_e32 vcc, s3, v15
	v_cmp_lt_f32_e64 s[2:3], |v15|, s2
	v_add_f32_e32 v13, v34, v13
	s_or_b64 vcc, vcc, s[2:3]
	v_cndmask_b32_e32 v13, v13, v15, vcc
	v_add_f32_e32 v13, v29, v13
	v_cvt_f16_f32_e32 v31, v13
	v_cvt_f32_f16_e32 v15, v31
	v_mov_b32_e32 v13, v31
.LBB411_158:
	s_or_b64 exec, exec, s[0:1]
	v_max_f32_e32 v29, v25, v25
	v_max_f32_e32 v32, v15, v15
	v_min_f32_e32 v30, v32, v29
	v_cmp_u_f16_e32 vcc, v31, v31
	v_max_f32_e32 v29, v32, v29
	v_cndmask_b32_e32 v30, v30, v15, vcc
	v_cndmask_b32_e32 v29, v29, v15, vcc
	v_cndmask_b32_e64 v30, v30, v25, s[80:81]
	v_cndmask_b32_e64 v29, v29, v25, s[80:81]
	v_cmp_neq_f32_e32 vcc, v30, v29
	v_cmp_class_f32_e64 s[0:1], v30, s4
	s_or_b64 s[2:3], vcc, s[0:1]
	v_mov_b32_e32 v25, v13
	s_and_saveexec_b64 s[0:1], s[2:3]
	s_cbranch_execz .LBB411_160
; %bb.159:
	v_sub_f32_e32 v15, v30, v29
	s_mov_b32 s2, 0x3fb8aa3b
	v_mul_f32_e32 v25, 0x3fb8aa3b, v15
	v_fma_f32 v30, v15, s2, -v25
	v_rndne_f32_e32 v31, v25
	v_fmac_f32_e32 v30, 0x32a5705f, v15
	v_sub_f32_e32 v25, v25, v31
	v_add_f32_e32 v25, v25, v30
	v_exp_f32_e32 v25, v25
	v_cvt_i32_f32_e32 v30, v31
	s_mov_b32 s2, 0xc2ce8ed0
	v_cmp_ngt_f32_e32 vcc, s2, v15
	s_mov_b32 s2, 0x42b17218
	v_ldexp_f32 v25, v25, v30
	v_cndmask_b32_e32 v25, 0, v25, vcc
	v_mov_b32_e32 v30, 0x7f800000
	v_cmp_nlt_f32_e32 vcc, s2, v15
	v_cndmask_b32_e32 v25, v30, v25, vcc
	v_add_f32_e32 v15, 1.0, v25
	v_add_f32_e32 v30, -1.0, v15
	v_sub_f32_e32 v31, v30, v15
	v_add_f32_e32 v31, 1.0, v31
	v_sub_f32_e32 v30, v25, v30
	v_add_f32_e32 v32, v30, v31
	v_frexp_mant_f32_e32 v33, v15
	s_mov_b32 s2, 0x3f2aaaab
	v_cvt_f64_f32_e32 v[30:31], v15
	v_frexp_exp_i32_f64_e32 v30, v[30:31]
	v_cmp_gt_f32_e32 vcc, s2, v33
	v_subbrev_co_u32_e32 v38, vcc, 0, v30, vcc
	v_sub_u32_e32 v30, 0, v38
	v_ldexp_f32 v15, v15, v30
	v_ldexp_f32 v30, v32, v30
	v_add_f32_e32 v32, -1.0, v15
	v_add_f32_e32 v31, 1.0, v32
	v_sub_f32_e32 v31, v15, v31
	v_add_f32_e32 v33, v30, v31
	v_add_f32_e32 v31, 1.0, v15
	v_add_f32_e32 v34, -1.0, v31
	v_sub_f32_e32 v15, v15, v34
	v_add_f32_e32 v15, v30, v15
	v_add_f32_e32 v39, v31, v15
	v_rcp_f32_e32 v40, v39
	v_sub_f32_e32 v30, v31, v39
	v_add_f32_e32 v31, v32, v33
	v_add_f32_e32 v15, v15, v30
	v_mul_f32_e32 v42, v31, v40
	v_sub_f32_e32 v30, v32, v31
	v_mul_f32_e32 v32, v39, v42
	v_fma_f32 v34, v42, v39, -v32
	v_fmac_f32_e32 v34, v42, v15
	v_add_f32_e32 v41, v33, v30
	v_add_f32_e32 v30, v32, v34
	v_sub_f32_e32 v33, v31, v30
	v_pk_add_f32 v[36:37], v[30:31], v[32:33] neg_lo:[0,1] neg_hi:[0,1]
	v_mov_b32_e32 v35, v30
	v_pk_add_f32 v[30:31], v[36:37], v[34:35] neg_lo:[0,1] neg_hi:[0,1]
	v_add_f32_e32 v31, v41, v31
	v_add_f32_e32 v30, v30, v31
	;; [unrolled: 1-line block ×3, first 2 shown]
	v_mul_f32_e32 v41, v40, v31
	v_mul_f32_e32 v32, v39, v41
	v_fma_f32 v34, v41, v39, -v32
	v_fmac_f32_e32 v34, v41, v15
	v_sub_f32_e32 v15, v33, v31
	v_add_f32_e32 v15, v30, v15
	v_add_f32_e32 v30, v32, v34
	v_sub_f32_e32 v33, v31, v30
	v_pk_add_f32 v[36:37], v[30:31], v[32:33] neg_lo:[0,1] neg_hi:[0,1]
	v_mov_b32_e32 v35, v30
	v_pk_add_f32 v[30:31], v[36:37], v[34:35] neg_lo:[0,1] neg_hi:[0,1]
	v_add_f32_e32 v15, v15, v31
	v_add_f32_e32 v15, v30, v15
	;; [unrolled: 1-line block ×4, first 2 shown]
	v_sub_f32_e32 v31, v30, v42
	v_mul_f32_e32 v15, v40, v15
	v_sub_f32_e32 v31, v41, v31
	v_add_f32_e32 v15, v31, v15
	v_add_f32_e32 v33, v30, v15
	v_mul_f32_e32 v34, v33, v33
	v_mov_b32_e32 v32, 0x3ecc95a3
	v_fmac_f32_e32 v32, 0x3e9b6dac, v34
	v_mov_b32_e32 v31, 0x3f2aaada
	v_fmac_f32_e32 v31, v34, v32
	v_cvt_f32_i32_e32 v32, v38
	v_sub_f32_e32 v30, v33, v30
	v_sub_f32_e32 v15, v15, v30
	v_ldexp_f32 v35, v33, 1
	v_mul_f32_e32 v33, v33, v34
	v_mov_b32_e32 v30, 0x3f317218
	s_mov_b32 s2, 0x3f317218
	v_pk_mul_f32 v[30:31], v[32:33], v[30:31]
	v_fma_f32 v34, v32, s2, -v30
	v_fmac_f32_e32 v34, 0xb102e308, v32
	v_pk_add_f32 v[32:33], v[30:31], v[34:35]
	v_sub_f32_e32 v35, v33, v35
	v_ldexp_f32 v15, v15, 1
	v_sub_f32_e32 v35, v31, v35
	v_add_f32_e32 v37, v15, v35
	v_mov_b32_e32 v36, v30
	v_pk_add_f32 v[30:31], v[32:33], v[30:31] neg_lo:[0,1] neg_hi:[0,1]
	v_pk_add_f32 v[38:39], v[32:33], v[36:37]
	v_mov_b32_e32 v31, v39
	v_mov_b32_e32 v35, v32
	v_pk_add_f32 v[40:41], v[34:35], v[30:31] neg_lo:[0,1] neg_hi:[0,1]
	v_pk_add_f32 v[30:31], v[34:35], v[30:31]
	v_mov_b32_e32 v34, v31
	v_pk_add_f32 v[42:43], v[34:35], v[32:33] neg_lo:[0,1] neg_hi:[0,1]
	v_mov_b32_e32 v15, v42
	v_pk_add_f32 v[44:45], v[38:39], v[14:15] neg_lo:[0,1] neg_hi:[0,1]
	v_mov_b32_e32 v30, v39
	v_mov_b32_e32 v38, v33
	;; [unrolled: 1-line block ×4, first 2 shown]
	v_pk_add_f32 v[30:31], v[30:31], v[38:39] neg_lo:[0,1] neg_hi:[0,1]
	v_mov_b32_e32 v36, v37
	v_mov_b32_e32 v37, v32
	v_pk_add_f32 v[30:31], v[36:37], v[30:31] neg_lo:[0,1] neg_hi:[0,1]
	v_mov_b32_e32 v44, v40
	v_pk_add_f32 v[32:33], v[44:45], v[30:31]
	v_mov_b32_e32 v36, v33
	v_pk_add_f32 v[36:37], v[32:33], v[36:37]
	v_pk_add_f32 v[34:35], v[34:35], v[36:37]
	v_mov_b32_e32 v33, v34
	v_pk_add_f32 v[38:39], v[32:33], v[40:41] neg_lo:[0,1] neg_hi:[0,1]
	v_mov_b32_e32 v31, v36
	v_sub_f32_e32 v15, v32, v38
	v_pk_add_f32 v[30:31], v[30:31], v[38:39] neg_lo:[0,1] neg_hi:[0,1]
	v_sub_f32_e32 v15, v40, v15
	s_mov_b32 s3, 0x7f800000
	v_add_f32_e32 v15, v30, v15
	s_mov_b32 s2, 0x33800000
	v_add_f32_e32 v15, v15, v31
	v_cmp_eq_f32_e32 vcc, s3, v25
	v_cmp_lt_f32_e64 s[2:3], |v25|, s2
	v_add_f32_e32 v15, v34, v15
	s_or_b64 vcc, vcc, s[2:3]
	v_cndmask_b32_e32 v15, v15, v25, vcc
	v_add_f32_e32 v15, v29, v15
	v_cvt_f16_f32_e32 v31, v15
	v_cvt_f32_f16_e32 v15, v31
	v_mov_b32_e32 v25, v31
.LBB411_160:
	s_or_b64 exec, exec, s[0:1]
	v_max_f32_e32 v29, v6, v6
	v_max_f32_e32 v32, v15, v15
	v_min_f32_e32 v30, v32, v29
	v_cmp_u_f16_e32 vcc, v31, v31
	v_max_f32_e32 v29, v32, v29
	v_cndmask_b32_e32 v30, v30, v15, vcc
	v_cndmask_b32_e32 v29, v29, v15, vcc
	v_cndmask_b32_e64 v30, v30, v6, s[82:83]
	v_cndmask_b32_e64 v29, v29, v6, s[82:83]
	v_cmp_neq_f32_e32 vcc, v30, v29
	v_cmp_class_f32_e64 s[0:1], v30, s4
	s_or_b64 s[2:3], vcc, s[0:1]
	v_mov_b32_e32 v6, v25
	s_and_saveexec_b64 s[0:1], s[2:3]
	s_cbranch_execz .LBB411_162
; %bb.161:
	v_sub_f32_e32 v6, v30, v29
	s_mov_b32 s2, 0x3fb8aa3b
	v_mul_f32_e32 v15, 0x3fb8aa3b, v6
	v_fma_f32 v30, v6, s2, -v15
	v_rndne_f32_e32 v31, v15
	v_fmac_f32_e32 v30, 0x32a5705f, v6
	v_sub_f32_e32 v15, v15, v31
	v_add_f32_e32 v15, v15, v30
	v_exp_f32_e32 v15, v15
	v_cvt_i32_f32_e32 v30, v31
	s_mov_b32 s2, 0xc2ce8ed0
	v_cmp_ngt_f32_e32 vcc, s2, v6
	s_mov_b32 s2, 0x42b17218
	v_ldexp_f32 v15, v15, v30
	v_cndmask_b32_e32 v15, 0, v15, vcc
	v_mov_b32_e32 v30, 0x7f800000
	v_cmp_nlt_f32_e32 vcc, s2, v6
	v_cndmask_b32_e32 v44, v30, v15, vcc
	v_add_f32_e32 v6, 1.0, v44
	v_add_f32_e32 v15, -1.0, v6
	v_sub_f32_e32 v30, v15, v6
	v_add_f32_e32 v30, 1.0, v30
	v_sub_f32_e32 v15, v44, v15
	v_add_f32_e32 v15, v15, v30
	v_frexp_mant_f32_e32 v32, v6
	s_mov_b32 s2, 0x3f2aaaab
	v_cvt_f64_f32_e32 v[30:31], v6
	v_frexp_exp_i32_f64_e32 v30, v[30:31]
	v_cmp_gt_f32_e32 vcc, s2, v32
	v_subbrev_co_u32_e32 v38, vcc, 0, v30, vcc
	v_sub_u32_e32 v30, 0, v38
	v_ldexp_f32 v6, v6, v30
	v_ldexp_f32 v15, v15, v30
	v_add_f32_e32 v30, -1.0, v6
	v_add_f32_e32 v31, 1.0, v30
	v_sub_f32_e32 v31, v6, v31
	v_add_f32_e32 v32, v15, v31
	v_add_f32_e32 v31, 1.0, v6
	v_add_f32_e32 v33, -1.0, v31
	v_sub_f32_e32 v6, v6, v33
	v_add_f32_e32 v6, v15, v6
	v_add_f32_e32 v15, v31, v6
	v_rcp_f32_e32 v39, v15
	v_sub_f32_e32 v31, v31, v15
	v_add_f32_e32 v6, v6, v31
	v_add_f32_e32 v31, v30, v32
	v_sub_f32_e32 v30, v30, v31
	v_mul_f32_e32 v41, v31, v39
	v_add_f32_e32 v40, v32, v30
	v_mul_f32_e32 v32, v15, v41
	v_fma_f32 v34, v41, v15, -v32
	v_fmac_f32_e32 v34, v41, v6
	v_add_f32_e32 v30, v32, v34
	v_sub_f32_e32 v33, v31, v30
	v_pk_add_f32 v[36:37], v[30:31], v[32:33] neg_lo:[0,1] neg_hi:[0,1]
	v_mov_b32_e32 v35, v30
	v_pk_add_f32 v[30:31], v[36:37], v[34:35] neg_lo:[0,1] neg_hi:[0,1]
	v_add_f32_e32 v31, v40, v31
	v_add_f32_e32 v30, v30, v31
	;; [unrolled: 1-line block ×3, first 2 shown]
	v_mul_f32_e32 v40, v39, v31
	v_mul_f32_e32 v32, v15, v40
	v_fma_f32 v34, v40, v15, -v32
	v_fmac_f32_e32 v34, v40, v6
	v_sub_f32_e32 v6, v33, v31
	v_add_f32_e32 v6, v30, v6
	v_add_f32_e32 v30, v32, v34
	v_sub_f32_e32 v33, v31, v30
	v_pk_add_f32 v[36:37], v[30:31], v[32:33] neg_lo:[0,1] neg_hi:[0,1]
	v_mov_b32_e32 v35, v30
	v_pk_add_f32 v[30:31], v[36:37], v[34:35] neg_lo:[0,1] neg_hi:[0,1]
	v_add_f32_e32 v6, v6, v31
	v_add_f32_e32 v6, v30, v6
	;; [unrolled: 1-line block ×4, first 2 shown]
	v_sub_f32_e32 v30, v15, v41
	v_mul_f32_e32 v6, v39, v6
	v_sub_f32_e32 v30, v40, v30
	v_add_f32_e32 v6, v30, v6
	v_add_f32_e32 v30, v15, v6
	v_mul_f32_e32 v33, v30, v30
	v_mov_b32_e32 v32, 0x3ecc95a3
	v_fmac_f32_e32 v32, 0x3e9b6dac, v33
	v_mov_b32_e32 v31, 0x3f2aaada
	v_fmac_f32_e32 v31, v33, v32
	v_cvt_f32_i32_e32 v32, v38
	v_sub_f32_e32 v15, v30, v15
	v_ldexp_f32 v35, v30, 1
	v_mul_f32_e32 v33, v30, v33
	v_mov_b32_e32 v30, 0x3f317218
	s_mov_b32 s2, 0x3f317218
	v_pk_mul_f32 v[30:31], v[32:33], v[30:31]
	v_fma_f32 v34, v32, s2, -v30
	v_fmac_f32_e32 v34, 0xb102e308, v32
	v_pk_add_f32 v[32:33], v[30:31], v[34:35]
	v_sub_f32_e32 v6, v6, v15
	v_sub_f32_e32 v15, v33, v35
	v_ldexp_f32 v6, v6, 1
	v_sub_f32_e32 v15, v31, v15
	v_add_f32_e32 v37, v6, v15
	v_mov_b32_e32 v36, v30
	v_pk_add_f32 v[30:31], v[32:33], v[30:31] neg_lo:[0,1] neg_hi:[0,1]
	v_pk_add_f32 v[38:39], v[32:33], v[36:37]
	v_mov_b32_e32 v31, v39
	v_mov_b32_e32 v35, v32
	v_pk_add_f32 v[40:41], v[34:35], v[30:31] neg_lo:[0,1] neg_hi:[0,1]
	v_pk_add_f32 v[30:31], v[34:35], v[30:31]
	v_mov_b32_e32 v6, v31
	v_pk_add_f32 v[34:35], v[6:7], v[32:33] neg_lo:[0,1] neg_hi:[0,1]
	v_mov_b32_e32 v15, v34
	v_pk_add_f32 v[42:43], v[38:39], v[14:15] neg_lo:[0,1] neg_hi:[0,1]
	v_mov_b32_e32 v30, v39
	v_mov_b32_e32 v38, v33
	;; [unrolled: 1-line block ×4, first 2 shown]
	v_pk_add_f32 v[30:31], v[30:31], v[38:39] neg_lo:[0,1] neg_hi:[0,1]
	v_mov_b32_e32 v34, v37
	v_mov_b32_e32 v35, v32
	v_pk_add_f32 v[30:31], v[34:35], v[30:31] neg_lo:[0,1] neg_hi:[0,1]
	v_mov_b32_e32 v42, v40
	v_pk_add_f32 v[32:33], v[42:43], v[30:31]
	v_mov_b32_e32 v34, v33
	v_pk_add_f32 v[34:35], v[32:33], v[34:35]
	v_pk_add_f32 v[36:37], v[6:7], v[34:35]
	v_mov_b32_e32 v33, v36
	v_pk_add_f32 v[38:39], v[32:33], v[40:41] neg_lo:[0,1] neg_hi:[0,1]
	v_mov_b32_e32 v31, v34
	v_sub_f32_e32 v6, v32, v38
	v_pk_add_f32 v[30:31], v[30:31], v[38:39] neg_lo:[0,1] neg_hi:[0,1]
	v_sub_f32_e32 v6, v40, v6
	s_mov_b32 s3, 0x7f800000
	v_add_f32_e32 v6, v30, v6
	s_mov_b32 s2, 0x33800000
	v_add_f32_e32 v6, v6, v31
	v_cmp_eq_f32_e32 vcc, s3, v44
	v_cmp_lt_f32_e64 s[2:3], |v44|, s2
	v_add_f32_e32 v6, v36, v6
	s_or_b64 vcc, vcc, s[2:3]
	v_cndmask_b32_e32 v6, v6, v44, vcc
	v_add_f32_e32 v6, v29, v6
	v_cvt_f16_f32_e32 v31, v6
	v_cvt_f32_f16_e32 v15, v31
	v_mov_b32_e32 v6, v31
.LBB411_162:
	s_or_b64 exec, exec, s[0:1]
	v_max_f32_e32 v29, v26, v26
	v_max_f32_e32 v32, v15, v15
	v_min_f32_e32 v30, v32, v29
	v_cmp_u_f16_e32 vcc, v31, v31
	v_max_f32_e32 v29, v32, v29
	v_cndmask_b32_e32 v30, v30, v15, vcc
	v_cndmask_b32_e32 v29, v29, v15, vcc
	v_cndmask_b32_e64 v30, v30, v26, s[84:85]
	v_cndmask_b32_e64 v29, v29, v26, s[84:85]
	v_cmp_neq_f32_e32 vcc, v30, v29
	v_cmp_class_f32_e64 s[0:1], v30, s4
	s_or_b64 s[2:3], vcc, s[0:1]
	v_mov_b32_e32 v26, v6
	s_and_saveexec_b64 s[0:1], s[2:3]
	s_cbranch_execz .LBB411_164
; %bb.163:
	v_sub_f32_e32 v15, v30, v29
	s_mov_b32 s2, 0x3fb8aa3b
	v_mul_f32_e32 v26, 0x3fb8aa3b, v15
	v_fma_f32 v30, v15, s2, -v26
	v_rndne_f32_e32 v31, v26
	v_fmac_f32_e32 v30, 0x32a5705f, v15
	v_sub_f32_e32 v26, v26, v31
	v_add_f32_e32 v26, v26, v30
	v_exp_f32_e32 v26, v26
	v_cvt_i32_f32_e32 v30, v31
	s_mov_b32 s2, 0xc2ce8ed0
	v_cmp_ngt_f32_e32 vcc, s2, v15
	s_mov_b32 s2, 0x42b17218
	v_ldexp_f32 v26, v26, v30
	v_cndmask_b32_e32 v26, 0, v26, vcc
	v_mov_b32_e32 v30, 0x7f800000
	v_cmp_nlt_f32_e32 vcc, s2, v15
	v_cndmask_b32_e32 v44, v30, v26, vcc
	v_add_f32_e32 v15, 1.0, v44
	v_add_f32_e32 v26, -1.0, v15
	v_sub_f32_e32 v30, v26, v15
	v_add_f32_e32 v30, 1.0, v30
	v_sub_f32_e32 v26, v44, v26
	v_add_f32_e32 v26, v26, v30
	v_frexp_mant_f32_e32 v32, v15
	s_mov_b32 s2, 0x3f2aaaab
	v_cvt_f64_f32_e32 v[30:31], v15
	v_frexp_exp_i32_f64_e32 v30, v[30:31]
	v_cmp_gt_f32_e32 vcc, s2, v32
	v_subbrev_co_u32_e32 v38, vcc, 0, v30, vcc
	v_sub_u32_e32 v30, 0, v38
	v_ldexp_f32 v15, v15, v30
	v_ldexp_f32 v26, v26, v30
	v_add_f32_e32 v30, -1.0, v15
	v_add_f32_e32 v31, 1.0, v30
	v_sub_f32_e32 v31, v15, v31
	v_add_f32_e32 v32, v26, v31
	v_add_f32_e32 v31, 1.0, v15
	v_add_f32_e32 v33, -1.0, v31
	v_sub_f32_e32 v15, v15, v33
	v_add_f32_e32 v15, v26, v15
	v_add_f32_e32 v26, v31, v15
	v_rcp_f32_e32 v39, v26
	v_sub_f32_e32 v31, v31, v26
	v_add_f32_e32 v15, v15, v31
	v_add_f32_e32 v31, v30, v32
	v_sub_f32_e32 v30, v30, v31
	v_mul_f32_e32 v41, v31, v39
	v_add_f32_e32 v40, v32, v30
	v_mul_f32_e32 v32, v26, v41
	v_fma_f32 v34, v41, v26, -v32
	v_fmac_f32_e32 v34, v41, v15
	v_add_f32_e32 v30, v32, v34
	v_sub_f32_e32 v33, v31, v30
	v_pk_add_f32 v[36:37], v[30:31], v[32:33] neg_lo:[0,1] neg_hi:[0,1]
	v_mov_b32_e32 v35, v30
	v_pk_add_f32 v[30:31], v[36:37], v[34:35] neg_lo:[0,1] neg_hi:[0,1]
	v_add_f32_e32 v31, v40, v31
	v_add_f32_e32 v30, v30, v31
	;; [unrolled: 1-line block ×3, first 2 shown]
	v_mul_f32_e32 v40, v39, v31
	v_mul_f32_e32 v32, v26, v40
	v_fma_f32 v34, v40, v26, -v32
	v_fmac_f32_e32 v34, v40, v15
	v_sub_f32_e32 v15, v33, v31
	v_add_f32_e32 v15, v30, v15
	v_add_f32_e32 v30, v32, v34
	v_sub_f32_e32 v33, v31, v30
	v_pk_add_f32 v[36:37], v[30:31], v[32:33] neg_lo:[0,1] neg_hi:[0,1]
	v_mov_b32_e32 v35, v30
	v_pk_add_f32 v[30:31], v[36:37], v[34:35] neg_lo:[0,1] neg_hi:[0,1]
	v_add_f32_e32 v15, v15, v31
	v_add_f32_e32 v15, v30, v15
	v_add_f32_e32 v26, v41, v40
	v_add_f32_e32 v15, v33, v15
	v_sub_f32_e32 v30, v26, v41
	v_mul_f32_e32 v15, v39, v15
	v_sub_f32_e32 v30, v40, v30
	v_add_f32_e32 v15, v30, v15
	v_add_f32_e32 v30, v26, v15
	v_mul_f32_e32 v33, v30, v30
	v_mov_b32_e32 v32, 0x3ecc95a3
	v_fmac_f32_e32 v32, 0x3e9b6dac, v33
	v_mov_b32_e32 v31, 0x3f2aaada
	v_fmac_f32_e32 v31, v33, v32
	v_cvt_f32_i32_e32 v32, v38
	v_sub_f32_e32 v26, v30, v26
	v_ldexp_f32 v35, v30, 1
	v_mul_f32_e32 v33, v30, v33
	v_mov_b32_e32 v30, 0x3f317218
	s_mov_b32 s2, 0x3f317218
	v_pk_mul_f32 v[30:31], v[32:33], v[30:31]
	v_fma_f32 v34, v32, s2, -v30
	v_fmac_f32_e32 v34, 0xb102e308, v32
	v_pk_add_f32 v[32:33], v[30:31], v[34:35]
	v_sub_f32_e32 v15, v15, v26
	v_sub_f32_e32 v26, v33, v35
	v_ldexp_f32 v15, v15, 1
	v_sub_f32_e32 v26, v31, v26
	v_add_f32_e32 v37, v15, v26
	v_mov_b32_e32 v36, v30
	v_pk_add_f32 v[30:31], v[32:33], v[30:31] neg_lo:[0,1] neg_hi:[0,1]
	v_pk_add_f32 v[38:39], v[32:33], v[36:37]
	v_mov_b32_e32 v31, v39
	v_mov_b32_e32 v35, v32
	v_pk_add_f32 v[40:41], v[34:35], v[30:31] neg_lo:[0,1] neg_hi:[0,1]
	v_pk_add_f32 v[30:31], v[34:35], v[30:31]
	v_mov_b32_e32 v26, v31
	v_pk_add_f32 v[34:35], v[26:27], v[32:33] neg_lo:[0,1] neg_hi:[0,1]
	v_mov_b32_e32 v15, v34
	v_pk_add_f32 v[42:43], v[38:39], v[14:15] neg_lo:[0,1] neg_hi:[0,1]
	v_mov_b32_e32 v30, v39
	v_mov_b32_e32 v38, v33
	;; [unrolled: 1-line block ×4, first 2 shown]
	v_pk_add_f32 v[30:31], v[30:31], v[38:39] neg_lo:[0,1] neg_hi:[0,1]
	v_mov_b32_e32 v34, v37
	v_mov_b32_e32 v35, v32
	v_pk_add_f32 v[30:31], v[34:35], v[30:31] neg_lo:[0,1] neg_hi:[0,1]
	v_mov_b32_e32 v42, v40
	v_pk_add_f32 v[32:33], v[42:43], v[30:31]
	v_mov_b32_e32 v34, v33
	v_pk_add_f32 v[34:35], v[32:33], v[34:35]
	v_pk_add_f32 v[36:37], v[26:27], v[34:35]
	v_mov_b32_e32 v33, v36
	v_pk_add_f32 v[38:39], v[32:33], v[40:41] neg_lo:[0,1] neg_hi:[0,1]
	v_mov_b32_e32 v31, v34
	v_sub_f32_e32 v15, v32, v38
	v_pk_add_f32 v[30:31], v[30:31], v[38:39] neg_lo:[0,1] neg_hi:[0,1]
	v_sub_f32_e32 v15, v40, v15
	s_mov_b32 s3, 0x7f800000
	v_add_f32_e32 v15, v30, v15
	s_mov_b32 s2, 0x33800000
	v_add_f32_e32 v15, v15, v31
	v_cmp_eq_f32_e32 vcc, s3, v44
	v_cmp_lt_f32_e64 s[2:3], |v44|, s2
	v_add_f32_e32 v15, v36, v15
	s_or_b64 vcc, vcc, s[2:3]
	v_cndmask_b32_e32 v15, v15, v44, vcc
	v_add_f32_e32 v15, v29, v15
	v_cvt_f16_f32_e32 v31, v15
	v_cvt_f32_f16_e32 v15, v31
	v_mov_b32_e32 v26, v31
.LBB411_164:
	s_or_b64 exec, exec, s[0:1]
	v_max_f32_e32 v29, v7, v7
	v_max_f32_e32 v32, v15, v15
	v_min_f32_e32 v30, v32, v29
	v_cmp_u_f16_e32 vcc, v31, v31
	v_max_f32_e32 v29, v32, v29
	v_cndmask_b32_e32 v30, v30, v15, vcc
	v_cndmask_b32_e32 v29, v29, v15, vcc
	v_cndmask_b32_e64 v30, v30, v7, s[86:87]
	v_cndmask_b32_e64 v29, v29, v7, s[86:87]
	v_cmp_neq_f32_e32 vcc, v30, v29
	v_cmp_class_f32_e64 s[0:1], v30, s4
	s_or_b64 s[2:3], vcc, s[0:1]
	v_mov_b32_e32 v7, v26
	s_and_saveexec_b64 s[0:1], s[2:3]
	s_cbranch_execz .LBB411_166
; %bb.165:
	v_sub_f32_e32 v7, v30, v29
	s_mov_b32 s2, 0x3fb8aa3b
	v_mul_f32_e32 v15, 0x3fb8aa3b, v7
	v_fma_f32 v30, v7, s2, -v15
	v_rndne_f32_e32 v31, v15
	v_fmac_f32_e32 v30, 0x32a5705f, v7
	v_sub_f32_e32 v15, v15, v31
	v_add_f32_e32 v15, v15, v30
	v_exp_f32_e32 v15, v15
	v_cvt_i32_f32_e32 v30, v31
	s_mov_b32 s2, 0xc2ce8ed0
	v_cmp_ngt_f32_e32 vcc, s2, v7
	s_mov_b32 s2, 0x42b17218
	v_ldexp_f32 v15, v15, v30
	v_cndmask_b32_e32 v15, 0, v15, vcc
	v_mov_b32_e32 v30, 0x7f800000
	v_cmp_nlt_f32_e32 vcc, s2, v7
	v_cndmask_b32_e32 v15, v30, v15, vcc
	v_add_f32_e32 v7, 1.0, v15
	v_add_f32_e32 v30, -1.0, v7
	v_sub_f32_e32 v31, v30, v7
	v_add_f32_e32 v31, 1.0, v31
	v_sub_f32_e32 v30, v15, v30
	v_add_f32_e32 v32, v30, v31
	v_frexp_mant_f32_e32 v33, v7
	s_mov_b32 s2, 0x3f2aaaab
	v_cvt_f64_f32_e32 v[30:31], v7
	v_frexp_exp_i32_f64_e32 v30, v[30:31]
	v_cmp_gt_f32_e32 vcc, s2, v33
	v_subbrev_co_u32_e32 v38, vcc, 0, v30, vcc
	v_sub_u32_e32 v30, 0, v38
	v_ldexp_f32 v7, v7, v30
	v_ldexp_f32 v30, v32, v30
	v_add_f32_e32 v32, -1.0, v7
	v_add_f32_e32 v31, 1.0, v32
	v_sub_f32_e32 v31, v7, v31
	v_add_f32_e32 v33, v30, v31
	v_add_f32_e32 v31, 1.0, v7
	v_add_f32_e32 v34, -1.0, v31
	v_sub_f32_e32 v7, v7, v34
	v_add_f32_e32 v7, v30, v7
	v_add_f32_e32 v39, v31, v7
	v_rcp_f32_e32 v40, v39
	v_sub_f32_e32 v30, v31, v39
	v_add_f32_e32 v31, v32, v33
	v_add_f32_e32 v7, v7, v30
	v_mul_f32_e32 v42, v31, v40
	v_sub_f32_e32 v30, v32, v31
	v_mul_f32_e32 v32, v39, v42
	v_fma_f32 v34, v42, v39, -v32
	v_fmac_f32_e32 v34, v42, v7
	v_add_f32_e32 v41, v33, v30
	v_add_f32_e32 v30, v32, v34
	v_sub_f32_e32 v33, v31, v30
	v_pk_add_f32 v[36:37], v[30:31], v[32:33] neg_lo:[0,1] neg_hi:[0,1]
	v_mov_b32_e32 v35, v30
	v_pk_add_f32 v[30:31], v[36:37], v[34:35] neg_lo:[0,1] neg_hi:[0,1]
	v_add_f32_e32 v31, v41, v31
	v_add_f32_e32 v30, v30, v31
	;; [unrolled: 1-line block ×3, first 2 shown]
	v_mul_f32_e32 v41, v40, v31
	v_mul_f32_e32 v32, v39, v41
	v_fma_f32 v34, v41, v39, -v32
	v_fmac_f32_e32 v34, v41, v7
	v_sub_f32_e32 v7, v33, v31
	v_add_f32_e32 v7, v30, v7
	v_add_f32_e32 v30, v32, v34
	v_sub_f32_e32 v33, v31, v30
	v_pk_add_f32 v[36:37], v[30:31], v[32:33] neg_lo:[0,1] neg_hi:[0,1]
	v_mov_b32_e32 v35, v30
	v_pk_add_f32 v[30:31], v[36:37], v[34:35] neg_lo:[0,1] neg_hi:[0,1]
	v_add_f32_e32 v7, v7, v31
	v_add_f32_e32 v7, v30, v7
	;; [unrolled: 1-line block ×4, first 2 shown]
	v_sub_f32_e32 v31, v30, v42
	v_mul_f32_e32 v7, v40, v7
	v_sub_f32_e32 v31, v41, v31
	v_add_f32_e32 v7, v31, v7
	v_add_f32_e32 v33, v30, v7
	v_mul_f32_e32 v34, v33, v33
	v_mov_b32_e32 v32, 0x3ecc95a3
	v_fmac_f32_e32 v32, 0x3e9b6dac, v34
	v_mov_b32_e32 v31, 0x3f2aaada
	v_fmac_f32_e32 v31, v34, v32
	v_cvt_f32_i32_e32 v32, v38
	v_sub_f32_e32 v30, v33, v30
	v_sub_f32_e32 v7, v7, v30
	v_ldexp_f32 v35, v33, 1
	v_mul_f32_e32 v33, v33, v34
	v_mov_b32_e32 v30, 0x3f317218
	s_mov_b32 s2, 0x3f317218
	v_pk_mul_f32 v[30:31], v[32:33], v[30:31]
	v_fma_f32 v34, v32, s2, -v30
	v_fmac_f32_e32 v34, 0xb102e308, v32
	v_pk_add_f32 v[32:33], v[30:31], v[34:35]
	v_sub_f32_e32 v35, v33, v35
	v_ldexp_f32 v7, v7, 1
	v_sub_f32_e32 v35, v31, v35
	v_add_f32_e32 v37, v7, v35
	v_mov_b32_e32 v36, v30
	v_pk_add_f32 v[30:31], v[32:33], v[30:31] neg_lo:[0,1] neg_hi:[0,1]
	v_pk_add_f32 v[38:39], v[32:33], v[36:37]
	v_mov_b32_e32 v31, v39
	v_mov_b32_e32 v35, v32
	v_pk_add_f32 v[40:41], v[34:35], v[30:31] neg_lo:[0,1] neg_hi:[0,1]
	v_pk_add_f32 v[30:31], v[34:35], v[30:31]
	v_mov_b32_e32 v34, v31
	v_pk_add_f32 v[42:43], v[34:35], v[32:33] neg_lo:[0,1] neg_hi:[0,1]
	v_mov_b32_e32 v7, v42
	v_pk_add_f32 v[44:45], v[38:39], v[6:7] neg_lo:[0,1] neg_hi:[0,1]
	v_mov_b32_e32 v30, v39
	v_mov_b32_e32 v38, v33
	;; [unrolled: 1-line block ×4, first 2 shown]
	v_pk_add_f32 v[30:31], v[30:31], v[38:39] neg_lo:[0,1] neg_hi:[0,1]
	v_mov_b32_e32 v36, v37
	v_mov_b32_e32 v37, v32
	v_pk_add_f32 v[30:31], v[36:37], v[30:31] neg_lo:[0,1] neg_hi:[0,1]
	v_mov_b32_e32 v44, v40
	v_pk_add_f32 v[32:33], v[44:45], v[30:31]
	v_mov_b32_e32 v36, v33
	v_pk_add_f32 v[36:37], v[32:33], v[36:37]
	v_pk_add_f32 v[34:35], v[34:35], v[36:37]
	v_mov_b32_e32 v33, v34
	v_pk_add_f32 v[38:39], v[32:33], v[40:41] neg_lo:[0,1] neg_hi:[0,1]
	v_mov_b32_e32 v31, v36
	v_sub_f32_e32 v7, v32, v38
	v_pk_add_f32 v[30:31], v[30:31], v[38:39] neg_lo:[0,1] neg_hi:[0,1]
	v_sub_f32_e32 v7, v40, v7
	s_mov_b32 s3, 0x7f800000
	v_add_f32_e32 v7, v30, v7
	s_mov_b32 s2, 0x33800000
	v_add_f32_e32 v7, v7, v31
	v_cmp_eq_f32_e32 vcc, s3, v15
	v_cmp_lt_f32_e64 s[2:3], |v15|, s2
	v_add_f32_e32 v7, v34, v7
	s_or_b64 vcc, vcc, s[2:3]
	v_cndmask_b32_e32 v7, v7, v15, vcc
	v_add_f32_e32 v7, v29, v7
	v_cvt_f16_f32_e32 v31, v7
	v_cvt_f32_f16_e32 v15, v31
	v_mov_b32_e32 v7, v31
.LBB411_166:
	s_or_b64 exec, exec, s[0:1]
	v_max_f32_e32 v29, v27, v27
	v_max_f32_e32 v32, v15, v15
	v_min_f32_e32 v30, v32, v29
	v_cmp_u_f16_e32 vcc, v31, v31
	v_max_f32_e32 v29, v32, v29
	v_cndmask_b32_e32 v30, v30, v15, vcc
	v_cndmask_b32_e32 v29, v29, v15, vcc
	v_cndmask_b32_e64 v30, v30, v27, s[88:89]
	v_cndmask_b32_e64 v29, v29, v27, s[88:89]
	v_cmp_neq_f32_e32 vcc, v30, v29
	v_cmp_class_f32_e64 s[0:1], v30, s4
	s_or_b64 s[2:3], vcc, s[0:1]
	v_mov_b32_e32 v27, v7
	s_and_saveexec_b64 s[0:1], s[2:3]
	s_cbranch_execz .LBB411_168
; %bb.167:
	v_sub_f32_e32 v15, v30, v29
	s_mov_b32 s2, 0x3fb8aa3b
	v_mul_f32_e32 v27, 0x3fb8aa3b, v15
	v_fma_f32 v30, v15, s2, -v27
	v_rndne_f32_e32 v31, v27
	v_fmac_f32_e32 v30, 0x32a5705f, v15
	v_sub_f32_e32 v27, v27, v31
	v_add_f32_e32 v27, v27, v30
	v_exp_f32_e32 v27, v27
	v_cvt_i32_f32_e32 v30, v31
	s_mov_b32 s2, 0xc2ce8ed0
	v_cmp_ngt_f32_e32 vcc, s2, v15
	s_mov_b32 s2, 0x42b17218
	v_ldexp_f32 v27, v27, v30
	v_cndmask_b32_e32 v27, 0, v27, vcc
	v_mov_b32_e32 v30, 0x7f800000
	v_cmp_nlt_f32_e32 vcc, s2, v15
	v_cndmask_b32_e32 v27, v30, v27, vcc
	v_add_f32_e32 v15, 1.0, v27
	v_add_f32_e32 v30, -1.0, v15
	v_sub_f32_e32 v31, v30, v15
	v_add_f32_e32 v31, 1.0, v31
	v_sub_f32_e32 v30, v27, v30
	v_add_f32_e32 v32, v30, v31
	v_frexp_mant_f32_e32 v33, v15
	s_mov_b32 s2, 0x3f2aaaab
	v_cvt_f64_f32_e32 v[30:31], v15
	v_frexp_exp_i32_f64_e32 v30, v[30:31]
	v_cmp_gt_f32_e32 vcc, s2, v33
	v_subbrev_co_u32_e32 v38, vcc, 0, v30, vcc
	v_sub_u32_e32 v30, 0, v38
	v_ldexp_f32 v15, v15, v30
	v_ldexp_f32 v30, v32, v30
	v_add_f32_e32 v32, -1.0, v15
	v_add_f32_e32 v31, 1.0, v32
	v_sub_f32_e32 v31, v15, v31
	v_add_f32_e32 v33, v30, v31
	v_add_f32_e32 v31, 1.0, v15
	v_add_f32_e32 v34, -1.0, v31
	v_sub_f32_e32 v15, v15, v34
	v_add_f32_e32 v15, v30, v15
	v_add_f32_e32 v39, v31, v15
	v_rcp_f32_e32 v40, v39
	v_sub_f32_e32 v30, v31, v39
	v_add_f32_e32 v31, v32, v33
	v_add_f32_e32 v15, v15, v30
	v_mul_f32_e32 v42, v31, v40
	v_sub_f32_e32 v30, v32, v31
	v_mul_f32_e32 v32, v39, v42
	v_fma_f32 v34, v42, v39, -v32
	v_fmac_f32_e32 v34, v42, v15
	v_add_f32_e32 v41, v33, v30
	v_add_f32_e32 v30, v32, v34
	v_sub_f32_e32 v33, v31, v30
	v_pk_add_f32 v[36:37], v[30:31], v[32:33] neg_lo:[0,1] neg_hi:[0,1]
	v_mov_b32_e32 v35, v30
	v_pk_add_f32 v[30:31], v[36:37], v[34:35] neg_lo:[0,1] neg_hi:[0,1]
	v_add_f32_e32 v31, v41, v31
	v_add_f32_e32 v30, v30, v31
	v_add_f32_e32 v31, v33, v30
	v_mul_f32_e32 v41, v40, v31
	v_mul_f32_e32 v32, v39, v41
	v_fma_f32 v34, v41, v39, -v32
	v_fmac_f32_e32 v34, v41, v15
	v_sub_f32_e32 v15, v33, v31
	v_add_f32_e32 v15, v30, v15
	v_add_f32_e32 v30, v32, v34
	v_sub_f32_e32 v33, v31, v30
	v_pk_add_f32 v[36:37], v[30:31], v[32:33] neg_lo:[0,1] neg_hi:[0,1]
	v_mov_b32_e32 v35, v30
	v_pk_add_f32 v[30:31], v[36:37], v[34:35] neg_lo:[0,1] neg_hi:[0,1]
	v_add_f32_e32 v15, v15, v31
	v_add_f32_e32 v15, v30, v15
	;; [unrolled: 1-line block ×4, first 2 shown]
	v_sub_f32_e32 v31, v30, v42
	v_mul_f32_e32 v15, v40, v15
	v_sub_f32_e32 v31, v41, v31
	v_add_f32_e32 v15, v31, v15
	v_add_f32_e32 v33, v30, v15
	v_mul_f32_e32 v34, v33, v33
	v_mov_b32_e32 v32, 0x3ecc95a3
	v_fmac_f32_e32 v32, 0x3e9b6dac, v34
	v_mov_b32_e32 v31, 0x3f2aaada
	v_fmac_f32_e32 v31, v34, v32
	v_cvt_f32_i32_e32 v32, v38
	v_sub_f32_e32 v30, v33, v30
	v_sub_f32_e32 v15, v15, v30
	v_ldexp_f32 v35, v33, 1
	v_mul_f32_e32 v33, v33, v34
	v_mov_b32_e32 v30, 0x3f317218
	s_mov_b32 s2, 0x3f317218
	v_pk_mul_f32 v[30:31], v[32:33], v[30:31]
	v_fma_f32 v34, v32, s2, -v30
	v_fmac_f32_e32 v34, 0xb102e308, v32
	v_pk_add_f32 v[32:33], v[30:31], v[34:35]
	v_sub_f32_e32 v35, v33, v35
	v_ldexp_f32 v15, v15, 1
	v_sub_f32_e32 v35, v31, v35
	v_add_f32_e32 v37, v15, v35
	v_mov_b32_e32 v36, v30
	v_pk_add_f32 v[30:31], v[32:33], v[30:31] neg_lo:[0,1] neg_hi:[0,1]
	v_pk_add_f32 v[38:39], v[32:33], v[36:37]
	v_mov_b32_e32 v31, v39
	v_mov_b32_e32 v35, v32
	v_pk_add_f32 v[40:41], v[34:35], v[30:31] neg_lo:[0,1] neg_hi:[0,1]
	v_pk_add_f32 v[30:31], v[34:35], v[30:31]
	v_mov_b32_e32 v34, v31
	v_pk_add_f32 v[42:43], v[34:35], v[32:33] neg_lo:[0,1] neg_hi:[0,1]
	v_mov_b32_e32 v15, v42
	v_pk_add_f32 v[44:45], v[38:39], v[14:15] neg_lo:[0,1] neg_hi:[0,1]
	v_mov_b32_e32 v30, v39
	v_mov_b32_e32 v38, v33
	v_mov_b32_e32 v39, v42
	v_mov_b32_e32 v41, v31
	v_pk_add_f32 v[30:31], v[30:31], v[38:39] neg_lo:[0,1] neg_hi:[0,1]
	v_mov_b32_e32 v36, v37
	v_mov_b32_e32 v37, v32
	v_pk_add_f32 v[30:31], v[36:37], v[30:31] neg_lo:[0,1] neg_hi:[0,1]
	v_mov_b32_e32 v44, v40
	v_pk_add_f32 v[32:33], v[44:45], v[30:31]
	v_mov_b32_e32 v36, v33
	v_pk_add_f32 v[36:37], v[32:33], v[36:37]
	v_pk_add_f32 v[34:35], v[34:35], v[36:37]
	v_mov_b32_e32 v33, v34
	v_pk_add_f32 v[38:39], v[32:33], v[40:41] neg_lo:[0,1] neg_hi:[0,1]
	v_mov_b32_e32 v31, v36
	v_sub_f32_e32 v15, v32, v38
	v_pk_add_f32 v[30:31], v[30:31], v[38:39] neg_lo:[0,1] neg_hi:[0,1]
	v_sub_f32_e32 v15, v40, v15
	s_mov_b32 s3, 0x7f800000
	v_add_f32_e32 v15, v30, v15
	s_mov_b32 s2, 0x33800000
	v_add_f32_e32 v15, v15, v31
	v_cmp_eq_f32_e32 vcc, s3, v27
	v_cmp_lt_f32_e64 s[2:3], |v27|, s2
	v_add_f32_e32 v15, v34, v15
	s_or_b64 vcc, vcc, s[2:3]
	v_cndmask_b32_e32 v15, v15, v27, vcc
	v_add_f32_e32 v15, v29, v15
	v_cvt_f16_f32_e32 v31, v15
	v_cvt_f32_f16_e32 v15, v31
	v_mov_b32_e32 v27, v31
.LBB411_168:
	s_or_b64 exec, exec, s[0:1]
	v_max_f32_e32 v29, v8, v8
	v_max_f32_e32 v32, v15, v15
	v_min_f32_e32 v30, v32, v29
	v_cmp_u_f16_e32 vcc, v31, v31
	v_max_f32_e32 v29, v32, v29
	v_cndmask_b32_e32 v30, v30, v15, vcc
	v_cndmask_b32_e32 v29, v29, v15, vcc
	v_cndmask_b32_e64 v30, v30, v8, s[90:91]
	v_cndmask_b32_e64 v29, v29, v8, s[90:91]
	v_cmp_neq_f32_e32 vcc, v30, v29
	v_cmp_class_f32_e64 s[0:1], v30, s4
	s_or_b64 s[2:3], vcc, s[0:1]
	v_mov_b32_e32 v8, v27
	s_and_saveexec_b64 s[0:1], s[2:3]
	s_cbranch_execz .LBB411_170
; %bb.169:
	v_sub_f32_e32 v8, v30, v29
	s_mov_b32 s2, 0x3fb8aa3b
	v_mul_f32_e32 v15, 0x3fb8aa3b, v8
	v_fma_f32 v30, v8, s2, -v15
	v_rndne_f32_e32 v31, v15
	v_fmac_f32_e32 v30, 0x32a5705f, v8
	v_sub_f32_e32 v15, v15, v31
	v_add_f32_e32 v15, v15, v30
	v_exp_f32_e32 v15, v15
	v_cvt_i32_f32_e32 v30, v31
	s_mov_b32 s2, 0xc2ce8ed0
	v_cmp_ngt_f32_e32 vcc, s2, v8
	s_mov_b32 s2, 0x42b17218
	v_ldexp_f32 v15, v15, v30
	v_cndmask_b32_e32 v15, 0, v15, vcc
	v_mov_b32_e32 v30, 0x7f800000
	v_cmp_nlt_f32_e32 vcc, s2, v8
	v_cndmask_b32_e32 v44, v30, v15, vcc
	v_add_f32_e32 v8, 1.0, v44
	v_add_f32_e32 v15, -1.0, v8
	v_sub_f32_e32 v30, v15, v8
	v_add_f32_e32 v30, 1.0, v30
	v_sub_f32_e32 v15, v44, v15
	v_add_f32_e32 v15, v15, v30
	v_frexp_mant_f32_e32 v32, v8
	s_mov_b32 s2, 0x3f2aaaab
	v_cvt_f64_f32_e32 v[30:31], v8
	v_frexp_exp_i32_f64_e32 v30, v[30:31]
	v_cmp_gt_f32_e32 vcc, s2, v32
	v_subbrev_co_u32_e32 v38, vcc, 0, v30, vcc
	v_sub_u32_e32 v30, 0, v38
	v_ldexp_f32 v8, v8, v30
	v_ldexp_f32 v15, v15, v30
	v_add_f32_e32 v30, -1.0, v8
	v_add_f32_e32 v31, 1.0, v30
	v_sub_f32_e32 v31, v8, v31
	v_add_f32_e32 v32, v15, v31
	v_add_f32_e32 v31, 1.0, v8
	v_add_f32_e32 v33, -1.0, v31
	v_sub_f32_e32 v8, v8, v33
	v_add_f32_e32 v8, v15, v8
	v_add_f32_e32 v15, v31, v8
	v_rcp_f32_e32 v39, v15
	v_sub_f32_e32 v31, v31, v15
	v_add_f32_e32 v8, v8, v31
	v_add_f32_e32 v31, v30, v32
	v_sub_f32_e32 v30, v30, v31
	v_mul_f32_e32 v41, v31, v39
	v_add_f32_e32 v40, v32, v30
	v_mul_f32_e32 v32, v15, v41
	v_fma_f32 v34, v41, v15, -v32
	v_fmac_f32_e32 v34, v41, v8
	v_add_f32_e32 v30, v32, v34
	v_sub_f32_e32 v33, v31, v30
	v_pk_add_f32 v[36:37], v[30:31], v[32:33] neg_lo:[0,1] neg_hi:[0,1]
	v_mov_b32_e32 v35, v30
	v_pk_add_f32 v[30:31], v[36:37], v[34:35] neg_lo:[0,1] neg_hi:[0,1]
	v_add_f32_e32 v31, v40, v31
	v_add_f32_e32 v30, v30, v31
	;; [unrolled: 1-line block ×3, first 2 shown]
	v_mul_f32_e32 v40, v39, v31
	v_mul_f32_e32 v32, v15, v40
	v_fma_f32 v34, v40, v15, -v32
	v_fmac_f32_e32 v34, v40, v8
	v_sub_f32_e32 v8, v33, v31
	v_add_f32_e32 v8, v30, v8
	v_add_f32_e32 v30, v32, v34
	v_sub_f32_e32 v33, v31, v30
	v_pk_add_f32 v[36:37], v[30:31], v[32:33] neg_lo:[0,1] neg_hi:[0,1]
	v_mov_b32_e32 v35, v30
	v_pk_add_f32 v[30:31], v[36:37], v[34:35] neg_lo:[0,1] neg_hi:[0,1]
	v_add_f32_e32 v8, v8, v31
	v_add_f32_e32 v8, v30, v8
	;; [unrolled: 1-line block ×4, first 2 shown]
	v_sub_f32_e32 v30, v15, v41
	v_mul_f32_e32 v8, v39, v8
	v_sub_f32_e32 v30, v40, v30
	v_add_f32_e32 v8, v30, v8
	v_add_f32_e32 v30, v15, v8
	v_mul_f32_e32 v33, v30, v30
	v_mov_b32_e32 v32, 0x3ecc95a3
	v_fmac_f32_e32 v32, 0x3e9b6dac, v33
	v_mov_b32_e32 v31, 0x3f2aaada
	v_fmac_f32_e32 v31, v33, v32
	v_cvt_f32_i32_e32 v32, v38
	v_sub_f32_e32 v15, v30, v15
	v_ldexp_f32 v35, v30, 1
	v_mul_f32_e32 v33, v30, v33
	v_mov_b32_e32 v30, 0x3f317218
	s_mov_b32 s2, 0x3f317218
	v_pk_mul_f32 v[30:31], v[32:33], v[30:31]
	v_fma_f32 v34, v32, s2, -v30
	v_fmac_f32_e32 v34, 0xb102e308, v32
	v_pk_add_f32 v[32:33], v[30:31], v[34:35]
	v_sub_f32_e32 v8, v8, v15
	v_sub_f32_e32 v15, v33, v35
	v_ldexp_f32 v8, v8, 1
	v_sub_f32_e32 v15, v31, v15
	v_add_f32_e32 v37, v8, v15
	v_mov_b32_e32 v36, v30
	v_pk_add_f32 v[30:31], v[32:33], v[30:31] neg_lo:[0,1] neg_hi:[0,1]
	v_pk_add_f32 v[38:39], v[32:33], v[36:37]
	v_mov_b32_e32 v31, v39
	v_mov_b32_e32 v35, v32
	v_pk_add_f32 v[40:41], v[34:35], v[30:31] neg_lo:[0,1] neg_hi:[0,1]
	v_pk_add_f32 v[30:31], v[34:35], v[30:31]
	v_mov_b32_e32 v8, v31
	v_pk_add_f32 v[34:35], v[8:9], v[32:33] neg_lo:[0,1] neg_hi:[0,1]
	v_mov_b32_e32 v15, v34
	v_pk_add_f32 v[42:43], v[38:39], v[14:15] neg_lo:[0,1] neg_hi:[0,1]
	v_mov_b32_e32 v30, v39
	v_mov_b32_e32 v38, v33
	;; [unrolled: 1-line block ×4, first 2 shown]
	v_pk_add_f32 v[30:31], v[30:31], v[38:39] neg_lo:[0,1] neg_hi:[0,1]
	v_mov_b32_e32 v34, v37
	v_mov_b32_e32 v35, v32
	v_pk_add_f32 v[30:31], v[34:35], v[30:31] neg_lo:[0,1] neg_hi:[0,1]
	v_mov_b32_e32 v42, v40
	v_pk_add_f32 v[32:33], v[42:43], v[30:31]
	v_mov_b32_e32 v34, v33
	v_pk_add_f32 v[34:35], v[32:33], v[34:35]
	v_pk_add_f32 v[36:37], v[8:9], v[34:35]
	v_mov_b32_e32 v33, v36
	v_pk_add_f32 v[38:39], v[32:33], v[40:41] neg_lo:[0,1] neg_hi:[0,1]
	v_mov_b32_e32 v31, v34
	v_sub_f32_e32 v8, v32, v38
	v_pk_add_f32 v[30:31], v[30:31], v[38:39] neg_lo:[0,1] neg_hi:[0,1]
	v_sub_f32_e32 v8, v40, v8
	s_mov_b32 s3, 0x7f800000
	v_add_f32_e32 v8, v30, v8
	s_mov_b32 s2, 0x33800000
	v_add_f32_e32 v8, v8, v31
	v_cmp_eq_f32_e32 vcc, s3, v44
	v_cmp_lt_f32_e64 s[2:3], |v44|, s2
	v_add_f32_e32 v8, v36, v8
	s_or_b64 vcc, vcc, s[2:3]
	v_cndmask_b32_e32 v8, v8, v44, vcc
	v_add_f32_e32 v8, v29, v8
	v_cvt_f16_f32_e32 v31, v8
	v_cvt_f32_f16_e32 v15, v31
	v_mov_b32_e32 v8, v31
.LBB411_170:
	s_or_b64 exec, exec, s[0:1]
	v_max_f32_e32 v30, v28, v28
	v_max_f32_e32 v32, v15, v15
	v_min_f32_e32 v29, v32, v30
	v_cmp_u_f16_e32 vcc, v31, v31
	v_max_f32_e32 v30, v32, v30
	v_cndmask_b32_e32 v29, v29, v15, vcc
	v_cndmask_b32_e32 v15, v30, v15, vcc
	v_cndmask_b32_e64 v29, v29, v28, s[92:93]
	v_cndmask_b32_e64 v15, v15, v28, s[92:93]
	s_movk_i32 s0, 0x1f8
	v_cmp_neq_f32_e32 vcc, v29, v15
	v_cmp_class_f32_e64 s[0:1], v29, s0
	s_or_b64 s[2:3], vcc, s[0:1]
	v_mov_b32_e32 v28, v8
	s_and_saveexec_b64 s[0:1], s[2:3]
	s_cbranch_execz .LBB411_172
; %bb.171:
	v_sub_f32_e32 v28, v29, v15
	s_mov_b32 s2, 0x3fb8aa3b
	v_mul_f32_e32 v29, 0x3fb8aa3b, v28
	v_fma_f32 v30, v28, s2, -v29
	v_rndne_f32_e32 v31, v29
	v_fmac_f32_e32 v30, 0x32a5705f, v28
	v_sub_f32_e32 v29, v29, v31
	v_add_f32_e32 v29, v29, v30
	v_exp_f32_e32 v29, v29
	v_cvt_i32_f32_e32 v30, v31
	s_mov_b32 s2, 0xc2ce8ed0
	v_cmp_ngt_f32_e32 vcc, s2, v28
	s_mov_b32 s2, 0x42b17218
	v_ldexp_f32 v29, v29, v30
	v_cndmask_b32_e32 v29, 0, v29, vcc
	v_mov_b32_e32 v30, 0x7f800000
	v_cmp_nlt_f32_e32 vcc, s2, v28
	v_cndmask_b32_e32 v44, v30, v29, vcc
	v_add_f32_e32 v30, 1.0, v44
	v_add_f32_e32 v28, -1.0, v30
	v_sub_f32_e32 v29, v28, v30
	v_add_f32_e32 v29, 1.0, v29
	v_sub_f32_e32 v28, v44, v28
	v_add_f32_e32 v31, v28, v29
	v_frexp_mant_f32_e32 v32, v30
	s_mov_b32 s2, 0x3f2aaaab
	v_cvt_f64_f32_e32 v[28:29], v30
	v_frexp_exp_i32_f64_e32 v28, v[28:29]
	v_cmp_gt_f32_e32 vcc, s2, v32
	v_subbrev_co_u32_e32 v36, vcc, 0, v28, vcc
	v_sub_u32_e32 v28, 0, v36
	v_ldexp_f32 v29, v30, v28
	v_add_f32_e32 v30, -1.0, v29
	v_add_f32_e32 v32, 1.0, v29
	v_ldexp_f32 v28, v31, v28
	v_add_f32_e32 v31, 1.0, v30
	v_add_f32_e32 v33, -1.0, v32
	v_sub_f32_e32 v31, v29, v31
	v_sub_f32_e32 v29, v29, v33
	v_add_f32_e32 v31, v28, v31
	v_add_f32_e32 v28, v28, v29
	;; [unrolled: 1-line block ×3, first 2 shown]
	v_rcp_f32_e32 v39, v37
	v_sub_f32_e32 v29, v32, v37
	v_add_f32_e32 v38, v28, v29
	v_add_f32_e32 v29, v30, v31
	v_mul_f32_e32 v41, v29, v39
	v_sub_f32_e32 v28, v30, v29
	v_mul_f32_e32 v30, v37, v41
	v_fma_f32 v32, v41, v37, -v30
	v_fmac_f32_e32 v32, v41, v38
	v_add_f32_e32 v40, v31, v28
	v_add_f32_e32 v28, v30, v32
	v_sub_f32_e32 v31, v29, v28
	v_pk_add_f32 v[34:35], v[28:29], v[30:31] neg_lo:[0,1] neg_hi:[0,1]
	v_mov_b32_e32 v33, v28
	v_pk_add_f32 v[28:29], v[34:35], v[32:33] neg_lo:[0,1] neg_hi:[0,1]
	v_add_f32_e32 v29, v40, v29
	v_add_f32_e32 v28, v28, v29
	;; [unrolled: 1-line block ×3, first 2 shown]
	v_mul_f32_e32 v40, v39, v29
	v_mul_f32_e32 v30, v37, v40
	v_fma_f32 v32, v40, v37, -v30
	v_fmac_f32_e32 v32, v40, v38
	v_sub_f32_e32 v31, v31, v29
	v_add_f32_e32 v37, v28, v31
	v_add_f32_e32 v28, v30, v32
	v_sub_f32_e32 v31, v29, v28
	v_pk_add_f32 v[34:35], v[28:29], v[30:31] neg_lo:[0,1] neg_hi:[0,1]
	v_mov_b32_e32 v33, v28
	v_pk_add_f32 v[28:29], v[34:35], v[32:33] neg_lo:[0,1] neg_hi:[0,1]
	v_add_f32_e32 v29, v37, v29
	v_add_f32_e32 v28, v28, v29
	;; [unrolled: 1-line block ×4, first 2 shown]
	v_sub_f32_e32 v29, v31, v41
	v_mul_f32_e32 v28, v39, v28
	v_sub_f32_e32 v29, v40, v29
	v_add_f32_e32 v28, v29, v28
	v_add_f32_e32 v32, v31, v28
	v_mul_f32_e32 v34, v32, v32
	v_mov_b32_e32 v30, 0x3ecc95a3
	v_fmac_f32_e32 v30, 0x3e9b6dac, v34
	v_mov_b32_e32 v29, 0x3f2aaada
	v_fmac_f32_e32 v29, v34, v30
	v_cvt_f32_i32_e32 v30, v36
	v_sub_f32_e32 v31, v32, v31
	v_sub_f32_e32 v28, v28, v31
	v_ldexp_f32 v35, v28, 1
	v_mul_f32_e32 v31, v32, v34
	v_mov_b32_e32 v28, 0x3f317218
	s_mov_b32 s2, 0x3f317218
	v_pk_mul_f32 v[28:29], v[30:31], v[28:29]
	v_ldexp_f32 v33, v32, 1
	v_fma_f32 v32, v30, s2, -v28
	v_fmac_f32_e32 v32, 0xb102e308, v30
	v_pk_add_f32 v[30:31], v[28:29], v[32:33]
	v_sub_f32_e32 v33, v31, v33
	v_sub_f32_e32 v33, v29, v33
	v_add_f32_e32 v35, v35, v33
	v_mov_b32_e32 v34, v28
	v_pk_add_f32 v[28:29], v[30:31], v[28:29] neg_lo:[0,1] neg_hi:[0,1]
	v_pk_add_f32 v[36:37], v[30:31], v[34:35]
	v_mov_b32_e32 v29, v37
	v_mov_b32_e32 v33, v30
	v_pk_add_f32 v[38:39], v[32:33], v[28:29] neg_lo:[0,1] neg_hi:[0,1]
	v_pk_add_f32 v[28:29], v[32:33], v[28:29]
	v_mov_b32_e32 v32, v29
	v_pk_add_f32 v[40:41], v[32:33], v[30:31] neg_lo:[0,1] neg_hi:[0,1]
	v_mov_b32_e32 v33, v40
	v_pk_add_f32 v[42:43], v[36:37], v[32:33] neg_lo:[0,1] neg_hi:[0,1]
	v_mov_b32_e32 v28, v37
	v_mov_b32_e32 v36, v31
	;; [unrolled: 1-line block ×4, first 2 shown]
	v_pk_add_f32 v[28:29], v[28:29], v[36:37] neg_lo:[0,1] neg_hi:[0,1]
	v_mov_b32_e32 v34, v35
	v_mov_b32_e32 v35, v30
	v_pk_add_f32 v[28:29], v[34:35], v[28:29] neg_lo:[0,1] neg_hi:[0,1]
	v_mov_b32_e32 v42, v38
	v_pk_add_f32 v[30:31], v[42:43], v[28:29]
	v_mov_b32_e32 v34, v31
	v_pk_add_f32 v[34:35], v[30:31], v[34:35]
	v_pk_add_f32 v[32:33], v[32:33], v[34:35]
	v_mov_b32_e32 v31, v32
	v_pk_add_f32 v[36:37], v[30:31], v[38:39] neg_lo:[0,1] neg_hi:[0,1]
	v_mov_b32_e32 v29, v34
	v_sub_f32_e32 v30, v30, v36
	v_pk_add_f32 v[28:29], v[28:29], v[36:37] neg_lo:[0,1] neg_hi:[0,1]
	v_sub_f32_e32 v30, v38, v30
	s_mov_b32 s3, 0x7f800000
	v_add_f32_e32 v28, v28, v30
	s_mov_b32 s2, 0x33800000
	v_add_f32_e32 v28, v28, v29
	v_cmp_eq_f32_e32 vcc, s3, v44
	v_cmp_lt_f32_e64 s[2:3], |v44|, s2
	v_add_f32_e32 v28, v32, v28
	s_or_b64 vcc, vcc, s[2:3]
	v_cndmask_b32_e32 v28, v28, v44, vcc
	v_add_f32_e32 v15, v15, v28
	v_cvt_f16_f32_e32 v28, v15
.LBB411_172:
	s_or_b64 exec, exec, s[0:1]
	s_mov_b32 s0, 0x5040100
	v_add_u32_e32 v9, v14, v9
	v_perm_b32 v33, v20, v4, s0
	v_perm_b32 v32, v19, v3, s0
	;; [unrolled: 1-line block ×12, first 2 shown]
	s_waitcnt lgkmcnt(0)
	; wave barrier
	ds_write_b128 v9, v[30:33]
	ds_write_b128 v9, v[16:19] offset:16
	ds_write_b128 v9, v[2:5] offset:32
	s_waitcnt lgkmcnt(0)
	; wave barrier
	s_waitcnt lgkmcnt(0)
	ds_read_u16 v25, v14 offset:128
	ds_read_u16 v24, v14 offset:256
	;; [unrolled: 1-line block ×23, first 2 shown]
	v_readlane_b32 s0, v51, 8
	v_lshlrev_b64 v[0:1], 1, v[0:1]
	v_readlane_b32 s1, v51, 9
	v_mov_b32_e32 v26, s1
	v_add_co_u32_e32 v0, vcc, s0, v0
	v_addc_co_u32_e32 v1, vcc, v26, v1, vcc
	s_mov_b64 s[0:1], exec
	v_readlane_b32 s2, v51, 0
	v_readlane_b32 s3, v51, 1
	s_and_b64 s[2:3], s[0:1], s[2:3]
	s_mov_b64 exec, s[2:3]
	s_cbranch_execz .LBB411_174
; %bb.173:
	ds_read_u16 v14, v14
	s_waitcnt lgkmcnt(0)
	global_store_short v[0:1], v14, off
.LBB411_174:
	s_or_b64 exec, exec, s[0:1]
	s_mov_b64 s[0:1], exec
	v_readlane_b32 s2, v51, 2
	v_readlane_b32 s3, v51, 3
	s_and_b64 s[2:3], s[0:1], s[2:3]
	s_mov_b64 exec, s[2:3]
	s_cbranch_execz .LBB411_176
; %bb.175:
	s_waitcnt lgkmcnt(14)
	global_store_short v[0:1], v25, off offset:128
.LBB411_176:
	s_or_b64 exec, exec, s[0:1]
	s_mov_b64 s[0:1], exec
	v_readlane_b32 s2, v51, 4
	v_readlane_b32 s3, v51, 5
	s_and_b64 s[2:3], s[0:1], s[2:3]
	s_mov_b64 exec, s[2:3]
	s_cbranch_execnz .LBB411_201
; %bb.177:
	s_or_b64 exec, exec, s[0:1]
	s_and_saveexec_b64 s[0:1], s[46:47]
	s_cbranch_execnz .LBB411_202
.LBB411_178:
	s_or_b64 exec, exec, s[0:1]
	s_and_saveexec_b64 s[0:1], s[6:7]
	s_cbranch_execnz .LBB411_203
.LBB411_179:
	s_or_b64 exec, exec, s[0:1]
	s_and_saveexec_b64 s[0:1], s[8:9]
	s_cbranch_execnz .LBB411_204
.LBB411_180:
	s_or_b64 exec, exec, s[0:1]
	s_and_saveexec_b64 s[0:1], s[10:11]
	s_cbranch_execnz .LBB411_205
.LBB411_181:
	s_or_b64 exec, exec, s[0:1]
	s_and_saveexec_b64 s[0:1], s[12:13]
	s_cbranch_execnz .LBB411_206
.LBB411_182:
	s_or_b64 exec, exec, s[0:1]
	s_and_saveexec_b64 s[0:1], s[14:15]
	s_cbranch_execnz .LBB411_207
.LBB411_183:
	s_or_b64 exec, exec, s[0:1]
	s_and_saveexec_b64 s[0:1], s[16:17]
	s_cbranch_execnz .LBB411_208
.LBB411_184:
	s_or_b64 exec, exec, s[0:1]
	s_and_saveexec_b64 s[0:1], s[18:19]
	s_cbranch_execnz .LBB411_209
.LBB411_185:
	s_or_b64 exec, exec, s[0:1]
	s_and_saveexec_b64 s[0:1], s[20:21]
	s_cbranch_execnz .LBB411_210
.LBB411_186:
	s_or_b64 exec, exec, s[0:1]
	s_and_saveexec_b64 s[0:1], s[22:23]
	s_cbranch_execnz .LBB411_211
.LBB411_187:
	s_or_b64 exec, exec, s[0:1]
	s_and_saveexec_b64 s[0:1], s[24:25]
	s_cbranch_execnz .LBB411_212
.LBB411_188:
	s_or_b64 exec, exec, s[0:1]
	s_and_saveexec_b64 s[0:1], s[26:27]
	s_cbranch_execnz .LBB411_213
.LBB411_189:
	s_or_b64 exec, exec, s[0:1]
	s_and_saveexec_b64 s[0:1], s[28:29]
	s_cbranch_execnz .LBB411_214
.LBB411_190:
	s_or_b64 exec, exec, s[0:1]
	s_and_saveexec_b64 s[0:1], s[30:31]
	s_cbranch_execnz .LBB411_215
.LBB411_191:
	s_or_b64 exec, exec, s[0:1]
	s_and_saveexec_b64 s[0:1], s[34:35]
	s_cbranch_execnz .LBB411_216
.LBB411_192:
	s_or_b64 exec, exec, s[0:1]
	s_and_saveexec_b64 s[0:1], s[36:37]
	s_cbranch_execnz .LBB411_217
.LBB411_193:
	s_or_b64 exec, exec, s[0:1]
	s_and_saveexec_b64 s[0:1], s[38:39]
	s_cbranch_execnz .LBB411_218
.LBB411_194:
	s_or_b64 exec, exec, s[0:1]
	s_and_saveexec_b64 s[0:1], s[40:41]
	s_cbranch_execnz .LBB411_219
.LBB411_195:
	s_or_b64 exec, exec, s[0:1]
	s_and_saveexec_b64 s[0:1], s[42:43]
	s_cbranch_execnz .LBB411_220
.LBB411_196:
	s_or_b64 exec, exec, s[0:1]
	s_and_saveexec_b64 s[0:1], s[44:45]
	s_cbranch_execz .LBB411_198
.LBB411_197:
	s_waitcnt lgkmcnt(1)
	global_store_short v[0:1], v3, off offset:2816
.LBB411_198:
	s_or_b64 exec, exec, s[0:1]
	v_readlane_b32 s2, v51, 6
	v_readlane_b32 s3, v51, 7
	s_and_saveexec_b64 s[0:1], s[2:3]
	s_cbranch_execz .LBB411_200
; %bb.199:
	s_waitcnt lgkmcnt(0)
	global_store_short v[0:1], v2, off offset:2944
.LBB411_200:
	s_endpgm
.LBB411_201:
	s_waitcnt lgkmcnt(14)
	global_store_short v[0:1], v24, off offset:256
	s_or_b64 exec, exec, s[0:1]
	s_and_saveexec_b64 s[0:1], s[46:47]
	s_cbranch_execz .LBB411_178
.LBB411_202:
	s_waitcnt lgkmcnt(14)
	global_store_short v[0:1], v23, off offset:384
	s_or_b64 exec, exec, s[0:1]
	s_and_saveexec_b64 s[0:1], s[6:7]
	s_cbranch_execz .LBB411_179
.LBB411_203:
	s_waitcnt lgkmcnt(14)
	global_store_short v[0:1], v22, off offset:512
	s_or_b64 exec, exec, s[0:1]
	s_and_saveexec_b64 s[0:1], s[8:9]
	s_cbranch_execz .LBB411_180
.LBB411_204:
	s_waitcnt lgkmcnt(14)
	global_store_short v[0:1], v21, off offset:640
	s_or_b64 exec, exec, s[0:1]
	s_and_saveexec_b64 s[0:1], s[10:11]
	s_cbranch_execz .LBB411_181
.LBB411_205:
	s_waitcnt lgkmcnt(14)
	global_store_short v[0:1], v20, off offset:768
	s_or_b64 exec, exec, s[0:1]
	s_and_saveexec_b64 s[0:1], s[12:13]
	s_cbranch_execz .LBB411_182
.LBB411_206:
	s_waitcnt lgkmcnt(14)
	global_store_short v[0:1], v19, off offset:896
	s_or_b64 exec, exec, s[0:1]
	s_and_saveexec_b64 s[0:1], s[14:15]
	s_cbranch_execz .LBB411_183
.LBB411_207:
	s_waitcnt lgkmcnt(14)
	global_store_short v[0:1], v18, off offset:1024
	s_or_b64 exec, exec, s[0:1]
	s_and_saveexec_b64 s[0:1], s[16:17]
	s_cbranch_execz .LBB411_184
.LBB411_208:
	s_waitcnt lgkmcnt(14)
	global_store_short v[0:1], v17, off offset:1152
	s_or_b64 exec, exec, s[0:1]
	s_and_saveexec_b64 s[0:1], s[18:19]
	s_cbranch_execz .LBB411_185
.LBB411_209:
	s_waitcnt lgkmcnt(13)
	global_store_short v[0:1], v16, off offset:1280
	s_or_b64 exec, exec, s[0:1]
	s_and_saveexec_b64 s[0:1], s[20:21]
	s_cbranch_execz .LBB411_186
.LBB411_210:
	s_waitcnt lgkmcnt(12)
	global_store_short v[0:1], v15, off offset:1408
	s_or_b64 exec, exec, s[0:1]
	s_and_saveexec_b64 s[0:1], s[22:23]
	s_cbranch_execz .LBB411_187
.LBB411_211:
	s_waitcnt lgkmcnt(11)
	global_store_short v[0:1], v13, off offset:1536
	s_or_b64 exec, exec, s[0:1]
	s_and_saveexec_b64 s[0:1], s[24:25]
	s_cbranch_execz .LBB411_188
.LBB411_212:
	s_waitcnt lgkmcnt(10)
	global_store_short v[0:1], v12, off offset:1664
	s_or_b64 exec, exec, s[0:1]
	s_and_saveexec_b64 s[0:1], s[26:27]
	s_cbranch_execz .LBB411_189
.LBB411_213:
	s_waitcnt lgkmcnt(9)
	global_store_short v[0:1], v11, off offset:1792
	s_or_b64 exec, exec, s[0:1]
	s_and_saveexec_b64 s[0:1], s[28:29]
	s_cbranch_execz .LBB411_190
.LBB411_214:
	s_waitcnt lgkmcnt(8)
	global_store_short v[0:1], v10, off offset:1920
	s_or_b64 exec, exec, s[0:1]
	s_and_saveexec_b64 s[0:1], s[30:31]
	s_cbranch_execz .LBB411_191
.LBB411_215:
	s_waitcnt lgkmcnt(7)
	global_store_short v[0:1], v9, off offset:2048
	s_or_b64 exec, exec, s[0:1]
	s_and_saveexec_b64 s[0:1], s[34:35]
	s_cbranch_execz .LBB411_192
.LBB411_216:
	s_waitcnt lgkmcnt(6)
	global_store_short v[0:1], v8, off offset:2176
	s_or_b64 exec, exec, s[0:1]
	s_and_saveexec_b64 s[0:1], s[36:37]
	s_cbranch_execz .LBB411_193
.LBB411_217:
	s_waitcnt lgkmcnt(5)
	global_store_short v[0:1], v7, off offset:2304
	s_or_b64 exec, exec, s[0:1]
	s_and_saveexec_b64 s[0:1], s[38:39]
	s_cbranch_execz .LBB411_194
.LBB411_218:
	s_waitcnt lgkmcnt(4)
	global_store_short v[0:1], v6, off offset:2432
	s_or_b64 exec, exec, s[0:1]
	s_and_saveexec_b64 s[0:1], s[40:41]
	s_cbranch_execz .LBB411_195
.LBB411_219:
	s_waitcnt lgkmcnt(3)
	global_store_short v[0:1], v5, off offset:2560
	s_or_b64 exec, exec, s[0:1]
	s_and_saveexec_b64 s[0:1], s[42:43]
	s_cbranch_execz .LBB411_196
.LBB411_220:
	s_waitcnt lgkmcnt(2)
	global_store_short v[0:1], v4, off offset:2688
	s_or_b64 exec, exec, s[0:1]
	s_and_saveexec_b64 s[0:1], s[44:45]
	s_cbranch_execnz .LBB411_197
	s_branch .LBB411_198
	.section	.rodata,"a",@progbits
	.p2align	6, 0x0
	.amdhsa_kernel _ZN7rocprim17ROCPRIM_400000_NS6detail17trampoline_kernelINS0_14default_configENS1_20scan_config_selectorIN3c104HalfEEEZZNS1_9scan_implILNS1_25lookback_scan_determinismE0ELb0ELb0ES3_PKS6_PS6_S6_ZZZN2at6native31launch_logcumsumexp_cuda_kernelERKNSD_10TensorBaseESH_lENKUlvE_clEvENKUlvE3_clEvEUlS6_S6_E_S6_EEDaPvRmT3_T4_T5_mT6_P12ihipStream_tbENKUlT_T0_E_clISt17integral_constantIbLb1EESX_IbLb0EEEEDaST_SU_EUlST_E0_NS1_11comp_targetILNS1_3genE4ELNS1_11target_archE910ELNS1_3gpuE8ELNS1_3repE0EEENS1_30default_config_static_selectorELNS0_4arch9wavefront6targetE1EEEvT1_
		.amdhsa_group_segment_fixed_size 3072
		.amdhsa_private_segment_fixed_size 0
		.amdhsa_kernarg_size 32
		.amdhsa_user_sgpr_count 6
		.amdhsa_user_sgpr_private_segment_buffer 1
		.amdhsa_user_sgpr_dispatch_ptr 0
		.amdhsa_user_sgpr_queue_ptr 0
		.amdhsa_user_sgpr_kernarg_segment_ptr 1
		.amdhsa_user_sgpr_dispatch_id 0
		.amdhsa_user_sgpr_flat_scratch_init 0
		.amdhsa_user_sgpr_kernarg_preload_length 0
		.amdhsa_user_sgpr_kernarg_preload_offset 0
		.amdhsa_user_sgpr_private_segment_size 0
		.amdhsa_uses_dynamic_stack 0
		.amdhsa_system_sgpr_private_segment_wavefront_offset 0
		.amdhsa_system_sgpr_workgroup_id_x 1
		.amdhsa_system_sgpr_workgroup_id_y 0
		.amdhsa_system_sgpr_workgroup_id_z 0
		.amdhsa_system_sgpr_workgroup_info 0
		.amdhsa_system_vgpr_workitem_id 0
		.amdhsa_next_free_vgpr 52
		.amdhsa_next_free_sgpr 96
		.amdhsa_accum_offset 52
		.amdhsa_reserve_vcc 1
		.amdhsa_reserve_flat_scratch 0
		.amdhsa_float_round_mode_32 0
		.amdhsa_float_round_mode_16_64 0
		.amdhsa_float_denorm_mode_32 3
		.amdhsa_float_denorm_mode_16_64 3
		.amdhsa_dx10_clamp 1
		.amdhsa_ieee_mode 1
		.amdhsa_fp16_overflow 0
		.amdhsa_tg_split 0
		.amdhsa_exception_fp_ieee_invalid_op 0
		.amdhsa_exception_fp_denorm_src 0
		.amdhsa_exception_fp_ieee_div_zero 0
		.amdhsa_exception_fp_ieee_overflow 0
		.amdhsa_exception_fp_ieee_underflow 0
		.amdhsa_exception_fp_ieee_inexact 0
		.amdhsa_exception_int_div_zero 0
	.end_amdhsa_kernel
	.section	.text._ZN7rocprim17ROCPRIM_400000_NS6detail17trampoline_kernelINS0_14default_configENS1_20scan_config_selectorIN3c104HalfEEEZZNS1_9scan_implILNS1_25lookback_scan_determinismE0ELb0ELb0ES3_PKS6_PS6_S6_ZZZN2at6native31launch_logcumsumexp_cuda_kernelERKNSD_10TensorBaseESH_lENKUlvE_clEvENKUlvE3_clEvEUlS6_S6_E_S6_EEDaPvRmT3_T4_T5_mT6_P12ihipStream_tbENKUlT_T0_E_clISt17integral_constantIbLb1EESX_IbLb0EEEEDaST_SU_EUlST_E0_NS1_11comp_targetILNS1_3genE4ELNS1_11target_archE910ELNS1_3gpuE8ELNS1_3repE0EEENS1_30default_config_static_selectorELNS0_4arch9wavefront6targetE1EEEvT1_,"axG",@progbits,_ZN7rocprim17ROCPRIM_400000_NS6detail17trampoline_kernelINS0_14default_configENS1_20scan_config_selectorIN3c104HalfEEEZZNS1_9scan_implILNS1_25lookback_scan_determinismE0ELb0ELb0ES3_PKS6_PS6_S6_ZZZN2at6native31launch_logcumsumexp_cuda_kernelERKNSD_10TensorBaseESH_lENKUlvE_clEvENKUlvE3_clEvEUlS6_S6_E_S6_EEDaPvRmT3_T4_T5_mT6_P12ihipStream_tbENKUlT_T0_E_clISt17integral_constantIbLb1EESX_IbLb0EEEEDaST_SU_EUlST_E0_NS1_11comp_targetILNS1_3genE4ELNS1_11target_archE910ELNS1_3gpuE8ELNS1_3repE0EEENS1_30default_config_static_selectorELNS0_4arch9wavefront6targetE1EEEvT1_,comdat
.Lfunc_end411:
	.size	_ZN7rocprim17ROCPRIM_400000_NS6detail17trampoline_kernelINS0_14default_configENS1_20scan_config_selectorIN3c104HalfEEEZZNS1_9scan_implILNS1_25lookback_scan_determinismE0ELb0ELb0ES3_PKS6_PS6_S6_ZZZN2at6native31launch_logcumsumexp_cuda_kernelERKNSD_10TensorBaseESH_lENKUlvE_clEvENKUlvE3_clEvEUlS6_S6_E_S6_EEDaPvRmT3_T4_T5_mT6_P12ihipStream_tbENKUlT_T0_E_clISt17integral_constantIbLb1EESX_IbLb0EEEEDaST_SU_EUlST_E0_NS1_11comp_targetILNS1_3genE4ELNS1_11target_archE910ELNS1_3gpuE8ELNS1_3repE0EEENS1_30default_config_static_selectorELNS0_4arch9wavefront6targetE1EEEvT1_, .Lfunc_end411-_ZN7rocprim17ROCPRIM_400000_NS6detail17trampoline_kernelINS0_14default_configENS1_20scan_config_selectorIN3c104HalfEEEZZNS1_9scan_implILNS1_25lookback_scan_determinismE0ELb0ELb0ES3_PKS6_PS6_S6_ZZZN2at6native31launch_logcumsumexp_cuda_kernelERKNSD_10TensorBaseESH_lENKUlvE_clEvENKUlvE3_clEvEUlS6_S6_E_S6_EEDaPvRmT3_T4_T5_mT6_P12ihipStream_tbENKUlT_T0_E_clISt17integral_constantIbLb1EESX_IbLb0EEEEDaST_SU_EUlST_E0_NS1_11comp_targetILNS1_3genE4ELNS1_11target_archE910ELNS1_3gpuE8ELNS1_3repE0EEENS1_30default_config_static_selectorELNS0_4arch9wavefront6targetE1EEEvT1_
                                        ; -- End function
	.section	.AMDGPU.csdata,"",@progbits
; Kernel info:
; codeLenInByte = 47852
; NumSgprs: 100
; NumVgprs: 52
; NumAgprs: 0
; TotalNumVgprs: 52
; ScratchSize: 0
; MemoryBound: 0
; FloatMode: 240
; IeeeMode: 1
; LDSByteSize: 3072 bytes/workgroup (compile time only)
; SGPRBlocks: 12
; VGPRBlocks: 6
; NumSGPRsForWavesPerEU: 100
; NumVGPRsForWavesPerEU: 52
; AccumOffset: 52
; Occupancy: 6
; WaveLimiterHint : 0
; COMPUTE_PGM_RSRC2:SCRATCH_EN: 0
; COMPUTE_PGM_RSRC2:USER_SGPR: 6
; COMPUTE_PGM_RSRC2:TRAP_HANDLER: 0
; COMPUTE_PGM_RSRC2:TGID_X_EN: 1
; COMPUTE_PGM_RSRC2:TGID_Y_EN: 0
; COMPUTE_PGM_RSRC2:TGID_Z_EN: 0
; COMPUTE_PGM_RSRC2:TIDIG_COMP_CNT: 0
; COMPUTE_PGM_RSRC3_GFX90A:ACCUM_OFFSET: 12
; COMPUTE_PGM_RSRC3_GFX90A:TG_SPLIT: 0
	.section	.text._ZN7rocprim17ROCPRIM_400000_NS6detail17trampoline_kernelINS0_14default_configENS1_20scan_config_selectorIN3c104HalfEEEZZNS1_9scan_implILNS1_25lookback_scan_determinismE0ELb0ELb0ES3_PKS6_PS6_S6_ZZZN2at6native31launch_logcumsumexp_cuda_kernelERKNSD_10TensorBaseESH_lENKUlvE_clEvENKUlvE3_clEvEUlS6_S6_E_S6_EEDaPvRmT3_T4_T5_mT6_P12ihipStream_tbENKUlT_T0_E_clISt17integral_constantIbLb1EESX_IbLb0EEEEDaST_SU_EUlST_E0_NS1_11comp_targetILNS1_3genE3ELNS1_11target_archE908ELNS1_3gpuE7ELNS1_3repE0EEENS1_30default_config_static_selectorELNS0_4arch9wavefront6targetE1EEEvT1_,"axG",@progbits,_ZN7rocprim17ROCPRIM_400000_NS6detail17trampoline_kernelINS0_14default_configENS1_20scan_config_selectorIN3c104HalfEEEZZNS1_9scan_implILNS1_25lookback_scan_determinismE0ELb0ELb0ES3_PKS6_PS6_S6_ZZZN2at6native31launch_logcumsumexp_cuda_kernelERKNSD_10TensorBaseESH_lENKUlvE_clEvENKUlvE3_clEvEUlS6_S6_E_S6_EEDaPvRmT3_T4_T5_mT6_P12ihipStream_tbENKUlT_T0_E_clISt17integral_constantIbLb1EESX_IbLb0EEEEDaST_SU_EUlST_E0_NS1_11comp_targetILNS1_3genE3ELNS1_11target_archE908ELNS1_3gpuE7ELNS1_3repE0EEENS1_30default_config_static_selectorELNS0_4arch9wavefront6targetE1EEEvT1_,comdat
	.globl	_ZN7rocprim17ROCPRIM_400000_NS6detail17trampoline_kernelINS0_14default_configENS1_20scan_config_selectorIN3c104HalfEEEZZNS1_9scan_implILNS1_25lookback_scan_determinismE0ELb0ELb0ES3_PKS6_PS6_S6_ZZZN2at6native31launch_logcumsumexp_cuda_kernelERKNSD_10TensorBaseESH_lENKUlvE_clEvENKUlvE3_clEvEUlS6_S6_E_S6_EEDaPvRmT3_T4_T5_mT6_P12ihipStream_tbENKUlT_T0_E_clISt17integral_constantIbLb1EESX_IbLb0EEEEDaST_SU_EUlST_E0_NS1_11comp_targetILNS1_3genE3ELNS1_11target_archE908ELNS1_3gpuE7ELNS1_3repE0EEENS1_30default_config_static_selectorELNS0_4arch9wavefront6targetE1EEEvT1_ ; -- Begin function _ZN7rocprim17ROCPRIM_400000_NS6detail17trampoline_kernelINS0_14default_configENS1_20scan_config_selectorIN3c104HalfEEEZZNS1_9scan_implILNS1_25lookback_scan_determinismE0ELb0ELb0ES3_PKS6_PS6_S6_ZZZN2at6native31launch_logcumsumexp_cuda_kernelERKNSD_10TensorBaseESH_lENKUlvE_clEvENKUlvE3_clEvEUlS6_S6_E_S6_EEDaPvRmT3_T4_T5_mT6_P12ihipStream_tbENKUlT_T0_E_clISt17integral_constantIbLb1EESX_IbLb0EEEEDaST_SU_EUlST_E0_NS1_11comp_targetILNS1_3genE3ELNS1_11target_archE908ELNS1_3gpuE7ELNS1_3repE0EEENS1_30default_config_static_selectorELNS0_4arch9wavefront6targetE1EEEvT1_
	.p2align	8
	.type	_ZN7rocprim17ROCPRIM_400000_NS6detail17trampoline_kernelINS0_14default_configENS1_20scan_config_selectorIN3c104HalfEEEZZNS1_9scan_implILNS1_25lookback_scan_determinismE0ELb0ELb0ES3_PKS6_PS6_S6_ZZZN2at6native31launch_logcumsumexp_cuda_kernelERKNSD_10TensorBaseESH_lENKUlvE_clEvENKUlvE3_clEvEUlS6_S6_E_S6_EEDaPvRmT3_T4_T5_mT6_P12ihipStream_tbENKUlT_T0_E_clISt17integral_constantIbLb1EESX_IbLb0EEEEDaST_SU_EUlST_E0_NS1_11comp_targetILNS1_3genE3ELNS1_11target_archE908ELNS1_3gpuE7ELNS1_3repE0EEENS1_30default_config_static_selectorELNS0_4arch9wavefront6targetE1EEEvT1_,@function
_ZN7rocprim17ROCPRIM_400000_NS6detail17trampoline_kernelINS0_14default_configENS1_20scan_config_selectorIN3c104HalfEEEZZNS1_9scan_implILNS1_25lookback_scan_determinismE0ELb0ELb0ES3_PKS6_PS6_S6_ZZZN2at6native31launch_logcumsumexp_cuda_kernelERKNSD_10TensorBaseESH_lENKUlvE_clEvENKUlvE3_clEvEUlS6_S6_E_S6_EEDaPvRmT3_T4_T5_mT6_P12ihipStream_tbENKUlT_T0_E_clISt17integral_constantIbLb1EESX_IbLb0EEEEDaST_SU_EUlST_E0_NS1_11comp_targetILNS1_3genE3ELNS1_11target_archE908ELNS1_3gpuE7ELNS1_3repE0EEENS1_30default_config_static_selectorELNS0_4arch9wavefront6targetE1EEEvT1_: ; @_ZN7rocprim17ROCPRIM_400000_NS6detail17trampoline_kernelINS0_14default_configENS1_20scan_config_selectorIN3c104HalfEEEZZNS1_9scan_implILNS1_25lookback_scan_determinismE0ELb0ELb0ES3_PKS6_PS6_S6_ZZZN2at6native31launch_logcumsumexp_cuda_kernelERKNSD_10TensorBaseESH_lENKUlvE_clEvENKUlvE3_clEvEUlS6_S6_E_S6_EEDaPvRmT3_T4_T5_mT6_P12ihipStream_tbENKUlT_T0_E_clISt17integral_constantIbLb1EESX_IbLb0EEEEDaST_SU_EUlST_E0_NS1_11comp_targetILNS1_3genE3ELNS1_11target_archE908ELNS1_3gpuE7ELNS1_3repE0EEENS1_30default_config_static_selectorELNS0_4arch9wavefront6targetE1EEEvT1_
; %bb.0:
	.section	.rodata,"a",@progbits
	.p2align	6, 0x0
	.amdhsa_kernel _ZN7rocprim17ROCPRIM_400000_NS6detail17trampoline_kernelINS0_14default_configENS1_20scan_config_selectorIN3c104HalfEEEZZNS1_9scan_implILNS1_25lookback_scan_determinismE0ELb0ELb0ES3_PKS6_PS6_S6_ZZZN2at6native31launch_logcumsumexp_cuda_kernelERKNSD_10TensorBaseESH_lENKUlvE_clEvENKUlvE3_clEvEUlS6_S6_E_S6_EEDaPvRmT3_T4_T5_mT6_P12ihipStream_tbENKUlT_T0_E_clISt17integral_constantIbLb1EESX_IbLb0EEEEDaST_SU_EUlST_E0_NS1_11comp_targetILNS1_3genE3ELNS1_11target_archE908ELNS1_3gpuE7ELNS1_3repE0EEENS1_30default_config_static_selectorELNS0_4arch9wavefront6targetE1EEEvT1_
		.amdhsa_group_segment_fixed_size 0
		.amdhsa_private_segment_fixed_size 0
		.amdhsa_kernarg_size 32
		.amdhsa_user_sgpr_count 6
		.amdhsa_user_sgpr_private_segment_buffer 1
		.amdhsa_user_sgpr_dispatch_ptr 0
		.amdhsa_user_sgpr_queue_ptr 0
		.amdhsa_user_sgpr_kernarg_segment_ptr 1
		.amdhsa_user_sgpr_dispatch_id 0
		.amdhsa_user_sgpr_flat_scratch_init 0
		.amdhsa_user_sgpr_kernarg_preload_length 0
		.amdhsa_user_sgpr_kernarg_preload_offset 0
		.amdhsa_user_sgpr_private_segment_size 0
		.amdhsa_uses_dynamic_stack 0
		.amdhsa_system_sgpr_private_segment_wavefront_offset 0
		.amdhsa_system_sgpr_workgroup_id_x 1
		.amdhsa_system_sgpr_workgroup_id_y 0
		.amdhsa_system_sgpr_workgroup_id_z 0
		.amdhsa_system_sgpr_workgroup_info 0
		.amdhsa_system_vgpr_workitem_id 0
		.amdhsa_next_free_vgpr 1
		.amdhsa_next_free_sgpr 0
		.amdhsa_accum_offset 4
		.amdhsa_reserve_vcc 0
		.amdhsa_reserve_flat_scratch 0
		.amdhsa_float_round_mode_32 0
		.amdhsa_float_round_mode_16_64 0
		.amdhsa_float_denorm_mode_32 3
		.amdhsa_float_denorm_mode_16_64 3
		.amdhsa_dx10_clamp 1
		.amdhsa_ieee_mode 1
		.amdhsa_fp16_overflow 0
		.amdhsa_tg_split 0
		.amdhsa_exception_fp_ieee_invalid_op 0
		.amdhsa_exception_fp_denorm_src 0
		.amdhsa_exception_fp_ieee_div_zero 0
		.amdhsa_exception_fp_ieee_overflow 0
		.amdhsa_exception_fp_ieee_underflow 0
		.amdhsa_exception_fp_ieee_inexact 0
		.amdhsa_exception_int_div_zero 0
	.end_amdhsa_kernel
	.section	.text._ZN7rocprim17ROCPRIM_400000_NS6detail17trampoline_kernelINS0_14default_configENS1_20scan_config_selectorIN3c104HalfEEEZZNS1_9scan_implILNS1_25lookback_scan_determinismE0ELb0ELb0ES3_PKS6_PS6_S6_ZZZN2at6native31launch_logcumsumexp_cuda_kernelERKNSD_10TensorBaseESH_lENKUlvE_clEvENKUlvE3_clEvEUlS6_S6_E_S6_EEDaPvRmT3_T4_T5_mT6_P12ihipStream_tbENKUlT_T0_E_clISt17integral_constantIbLb1EESX_IbLb0EEEEDaST_SU_EUlST_E0_NS1_11comp_targetILNS1_3genE3ELNS1_11target_archE908ELNS1_3gpuE7ELNS1_3repE0EEENS1_30default_config_static_selectorELNS0_4arch9wavefront6targetE1EEEvT1_,"axG",@progbits,_ZN7rocprim17ROCPRIM_400000_NS6detail17trampoline_kernelINS0_14default_configENS1_20scan_config_selectorIN3c104HalfEEEZZNS1_9scan_implILNS1_25lookback_scan_determinismE0ELb0ELb0ES3_PKS6_PS6_S6_ZZZN2at6native31launch_logcumsumexp_cuda_kernelERKNSD_10TensorBaseESH_lENKUlvE_clEvENKUlvE3_clEvEUlS6_S6_E_S6_EEDaPvRmT3_T4_T5_mT6_P12ihipStream_tbENKUlT_T0_E_clISt17integral_constantIbLb1EESX_IbLb0EEEEDaST_SU_EUlST_E0_NS1_11comp_targetILNS1_3genE3ELNS1_11target_archE908ELNS1_3gpuE7ELNS1_3repE0EEENS1_30default_config_static_selectorELNS0_4arch9wavefront6targetE1EEEvT1_,comdat
.Lfunc_end412:
	.size	_ZN7rocprim17ROCPRIM_400000_NS6detail17trampoline_kernelINS0_14default_configENS1_20scan_config_selectorIN3c104HalfEEEZZNS1_9scan_implILNS1_25lookback_scan_determinismE0ELb0ELb0ES3_PKS6_PS6_S6_ZZZN2at6native31launch_logcumsumexp_cuda_kernelERKNSD_10TensorBaseESH_lENKUlvE_clEvENKUlvE3_clEvEUlS6_S6_E_S6_EEDaPvRmT3_T4_T5_mT6_P12ihipStream_tbENKUlT_T0_E_clISt17integral_constantIbLb1EESX_IbLb0EEEEDaST_SU_EUlST_E0_NS1_11comp_targetILNS1_3genE3ELNS1_11target_archE908ELNS1_3gpuE7ELNS1_3repE0EEENS1_30default_config_static_selectorELNS0_4arch9wavefront6targetE1EEEvT1_, .Lfunc_end412-_ZN7rocprim17ROCPRIM_400000_NS6detail17trampoline_kernelINS0_14default_configENS1_20scan_config_selectorIN3c104HalfEEEZZNS1_9scan_implILNS1_25lookback_scan_determinismE0ELb0ELb0ES3_PKS6_PS6_S6_ZZZN2at6native31launch_logcumsumexp_cuda_kernelERKNSD_10TensorBaseESH_lENKUlvE_clEvENKUlvE3_clEvEUlS6_S6_E_S6_EEDaPvRmT3_T4_T5_mT6_P12ihipStream_tbENKUlT_T0_E_clISt17integral_constantIbLb1EESX_IbLb0EEEEDaST_SU_EUlST_E0_NS1_11comp_targetILNS1_3genE3ELNS1_11target_archE908ELNS1_3gpuE7ELNS1_3repE0EEENS1_30default_config_static_selectorELNS0_4arch9wavefront6targetE1EEEvT1_
                                        ; -- End function
	.section	.AMDGPU.csdata,"",@progbits
; Kernel info:
; codeLenInByte = 0
; NumSgprs: 4
; NumVgprs: 0
; NumAgprs: 0
; TotalNumVgprs: 0
; ScratchSize: 0
; MemoryBound: 0
; FloatMode: 240
; IeeeMode: 1
; LDSByteSize: 0 bytes/workgroup (compile time only)
; SGPRBlocks: 0
; VGPRBlocks: 0
; NumSGPRsForWavesPerEU: 4
; NumVGPRsForWavesPerEU: 1
; AccumOffset: 4
; Occupancy: 8
; WaveLimiterHint : 0
; COMPUTE_PGM_RSRC2:SCRATCH_EN: 0
; COMPUTE_PGM_RSRC2:USER_SGPR: 6
; COMPUTE_PGM_RSRC2:TRAP_HANDLER: 0
; COMPUTE_PGM_RSRC2:TGID_X_EN: 1
; COMPUTE_PGM_RSRC2:TGID_Y_EN: 0
; COMPUTE_PGM_RSRC2:TGID_Z_EN: 0
; COMPUTE_PGM_RSRC2:TIDIG_COMP_CNT: 0
; COMPUTE_PGM_RSRC3_GFX90A:ACCUM_OFFSET: 0
; COMPUTE_PGM_RSRC3_GFX90A:TG_SPLIT: 0
	.section	.text._ZN7rocprim17ROCPRIM_400000_NS6detail17trampoline_kernelINS0_14default_configENS1_20scan_config_selectorIN3c104HalfEEEZZNS1_9scan_implILNS1_25lookback_scan_determinismE0ELb0ELb0ES3_PKS6_PS6_S6_ZZZN2at6native31launch_logcumsumexp_cuda_kernelERKNSD_10TensorBaseESH_lENKUlvE_clEvENKUlvE3_clEvEUlS6_S6_E_S6_EEDaPvRmT3_T4_T5_mT6_P12ihipStream_tbENKUlT_T0_E_clISt17integral_constantIbLb1EESX_IbLb0EEEEDaST_SU_EUlST_E0_NS1_11comp_targetILNS1_3genE2ELNS1_11target_archE906ELNS1_3gpuE6ELNS1_3repE0EEENS1_30default_config_static_selectorELNS0_4arch9wavefront6targetE1EEEvT1_,"axG",@progbits,_ZN7rocprim17ROCPRIM_400000_NS6detail17trampoline_kernelINS0_14default_configENS1_20scan_config_selectorIN3c104HalfEEEZZNS1_9scan_implILNS1_25lookback_scan_determinismE0ELb0ELb0ES3_PKS6_PS6_S6_ZZZN2at6native31launch_logcumsumexp_cuda_kernelERKNSD_10TensorBaseESH_lENKUlvE_clEvENKUlvE3_clEvEUlS6_S6_E_S6_EEDaPvRmT3_T4_T5_mT6_P12ihipStream_tbENKUlT_T0_E_clISt17integral_constantIbLb1EESX_IbLb0EEEEDaST_SU_EUlST_E0_NS1_11comp_targetILNS1_3genE2ELNS1_11target_archE906ELNS1_3gpuE6ELNS1_3repE0EEENS1_30default_config_static_selectorELNS0_4arch9wavefront6targetE1EEEvT1_,comdat
	.globl	_ZN7rocprim17ROCPRIM_400000_NS6detail17trampoline_kernelINS0_14default_configENS1_20scan_config_selectorIN3c104HalfEEEZZNS1_9scan_implILNS1_25lookback_scan_determinismE0ELb0ELb0ES3_PKS6_PS6_S6_ZZZN2at6native31launch_logcumsumexp_cuda_kernelERKNSD_10TensorBaseESH_lENKUlvE_clEvENKUlvE3_clEvEUlS6_S6_E_S6_EEDaPvRmT3_T4_T5_mT6_P12ihipStream_tbENKUlT_T0_E_clISt17integral_constantIbLb1EESX_IbLb0EEEEDaST_SU_EUlST_E0_NS1_11comp_targetILNS1_3genE2ELNS1_11target_archE906ELNS1_3gpuE6ELNS1_3repE0EEENS1_30default_config_static_selectorELNS0_4arch9wavefront6targetE1EEEvT1_ ; -- Begin function _ZN7rocprim17ROCPRIM_400000_NS6detail17trampoline_kernelINS0_14default_configENS1_20scan_config_selectorIN3c104HalfEEEZZNS1_9scan_implILNS1_25lookback_scan_determinismE0ELb0ELb0ES3_PKS6_PS6_S6_ZZZN2at6native31launch_logcumsumexp_cuda_kernelERKNSD_10TensorBaseESH_lENKUlvE_clEvENKUlvE3_clEvEUlS6_S6_E_S6_EEDaPvRmT3_T4_T5_mT6_P12ihipStream_tbENKUlT_T0_E_clISt17integral_constantIbLb1EESX_IbLb0EEEEDaST_SU_EUlST_E0_NS1_11comp_targetILNS1_3genE2ELNS1_11target_archE906ELNS1_3gpuE6ELNS1_3repE0EEENS1_30default_config_static_selectorELNS0_4arch9wavefront6targetE1EEEvT1_
	.p2align	8
	.type	_ZN7rocprim17ROCPRIM_400000_NS6detail17trampoline_kernelINS0_14default_configENS1_20scan_config_selectorIN3c104HalfEEEZZNS1_9scan_implILNS1_25lookback_scan_determinismE0ELb0ELb0ES3_PKS6_PS6_S6_ZZZN2at6native31launch_logcumsumexp_cuda_kernelERKNSD_10TensorBaseESH_lENKUlvE_clEvENKUlvE3_clEvEUlS6_S6_E_S6_EEDaPvRmT3_T4_T5_mT6_P12ihipStream_tbENKUlT_T0_E_clISt17integral_constantIbLb1EESX_IbLb0EEEEDaST_SU_EUlST_E0_NS1_11comp_targetILNS1_3genE2ELNS1_11target_archE906ELNS1_3gpuE6ELNS1_3repE0EEENS1_30default_config_static_selectorELNS0_4arch9wavefront6targetE1EEEvT1_,@function
_ZN7rocprim17ROCPRIM_400000_NS6detail17trampoline_kernelINS0_14default_configENS1_20scan_config_selectorIN3c104HalfEEEZZNS1_9scan_implILNS1_25lookback_scan_determinismE0ELb0ELb0ES3_PKS6_PS6_S6_ZZZN2at6native31launch_logcumsumexp_cuda_kernelERKNSD_10TensorBaseESH_lENKUlvE_clEvENKUlvE3_clEvEUlS6_S6_E_S6_EEDaPvRmT3_T4_T5_mT6_P12ihipStream_tbENKUlT_T0_E_clISt17integral_constantIbLb1EESX_IbLb0EEEEDaST_SU_EUlST_E0_NS1_11comp_targetILNS1_3genE2ELNS1_11target_archE906ELNS1_3gpuE6ELNS1_3repE0EEENS1_30default_config_static_selectorELNS0_4arch9wavefront6targetE1EEEvT1_: ; @_ZN7rocprim17ROCPRIM_400000_NS6detail17trampoline_kernelINS0_14default_configENS1_20scan_config_selectorIN3c104HalfEEEZZNS1_9scan_implILNS1_25lookback_scan_determinismE0ELb0ELb0ES3_PKS6_PS6_S6_ZZZN2at6native31launch_logcumsumexp_cuda_kernelERKNSD_10TensorBaseESH_lENKUlvE_clEvENKUlvE3_clEvEUlS6_S6_E_S6_EEDaPvRmT3_T4_T5_mT6_P12ihipStream_tbENKUlT_T0_E_clISt17integral_constantIbLb1EESX_IbLb0EEEEDaST_SU_EUlST_E0_NS1_11comp_targetILNS1_3genE2ELNS1_11target_archE906ELNS1_3gpuE6ELNS1_3repE0EEENS1_30default_config_static_selectorELNS0_4arch9wavefront6targetE1EEEvT1_
; %bb.0:
	.section	.rodata,"a",@progbits
	.p2align	6, 0x0
	.amdhsa_kernel _ZN7rocprim17ROCPRIM_400000_NS6detail17trampoline_kernelINS0_14default_configENS1_20scan_config_selectorIN3c104HalfEEEZZNS1_9scan_implILNS1_25lookback_scan_determinismE0ELb0ELb0ES3_PKS6_PS6_S6_ZZZN2at6native31launch_logcumsumexp_cuda_kernelERKNSD_10TensorBaseESH_lENKUlvE_clEvENKUlvE3_clEvEUlS6_S6_E_S6_EEDaPvRmT3_T4_T5_mT6_P12ihipStream_tbENKUlT_T0_E_clISt17integral_constantIbLb1EESX_IbLb0EEEEDaST_SU_EUlST_E0_NS1_11comp_targetILNS1_3genE2ELNS1_11target_archE906ELNS1_3gpuE6ELNS1_3repE0EEENS1_30default_config_static_selectorELNS0_4arch9wavefront6targetE1EEEvT1_
		.amdhsa_group_segment_fixed_size 0
		.amdhsa_private_segment_fixed_size 0
		.amdhsa_kernarg_size 32
		.amdhsa_user_sgpr_count 6
		.amdhsa_user_sgpr_private_segment_buffer 1
		.amdhsa_user_sgpr_dispatch_ptr 0
		.amdhsa_user_sgpr_queue_ptr 0
		.amdhsa_user_sgpr_kernarg_segment_ptr 1
		.amdhsa_user_sgpr_dispatch_id 0
		.amdhsa_user_sgpr_flat_scratch_init 0
		.amdhsa_user_sgpr_kernarg_preload_length 0
		.amdhsa_user_sgpr_kernarg_preload_offset 0
		.amdhsa_user_sgpr_private_segment_size 0
		.amdhsa_uses_dynamic_stack 0
		.amdhsa_system_sgpr_private_segment_wavefront_offset 0
		.amdhsa_system_sgpr_workgroup_id_x 1
		.amdhsa_system_sgpr_workgroup_id_y 0
		.amdhsa_system_sgpr_workgroup_id_z 0
		.amdhsa_system_sgpr_workgroup_info 0
		.amdhsa_system_vgpr_workitem_id 0
		.amdhsa_next_free_vgpr 1
		.amdhsa_next_free_sgpr 0
		.amdhsa_accum_offset 4
		.amdhsa_reserve_vcc 0
		.amdhsa_reserve_flat_scratch 0
		.amdhsa_float_round_mode_32 0
		.amdhsa_float_round_mode_16_64 0
		.amdhsa_float_denorm_mode_32 3
		.amdhsa_float_denorm_mode_16_64 3
		.amdhsa_dx10_clamp 1
		.amdhsa_ieee_mode 1
		.amdhsa_fp16_overflow 0
		.amdhsa_tg_split 0
		.amdhsa_exception_fp_ieee_invalid_op 0
		.amdhsa_exception_fp_denorm_src 0
		.amdhsa_exception_fp_ieee_div_zero 0
		.amdhsa_exception_fp_ieee_overflow 0
		.amdhsa_exception_fp_ieee_underflow 0
		.amdhsa_exception_fp_ieee_inexact 0
		.amdhsa_exception_int_div_zero 0
	.end_amdhsa_kernel
	.section	.text._ZN7rocprim17ROCPRIM_400000_NS6detail17trampoline_kernelINS0_14default_configENS1_20scan_config_selectorIN3c104HalfEEEZZNS1_9scan_implILNS1_25lookback_scan_determinismE0ELb0ELb0ES3_PKS6_PS6_S6_ZZZN2at6native31launch_logcumsumexp_cuda_kernelERKNSD_10TensorBaseESH_lENKUlvE_clEvENKUlvE3_clEvEUlS6_S6_E_S6_EEDaPvRmT3_T4_T5_mT6_P12ihipStream_tbENKUlT_T0_E_clISt17integral_constantIbLb1EESX_IbLb0EEEEDaST_SU_EUlST_E0_NS1_11comp_targetILNS1_3genE2ELNS1_11target_archE906ELNS1_3gpuE6ELNS1_3repE0EEENS1_30default_config_static_selectorELNS0_4arch9wavefront6targetE1EEEvT1_,"axG",@progbits,_ZN7rocprim17ROCPRIM_400000_NS6detail17trampoline_kernelINS0_14default_configENS1_20scan_config_selectorIN3c104HalfEEEZZNS1_9scan_implILNS1_25lookback_scan_determinismE0ELb0ELb0ES3_PKS6_PS6_S6_ZZZN2at6native31launch_logcumsumexp_cuda_kernelERKNSD_10TensorBaseESH_lENKUlvE_clEvENKUlvE3_clEvEUlS6_S6_E_S6_EEDaPvRmT3_T4_T5_mT6_P12ihipStream_tbENKUlT_T0_E_clISt17integral_constantIbLb1EESX_IbLb0EEEEDaST_SU_EUlST_E0_NS1_11comp_targetILNS1_3genE2ELNS1_11target_archE906ELNS1_3gpuE6ELNS1_3repE0EEENS1_30default_config_static_selectorELNS0_4arch9wavefront6targetE1EEEvT1_,comdat
.Lfunc_end413:
	.size	_ZN7rocprim17ROCPRIM_400000_NS6detail17trampoline_kernelINS0_14default_configENS1_20scan_config_selectorIN3c104HalfEEEZZNS1_9scan_implILNS1_25lookback_scan_determinismE0ELb0ELb0ES3_PKS6_PS6_S6_ZZZN2at6native31launch_logcumsumexp_cuda_kernelERKNSD_10TensorBaseESH_lENKUlvE_clEvENKUlvE3_clEvEUlS6_S6_E_S6_EEDaPvRmT3_T4_T5_mT6_P12ihipStream_tbENKUlT_T0_E_clISt17integral_constantIbLb1EESX_IbLb0EEEEDaST_SU_EUlST_E0_NS1_11comp_targetILNS1_3genE2ELNS1_11target_archE906ELNS1_3gpuE6ELNS1_3repE0EEENS1_30default_config_static_selectorELNS0_4arch9wavefront6targetE1EEEvT1_, .Lfunc_end413-_ZN7rocprim17ROCPRIM_400000_NS6detail17trampoline_kernelINS0_14default_configENS1_20scan_config_selectorIN3c104HalfEEEZZNS1_9scan_implILNS1_25lookback_scan_determinismE0ELb0ELb0ES3_PKS6_PS6_S6_ZZZN2at6native31launch_logcumsumexp_cuda_kernelERKNSD_10TensorBaseESH_lENKUlvE_clEvENKUlvE3_clEvEUlS6_S6_E_S6_EEDaPvRmT3_T4_T5_mT6_P12ihipStream_tbENKUlT_T0_E_clISt17integral_constantIbLb1EESX_IbLb0EEEEDaST_SU_EUlST_E0_NS1_11comp_targetILNS1_3genE2ELNS1_11target_archE906ELNS1_3gpuE6ELNS1_3repE0EEENS1_30default_config_static_selectorELNS0_4arch9wavefront6targetE1EEEvT1_
                                        ; -- End function
	.section	.AMDGPU.csdata,"",@progbits
; Kernel info:
; codeLenInByte = 0
; NumSgprs: 4
; NumVgprs: 0
; NumAgprs: 0
; TotalNumVgprs: 0
; ScratchSize: 0
; MemoryBound: 0
; FloatMode: 240
; IeeeMode: 1
; LDSByteSize: 0 bytes/workgroup (compile time only)
; SGPRBlocks: 0
; VGPRBlocks: 0
; NumSGPRsForWavesPerEU: 4
; NumVGPRsForWavesPerEU: 1
; AccumOffset: 4
; Occupancy: 8
; WaveLimiterHint : 0
; COMPUTE_PGM_RSRC2:SCRATCH_EN: 0
; COMPUTE_PGM_RSRC2:USER_SGPR: 6
; COMPUTE_PGM_RSRC2:TRAP_HANDLER: 0
; COMPUTE_PGM_RSRC2:TGID_X_EN: 1
; COMPUTE_PGM_RSRC2:TGID_Y_EN: 0
; COMPUTE_PGM_RSRC2:TGID_Z_EN: 0
; COMPUTE_PGM_RSRC2:TIDIG_COMP_CNT: 0
; COMPUTE_PGM_RSRC3_GFX90A:ACCUM_OFFSET: 0
; COMPUTE_PGM_RSRC3_GFX90A:TG_SPLIT: 0
	.section	.text._ZN7rocprim17ROCPRIM_400000_NS6detail17trampoline_kernelINS0_14default_configENS1_20scan_config_selectorIN3c104HalfEEEZZNS1_9scan_implILNS1_25lookback_scan_determinismE0ELb0ELb0ES3_PKS6_PS6_S6_ZZZN2at6native31launch_logcumsumexp_cuda_kernelERKNSD_10TensorBaseESH_lENKUlvE_clEvENKUlvE3_clEvEUlS6_S6_E_S6_EEDaPvRmT3_T4_T5_mT6_P12ihipStream_tbENKUlT_T0_E_clISt17integral_constantIbLb1EESX_IbLb0EEEEDaST_SU_EUlST_E0_NS1_11comp_targetILNS1_3genE10ELNS1_11target_archE1201ELNS1_3gpuE5ELNS1_3repE0EEENS1_30default_config_static_selectorELNS0_4arch9wavefront6targetE1EEEvT1_,"axG",@progbits,_ZN7rocprim17ROCPRIM_400000_NS6detail17trampoline_kernelINS0_14default_configENS1_20scan_config_selectorIN3c104HalfEEEZZNS1_9scan_implILNS1_25lookback_scan_determinismE0ELb0ELb0ES3_PKS6_PS6_S6_ZZZN2at6native31launch_logcumsumexp_cuda_kernelERKNSD_10TensorBaseESH_lENKUlvE_clEvENKUlvE3_clEvEUlS6_S6_E_S6_EEDaPvRmT3_T4_T5_mT6_P12ihipStream_tbENKUlT_T0_E_clISt17integral_constantIbLb1EESX_IbLb0EEEEDaST_SU_EUlST_E0_NS1_11comp_targetILNS1_3genE10ELNS1_11target_archE1201ELNS1_3gpuE5ELNS1_3repE0EEENS1_30default_config_static_selectorELNS0_4arch9wavefront6targetE1EEEvT1_,comdat
	.globl	_ZN7rocprim17ROCPRIM_400000_NS6detail17trampoline_kernelINS0_14default_configENS1_20scan_config_selectorIN3c104HalfEEEZZNS1_9scan_implILNS1_25lookback_scan_determinismE0ELb0ELb0ES3_PKS6_PS6_S6_ZZZN2at6native31launch_logcumsumexp_cuda_kernelERKNSD_10TensorBaseESH_lENKUlvE_clEvENKUlvE3_clEvEUlS6_S6_E_S6_EEDaPvRmT3_T4_T5_mT6_P12ihipStream_tbENKUlT_T0_E_clISt17integral_constantIbLb1EESX_IbLb0EEEEDaST_SU_EUlST_E0_NS1_11comp_targetILNS1_3genE10ELNS1_11target_archE1201ELNS1_3gpuE5ELNS1_3repE0EEENS1_30default_config_static_selectorELNS0_4arch9wavefront6targetE1EEEvT1_ ; -- Begin function _ZN7rocprim17ROCPRIM_400000_NS6detail17trampoline_kernelINS0_14default_configENS1_20scan_config_selectorIN3c104HalfEEEZZNS1_9scan_implILNS1_25lookback_scan_determinismE0ELb0ELb0ES3_PKS6_PS6_S6_ZZZN2at6native31launch_logcumsumexp_cuda_kernelERKNSD_10TensorBaseESH_lENKUlvE_clEvENKUlvE3_clEvEUlS6_S6_E_S6_EEDaPvRmT3_T4_T5_mT6_P12ihipStream_tbENKUlT_T0_E_clISt17integral_constantIbLb1EESX_IbLb0EEEEDaST_SU_EUlST_E0_NS1_11comp_targetILNS1_3genE10ELNS1_11target_archE1201ELNS1_3gpuE5ELNS1_3repE0EEENS1_30default_config_static_selectorELNS0_4arch9wavefront6targetE1EEEvT1_
	.p2align	8
	.type	_ZN7rocprim17ROCPRIM_400000_NS6detail17trampoline_kernelINS0_14default_configENS1_20scan_config_selectorIN3c104HalfEEEZZNS1_9scan_implILNS1_25lookback_scan_determinismE0ELb0ELb0ES3_PKS6_PS6_S6_ZZZN2at6native31launch_logcumsumexp_cuda_kernelERKNSD_10TensorBaseESH_lENKUlvE_clEvENKUlvE3_clEvEUlS6_S6_E_S6_EEDaPvRmT3_T4_T5_mT6_P12ihipStream_tbENKUlT_T0_E_clISt17integral_constantIbLb1EESX_IbLb0EEEEDaST_SU_EUlST_E0_NS1_11comp_targetILNS1_3genE10ELNS1_11target_archE1201ELNS1_3gpuE5ELNS1_3repE0EEENS1_30default_config_static_selectorELNS0_4arch9wavefront6targetE1EEEvT1_,@function
_ZN7rocprim17ROCPRIM_400000_NS6detail17trampoline_kernelINS0_14default_configENS1_20scan_config_selectorIN3c104HalfEEEZZNS1_9scan_implILNS1_25lookback_scan_determinismE0ELb0ELb0ES3_PKS6_PS6_S6_ZZZN2at6native31launch_logcumsumexp_cuda_kernelERKNSD_10TensorBaseESH_lENKUlvE_clEvENKUlvE3_clEvEUlS6_S6_E_S6_EEDaPvRmT3_T4_T5_mT6_P12ihipStream_tbENKUlT_T0_E_clISt17integral_constantIbLb1EESX_IbLb0EEEEDaST_SU_EUlST_E0_NS1_11comp_targetILNS1_3genE10ELNS1_11target_archE1201ELNS1_3gpuE5ELNS1_3repE0EEENS1_30default_config_static_selectorELNS0_4arch9wavefront6targetE1EEEvT1_: ; @_ZN7rocprim17ROCPRIM_400000_NS6detail17trampoline_kernelINS0_14default_configENS1_20scan_config_selectorIN3c104HalfEEEZZNS1_9scan_implILNS1_25lookback_scan_determinismE0ELb0ELb0ES3_PKS6_PS6_S6_ZZZN2at6native31launch_logcumsumexp_cuda_kernelERKNSD_10TensorBaseESH_lENKUlvE_clEvENKUlvE3_clEvEUlS6_S6_E_S6_EEDaPvRmT3_T4_T5_mT6_P12ihipStream_tbENKUlT_T0_E_clISt17integral_constantIbLb1EESX_IbLb0EEEEDaST_SU_EUlST_E0_NS1_11comp_targetILNS1_3genE10ELNS1_11target_archE1201ELNS1_3gpuE5ELNS1_3repE0EEENS1_30default_config_static_selectorELNS0_4arch9wavefront6targetE1EEEvT1_
; %bb.0:
	.section	.rodata,"a",@progbits
	.p2align	6, 0x0
	.amdhsa_kernel _ZN7rocprim17ROCPRIM_400000_NS6detail17trampoline_kernelINS0_14default_configENS1_20scan_config_selectorIN3c104HalfEEEZZNS1_9scan_implILNS1_25lookback_scan_determinismE0ELb0ELb0ES3_PKS6_PS6_S6_ZZZN2at6native31launch_logcumsumexp_cuda_kernelERKNSD_10TensorBaseESH_lENKUlvE_clEvENKUlvE3_clEvEUlS6_S6_E_S6_EEDaPvRmT3_T4_T5_mT6_P12ihipStream_tbENKUlT_T0_E_clISt17integral_constantIbLb1EESX_IbLb0EEEEDaST_SU_EUlST_E0_NS1_11comp_targetILNS1_3genE10ELNS1_11target_archE1201ELNS1_3gpuE5ELNS1_3repE0EEENS1_30default_config_static_selectorELNS0_4arch9wavefront6targetE1EEEvT1_
		.amdhsa_group_segment_fixed_size 0
		.amdhsa_private_segment_fixed_size 0
		.amdhsa_kernarg_size 32
		.amdhsa_user_sgpr_count 6
		.amdhsa_user_sgpr_private_segment_buffer 1
		.amdhsa_user_sgpr_dispatch_ptr 0
		.amdhsa_user_sgpr_queue_ptr 0
		.amdhsa_user_sgpr_kernarg_segment_ptr 1
		.amdhsa_user_sgpr_dispatch_id 0
		.amdhsa_user_sgpr_flat_scratch_init 0
		.amdhsa_user_sgpr_kernarg_preload_length 0
		.amdhsa_user_sgpr_kernarg_preload_offset 0
		.amdhsa_user_sgpr_private_segment_size 0
		.amdhsa_uses_dynamic_stack 0
		.amdhsa_system_sgpr_private_segment_wavefront_offset 0
		.amdhsa_system_sgpr_workgroup_id_x 1
		.amdhsa_system_sgpr_workgroup_id_y 0
		.amdhsa_system_sgpr_workgroup_id_z 0
		.amdhsa_system_sgpr_workgroup_info 0
		.amdhsa_system_vgpr_workitem_id 0
		.amdhsa_next_free_vgpr 1
		.amdhsa_next_free_sgpr 0
		.amdhsa_accum_offset 4
		.amdhsa_reserve_vcc 0
		.amdhsa_reserve_flat_scratch 0
		.amdhsa_float_round_mode_32 0
		.amdhsa_float_round_mode_16_64 0
		.amdhsa_float_denorm_mode_32 3
		.amdhsa_float_denorm_mode_16_64 3
		.amdhsa_dx10_clamp 1
		.amdhsa_ieee_mode 1
		.amdhsa_fp16_overflow 0
		.amdhsa_tg_split 0
		.amdhsa_exception_fp_ieee_invalid_op 0
		.amdhsa_exception_fp_denorm_src 0
		.amdhsa_exception_fp_ieee_div_zero 0
		.amdhsa_exception_fp_ieee_overflow 0
		.amdhsa_exception_fp_ieee_underflow 0
		.amdhsa_exception_fp_ieee_inexact 0
		.amdhsa_exception_int_div_zero 0
	.end_amdhsa_kernel
	.section	.text._ZN7rocprim17ROCPRIM_400000_NS6detail17trampoline_kernelINS0_14default_configENS1_20scan_config_selectorIN3c104HalfEEEZZNS1_9scan_implILNS1_25lookback_scan_determinismE0ELb0ELb0ES3_PKS6_PS6_S6_ZZZN2at6native31launch_logcumsumexp_cuda_kernelERKNSD_10TensorBaseESH_lENKUlvE_clEvENKUlvE3_clEvEUlS6_S6_E_S6_EEDaPvRmT3_T4_T5_mT6_P12ihipStream_tbENKUlT_T0_E_clISt17integral_constantIbLb1EESX_IbLb0EEEEDaST_SU_EUlST_E0_NS1_11comp_targetILNS1_3genE10ELNS1_11target_archE1201ELNS1_3gpuE5ELNS1_3repE0EEENS1_30default_config_static_selectorELNS0_4arch9wavefront6targetE1EEEvT1_,"axG",@progbits,_ZN7rocprim17ROCPRIM_400000_NS6detail17trampoline_kernelINS0_14default_configENS1_20scan_config_selectorIN3c104HalfEEEZZNS1_9scan_implILNS1_25lookback_scan_determinismE0ELb0ELb0ES3_PKS6_PS6_S6_ZZZN2at6native31launch_logcumsumexp_cuda_kernelERKNSD_10TensorBaseESH_lENKUlvE_clEvENKUlvE3_clEvEUlS6_S6_E_S6_EEDaPvRmT3_T4_T5_mT6_P12ihipStream_tbENKUlT_T0_E_clISt17integral_constantIbLb1EESX_IbLb0EEEEDaST_SU_EUlST_E0_NS1_11comp_targetILNS1_3genE10ELNS1_11target_archE1201ELNS1_3gpuE5ELNS1_3repE0EEENS1_30default_config_static_selectorELNS0_4arch9wavefront6targetE1EEEvT1_,comdat
.Lfunc_end414:
	.size	_ZN7rocprim17ROCPRIM_400000_NS6detail17trampoline_kernelINS0_14default_configENS1_20scan_config_selectorIN3c104HalfEEEZZNS1_9scan_implILNS1_25lookback_scan_determinismE0ELb0ELb0ES3_PKS6_PS6_S6_ZZZN2at6native31launch_logcumsumexp_cuda_kernelERKNSD_10TensorBaseESH_lENKUlvE_clEvENKUlvE3_clEvEUlS6_S6_E_S6_EEDaPvRmT3_T4_T5_mT6_P12ihipStream_tbENKUlT_T0_E_clISt17integral_constantIbLb1EESX_IbLb0EEEEDaST_SU_EUlST_E0_NS1_11comp_targetILNS1_3genE10ELNS1_11target_archE1201ELNS1_3gpuE5ELNS1_3repE0EEENS1_30default_config_static_selectorELNS0_4arch9wavefront6targetE1EEEvT1_, .Lfunc_end414-_ZN7rocprim17ROCPRIM_400000_NS6detail17trampoline_kernelINS0_14default_configENS1_20scan_config_selectorIN3c104HalfEEEZZNS1_9scan_implILNS1_25lookback_scan_determinismE0ELb0ELb0ES3_PKS6_PS6_S6_ZZZN2at6native31launch_logcumsumexp_cuda_kernelERKNSD_10TensorBaseESH_lENKUlvE_clEvENKUlvE3_clEvEUlS6_S6_E_S6_EEDaPvRmT3_T4_T5_mT6_P12ihipStream_tbENKUlT_T0_E_clISt17integral_constantIbLb1EESX_IbLb0EEEEDaST_SU_EUlST_E0_NS1_11comp_targetILNS1_3genE10ELNS1_11target_archE1201ELNS1_3gpuE5ELNS1_3repE0EEENS1_30default_config_static_selectorELNS0_4arch9wavefront6targetE1EEEvT1_
                                        ; -- End function
	.section	.AMDGPU.csdata,"",@progbits
; Kernel info:
; codeLenInByte = 0
; NumSgprs: 4
; NumVgprs: 0
; NumAgprs: 0
; TotalNumVgprs: 0
; ScratchSize: 0
; MemoryBound: 0
; FloatMode: 240
; IeeeMode: 1
; LDSByteSize: 0 bytes/workgroup (compile time only)
; SGPRBlocks: 0
; VGPRBlocks: 0
; NumSGPRsForWavesPerEU: 4
; NumVGPRsForWavesPerEU: 1
; AccumOffset: 4
; Occupancy: 8
; WaveLimiterHint : 0
; COMPUTE_PGM_RSRC2:SCRATCH_EN: 0
; COMPUTE_PGM_RSRC2:USER_SGPR: 6
; COMPUTE_PGM_RSRC2:TRAP_HANDLER: 0
; COMPUTE_PGM_RSRC2:TGID_X_EN: 1
; COMPUTE_PGM_RSRC2:TGID_Y_EN: 0
; COMPUTE_PGM_RSRC2:TGID_Z_EN: 0
; COMPUTE_PGM_RSRC2:TIDIG_COMP_CNT: 0
; COMPUTE_PGM_RSRC3_GFX90A:ACCUM_OFFSET: 0
; COMPUTE_PGM_RSRC3_GFX90A:TG_SPLIT: 0
	.section	.text._ZN7rocprim17ROCPRIM_400000_NS6detail17trampoline_kernelINS0_14default_configENS1_20scan_config_selectorIN3c104HalfEEEZZNS1_9scan_implILNS1_25lookback_scan_determinismE0ELb0ELb0ES3_PKS6_PS6_S6_ZZZN2at6native31launch_logcumsumexp_cuda_kernelERKNSD_10TensorBaseESH_lENKUlvE_clEvENKUlvE3_clEvEUlS6_S6_E_S6_EEDaPvRmT3_T4_T5_mT6_P12ihipStream_tbENKUlT_T0_E_clISt17integral_constantIbLb1EESX_IbLb0EEEEDaST_SU_EUlST_E0_NS1_11comp_targetILNS1_3genE10ELNS1_11target_archE1200ELNS1_3gpuE4ELNS1_3repE0EEENS1_30default_config_static_selectorELNS0_4arch9wavefront6targetE1EEEvT1_,"axG",@progbits,_ZN7rocprim17ROCPRIM_400000_NS6detail17trampoline_kernelINS0_14default_configENS1_20scan_config_selectorIN3c104HalfEEEZZNS1_9scan_implILNS1_25lookback_scan_determinismE0ELb0ELb0ES3_PKS6_PS6_S6_ZZZN2at6native31launch_logcumsumexp_cuda_kernelERKNSD_10TensorBaseESH_lENKUlvE_clEvENKUlvE3_clEvEUlS6_S6_E_S6_EEDaPvRmT3_T4_T5_mT6_P12ihipStream_tbENKUlT_T0_E_clISt17integral_constantIbLb1EESX_IbLb0EEEEDaST_SU_EUlST_E0_NS1_11comp_targetILNS1_3genE10ELNS1_11target_archE1200ELNS1_3gpuE4ELNS1_3repE0EEENS1_30default_config_static_selectorELNS0_4arch9wavefront6targetE1EEEvT1_,comdat
	.globl	_ZN7rocprim17ROCPRIM_400000_NS6detail17trampoline_kernelINS0_14default_configENS1_20scan_config_selectorIN3c104HalfEEEZZNS1_9scan_implILNS1_25lookback_scan_determinismE0ELb0ELb0ES3_PKS6_PS6_S6_ZZZN2at6native31launch_logcumsumexp_cuda_kernelERKNSD_10TensorBaseESH_lENKUlvE_clEvENKUlvE3_clEvEUlS6_S6_E_S6_EEDaPvRmT3_T4_T5_mT6_P12ihipStream_tbENKUlT_T0_E_clISt17integral_constantIbLb1EESX_IbLb0EEEEDaST_SU_EUlST_E0_NS1_11comp_targetILNS1_3genE10ELNS1_11target_archE1200ELNS1_3gpuE4ELNS1_3repE0EEENS1_30default_config_static_selectorELNS0_4arch9wavefront6targetE1EEEvT1_ ; -- Begin function _ZN7rocprim17ROCPRIM_400000_NS6detail17trampoline_kernelINS0_14default_configENS1_20scan_config_selectorIN3c104HalfEEEZZNS1_9scan_implILNS1_25lookback_scan_determinismE0ELb0ELb0ES3_PKS6_PS6_S6_ZZZN2at6native31launch_logcumsumexp_cuda_kernelERKNSD_10TensorBaseESH_lENKUlvE_clEvENKUlvE3_clEvEUlS6_S6_E_S6_EEDaPvRmT3_T4_T5_mT6_P12ihipStream_tbENKUlT_T0_E_clISt17integral_constantIbLb1EESX_IbLb0EEEEDaST_SU_EUlST_E0_NS1_11comp_targetILNS1_3genE10ELNS1_11target_archE1200ELNS1_3gpuE4ELNS1_3repE0EEENS1_30default_config_static_selectorELNS0_4arch9wavefront6targetE1EEEvT1_
	.p2align	8
	.type	_ZN7rocprim17ROCPRIM_400000_NS6detail17trampoline_kernelINS0_14default_configENS1_20scan_config_selectorIN3c104HalfEEEZZNS1_9scan_implILNS1_25lookback_scan_determinismE0ELb0ELb0ES3_PKS6_PS6_S6_ZZZN2at6native31launch_logcumsumexp_cuda_kernelERKNSD_10TensorBaseESH_lENKUlvE_clEvENKUlvE3_clEvEUlS6_S6_E_S6_EEDaPvRmT3_T4_T5_mT6_P12ihipStream_tbENKUlT_T0_E_clISt17integral_constantIbLb1EESX_IbLb0EEEEDaST_SU_EUlST_E0_NS1_11comp_targetILNS1_3genE10ELNS1_11target_archE1200ELNS1_3gpuE4ELNS1_3repE0EEENS1_30default_config_static_selectorELNS0_4arch9wavefront6targetE1EEEvT1_,@function
_ZN7rocprim17ROCPRIM_400000_NS6detail17trampoline_kernelINS0_14default_configENS1_20scan_config_selectorIN3c104HalfEEEZZNS1_9scan_implILNS1_25lookback_scan_determinismE0ELb0ELb0ES3_PKS6_PS6_S6_ZZZN2at6native31launch_logcumsumexp_cuda_kernelERKNSD_10TensorBaseESH_lENKUlvE_clEvENKUlvE3_clEvEUlS6_S6_E_S6_EEDaPvRmT3_T4_T5_mT6_P12ihipStream_tbENKUlT_T0_E_clISt17integral_constantIbLb1EESX_IbLb0EEEEDaST_SU_EUlST_E0_NS1_11comp_targetILNS1_3genE10ELNS1_11target_archE1200ELNS1_3gpuE4ELNS1_3repE0EEENS1_30default_config_static_selectorELNS0_4arch9wavefront6targetE1EEEvT1_: ; @_ZN7rocprim17ROCPRIM_400000_NS6detail17trampoline_kernelINS0_14default_configENS1_20scan_config_selectorIN3c104HalfEEEZZNS1_9scan_implILNS1_25lookback_scan_determinismE0ELb0ELb0ES3_PKS6_PS6_S6_ZZZN2at6native31launch_logcumsumexp_cuda_kernelERKNSD_10TensorBaseESH_lENKUlvE_clEvENKUlvE3_clEvEUlS6_S6_E_S6_EEDaPvRmT3_T4_T5_mT6_P12ihipStream_tbENKUlT_T0_E_clISt17integral_constantIbLb1EESX_IbLb0EEEEDaST_SU_EUlST_E0_NS1_11comp_targetILNS1_3genE10ELNS1_11target_archE1200ELNS1_3gpuE4ELNS1_3repE0EEENS1_30default_config_static_selectorELNS0_4arch9wavefront6targetE1EEEvT1_
; %bb.0:
	.section	.rodata,"a",@progbits
	.p2align	6, 0x0
	.amdhsa_kernel _ZN7rocprim17ROCPRIM_400000_NS6detail17trampoline_kernelINS0_14default_configENS1_20scan_config_selectorIN3c104HalfEEEZZNS1_9scan_implILNS1_25lookback_scan_determinismE0ELb0ELb0ES3_PKS6_PS6_S6_ZZZN2at6native31launch_logcumsumexp_cuda_kernelERKNSD_10TensorBaseESH_lENKUlvE_clEvENKUlvE3_clEvEUlS6_S6_E_S6_EEDaPvRmT3_T4_T5_mT6_P12ihipStream_tbENKUlT_T0_E_clISt17integral_constantIbLb1EESX_IbLb0EEEEDaST_SU_EUlST_E0_NS1_11comp_targetILNS1_3genE10ELNS1_11target_archE1200ELNS1_3gpuE4ELNS1_3repE0EEENS1_30default_config_static_selectorELNS0_4arch9wavefront6targetE1EEEvT1_
		.amdhsa_group_segment_fixed_size 0
		.amdhsa_private_segment_fixed_size 0
		.amdhsa_kernarg_size 32
		.amdhsa_user_sgpr_count 6
		.amdhsa_user_sgpr_private_segment_buffer 1
		.amdhsa_user_sgpr_dispatch_ptr 0
		.amdhsa_user_sgpr_queue_ptr 0
		.amdhsa_user_sgpr_kernarg_segment_ptr 1
		.amdhsa_user_sgpr_dispatch_id 0
		.amdhsa_user_sgpr_flat_scratch_init 0
		.amdhsa_user_sgpr_kernarg_preload_length 0
		.amdhsa_user_sgpr_kernarg_preload_offset 0
		.amdhsa_user_sgpr_private_segment_size 0
		.amdhsa_uses_dynamic_stack 0
		.amdhsa_system_sgpr_private_segment_wavefront_offset 0
		.amdhsa_system_sgpr_workgroup_id_x 1
		.amdhsa_system_sgpr_workgroup_id_y 0
		.amdhsa_system_sgpr_workgroup_id_z 0
		.amdhsa_system_sgpr_workgroup_info 0
		.amdhsa_system_vgpr_workitem_id 0
		.amdhsa_next_free_vgpr 1
		.amdhsa_next_free_sgpr 0
		.amdhsa_accum_offset 4
		.amdhsa_reserve_vcc 0
		.amdhsa_reserve_flat_scratch 0
		.amdhsa_float_round_mode_32 0
		.amdhsa_float_round_mode_16_64 0
		.amdhsa_float_denorm_mode_32 3
		.amdhsa_float_denorm_mode_16_64 3
		.amdhsa_dx10_clamp 1
		.amdhsa_ieee_mode 1
		.amdhsa_fp16_overflow 0
		.amdhsa_tg_split 0
		.amdhsa_exception_fp_ieee_invalid_op 0
		.amdhsa_exception_fp_denorm_src 0
		.amdhsa_exception_fp_ieee_div_zero 0
		.amdhsa_exception_fp_ieee_overflow 0
		.amdhsa_exception_fp_ieee_underflow 0
		.amdhsa_exception_fp_ieee_inexact 0
		.amdhsa_exception_int_div_zero 0
	.end_amdhsa_kernel
	.section	.text._ZN7rocprim17ROCPRIM_400000_NS6detail17trampoline_kernelINS0_14default_configENS1_20scan_config_selectorIN3c104HalfEEEZZNS1_9scan_implILNS1_25lookback_scan_determinismE0ELb0ELb0ES3_PKS6_PS6_S6_ZZZN2at6native31launch_logcumsumexp_cuda_kernelERKNSD_10TensorBaseESH_lENKUlvE_clEvENKUlvE3_clEvEUlS6_S6_E_S6_EEDaPvRmT3_T4_T5_mT6_P12ihipStream_tbENKUlT_T0_E_clISt17integral_constantIbLb1EESX_IbLb0EEEEDaST_SU_EUlST_E0_NS1_11comp_targetILNS1_3genE10ELNS1_11target_archE1200ELNS1_3gpuE4ELNS1_3repE0EEENS1_30default_config_static_selectorELNS0_4arch9wavefront6targetE1EEEvT1_,"axG",@progbits,_ZN7rocprim17ROCPRIM_400000_NS6detail17trampoline_kernelINS0_14default_configENS1_20scan_config_selectorIN3c104HalfEEEZZNS1_9scan_implILNS1_25lookback_scan_determinismE0ELb0ELb0ES3_PKS6_PS6_S6_ZZZN2at6native31launch_logcumsumexp_cuda_kernelERKNSD_10TensorBaseESH_lENKUlvE_clEvENKUlvE3_clEvEUlS6_S6_E_S6_EEDaPvRmT3_T4_T5_mT6_P12ihipStream_tbENKUlT_T0_E_clISt17integral_constantIbLb1EESX_IbLb0EEEEDaST_SU_EUlST_E0_NS1_11comp_targetILNS1_3genE10ELNS1_11target_archE1200ELNS1_3gpuE4ELNS1_3repE0EEENS1_30default_config_static_selectorELNS0_4arch9wavefront6targetE1EEEvT1_,comdat
.Lfunc_end415:
	.size	_ZN7rocprim17ROCPRIM_400000_NS6detail17trampoline_kernelINS0_14default_configENS1_20scan_config_selectorIN3c104HalfEEEZZNS1_9scan_implILNS1_25lookback_scan_determinismE0ELb0ELb0ES3_PKS6_PS6_S6_ZZZN2at6native31launch_logcumsumexp_cuda_kernelERKNSD_10TensorBaseESH_lENKUlvE_clEvENKUlvE3_clEvEUlS6_S6_E_S6_EEDaPvRmT3_T4_T5_mT6_P12ihipStream_tbENKUlT_T0_E_clISt17integral_constantIbLb1EESX_IbLb0EEEEDaST_SU_EUlST_E0_NS1_11comp_targetILNS1_3genE10ELNS1_11target_archE1200ELNS1_3gpuE4ELNS1_3repE0EEENS1_30default_config_static_selectorELNS0_4arch9wavefront6targetE1EEEvT1_, .Lfunc_end415-_ZN7rocprim17ROCPRIM_400000_NS6detail17trampoline_kernelINS0_14default_configENS1_20scan_config_selectorIN3c104HalfEEEZZNS1_9scan_implILNS1_25lookback_scan_determinismE0ELb0ELb0ES3_PKS6_PS6_S6_ZZZN2at6native31launch_logcumsumexp_cuda_kernelERKNSD_10TensorBaseESH_lENKUlvE_clEvENKUlvE3_clEvEUlS6_S6_E_S6_EEDaPvRmT3_T4_T5_mT6_P12ihipStream_tbENKUlT_T0_E_clISt17integral_constantIbLb1EESX_IbLb0EEEEDaST_SU_EUlST_E0_NS1_11comp_targetILNS1_3genE10ELNS1_11target_archE1200ELNS1_3gpuE4ELNS1_3repE0EEENS1_30default_config_static_selectorELNS0_4arch9wavefront6targetE1EEEvT1_
                                        ; -- End function
	.section	.AMDGPU.csdata,"",@progbits
; Kernel info:
; codeLenInByte = 0
; NumSgprs: 4
; NumVgprs: 0
; NumAgprs: 0
; TotalNumVgprs: 0
; ScratchSize: 0
; MemoryBound: 0
; FloatMode: 240
; IeeeMode: 1
; LDSByteSize: 0 bytes/workgroup (compile time only)
; SGPRBlocks: 0
; VGPRBlocks: 0
; NumSGPRsForWavesPerEU: 4
; NumVGPRsForWavesPerEU: 1
; AccumOffset: 4
; Occupancy: 8
; WaveLimiterHint : 0
; COMPUTE_PGM_RSRC2:SCRATCH_EN: 0
; COMPUTE_PGM_RSRC2:USER_SGPR: 6
; COMPUTE_PGM_RSRC2:TRAP_HANDLER: 0
; COMPUTE_PGM_RSRC2:TGID_X_EN: 1
; COMPUTE_PGM_RSRC2:TGID_Y_EN: 0
; COMPUTE_PGM_RSRC2:TGID_Z_EN: 0
; COMPUTE_PGM_RSRC2:TIDIG_COMP_CNT: 0
; COMPUTE_PGM_RSRC3_GFX90A:ACCUM_OFFSET: 0
; COMPUTE_PGM_RSRC3_GFX90A:TG_SPLIT: 0
	.section	.text._ZN7rocprim17ROCPRIM_400000_NS6detail17trampoline_kernelINS0_14default_configENS1_20scan_config_selectorIN3c104HalfEEEZZNS1_9scan_implILNS1_25lookback_scan_determinismE0ELb0ELb0ES3_PKS6_PS6_S6_ZZZN2at6native31launch_logcumsumexp_cuda_kernelERKNSD_10TensorBaseESH_lENKUlvE_clEvENKUlvE3_clEvEUlS6_S6_E_S6_EEDaPvRmT3_T4_T5_mT6_P12ihipStream_tbENKUlT_T0_E_clISt17integral_constantIbLb1EESX_IbLb0EEEEDaST_SU_EUlST_E0_NS1_11comp_targetILNS1_3genE9ELNS1_11target_archE1100ELNS1_3gpuE3ELNS1_3repE0EEENS1_30default_config_static_selectorELNS0_4arch9wavefront6targetE1EEEvT1_,"axG",@progbits,_ZN7rocprim17ROCPRIM_400000_NS6detail17trampoline_kernelINS0_14default_configENS1_20scan_config_selectorIN3c104HalfEEEZZNS1_9scan_implILNS1_25lookback_scan_determinismE0ELb0ELb0ES3_PKS6_PS6_S6_ZZZN2at6native31launch_logcumsumexp_cuda_kernelERKNSD_10TensorBaseESH_lENKUlvE_clEvENKUlvE3_clEvEUlS6_S6_E_S6_EEDaPvRmT3_T4_T5_mT6_P12ihipStream_tbENKUlT_T0_E_clISt17integral_constantIbLb1EESX_IbLb0EEEEDaST_SU_EUlST_E0_NS1_11comp_targetILNS1_3genE9ELNS1_11target_archE1100ELNS1_3gpuE3ELNS1_3repE0EEENS1_30default_config_static_selectorELNS0_4arch9wavefront6targetE1EEEvT1_,comdat
	.globl	_ZN7rocprim17ROCPRIM_400000_NS6detail17trampoline_kernelINS0_14default_configENS1_20scan_config_selectorIN3c104HalfEEEZZNS1_9scan_implILNS1_25lookback_scan_determinismE0ELb0ELb0ES3_PKS6_PS6_S6_ZZZN2at6native31launch_logcumsumexp_cuda_kernelERKNSD_10TensorBaseESH_lENKUlvE_clEvENKUlvE3_clEvEUlS6_S6_E_S6_EEDaPvRmT3_T4_T5_mT6_P12ihipStream_tbENKUlT_T0_E_clISt17integral_constantIbLb1EESX_IbLb0EEEEDaST_SU_EUlST_E0_NS1_11comp_targetILNS1_3genE9ELNS1_11target_archE1100ELNS1_3gpuE3ELNS1_3repE0EEENS1_30default_config_static_selectorELNS0_4arch9wavefront6targetE1EEEvT1_ ; -- Begin function _ZN7rocprim17ROCPRIM_400000_NS6detail17trampoline_kernelINS0_14default_configENS1_20scan_config_selectorIN3c104HalfEEEZZNS1_9scan_implILNS1_25lookback_scan_determinismE0ELb0ELb0ES3_PKS6_PS6_S6_ZZZN2at6native31launch_logcumsumexp_cuda_kernelERKNSD_10TensorBaseESH_lENKUlvE_clEvENKUlvE3_clEvEUlS6_S6_E_S6_EEDaPvRmT3_T4_T5_mT6_P12ihipStream_tbENKUlT_T0_E_clISt17integral_constantIbLb1EESX_IbLb0EEEEDaST_SU_EUlST_E0_NS1_11comp_targetILNS1_3genE9ELNS1_11target_archE1100ELNS1_3gpuE3ELNS1_3repE0EEENS1_30default_config_static_selectorELNS0_4arch9wavefront6targetE1EEEvT1_
	.p2align	8
	.type	_ZN7rocprim17ROCPRIM_400000_NS6detail17trampoline_kernelINS0_14default_configENS1_20scan_config_selectorIN3c104HalfEEEZZNS1_9scan_implILNS1_25lookback_scan_determinismE0ELb0ELb0ES3_PKS6_PS6_S6_ZZZN2at6native31launch_logcumsumexp_cuda_kernelERKNSD_10TensorBaseESH_lENKUlvE_clEvENKUlvE3_clEvEUlS6_S6_E_S6_EEDaPvRmT3_T4_T5_mT6_P12ihipStream_tbENKUlT_T0_E_clISt17integral_constantIbLb1EESX_IbLb0EEEEDaST_SU_EUlST_E0_NS1_11comp_targetILNS1_3genE9ELNS1_11target_archE1100ELNS1_3gpuE3ELNS1_3repE0EEENS1_30default_config_static_selectorELNS0_4arch9wavefront6targetE1EEEvT1_,@function
_ZN7rocprim17ROCPRIM_400000_NS6detail17trampoline_kernelINS0_14default_configENS1_20scan_config_selectorIN3c104HalfEEEZZNS1_9scan_implILNS1_25lookback_scan_determinismE0ELb0ELb0ES3_PKS6_PS6_S6_ZZZN2at6native31launch_logcumsumexp_cuda_kernelERKNSD_10TensorBaseESH_lENKUlvE_clEvENKUlvE3_clEvEUlS6_S6_E_S6_EEDaPvRmT3_T4_T5_mT6_P12ihipStream_tbENKUlT_T0_E_clISt17integral_constantIbLb1EESX_IbLb0EEEEDaST_SU_EUlST_E0_NS1_11comp_targetILNS1_3genE9ELNS1_11target_archE1100ELNS1_3gpuE3ELNS1_3repE0EEENS1_30default_config_static_selectorELNS0_4arch9wavefront6targetE1EEEvT1_: ; @_ZN7rocprim17ROCPRIM_400000_NS6detail17trampoline_kernelINS0_14default_configENS1_20scan_config_selectorIN3c104HalfEEEZZNS1_9scan_implILNS1_25lookback_scan_determinismE0ELb0ELb0ES3_PKS6_PS6_S6_ZZZN2at6native31launch_logcumsumexp_cuda_kernelERKNSD_10TensorBaseESH_lENKUlvE_clEvENKUlvE3_clEvEUlS6_S6_E_S6_EEDaPvRmT3_T4_T5_mT6_P12ihipStream_tbENKUlT_T0_E_clISt17integral_constantIbLb1EESX_IbLb0EEEEDaST_SU_EUlST_E0_NS1_11comp_targetILNS1_3genE9ELNS1_11target_archE1100ELNS1_3gpuE3ELNS1_3repE0EEENS1_30default_config_static_selectorELNS0_4arch9wavefront6targetE1EEEvT1_
; %bb.0:
	.section	.rodata,"a",@progbits
	.p2align	6, 0x0
	.amdhsa_kernel _ZN7rocprim17ROCPRIM_400000_NS6detail17trampoline_kernelINS0_14default_configENS1_20scan_config_selectorIN3c104HalfEEEZZNS1_9scan_implILNS1_25lookback_scan_determinismE0ELb0ELb0ES3_PKS6_PS6_S6_ZZZN2at6native31launch_logcumsumexp_cuda_kernelERKNSD_10TensorBaseESH_lENKUlvE_clEvENKUlvE3_clEvEUlS6_S6_E_S6_EEDaPvRmT3_T4_T5_mT6_P12ihipStream_tbENKUlT_T0_E_clISt17integral_constantIbLb1EESX_IbLb0EEEEDaST_SU_EUlST_E0_NS1_11comp_targetILNS1_3genE9ELNS1_11target_archE1100ELNS1_3gpuE3ELNS1_3repE0EEENS1_30default_config_static_selectorELNS0_4arch9wavefront6targetE1EEEvT1_
		.amdhsa_group_segment_fixed_size 0
		.amdhsa_private_segment_fixed_size 0
		.amdhsa_kernarg_size 32
		.amdhsa_user_sgpr_count 6
		.amdhsa_user_sgpr_private_segment_buffer 1
		.amdhsa_user_sgpr_dispatch_ptr 0
		.amdhsa_user_sgpr_queue_ptr 0
		.amdhsa_user_sgpr_kernarg_segment_ptr 1
		.amdhsa_user_sgpr_dispatch_id 0
		.amdhsa_user_sgpr_flat_scratch_init 0
		.amdhsa_user_sgpr_kernarg_preload_length 0
		.amdhsa_user_sgpr_kernarg_preload_offset 0
		.amdhsa_user_sgpr_private_segment_size 0
		.amdhsa_uses_dynamic_stack 0
		.amdhsa_system_sgpr_private_segment_wavefront_offset 0
		.amdhsa_system_sgpr_workgroup_id_x 1
		.amdhsa_system_sgpr_workgroup_id_y 0
		.amdhsa_system_sgpr_workgroup_id_z 0
		.amdhsa_system_sgpr_workgroup_info 0
		.amdhsa_system_vgpr_workitem_id 0
		.amdhsa_next_free_vgpr 1
		.amdhsa_next_free_sgpr 0
		.amdhsa_accum_offset 4
		.amdhsa_reserve_vcc 0
		.amdhsa_reserve_flat_scratch 0
		.amdhsa_float_round_mode_32 0
		.amdhsa_float_round_mode_16_64 0
		.amdhsa_float_denorm_mode_32 3
		.amdhsa_float_denorm_mode_16_64 3
		.amdhsa_dx10_clamp 1
		.amdhsa_ieee_mode 1
		.amdhsa_fp16_overflow 0
		.amdhsa_tg_split 0
		.amdhsa_exception_fp_ieee_invalid_op 0
		.amdhsa_exception_fp_denorm_src 0
		.amdhsa_exception_fp_ieee_div_zero 0
		.amdhsa_exception_fp_ieee_overflow 0
		.amdhsa_exception_fp_ieee_underflow 0
		.amdhsa_exception_fp_ieee_inexact 0
		.amdhsa_exception_int_div_zero 0
	.end_amdhsa_kernel
	.section	.text._ZN7rocprim17ROCPRIM_400000_NS6detail17trampoline_kernelINS0_14default_configENS1_20scan_config_selectorIN3c104HalfEEEZZNS1_9scan_implILNS1_25lookback_scan_determinismE0ELb0ELb0ES3_PKS6_PS6_S6_ZZZN2at6native31launch_logcumsumexp_cuda_kernelERKNSD_10TensorBaseESH_lENKUlvE_clEvENKUlvE3_clEvEUlS6_S6_E_S6_EEDaPvRmT3_T4_T5_mT6_P12ihipStream_tbENKUlT_T0_E_clISt17integral_constantIbLb1EESX_IbLb0EEEEDaST_SU_EUlST_E0_NS1_11comp_targetILNS1_3genE9ELNS1_11target_archE1100ELNS1_3gpuE3ELNS1_3repE0EEENS1_30default_config_static_selectorELNS0_4arch9wavefront6targetE1EEEvT1_,"axG",@progbits,_ZN7rocprim17ROCPRIM_400000_NS6detail17trampoline_kernelINS0_14default_configENS1_20scan_config_selectorIN3c104HalfEEEZZNS1_9scan_implILNS1_25lookback_scan_determinismE0ELb0ELb0ES3_PKS6_PS6_S6_ZZZN2at6native31launch_logcumsumexp_cuda_kernelERKNSD_10TensorBaseESH_lENKUlvE_clEvENKUlvE3_clEvEUlS6_S6_E_S6_EEDaPvRmT3_T4_T5_mT6_P12ihipStream_tbENKUlT_T0_E_clISt17integral_constantIbLb1EESX_IbLb0EEEEDaST_SU_EUlST_E0_NS1_11comp_targetILNS1_3genE9ELNS1_11target_archE1100ELNS1_3gpuE3ELNS1_3repE0EEENS1_30default_config_static_selectorELNS0_4arch9wavefront6targetE1EEEvT1_,comdat
.Lfunc_end416:
	.size	_ZN7rocprim17ROCPRIM_400000_NS6detail17trampoline_kernelINS0_14default_configENS1_20scan_config_selectorIN3c104HalfEEEZZNS1_9scan_implILNS1_25lookback_scan_determinismE0ELb0ELb0ES3_PKS6_PS6_S6_ZZZN2at6native31launch_logcumsumexp_cuda_kernelERKNSD_10TensorBaseESH_lENKUlvE_clEvENKUlvE3_clEvEUlS6_S6_E_S6_EEDaPvRmT3_T4_T5_mT6_P12ihipStream_tbENKUlT_T0_E_clISt17integral_constantIbLb1EESX_IbLb0EEEEDaST_SU_EUlST_E0_NS1_11comp_targetILNS1_3genE9ELNS1_11target_archE1100ELNS1_3gpuE3ELNS1_3repE0EEENS1_30default_config_static_selectorELNS0_4arch9wavefront6targetE1EEEvT1_, .Lfunc_end416-_ZN7rocprim17ROCPRIM_400000_NS6detail17trampoline_kernelINS0_14default_configENS1_20scan_config_selectorIN3c104HalfEEEZZNS1_9scan_implILNS1_25lookback_scan_determinismE0ELb0ELb0ES3_PKS6_PS6_S6_ZZZN2at6native31launch_logcumsumexp_cuda_kernelERKNSD_10TensorBaseESH_lENKUlvE_clEvENKUlvE3_clEvEUlS6_S6_E_S6_EEDaPvRmT3_T4_T5_mT6_P12ihipStream_tbENKUlT_T0_E_clISt17integral_constantIbLb1EESX_IbLb0EEEEDaST_SU_EUlST_E0_NS1_11comp_targetILNS1_3genE9ELNS1_11target_archE1100ELNS1_3gpuE3ELNS1_3repE0EEENS1_30default_config_static_selectorELNS0_4arch9wavefront6targetE1EEEvT1_
                                        ; -- End function
	.section	.AMDGPU.csdata,"",@progbits
; Kernel info:
; codeLenInByte = 0
; NumSgprs: 4
; NumVgprs: 0
; NumAgprs: 0
; TotalNumVgprs: 0
; ScratchSize: 0
; MemoryBound: 0
; FloatMode: 240
; IeeeMode: 1
; LDSByteSize: 0 bytes/workgroup (compile time only)
; SGPRBlocks: 0
; VGPRBlocks: 0
; NumSGPRsForWavesPerEU: 4
; NumVGPRsForWavesPerEU: 1
; AccumOffset: 4
; Occupancy: 8
; WaveLimiterHint : 0
; COMPUTE_PGM_RSRC2:SCRATCH_EN: 0
; COMPUTE_PGM_RSRC2:USER_SGPR: 6
; COMPUTE_PGM_RSRC2:TRAP_HANDLER: 0
; COMPUTE_PGM_RSRC2:TGID_X_EN: 1
; COMPUTE_PGM_RSRC2:TGID_Y_EN: 0
; COMPUTE_PGM_RSRC2:TGID_Z_EN: 0
; COMPUTE_PGM_RSRC2:TIDIG_COMP_CNT: 0
; COMPUTE_PGM_RSRC3_GFX90A:ACCUM_OFFSET: 0
; COMPUTE_PGM_RSRC3_GFX90A:TG_SPLIT: 0
	.section	.text._ZN7rocprim17ROCPRIM_400000_NS6detail17trampoline_kernelINS0_14default_configENS1_20scan_config_selectorIN3c104HalfEEEZZNS1_9scan_implILNS1_25lookback_scan_determinismE0ELb0ELb0ES3_PKS6_PS6_S6_ZZZN2at6native31launch_logcumsumexp_cuda_kernelERKNSD_10TensorBaseESH_lENKUlvE_clEvENKUlvE3_clEvEUlS6_S6_E_S6_EEDaPvRmT3_T4_T5_mT6_P12ihipStream_tbENKUlT_T0_E_clISt17integral_constantIbLb1EESX_IbLb0EEEEDaST_SU_EUlST_E0_NS1_11comp_targetILNS1_3genE8ELNS1_11target_archE1030ELNS1_3gpuE2ELNS1_3repE0EEENS1_30default_config_static_selectorELNS0_4arch9wavefront6targetE1EEEvT1_,"axG",@progbits,_ZN7rocprim17ROCPRIM_400000_NS6detail17trampoline_kernelINS0_14default_configENS1_20scan_config_selectorIN3c104HalfEEEZZNS1_9scan_implILNS1_25lookback_scan_determinismE0ELb0ELb0ES3_PKS6_PS6_S6_ZZZN2at6native31launch_logcumsumexp_cuda_kernelERKNSD_10TensorBaseESH_lENKUlvE_clEvENKUlvE3_clEvEUlS6_S6_E_S6_EEDaPvRmT3_T4_T5_mT6_P12ihipStream_tbENKUlT_T0_E_clISt17integral_constantIbLb1EESX_IbLb0EEEEDaST_SU_EUlST_E0_NS1_11comp_targetILNS1_3genE8ELNS1_11target_archE1030ELNS1_3gpuE2ELNS1_3repE0EEENS1_30default_config_static_selectorELNS0_4arch9wavefront6targetE1EEEvT1_,comdat
	.globl	_ZN7rocprim17ROCPRIM_400000_NS6detail17trampoline_kernelINS0_14default_configENS1_20scan_config_selectorIN3c104HalfEEEZZNS1_9scan_implILNS1_25lookback_scan_determinismE0ELb0ELb0ES3_PKS6_PS6_S6_ZZZN2at6native31launch_logcumsumexp_cuda_kernelERKNSD_10TensorBaseESH_lENKUlvE_clEvENKUlvE3_clEvEUlS6_S6_E_S6_EEDaPvRmT3_T4_T5_mT6_P12ihipStream_tbENKUlT_T0_E_clISt17integral_constantIbLb1EESX_IbLb0EEEEDaST_SU_EUlST_E0_NS1_11comp_targetILNS1_3genE8ELNS1_11target_archE1030ELNS1_3gpuE2ELNS1_3repE0EEENS1_30default_config_static_selectorELNS0_4arch9wavefront6targetE1EEEvT1_ ; -- Begin function _ZN7rocprim17ROCPRIM_400000_NS6detail17trampoline_kernelINS0_14default_configENS1_20scan_config_selectorIN3c104HalfEEEZZNS1_9scan_implILNS1_25lookback_scan_determinismE0ELb0ELb0ES3_PKS6_PS6_S6_ZZZN2at6native31launch_logcumsumexp_cuda_kernelERKNSD_10TensorBaseESH_lENKUlvE_clEvENKUlvE3_clEvEUlS6_S6_E_S6_EEDaPvRmT3_T4_T5_mT6_P12ihipStream_tbENKUlT_T0_E_clISt17integral_constantIbLb1EESX_IbLb0EEEEDaST_SU_EUlST_E0_NS1_11comp_targetILNS1_3genE8ELNS1_11target_archE1030ELNS1_3gpuE2ELNS1_3repE0EEENS1_30default_config_static_selectorELNS0_4arch9wavefront6targetE1EEEvT1_
	.p2align	8
	.type	_ZN7rocprim17ROCPRIM_400000_NS6detail17trampoline_kernelINS0_14default_configENS1_20scan_config_selectorIN3c104HalfEEEZZNS1_9scan_implILNS1_25lookback_scan_determinismE0ELb0ELb0ES3_PKS6_PS6_S6_ZZZN2at6native31launch_logcumsumexp_cuda_kernelERKNSD_10TensorBaseESH_lENKUlvE_clEvENKUlvE3_clEvEUlS6_S6_E_S6_EEDaPvRmT3_T4_T5_mT6_P12ihipStream_tbENKUlT_T0_E_clISt17integral_constantIbLb1EESX_IbLb0EEEEDaST_SU_EUlST_E0_NS1_11comp_targetILNS1_3genE8ELNS1_11target_archE1030ELNS1_3gpuE2ELNS1_3repE0EEENS1_30default_config_static_selectorELNS0_4arch9wavefront6targetE1EEEvT1_,@function
_ZN7rocprim17ROCPRIM_400000_NS6detail17trampoline_kernelINS0_14default_configENS1_20scan_config_selectorIN3c104HalfEEEZZNS1_9scan_implILNS1_25lookback_scan_determinismE0ELb0ELb0ES3_PKS6_PS6_S6_ZZZN2at6native31launch_logcumsumexp_cuda_kernelERKNSD_10TensorBaseESH_lENKUlvE_clEvENKUlvE3_clEvEUlS6_S6_E_S6_EEDaPvRmT3_T4_T5_mT6_P12ihipStream_tbENKUlT_T0_E_clISt17integral_constantIbLb1EESX_IbLb0EEEEDaST_SU_EUlST_E0_NS1_11comp_targetILNS1_3genE8ELNS1_11target_archE1030ELNS1_3gpuE2ELNS1_3repE0EEENS1_30default_config_static_selectorELNS0_4arch9wavefront6targetE1EEEvT1_: ; @_ZN7rocprim17ROCPRIM_400000_NS6detail17trampoline_kernelINS0_14default_configENS1_20scan_config_selectorIN3c104HalfEEEZZNS1_9scan_implILNS1_25lookback_scan_determinismE0ELb0ELb0ES3_PKS6_PS6_S6_ZZZN2at6native31launch_logcumsumexp_cuda_kernelERKNSD_10TensorBaseESH_lENKUlvE_clEvENKUlvE3_clEvEUlS6_S6_E_S6_EEDaPvRmT3_T4_T5_mT6_P12ihipStream_tbENKUlT_T0_E_clISt17integral_constantIbLb1EESX_IbLb0EEEEDaST_SU_EUlST_E0_NS1_11comp_targetILNS1_3genE8ELNS1_11target_archE1030ELNS1_3gpuE2ELNS1_3repE0EEENS1_30default_config_static_selectorELNS0_4arch9wavefront6targetE1EEEvT1_
; %bb.0:
	.section	.rodata,"a",@progbits
	.p2align	6, 0x0
	.amdhsa_kernel _ZN7rocprim17ROCPRIM_400000_NS6detail17trampoline_kernelINS0_14default_configENS1_20scan_config_selectorIN3c104HalfEEEZZNS1_9scan_implILNS1_25lookback_scan_determinismE0ELb0ELb0ES3_PKS6_PS6_S6_ZZZN2at6native31launch_logcumsumexp_cuda_kernelERKNSD_10TensorBaseESH_lENKUlvE_clEvENKUlvE3_clEvEUlS6_S6_E_S6_EEDaPvRmT3_T4_T5_mT6_P12ihipStream_tbENKUlT_T0_E_clISt17integral_constantIbLb1EESX_IbLb0EEEEDaST_SU_EUlST_E0_NS1_11comp_targetILNS1_3genE8ELNS1_11target_archE1030ELNS1_3gpuE2ELNS1_3repE0EEENS1_30default_config_static_selectorELNS0_4arch9wavefront6targetE1EEEvT1_
		.amdhsa_group_segment_fixed_size 0
		.amdhsa_private_segment_fixed_size 0
		.amdhsa_kernarg_size 32
		.amdhsa_user_sgpr_count 6
		.amdhsa_user_sgpr_private_segment_buffer 1
		.amdhsa_user_sgpr_dispatch_ptr 0
		.amdhsa_user_sgpr_queue_ptr 0
		.amdhsa_user_sgpr_kernarg_segment_ptr 1
		.amdhsa_user_sgpr_dispatch_id 0
		.amdhsa_user_sgpr_flat_scratch_init 0
		.amdhsa_user_sgpr_kernarg_preload_length 0
		.amdhsa_user_sgpr_kernarg_preload_offset 0
		.amdhsa_user_sgpr_private_segment_size 0
		.amdhsa_uses_dynamic_stack 0
		.amdhsa_system_sgpr_private_segment_wavefront_offset 0
		.amdhsa_system_sgpr_workgroup_id_x 1
		.amdhsa_system_sgpr_workgroup_id_y 0
		.amdhsa_system_sgpr_workgroup_id_z 0
		.amdhsa_system_sgpr_workgroup_info 0
		.amdhsa_system_vgpr_workitem_id 0
		.amdhsa_next_free_vgpr 1
		.amdhsa_next_free_sgpr 0
		.amdhsa_accum_offset 4
		.amdhsa_reserve_vcc 0
		.amdhsa_reserve_flat_scratch 0
		.amdhsa_float_round_mode_32 0
		.amdhsa_float_round_mode_16_64 0
		.amdhsa_float_denorm_mode_32 3
		.amdhsa_float_denorm_mode_16_64 3
		.amdhsa_dx10_clamp 1
		.amdhsa_ieee_mode 1
		.amdhsa_fp16_overflow 0
		.amdhsa_tg_split 0
		.amdhsa_exception_fp_ieee_invalid_op 0
		.amdhsa_exception_fp_denorm_src 0
		.amdhsa_exception_fp_ieee_div_zero 0
		.amdhsa_exception_fp_ieee_overflow 0
		.amdhsa_exception_fp_ieee_underflow 0
		.amdhsa_exception_fp_ieee_inexact 0
		.amdhsa_exception_int_div_zero 0
	.end_amdhsa_kernel
	.section	.text._ZN7rocprim17ROCPRIM_400000_NS6detail17trampoline_kernelINS0_14default_configENS1_20scan_config_selectorIN3c104HalfEEEZZNS1_9scan_implILNS1_25lookback_scan_determinismE0ELb0ELb0ES3_PKS6_PS6_S6_ZZZN2at6native31launch_logcumsumexp_cuda_kernelERKNSD_10TensorBaseESH_lENKUlvE_clEvENKUlvE3_clEvEUlS6_S6_E_S6_EEDaPvRmT3_T4_T5_mT6_P12ihipStream_tbENKUlT_T0_E_clISt17integral_constantIbLb1EESX_IbLb0EEEEDaST_SU_EUlST_E0_NS1_11comp_targetILNS1_3genE8ELNS1_11target_archE1030ELNS1_3gpuE2ELNS1_3repE0EEENS1_30default_config_static_selectorELNS0_4arch9wavefront6targetE1EEEvT1_,"axG",@progbits,_ZN7rocprim17ROCPRIM_400000_NS6detail17trampoline_kernelINS0_14default_configENS1_20scan_config_selectorIN3c104HalfEEEZZNS1_9scan_implILNS1_25lookback_scan_determinismE0ELb0ELb0ES3_PKS6_PS6_S6_ZZZN2at6native31launch_logcumsumexp_cuda_kernelERKNSD_10TensorBaseESH_lENKUlvE_clEvENKUlvE3_clEvEUlS6_S6_E_S6_EEDaPvRmT3_T4_T5_mT6_P12ihipStream_tbENKUlT_T0_E_clISt17integral_constantIbLb1EESX_IbLb0EEEEDaST_SU_EUlST_E0_NS1_11comp_targetILNS1_3genE8ELNS1_11target_archE1030ELNS1_3gpuE2ELNS1_3repE0EEENS1_30default_config_static_selectorELNS0_4arch9wavefront6targetE1EEEvT1_,comdat
.Lfunc_end417:
	.size	_ZN7rocprim17ROCPRIM_400000_NS6detail17trampoline_kernelINS0_14default_configENS1_20scan_config_selectorIN3c104HalfEEEZZNS1_9scan_implILNS1_25lookback_scan_determinismE0ELb0ELb0ES3_PKS6_PS6_S6_ZZZN2at6native31launch_logcumsumexp_cuda_kernelERKNSD_10TensorBaseESH_lENKUlvE_clEvENKUlvE3_clEvEUlS6_S6_E_S6_EEDaPvRmT3_T4_T5_mT6_P12ihipStream_tbENKUlT_T0_E_clISt17integral_constantIbLb1EESX_IbLb0EEEEDaST_SU_EUlST_E0_NS1_11comp_targetILNS1_3genE8ELNS1_11target_archE1030ELNS1_3gpuE2ELNS1_3repE0EEENS1_30default_config_static_selectorELNS0_4arch9wavefront6targetE1EEEvT1_, .Lfunc_end417-_ZN7rocprim17ROCPRIM_400000_NS6detail17trampoline_kernelINS0_14default_configENS1_20scan_config_selectorIN3c104HalfEEEZZNS1_9scan_implILNS1_25lookback_scan_determinismE0ELb0ELb0ES3_PKS6_PS6_S6_ZZZN2at6native31launch_logcumsumexp_cuda_kernelERKNSD_10TensorBaseESH_lENKUlvE_clEvENKUlvE3_clEvEUlS6_S6_E_S6_EEDaPvRmT3_T4_T5_mT6_P12ihipStream_tbENKUlT_T0_E_clISt17integral_constantIbLb1EESX_IbLb0EEEEDaST_SU_EUlST_E0_NS1_11comp_targetILNS1_3genE8ELNS1_11target_archE1030ELNS1_3gpuE2ELNS1_3repE0EEENS1_30default_config_static_selectorELNS0_4arch9wavefront6targetE1EEEvT1_
                                        ; -- End function
	.section	.AMDGPU.csdata,"",@progbits
; Kernel info:
; codeLenInByte = 0
; NumSgprs: 4
; NumVgprs: 0
; NumAgprs: 0
; TotalNumVgprs: 0
; ScratchSize: 0
; MemoryBound: 0
; FloatMode: 240
; IeeeMode: 1
; LDSByteSize: 0 bytes/workgroup (compile time only)
; SGPRBlocks: 0
; VGPRBlocks: 0
; NumSGPRsForWavesPerEU: 4
; NumVGPRsForWavesPerEU: 1
; AccumOffset: 4
; Occupancy: 8
; WaveLimiterHint : 0
; COMPUTE_PGM_RSRC2:SCRATCH_EN: 0
; COMPUTE_PGM_RSRC2:USER_SGPR: 6
; COMPUTE_PGM_RSRC2:TRAP_HANDLER: 0
; COMPUTE_PGM_RSRC2:TGID_X_EN: 1
; COMPUTE_PGM_RSRC2:TGID_Y_EN: 0
; COMPUTE_PGM_RSRC2:TGID_Z_EN: 0
; COMPUTE_PGM_RSRC2:TIDIG_COMP_CNT: 0
; COMPUTE_PGM_RSRC3_GFX90A:ACCUM_OFFSET: 0
; COMPUTE_PGM_RSRC3_GFX90A:TG_SPLIT: 0
	.section	.text._ZN7rocprim17ROCPRIM_400000_NS6detail31init_lookback_scan_state_kernelINS1_19lookback_scan_stateIN3c104HalfELb0ELb1EEENS1_16block_id_wrapperIjLb1EEEEEvT_jT0_jPNS9_10value_typeE,"axG",@progbits,_ZN7rocprim17ROCPRIM_400000_NS6detail31init_lookback_scan_state_kernelINS1_19lookback_scan_stateIN3c104HalfELb0ELb1EEENS1_16block_id_wrapperIjLb1EEEEEvT_jT0_jPNS9_10value_typeE,comdat
	.protected	_ZN7rocprim17ROCPRIM_400000_NS6detail31init_lookback_scan_state_kernelINS1_19lookback_scan_stateIN3c104HalfELb0ELb1EEENS1_16block_id_wrapperIjLb1EEEEEvT_jT0_jPNS9_10value_typeE ; -- Begin function _ZN7rocprim17ROCPRIM_400000_NS6detail31init_lookback_scan_state_kernelINS1_19lookback_scan_stateIN3c104HalfELb0ELb1EEENS1_16block_id_wrapperIjLb1EEEEEvT_jT0_jPNS9_10value_typeE
	.globl	_ZN7rocprim17ROCPRIM_400000_NS6detail31init_lookback_scan_state_kernelINS1_19lookback_scan_stateIN3c104HalfELb0ELb1EEENS1_16block_id_wrapperIjLb1EEEEEvT_jT0_jPNS9_10value_typeE
	.p2align	8
	.type	_ZN7rocprim17ROCPRIM_400000_NS6detail31init_lookback_scan_state_kernelINS1_19lookback_scan_stateIN3c104HalfELb0ELb1EEENS1_16block_id_wrapperIjLb1EEEEEvT_jT0_jPNS9_10value_typeE,@function
_ZN7rocprim17ROCPRIM_400000_NS6detail31init_lookback_scan_state_kernelINS1_19lookback_scan_stateIN3c104HalfELb0ELb1EEENS1_16block_id_wrapperIjLb1EEEEEvT_jT0_jPNS9_10value_typeE: ; @_ZN7rocprim17ROCPRIM_400000_NS6detail31init_lookback_scan_state_kernelINS1_19lookback_scan_stateIN3c104HalfELb0ELb1EEENS1_16block_id_wrapperIjLb1EEEEEvT_jT0_jPNS9_10value_typeE
; %bb.0:
	s_load_dword s7, s[4:5], 0x34
	s_load_dwordx2 s[2:3], s[4:5], 0x20
	s_load_dwordx2 s[0:1], s[4:5], 0x0
	s_load_dword s10, s[4:5], 0x8
	s_waitcnt lgkmcnt(0)
	s_and_b32 s7, s7, 0xffff
	s_mul_i32 s6, s6, s7
	s_cmp_eq_u64 s[2:3], 0
	v_add_u32_e32 v0, s6, v0
	s_cbranch_scc1 .LBB418_6
; %bb.1:
	s_load_dword s8, s[4:5], 0x18
	s_mov_b32 s9, 0
	s_waitcnt lgkmcnt(0)
	s_cmp_lt_u32 s8, s10
	s_cselect_b32 s6, s8, 0
	v_cmp_eq_u32_e32 vcc, s6, v0
	s_and_saveexec_b64 s[6:7], vcc
	s_cbranch_execz .LBB418_5
; %bb.2:
	s_add_i32 s8, s8, 64
	s_lshl_b64 s[8:9], s[8:9], 2
	s_add_u32 s8, s0, s8
	s_addc_u32 s9, s1, s9
	v_mov_b32_e32 v2, 0
	global_load_dword v1, v2, s[8:9] glc
	s_waitcnt vmcnt(0)
	v_and_b32_e32 v3, 0xff0000, v1
	v_cmp_ne_u32_e32 vcc, 0, v3
	s_cbranch_vccnz .LBB418_4
.LBB418_3:                              ; =>This Inner Loop Header: Depth=1
	global_load_dword v1, v2, s[8:9] glc
	s_waitcnt vmcnt(0)
	v_and_b32_e32 v3, 0xff0000, v1
	v_cmp_eq_u32_e32 vcc, 0, v3
	s_cbranch_vccnz .LBB418_3
.LBB418_4:
	v_mov_b32_e32 v2, 0
	global_store_short v2, v1, s[2:3]
.LBB418_5:
	s_or_b64 exec, exec, s[6:7]
.LBB418_6:
	v_cmp_eq_u32_e32 vcc, 0, v0
	s_and_saveexec_b64 s[2:3], vcc
	s_cbranch_execnz .LBB418_10
; %bb.7:
	s_or_b64 exec, exec, s[2:3]
	v_cmp_gt_u32_e32 vcc, s10, v0
	s_and_saveexec_b64 s[2:3], vcc
	s_cbranch_execnz .LBB418_11
.LBB418_8:
	s_or_b64 exec, exec, s[2:3]
	v_cmp_gt_u32_e32 vcc, 64, v0
	s_and_saveexec_b64 s[2:3], vcc
	s_cbranch_execnz .LBB418_12
.LBB418_9:
	s_endpgm
.LBB418_10:
	s_load_dwordx2 s[4:5], s[4:5], 0x10
	v_mov_b32_e32 v1, 0
	s_waitcnt lgkmcnt(0)
	global_store_dword v1, v1, s[4:5]
	s_or_b64 exec, exec, s[2:3]
	v_cmp_gt_u32_e32 vcc, s10, v0
	s_and_saveexec_b64 s[2:3], vcc
	s_cbranch_execz .LBB418_8
.LBB418_11:
	v_add_u32_e32 v2, 64, v0
	v_mov_b32_e32 v3, 0
	v_lshlrev_b64 v[4:5], 2, v[2:3]
	v_mov_b32_e32 v1, s1
	v_add_co_u32_e32 v4, vcc, s0, v4
	v_addc_co_u32_e32 v5, vcc, v1, v5, vcc
	global_store_dword v[4:5], v3, off
	s_or_b64 exec, exec, s[2:3]
	v_cmp_gt_u32_e32 vcc, 64, v0
	s_and_saveexec_b64 s[2:3], vcc
	s_cbranch_execz .LBB418_9
.LBB418_12:
	v_mov_b32_e32 v1, 0
	v_lshlrev_b64 v[0:1], 2, v[0:1]
	v_mov_b32_e32 v2, s1
	v_add_co_u32_e32 v0, vcc, s0, v0
	v_addc_co_u32_e32 v1, vcc, v2, v1, vcc
	v_mov_b32_e32 v2, 0xff0000
	global_store_dword v[0:1], v2, off
	s_endpgm
	.section	.rodata,"a",@progbits
	.p2align	6, 0x0
	.amdhsa_kernel _ZN7rocprim17ROCPRIM_400000_NS6detail31init_lookback_scan_state_kernelINS1_19lookback_scan_stateIN3c104HalfELb0ELb1EEENS1_16block_id_wrapperIjLb1EEEEEvT_jT0_jPNS9_10value_typeE
		.amdhsa_group_segment_fixed_size 0
		.amdhsa_private_segment_fixed_size 0
		.amdhsa_kernarg_size 296
		.amdhsa_user_sgpr_count 6
		.amdhsa_user_sgpr_private_segment_buffer 1
		.amdhsa_user_sgpr_dispatch_ptr 0
		.amdhsa_user_sgpr_queue_ptr 0
		.amdhsa_user_sgpr_kernarg_segment_ptr 1
		.amdhsa_user_sgpr_dispatch_id 0
		.amdhsa_user_sgpr_flat_scratch_init 0
		.amdhsa_user_sgpr_kernarg_preload_length 0
		.amdhsa_user_sgpr_kernarg_preload_offset 0
		.amdhsa_user_sgpr_private_segment_size 0
		.amdhsa_uses_dynamic_stack 0
		.amdhsa_system_sgpr_private_segment_wavefront_offset 0
		.amdhsa_system_sgpr_workgroup_id_x 1
		.amdhsa_system_sgpr_workgroup_id_y 0
		.amdhsa_system_sgpr_workgroup_id_z 0
		.amdhsa_system_sgpr_workgroup_info 0
		.amdhsa_system_vgpr_workitem_id 0
		.amdhsa_next_free_vgpr 6
		.amdhsa_next_free_sgpr 11
		.amdhsa_accum_offset 8
		.amdhsa_reserve_vcc 1
		.amdhsa_reserve_flat_scratch 0
		.amdhsa_float_round_mode_32 0
		.amdhsa_float_round_mode_16_64 0
		.amdhsa_float_denorm_mode_32 3
		.amdhsa_float_denorm_mode_16_64 3
		.amdhsa_dx10_clamp 1
		.amdhsa_ieee_mode 1
		.amdhsa_fp16_overflow 0
		.amdhsa_tg_split 0
		.amdhsa_exception_fp_ieee_invalid_op 0
		.amdhsa_exception_fp_denorm_src 0
		.amdhsa_exception_fp_ieee_div_zero 0
		.amdhsa_exception_fp_ieee_overflow 0
		.amdhsa_exception_fp_ieee_underflow 0
		.amdhsa_exception_fp_ieee_inexact 0
		.amdhsa_exception_int_div_zero 0
	.end_amdhsa_kernel
	.section	.text._ZN7rocprim17ROCPRIM_400000_NS6detail31init_lookback_scan_state_kernelINS1_19lookback_scan_stateIN3c104HalfELb0ELb1EEENS1_16block_id_wrapperIjLb1EEEEEvT_jT0_jPNS9_10value_typeE,"axG",@progbits,_ZN7rocprim17ROCPRIM_400000_NS6detail31init_lookback_scan_state_kernelINS1_19lookback_scan_stateIN3c104HalfELb0ELb1EEENS1_16block_id_wrapperIjLb1EEEEEvT_jT0_jPNS9_10value_typeE,comdat
.Lfunc_end418:
	.size	_ZN7rocprim17ROCPRIM_400000_NS6detail31init_lookback_scan_state_kernelINS1_19lookback_scan_stateIN3c104HalfELb0ELb1EEENS1_16block_id_wrapperIjLb1EEEEEvT_jT0_jPNS9_10value_typeE, .Lfunc_end418-_ZN7rocprim17ROCPRIM_400000_NS6detail31init_lookback_scan_state_kernelINS1_19lookback_scan_stateIN3c104HalfELb0ELb1EEENS1_16block_id_wrapperIjLb1EEEEEvT_jT0_jPNS9_10value_typeE
                                        ; -- End function
	.section	.AMDGPU.csdata,"",@progbits
; Kernel info:
; codeLenInByte = 372
; NumSgprs: 15
; NumVgprs: 6
; NumAgprs: 0
; TotalNumVgprs: 6
; ScratchSize: 0
; MemoryBound: 0
; FloatMode: 240
; IeeeMode: 1
; LDSByteSize: 0 bytes/workgroup (compile time only)
; SGPRBlocks: 1
; VGPRBlocks: 0
; NumSGPRsForWavesPerEU: 15
; NumVGPRsForWavesPerEU: 6
; AccumOffset: 8
; Occupancy: 8
; WaveLimiterHint : 0
; COMPUTE_PGM_RSRC2:SCRATCH_EN: 0
; COMPUTE_PGM_RSRC2:USER_SGPR: 6
; COMPUTE_PGM_RSRC2:TRAP_HANDLER: 0
; COMPUTE_PGM_RSRC2:TGID_X_EN: 1
; COMPUTE_PGM_RSRC2:TGID_Y_EN: 0
; COMPUTE_PGM_RSRC2:TGID_Z_EN: 0
; COMPUTE_PGM_RSRC2:TIDIG_COMP_CNT: 0
; COMPUTE_PGM_RSRC3_GFX90A:ACCUM_OFFSET: 1
; COMPUTE_PGM_RSRC3_GFX90A:TG_SPLIT: 0
	.section	.text._ZN7rocprim17ROCPRIM_400000_NS6detail17trampoline_kernelINS0_14default_configENS1_20scan_config_selectorIN3c104HalfEEEZZNS1_9scan_implILNS1_25lookback_scan_determinismE0ELb0ELb0ES3_PKS6_PS6_S6_ZZZN2at6native31launch_logcumsumexp_cuda_kernelERKNSD_10TensorBaseESH_lENKUlvE_clEvENKUlvE3_clEvEUlS6_S6_E_S6_EEDaPvRmT3_T4_T5_mT6_P12ihipStream_tbENKUlT_T0_E_clISt17integral_constantIbLb0EESX_IbLb1EEEEDaST_SU_EUlST_E_NS1_11comp_targetILNS1_3genE0ELNS1_11target_archE4294967295ELNS1_3gpuE0ELNS1_3repE0EEENS1_30default_config_static_selectorELNS0_4arch9wavefront6targetE1EEEvT1_,"axG",@progbits,_ZN7rocprim17ROCPRIM_400000_NS6detail17trampoline_kernelINS0_14default_configENS1_20scan_config_selectorIN3c104HalfEEEZZNS1_9scan_implILNS1_25lookback_scan_determinismE0ELb0ELb0ES3_PKS6_PS6_S6_ZZZN2at6native31launch_logcumsumexp_cuda_kernelERKNSD_10TensorBaseESH_lENKUlvE_clEvENKUlvE3_clEvEUlS6_S6_E_S6_EEDaPvRmT3_T4_T5_mT6_P12ihipStream_tbENKUlT_T0_E_clISt17integral_constantIbLb0EESX_IbLb1EEEEDaST_SU_EUlST_E_NS1_11comp_targetILNS1_3genE0ELNS1_11target_archE4294967295ELNS1_3gpuE0ELNS1_3repE0EEENS1_30default_config_static_selectorELNS0_4arch9wavefront6targetE1EEEvT1_,comdat
	.globl	_ZN7rocprim17ROCPRIM_400000_NS6detail17trampoline_kernelINS0_14default_configENS1_20scan_config_selectorIN3c104HalfEEEZZNS1_9scan_implILNS1_25lookback_scan_determinismE0ELb0ELb0ES3_PKS6_PS6_S6_ZZZN2at6native31launch_logcumsumexp_cuda_kernelERKNSD_10TensorBaseESH_lENKUlvE_clEvENKUlvE3_clEvEUlS6_S6_E_S6_EEDaPvRmT3_T4_T5_mT6_P12ihipStream_tbENKUlT_T0_E_clISt17integral_constantIbLb0EESX_IbLb1EEEEDaST_SU_EUlST_E_NS1_11comp_targetILNS1_3genE0ELNS1_11target_archE4294967295ELNS1_3gpuE0ELNS1_3repE0EEENS1_30default_config_static_selectorELNS0_4arch9wavefront6targetE1EEEvT1_ ; -- Begin function _ZN7rocprim17ROCPRIM_400000_NS6detail17trampoline_kernelINS0_14default_configENS1_20scan_config_selectorIN3c104HalfEEEZZNS1_9scan_implILNS1_25lookback_scan_determinismE0ELb0ELb0ES3_PKS6_PS6_S6_ZZZN2at6native31launch_logcumsumexp_cuda_kernelERKNSD_10TensorBaseESH_lENKUlvE_clEvENKUlvE3_clEvEUlS6_S6_E_S6_EEDaPvRmT3_T4_T5_mT6_P12ihipStream_tbENKUlT_T0_E_clISt17integral_constantIbLb0EESX_IbLb1EEEEDaST_SU_EUlST_E_NS1_11comp_targetILNS1_3genE0ELNS1_11target_archE4294967295ELNS1_3gpuE0ELNS1_3repE0EEENS1_30default_config_static_selectorELNS0_4arch9wavefront6targetE1EEEvT1_
	.p2align	8
	.type	_ZN7rocprim17ROCPRIM_400000_NS6detail17trampoline_kernelINS0_14default_configENS1_20scan_config_selectorIN3c104HalfEEEZZNS1_9scan_implILNS1_25lookback_scan_determinismE0ELb0ELb0ES3_PKS6_PS6_S6_ZZZN2at6native31launch_logcumsumexp_cuda_kernelERKNSD_10TensorBaseESH_lENKUlvE_clEvENKUlvE3_clEvEUlS6_S6_E_S6_EEDaPvRmT3_T4_T5_mT6_P12ihipStream_tbENKUlT_T0_E_clISt17integral_constantIbLb0EESX_IbLb1EEEEDaST_SU_EUlST_E_NS1_11comp_targetILNS1_3genE0ELNS1_11target_archE4294967295ELNS1_3gpuE0ELNS1_3repE0EEENS1_30default_config_static_selectorELNS0_4arch9wavefront6targetE1EEEvT1_,@function
_ZN7rocprim17ROCPRIM_400000_NS6detail17trampoline_kernelINS0_14default_configENS1_20scan_config_selectorIN3c104HalfEEEZZNS1_9scan_implILNS1_25lookback_scan_determinismE0ELb0ELb0ES3_PKS6_PS6_S6_ZZZN2at6native31launch_logcumsumexp_cuda_kernelERKNSD_10TensorBaseESH_lENKUlvE_clEvENKUlvE3_clEvEUlS6_S6_E_S6_EEDaPvRmT3_T4_T5_mT6_P12ihipStream_tbENKUlT_T0_E_clISt17integral_constantIbLb0EESX_IbLb1EEEEDaST_SU_EUlST_E_NS1_11comp_targetILNS1_3genE0ELNS1_11target_archE4294967295ELNS1_3gpuE0ELNS1_3repE0EEENS1_30default_config_static_selectorELNS0_4arch9wavefront6targetE1EEEvT1_: ; @_ZN7rocprim17ROCPRIM_400000_NS6detail17trampoline_kernelINS0_14default_configENS1_20scan_config_selectorIN3c104HalfEEEZZNS1_9scan_implILNS1_25lookback_scan_determinismE0ELb0ELb0ES3_PKS6_PS6_S6_ZZZN2at6native31launch_logcumsumexp_cuda_kernelERKNSD_10TensorBaseESH_lENKUlvE_clEvENKUlvE3_clEvEUlS6_S6_E_S6_EEDaPvRmT3_T4_T5_mT6_P12ihipStream_tbENKUlT_T0_E_clISt17integral_constantIbLb0EESX_IbLb1EEEEDaST_SU_EUlST_E_NS1_11comp_targetILNS1_3genE0ELNS1_11target_archE4294967295ELNS1_3gpuE0ELNS1_3repE0EEENS1_30default_config_static_selectorELNS0_4arch9wavefront6targetE1EEEvT1_
; %bb.0:
	.section	.rodata,"a",@progbits
	.p2align	6, 0x0
	.amdhsa_kernel _ZN7rocprim17ROCPRIM_400000_NS6detail17trampoline_kernelINS0_14default_configENS1_20scan_config_selectorIN3c104HalfEEEZZNS1_9scan_implILNS1_25lookback_scan_determinismE0ELb0ELb0ES3_PKS6_PS6_S6_ZZZN2at6native31launch_logcumsumexp_cuda_kernelERKNSD_10TensorBaseESH_lENKUlvE_clEvENKUlvE3_clEvEUlS6_S6_E_S6_EEDaPvRmT3_T4_T5_mT6_P12ihipStream_tbENKUlT_T0_E_clISt17integral_constantIbLb0EESX_IbLb1EEEEDaST_SU_EUlST_E_NS1_11comp_targetILNS1_3genE0ELNS1_11target_archE4294967295ELNS1_3gpuE0ELNS1_3repE0EEENS1_30default_config_static_selectorELNS0_4arch9wavefront6targetE1EEEvT1_
		.amdhsa_group_segment_fixed_size 0
		.amdhsa_private_segment_fixed_size 0
		.amdhsa_kernarg_size 96
		.amdhsa_user_sgpr_count 6
		.amdhsa_user_sgpr_private_segment_buffer 1
		.amdhsa_user_sgpr_dispatch_ptr 0
		.amdhsa_user_sgpr_queue_ptr 0
		.amdhsa_user_sgpr_kernarg_segment_ptr 1
		.amdhsa_user_sgpr_dispatch_id 0
		.amdhsa_user_sgpr_flat_scratch_init 0
		.amdhsa_user_sgpr_kernarg_preload_length 0
		.amdhsa_user_sgpr_kernarg_preload_offset 0
		.amdhsa_user_sgpr_private_segment_size 0
		.amdhsa_uses_dynamic_stack 0
		.amdhsa_system_sgpr_private_segment_wavefront_offset 0
		.amdhsa_system_sgpr_workgroup_id_x 1
		.amdhsa_system_sgpr_workgroup_id_y 0
		.amdhsa_system_sgpr_workgroup_id_z 0
		.amdhsa_system_sgpr_workgroup_info 0
		.amdhsa_system_vgpr_workitem_id 0
		.amdhsa_next_free_vgpr 1
		.amdhsa_next_free_sgpr 0
		.amdhsa_accum_offset 4
		.amdhsa_reserve_vcc 0
		.amdhsa_reserve_flat_scratch 0
		.amdhsa_float_round_mode_32 0
		.amdhsa_float_round_mode_16_64 0
		.amdhsa_float_denorm_mode_32 3
		.amdhsa_float_denorm_mode_16_64 3
		.amdhsa_dx10_clamp 1
		.amdhsa_ieee_mode 1
		.amdhsa_fp16_overflow 0
		.amdhsa_tg_split 0
		.amdhsa_exception_fp_ieee_invalid_op 0
		.amdhsa_exception_fp_denorm_src 0
		.amdhsa_exception_fp_ieee_div_zero 0
		.amdhsa_exception_fp_ieee_overflow 0
		.amdhsa_exception_fp_ieee_underflow 0
		.amdhsa_exception_fp_ieee_inexact 0
		.amdhsa_exception_int_div_zero 0
	.end_amdhsa_kernel
	.section	.text._ZN7rocprim17ROCPRIM_400000_NS6detail17trampoline_kernelINS0_14default_configENS1_20scan_config_selectorIN3c104HalfEEEZZNS1_9scan_implILNS1_25lookback_scan_determinismE0ELb0ELb0ES3_PKS6_PS6_S6_ZZZN2at6native31launch_logcumsumexp_cuda_kernelERKNSD_10TensorBaseESH_lENKUlvE_clEvENKUlvE3_clEvEUlS6_S6_E_S6_EEDaPvRmT3_T4_T5_mT6_P12ihipStream_tbENKUlT_T0_E_clISt17integral_constantIbLb0EESX_IbLb1EEEEDaST_SU_EUlST_E_NS1_11comp_targetILNS1_3genE0ELNS1_11target_archE4294967295ELNS1_3gpuE0ELNS1_3repE0EEENS1_30default_config_static_selectorELNS0_4arch9wavefront6targetE1EEEvT1_,"axG",@progbits,_ZN7rocprim17ROCPRIM_400000_NS6detail17trampoline_kernelINS0_14default_configENS1_20scan_config_selectorIN3c104HalfEEEZZNS1_9scan_implILNS1_25lookback_scan_determinismE0ELb0ELb0ES3_PKS6_PS6_S6_ZZZN2at6native31launch_logcumsumexp_cuda_kernelERKNSD_10TensorBaseESH_lENKUlvE_clEvENKUlvE3_clEvEUlS6_S6_E_S6_EEDaPvRmT3_T4_T5_mT6_P12ihipStream_tbENKUlT_T0_E_clISt17integral_constantIbLb0EESX_IbLb1EEEEDaST_SU_EUlST_E_NS1_11comp_targetILNS1_3genE0ELNS1_11target_archE4294967295ELNS1_3gpuE0ELNS1_3repE0EEENS1_30default_config_static_selectorELNS0_4arch9wavefront6targetE1EEEvT1_,comdat
.Lfunc_end419:
	.size	_ZN7rocprim17ROCPRIM_400000_NS6detail17trampoline_kernelINS0_14default_configENS1_20scan_config_selectorIN3c104HalfEEEZZNS1_9scan_implILNS1_25lookback_scan_determinismE0ELb0ELb0ES3_PKS6_PS6_S6_ZZZN2at6native31launch_logcumsumexp_cuda_kernelERKNSD_10TensorBaseESH_lENKUlvE_clEvENKUlvE3_clEvEUlS6_S6_E_S6_EEDaPvRmT3_T4_T5_mT6_P12ihipStream_tbENKUlT_T0_E_clISt17integral_constantIbLb0EESX_IbLb1EEEEDaST_SU_EUlST_E_NS1_11comp_targetILNS1_3genE0ELNS1_11target_archE4294967295ELNS1_3gpuE0ELNS1_3repE0EEENS1_30default_config_static_selectorELNS0_4arch9wavefront6targetE1EEEvT1_, .Lfunc_end419-_ZN7rocprim17ROCPRIM_400000_NS6detail17trampoline_kernelINS0_14default_configENS1_20scan_config_selectorIN3c104HalfEEEZZNS1_9scan_implILNS1_25lookback_scan_determinismE0ELb0ELb0ES3_PKS6_PS6_S6_ZZZN2at6native31launch_logcumsumexp_cuda_kernelERKNSD_10TensorBaseESH_lENKUlvE_clEvENKUlvE3_clEvEUlS6_S6_E_S6_EEDaPvRmT3_T4_T5_mT6_P12ihipStream_tbENKUlT_T0_E_clISt17integral_constantIbLb0EESX_IbLb1EEEEDaST_SU_EUlST_E_NS1_11comp_targetILNS1_3genE0ELNS1_11target_archE4294967295ELNS1_3gpuE0ELNS1_3repE0EEENS1_30default_config_static_selectorELNS0_4arch9wavefront6targetE1EEEvT1_
                                        ; -- End function
	.section	.AMDGPU.csdata,"",@progbits
; Kernel info:
; codeLenInByte = 0
; NumSgprs: 4
; NumVgprs: 0
; NumAgprs: 0
; TotalNumVgprs: 0
; ScratchSize: 0
; MemoryBound: 0
; FloatMode: 240
; IeeeMode: 1
; LDSByteSize: 0 bytes/workgroup (compile time only)
; SGPRBlocks: 0
; VGPRBlocks: 0
; NumSGPRsForWavesPerEU: 4
; NumVGPRsForWavesPerEU: 1
; AccumOffset: 4
; Occupancy: 8
; WaveLimiterHint : 0
; COMPUTE_PGM_RSRC2:SCRATCH_EN: 0
; COMPUTE_PGM_RSRC2:USER_SGPR: 6
; COMPUTE_PGM_RSRC2:TRAP_HANDLER: 0
; COMPUTE_PGM_RSRC2:TGID_X_EN: 1
; COMPUTE_PGM_RSRC2:TGID_Y_EN: 0
; COMPUTE_PGM_RSRC2:TGID_Z_EN: 0
; COMPUTE_PGM_RSRC2:TIDIG_COMP_CNT: 0
; COMPUTE_PGM_RSRC3_GFX90A:ACCUM_OFFSET: 0
; COMPUTE_PGM_RSRC3_GFX90A:TG_SPLIT: 0
	.section	.text._ZN7rocprim17ROCPRIM_400000_NS6detail17trampoline_kernelINS0_14default_configENS1_20scan_config_selectorIN3c104HalfEEEZZNS1_9scan_implILNS1_25lookback_scan_determinismE0ELb0ELb0ES3_PKS6_PS6_S6_ZZZN2at6native31launch_logcumsumexp_cuda_kernelERKNSD_10TensorBaseESH_lENKUlvE_clEvENKUlvE3_clEvEUlS6_S6_E_S6_EEDaPvRmT3_T4_T5_mT6_P12ihipStream_tbENKUlT_T0_E_clISt17integral_constantIbLb0EESX_IbLb1EEEEDaST_SU_EUlST_E_NS1_11comp_targetILNS1_3genE5ELNS1_11target_archE942ELNS1_3gpuE9ELNS1_3repE0EEENS1_30default_config_static_selectorELNS0_4arch9wavefront6targetE1EEEvT1_,"axG",@progbits,_ZN7rocprim17ROCPRIM_400000_NS6detail17trampoline_kernelINS0_14default_configENS1_20scan_config_selectorIN3c104HalfEEEZZNS1_9scan_implILNS1_25lookback_scan_determinismE0ELb0ELb0ES3_PKS6_PS6_S6_ZZZN2at6native31launch_logcumsumexp_cuda_kernelERKNSD_10TensorBaseESH_lENKUlvE_clEvENKUlvE3_clEvEUlS6_S6_E_S6_EEDaPvRmT3_T4_T5_mT6_P12ihipStream_tbENKUlT_T0_E_clISt17integral_constantIbLb0EESX_IbLb1EEEEDaST_SU_EUlST_E_NS1_11comp_targetILNS1_3genE5ELNS1_11target_archE942ELNS1_3gpuE9ELNS1_3repE0EEENS1_30default_config_static_selectorELNS0_4arch9wavefront6targetE1EEEvT1_,comdat
	.globl	_ZN7rocprim17ROCPRIM_400000_NS6detail17trampoline_kernelINS0_14default_configENS1_20scan_config_selectorIN3c104HalfEEEZZNS1_9scan_implILNS1_25lookback_scan_determinismE0ELb0ELb0ES3_PKS6_PS6_S6_ZZZN2at6native31launch_logcumsumexp_cuda_kernelERKNSD_10TensorBaseESH_lENKUlvE_clEvENKUlvE3_clEvEUlS6_S6_E_S6_EEDaPvRmT3_T4_T5_mT6_P12ihipStream_tbENKUlT_T0_E_clISt17integral_constantIbLb0EESX_IbLb1EEEEDaST_SU_EUlST_E_NS1_11comp_targetILNS1_3genE5ELNS1_11target_archE942ELNS1_3gpuE9ELNS1_3repE0EEENS1_30default_config_static_selectorELNS0_4arch9wavefront6targetE1EEEvT1_ ; -- Begin function _ZN7rocprim17ROCPRIM_400000_NS6detail17trampoline_kernelINS0_14default_configENS1_20scan_config_selectorIN3c104HalfEEEZZNS1_9scan_implILNS1_25lookback_scan_determinismE0ELb0ELb0ES3_PKS6_PS6_S6_ZZZN2at6native31launch_logcumsumexp_cuda_kernelERKNSD_10TensorBaseESH_lENKUlvE_clEvENKUlvE3_clEvEUlS6_S6_E_S6_EEDaPvRmT3_T4_T5_mT6_P12ihipStream_tbENKUlT_T0_E_clISt17integral_constantIbLb0EESX_IbLb1EEEEDaST_SU_EUlST_E_NS1_11comp_targetILNS1_3genE5ELNS1_11target_archE942ELNS1_3gpuE9ELNS1_3repE0EEENS1_30default_config_static_selectorELNS0_4arch9wavefront6targetE1EEEvT1_
	.p2align	8
	.type	_ZN7rocprim17ROCPRIM_400000_NS6detail17trampoline_kernelINS0_14default_configENS1_20scan_config_selectorIN3c104HalfEEEZZNS1_9scan_implILNS1_25lookback_scan_determinismE0ELb0ELb0ES3_PKS6_PS6_S6_ZZZN2at6native31launch_logcumsumexp_cuda_kernelERKNSD_10TensorBaseESH_lENKUlvE_clEvENKUlvE3_clEvEUlS6_S6_E_S6_EEDaPvRmT3_T4_T5_mT6_P12ihipStream_tbENKUlT_T0_E_clISt17integral_constantIbLb0EESX_IbLb1EEEEDaST_SU_EUlST_E_NS1_11comp_targetILNS1_3genE5ELNS1_11target_archE942ELNS1_3gpuE9ELNS1_3repE0EEENS1_30default_config_static_selectorELNS0_4arch9wavefront6targetE1EEEvT1_,@function
_ZN7rocprim17ROCPRIM_400000_NS6detail17trampoline_kernelINS0_14default_configENS1_20scan_config_selectorIN3c104HalfEEEZZNS1_9scan_implILNS1_25lookback_scan_determinismE0ELb0ELb0ES3_PKS6_PS6_S6_ZZZN2at6native31launch_logcumsumexp_cuda_kernelERKNSD_10TensorBaseESH_lENKUlvE_clEvENKUlvE3_clEvEUlS6_S6_E_S6_EEDaPvRmT3_T4_T5_mT6_P12ihipStream_tbENKUlT_T0_E_clISt17integral_constantIbLb0EESX_IbLb1EEEEDaST_SU_EUlST_E_NS1_11comp_targetILNS1_3genE5ELNS1_11target_archE942ELNS1_3gpuE9ELNS1_3repE0EEENS1_30default_config_static_selectorELNS0_4arch9wavefront6targetE1EEEvT1_: ; @_ZN7rocprim17ROCPRIM_400000_NS6detail17trampoline_kernelINS0_14default_configENS1_20scan_config_selectorIN3c104HalfEEEZZNS1_9scan_implILNS1_25lookback_scan_determinismE0ELb0ELb0ES3_PKS6_PS6_S6_ZZZN2at6native31launch_logcumsumexp_cuda_kernelERKNSD_10TensorBaseESH_lENKUlvE_clEvENKUlvE3_clEvEUlS6_S6_E_S6_EEDaPvRmT3_T4_T5_mT6_P12ihipStream_tbENKUlT_T0_E_clISt17integral_constantIbLb0EESX_IbLb1EEEEDaST_SU_EUlST_E_NS1_11comp_targetILNS1_3genE5ELNS1_11target_archE942ELNS1_3gpuE9ELNS1_3repE0EEENS1_30default_config_static_selectorELNS0_4arch9wavefront6targetE1EEEvT1_
; %bb.0:
	.section	.rodata,"a",@progbits
	.p2align	6, 0x0
	.amdhsa_kernel _ZN7rocprim17ROCPRIM_400000_NS6detail17trampoline_kernelINS0_14default_configENS1_20scan_config_selectorIN3c104HalfEEEZZNS1_9scan_implILNS1_25lookback_scan_determinismE0ELb0ELb0ES3_PKS6_PS6_S6_ZZZN2at6native31launch_logcumsumexp_cuda_kernelERKNSD_10TensorBaseESH_lENKUlvE_clEvENKUlvE3_clEvEUlS6_S6_E_S6_EEDaPvRmT3_T4_T5_mT6_P12ihipStream_tbENKUlT_T0_E_clISt17integral_constantIbLb0EESX_IbLb1EEEEDaST_SU_EUlST_E_NS1_11comp_targetILNS1_3genE5ELNS1_11target_archE942ELNS1_3gpuE9ELNS1_3repE0EEENS1_30default_config_static_selectorELNS0_4arch9wavefront6targetE1EEEvT1_
		.amdhsa_group_segment_fixed_size 0
		.amdhsa_private_segment_fixed_size 0
		.amdhsa_kernarg_size 96
		.amdhsa_user_sgpr_count 6
		.amdhsa_user_sgpr_private_segment_buffer 1
		.amdhsa_user_sgpr_dispatch_ptr 0
		.amdhsa_user_sgpr_queue_ptr 0
		.amdhsa_user_sgpr_kernarg_segment_ptr 1
		.amdhsa_user_sgpr_dispatch_id 0
		.amdhsa_user_sgpr_flat_scratch_init 0
		.amdhsa_user_sgpr_kernarg_preload_length 0
		.amdhsa_user_sgpr_kernarg_preload_offset 0
		.amdhsa_user_sgpr_private_segment_size 0
		.amdhsa_uses_dynamic_stack 0
		.amdhsa_system_sgpr_private_segment_wavefront_offset 0
		.amdhsa_system_sgpr_workgroup_id_x 1
		.amdhsa_system_sgpr_workgroup_id_y 0
		.amdhsa_system_sgpr_workgroup_id_z 0
		.amdhsa_system_sgpr_workgroup_info 0
		.amdhsa_system_vgpr_workitem_id 0
		.amdhsa_next_free_vgpr 1
		.amdhsa_next_free_sgpr 0
		.amdhsa_accum_offset 4
		.amdhsa_reserve_vcc 0
		.amdhsa_reserve_flat_scratch 0
		.amdhsa_float_round_mode_32 0
		.amdhsa_float_round_mode_16_64 0
		.amdhsa_float_denorm_mode_32 3
		.amdhsa_float_denorm_mode_16_64 3
		.amdhsa_dx10_clamp 1
		.amdhsa_ieee_mode 1
		.amdhsa_fp16_overflow 0
		.amdhsa_tg_split 0
		.amdhsa_exception_fp_ieee_invalid_op 0
		.amdhsa_exception_fp_denorm_src 0
		.amdhsa_exception_fp_ieee_div_zero 0
		.amdhsa_exception_fp_ieee_overflow 0
		.amdhsa_exception_fp_ieee_underflow 0
		.amdhsa_exception_fp_ieee_inexact 0
		.amdhsa_exception_int_div_zero 0
	.end_amdhsa_kernel
	.section	.text._ZN7rocprim17ROCPRIM_400000_NS6detail17trampoline_kernelINS0_14default_configENS1_20scan_config_selectorIN3c104HalfEEEZZNS1_9scan_implILNS1_25lookback_scan_determinismE0ELb0ELb0ES3_PKS6_PS6_S6_ZZZN2at6native31launch_logcumsumexp_cuda_kernelERKNSD_10TensorBaseESH_lENKUlvE_clEvENKUlvE3_clEvEUlS6_S6_E_S6_EEDaPvRmT3_T4_T5_mT6_P12ihipStream_tbENKUlT_T0_E_clISt17integral_constantIbLb0EESX_IbLb1EEEEDaST_SU_EUlST_E_NS1_11comp_targetILNS1_3genE5ELNS1_11target_archE942ELNS1_3gpuE9ELNS1_3repE0EEENS1_30default_config_static_selectorELNS0_4arch9wavefront6targetE1EEEvT1_,"axG",@progbits,_ZN7rocprim17ROCPRIM_400000_NS6detail17trampoline_kernelINS0_14default_configENS1_20scan_config_selectorIN3c104HalfEEEZZNS1_9scan_implILNS1_25lookback_scan_determinismE0ELb0ELb0ES3_PKS6_PS6_S6_ZZZN2at6native31launch_logcumsumexp_cuda_kernelERKNSD_10TensorBaseESH_lENKUlvE_clEvENKUlvE3_clEvEUlS6_S6_E_S6_EEDaPvRmT3_T4_T5_mT6_P12ihipStream_tbENKUlT_T0_E_clISt17integral_constantIbLb0EESX_IbLb1EEEEDaST_SU_EUlST_E_NS1_11comp_targetILNS1_3genE5ELNS1_11target_archE942ELNS1_3gpuE9ELNS1_3repE0EEENS1_30default_config_static_selectorELNS0_4arch9wavefront6targetE1EEEvT1_,comdat
.Lfunc_end420:
	.size	_ZN7rocprim17ROCPRIM_400000_NS6detail17trampoline_kernelINS0_14default_configENS1_20scan_config_selectorIN3c104HalfEEEZZNS1_9scan_implILNS1_25lookback_scan_determinismE0ELb0ELb0ES3_PKS6_PS6_S6_ZZZN2at6native31launch_logcumsumexp_cuda_kernelERKNSD_10TensorBaseESH_lENKUlvE_clEvENKUlvE3_clEvEUlS6_S6_E_S6_EEDaPvRmT3_T4_T5_mT6_P12ihipStream_tbENKUlT_T0_E_clISt17integral_constantIbLb0EESX_IbLb1EEEEDaST_SU_EUlST_E_NS1_11comp_targetILNS1_3genE5ELNS1_11target_archE942ELNS1_3gpuE9ELNS1_3repE0EEENS1_30default_config_static_selectorELNS0_4arch9wavefront6targetE1EEEvT1_, .Lfunc_end420-_ZN7rocprim17ROCPRIM_400000_NS6detail17trampoline_kernelINS0_14default_configENS1_20scan_config_selectorIN3c104HalfEEEZZNS1_9scan_implILNS1_25lookback_scan_determinismE0ELb0ELb0ES3_PKS6_PS6_S6_ZZZN2at6native31launch_logcumsumexp_cuda_kernelERKNSD_10TensorBaseESH_lENKUlvE_clEvENKUlvE3_clEvEUlS6_S6_E_S6_EEDaPvRmT3_T4_T5_mT6_P12ihipStream_tbENKUlT_T0_E_clISt17integral_constantIbLb0EESX_IbLb1EEEEDaST_SU_EUlST_E_NS1_11comp_targetILNS1_3genE5ELNS1_11target_archE942ELNS1_3gpuE9ELNS1_3repE0EEENS1_30default_config_static_selectorELNS0_4arch9wavefront6targetE1EEEvT1_
                                        ; -- End function
	.section	.AMDGPU.csdata,"",@progbits
; Kernel info:
; codeLenInByte = 0
; NumSgprs: 4
; NumVgprs: 0
; NumAgprs: 0
; TotalNumVgprs: 0
; ScratchSize: 0
; MemoryBound: 0
; FloatMode: 240
; IeeeMode: 1
; LDSByteSize: 0 bytes/workgroup (compile time only)
; SGPRBlocks: 0
; VGPRBlocks: 0
; NumSGPRsForWavesPerEU: 4
; NumVGPRsForWavesPerEU: 1
; AccumOffset: 4
; Occupancy: 8
; WaveLimiterHint : 0
; COMPUTE_PGM_RSRC2:SCRATCH_EN: 0
; COMPUTE_PGM_RSRC2:USER_SGPR: 6
; COMPUTE_PGM_RSRC2:TRAP_HANDLER: 0
; COMPUTE_PGM_RSRC2:TGID_X_EN: 1
; COMPUTE_PGM_RSRC2:TGID_Y_EN: 0
; COMPUTE_PGM_RSRC2:TGID_Z_EN: 0
; COMPUTE_PGM_RSRC2:TIDIG_COMP_CNT: 0
; COMPUTE_PGM_RSRC3_GFX90A:ACCUM_OFFSET: 0
; COMPUTE_PGM_RSRC3_GFX90A:TG_SPLIT: 0
	.text
	.p2align	2                               ; -- Begin function _ZZZN7rocprim17ROCPRIM_400000_NS6detail9scan_implILNS1_25lookback_scan_determinismE0ELb0ELb0ENS0_14default_configEPKN3c104HalfEPS6_S6_ZZZN2at6native31launch_logcumsumexp_cuda_kernelERKNSA_10TensorBaseESE_lENKUlvE_clEvENKUlvE3_clEvEUlS6_S6_E_S6_EEDaPvRmT3_T4_T5_mT6_P12ihipStream_tbENKUlT_T0_E_clISt17integral_constantIbLb0EESU_IbLb1EEEEDaSQ_SR_ENKUlSQ_E_clINS1_13target_configIS4_NS1_20scan_config_selectorIS6_EENS1_11comp_targetILNS1_3genE4ELNS1_11target_archE910ELNS1_3gpuE8ELNS1_3repE0EEELNS0_4arch9wavefront6targetE1EEEEEDaSQ_
	.type	_ZZZN7rocprim17ROCPRIM_400000_NS6detail9scan_implILNS1_25lookback_scan_determinismE0ELb0ELb0ENS0_14default_configEPKN3c104HalfEPS6_S6_ZZZN2at6native31launch_logcumsumexp_cuda_kernelERKNSA_10TensorBaseESE_lENKUlvE_clEvENKUlvE3_clEvEUlS6_S6_E_S6_EEDaPvRmT3_T4_T5_mT6_P12ihipStream_tbENKUlT_T0_E_clISt17integral_constantIbLb0EESU_IbLb1EEEEDaSQ_SR_ENKUlSQ_E_clINS1_13target_configIS4_NS1_20scan_config_selectorIS6_EENS1_11comp_targetILNS1_3genE4ELNS1_11target_archE910ELNS1_3gpuE8ELNS1_3repE0EEELNS0_4arch9wavefront6targetE1EEEEEDaSQ_,@function
_ZZZN7rocprim17ROCPRIM_400000_NS6detail9scan_implILNS1_25lookback_scan_determinismE0ELb0ELb0ENS0_14default_configEPKN3c104HalfEPS6_S6_ZZZN2at6native31launch_logcumsumexp_cuda_kernelERKNSA_10TensorBaseESE_lENKUlvE_clEvENKUlvE3_clEvEUlS6_S6_E_S6_EEDaPvRmT3_T4_T5_mT6_P12ihipStream_tbENKUlT_T0_E_clISt17integral_constantIbLb0EESU_IbLb1EEEEDaSQ_SR_ENKUlSQ_E_clINS1_13target_configIS4_NS1_20scan_config_selectorIS6_EENS1_11comp_targetILNS1_3genE4ELNS1_11target_archE910ELNS1_3gpuE8ELNS1_3repE0EEELNS0_4arch9wavefront6targetE1EEEEEDaSQ_: ; @_ZZZN7rocprim17ROCPRIM_400000_NS6detail9scan_implILNS1_25lookback_scan_determinismE0ELb0ELb0ENS0_14default_configEPKN3c104HalfEPS6_S6_ZZZN2at6native31launch_logcumsumexp_cuda_kernelERKNSA_10TensorBaseESE_lENKUlvE_clEvENKUlvE3_clEvEUlS6_S6_E_S6_EEDaPvRmT3_T4_T5_mT6_P12ihipStream_tbENKUlT_T0_E_clISt17integral_constantIbLb0EESU_IbLb1EEEEDaSQ_SR_ENKUlSQ_E_clINS1_13target_configIS4_NS1_20scan_config_selectorIS6_EENS1_11comp_targetILNS1_3genE4ELNS1_11target_archE910ELNS1_3gpuE8ELNS1_3repE0EEELNS0_4arch9wavefront6targetE1EEEEEDaSQ_
; %bb.0:
	s_waitcnt vmcnt(0) expcnt(0) lgkmcnt(0)
	s_or_saveexec_b64 s[4:5], -1
	buffer_store_dword v40, off, s[0:3], s32 ; 4-byte Folded Spill
	s_mov_b64 exec, s[4:5]
	v_writelane_b32 v40, s30, 0
	v_writelane_b32 v40, s31, 1
	flat_load_dwordx4 v[14:17], v[0:1]
	flat_load_dwordx4 v[10:13], v[0:1] offset:16
	flat_load_dwordx3 v[24:26], v[0:1] offset:40
	flat_load_dwordx4 v[2:5], v[0:1] offset:56
	flat_load_dwordx4 v[6:9], v[0:1] offset:72
	v_and_b32_e32 v28, 0x3ff, v31
	v_cmp_ne_u32_e64 s[6:7], 0, v28
	v_cmp_eq_u32_e64 s[8:9], 0, v28
	s_and_saveexec_b64 s[4:5], s[8:9]
	s_cbranch_execz .LBB421_2
; %bb.1:
	flat_load_dwordx2 v[0:1], v[0:1] offset:88
	v_mov_b32_e32 v18, 1
	s_waitcnt vmcnt(0) lgkmcnt(0)
	flat_atomic_add v0, v[0:1], v18 glc
	v_mov_b32_e32 v1, 0
	s_waitcnt vmcnt(0) lgkmcnt(0)
	ds_write_b32 v1, v0
.LBB421_2:
	s_or_b64 exec, exec, s[4:5]
	s_waitcnt vmcnt(0) lgkmcnt(0)
	v_lshlrev_b64 v[0:1], 1, v[16:17]
	v_mov_b32_e32 v17, 0
	s_waitcnt lgkmcnt(0)
	; wave barrier
	ds_read_b32 v18, v17
	v_add_co_u32_e32 v14, vcc, v14, v0
	s_movk_i32 s4, 0x600
	v_add_u32_e32 v19, -1, v26
	v_addc_co_u32_e32 v15, vcc, v15, v1, vcc
	v_mul_lo_u32 v20, v19, s4
	s_waitcnt lgkmcnt(0)
	v_mul_lo_u32 v16, v18, s4
	v_sub_co_u32_e32 v38, vcc, v12, v20
	v_subbrev_co_u32_e32 v39, vcc, 0, v13, vcc
	v_lshlrev_b64 v[26:27], 1, v[16:17]
	v_add_co_u32_e32 v12, vcc, v14, v26
	v_readfirstlane_b32 s68, v18
	v_cmp_ne_u32_e64 s[4:5], v18, v19
	v_addc_co_u32_e32 v13, vcc, v15, v27, vcc
	v_lshlrev_b32_e32 v48, 1, v28
	s_waitcnt lgkmcnt(0)
	; wave barrier
	s_and_saveexec_b64 s[10:11], s[4:5]
	s_xor_b64 s[10:11], exec, s[10:11]
	s_cbranch_execz .LBB421_4
; %bb.3:
	v_add_co_u32_e32 v12, vcc, v12, v48
	v_addc_co_u32_e32 v13, vcc, 0, v13, vcc
	flat_load_ushort v14, v[12:13]
	flat_load_ushort v15, v[12:13] offset:128
	flat_load_ushort v16, v[12:13] offset:256
	;; [unrolled: 1-line block ×23, first 2 shown]
                                        ; implicit-def: $vgpr12
	s_waitcnt vmcnt(0) lgkmcnt(0)
	ds_write_b16 v48, v14
	ds_write_b16 v48, v15 offset:128
	ds_write_b16 v48, v16 offset:256
	;; [unrolled: 1-line block ×23, first 2 shown]
	s_waitcnt lgkmcnt(0)
	; wave barrier
.LBB421_4:
	s_andn2_saveexec_b64 s[10:11], s[10:11]
	s_cbranch_execz .LBB421_54
; %bb.5:
	flat_load_ushort v14, v[12:13]
	v_cmp_lt_u32_e32 vcc, v28, v38
	s_waitcnt vmcnt(0) lgkmcnt(0)
	v_mov_b32_e32 v15, v14
	s_and_saveexec_b64 s[12:13], vcc
	s_cbranch_execz .LBB421_7
; %bb.6:
	v_add_co_u32_e32 v16, vcc, v12, v48
	v_addc_co_u32_e32 v17, vcc, 0, v13, vcc
	flat_load_ushort v15, v[16:17]
.LBB421_7:
	s_or_b64 exec, exec, s[12:13]
	v_add_u32_e32 v16, 64, v28
	v_cmp_lt_u32_e32 vcc, v16, v38
	v_mov_b32_e32 v16, v14
	s_and_saveexec_b64 s[12:13], vcc
	s_cbranch_execz .LBB421_9
; %bb.8:
	v_add_co_u32_e32 v16, vcc, v12, v48
	v_addc_co_u32_e32 v17, vcc, 0, v13, vcc
	flat_load_ushort v16, v[16:17] offset:128
.LBB421_9:
	s_or_b64 exec, exec, s[12:13]
	v_add_u32_e32 v17, 0x80, v28
	v_cmp_lt_u32_e32 vcc, v17, v38
	v_mov_b32_e32 v17, v14
	s_and_saveexec_b64 s[12:13], vcc
	s_cbranch_execz .LBB421_11
; %bb.10:
	v_add_co_u32_e32 v18, vcc, v12, v48
	v_addc_co_u32_e32 v19, vcc, 0, v13, vcc
	flat_load_ushort v17, v[18:19] offset:256
.LBB421_11:
	;; [unrolled: 11-line block ×15, first 2 shown]
	s_or_b64 exec, exec, s[12:13]
	v_or_b32_e32 v36, 0x400, v28
	v_cmp_lt_u32_e32 vcc, v36, v38
	v_mov_b32_e32 v36, v14
	s_and_saveexec_b64 s[12:13], vcc
	s_cbranch_execz .LBB421_39
; %bb.38:
	v_add_co_u32_e32 v36, vcc, v12, v48
	v_addc_co_u32_e32 v37, vcc, 0, v13, vcc
	flat_load_ushort v36, v[36:37] offset:2048
.LBB421_39:
	s_or_b64 exec, exec, s[12:13]
	v_add_u32_e32 v37, 0x440, v28
	v_cmp_lt_u32_e32 vcc, v37, v38
	v_mov_b32_e32 v37, v14
	s_and_saveexec_b64 s[12:13], vcc
	s_cbranch_execz .LBB421_41
; %bb.40:
	v_add_co_u32_e32 v50, vcc, v12, v48
	v_addc_co_u32_e32 v51, vcc, 0, v13, vcc
	flat_load_ushort v37, v[50:51] offset:2176
.LBB421_41:
	s_or_b64 exec, exec, s[12:13]
	v_add_u32_e32 v49, 0x480, v28
	;; [unrolled: 11-line block ×7, first 2 shown]
	v_cmp_lt_u32_e32 vcc, v54, v38
	s_and_saveexec_b64 s[12:13], vcc
	s_cbranch_execz .LBB421_53
; %bb.52:
	v_add_co_u32_e32 v12, vcc, v12, v48
	v_addc_co_u32_e32 v13, vcc, 0, v13, vcc
	flat_load_ushort v14, v[12:13] offset:2944
.LBB421_53:
	s_or_b64 exec, exec, s[12:13]
	s_waitcnt vmcnt(0) lgkmcnt(0)
	ds_write_b16 v48, v15
	ds_write_b16 v48, v16 offset:128
	ds_write_b16 v48, v17 offset:256
	;; [unrolled: 1-line block ×23, first 2 shown]
	s_waitcnt lgkmcnt(0)
	; wave barrier
.LBB421_54:
	s_or_b64 exec, exec, s[10:11]
	v_mul_u32_u24_e32 v49, 24, v28
	v_lshlrev_b32_e32 v29, 1, v49
	s_waitcnt lgkmcnt(0)
	ds_read_b128 v[20:23], v29
	ds_read_b128 v[16:19], v29 offset:16
	ds_read_b128 v[12:15], v29 offset:32
	s_cmp_lg_u32 s68, 0
	s_waitcnt lgkmcnt(0)
	v_cvt_f32_f16_sdwa v50, v20 dst_sel:DWORD dst_unused:UNUSED_PAD src0_sel:WORD_1
	v_cmp_u_f16_sdwa s[10:11], v20, v20 src0_sel:WORD_1 src1_sel:WORD_1
	; wave barrier
	s_cbranch_scc0 .LBB421_251
; %bb.55:
	v_cvt_f32_f16_e32 v97, v20
	v_cmp_u_f16_e64 s[58:59], v20, v20
	s_movk_i32 s14, 0x1f8
	v_min_f32_e32 v30, v97, v50
	v_max_f32_e32 v31, v97, v50
	v_cndmask_b32_e64 v30, v30, v97, s[58:59]
	v_cndmask_b32_e64 v31, v31, v97, s[58:59]
	v_cndmask_b32_e64 v34, v30, v50, s[10:11]
	v_cndmask_b32_e64 v33, v31, v50, s[10:11]
	v_cmp_neq_f32_e32 vcc, v34, v33
	v_cmp_class_f32_e64 s[12:13], v34, s14
	s_or_b64 s[16:17], vcc, s[12:13]
	v_mov_b32_e32 v32, v97
	v_mov_b32_e32 v31, v20
	;; [unrolled: 1-line block ×3, first 2 shown]
	s_and_saveexec_b64 s[12:13], s[16:17]
	s_cbranch_execz .LBB421_57
; %bb.56:
	v_sub_f32_e32 v30, v34, v33
	s_mov_b32 s15, 0x3fb8aa3b
	v_mul_f32_e32 v31, 0x3fb8aa3b, v30
	v_fma_f32 v32, v30, s15, -v31
	v_rndne_f32_e32 v34, v31
	v_fmac_f32_e32 v32, 0x32a5705f, v30
	v_sub_f32_e32 v31, v31, v34
	v_add_f32_e32 v31, v31, v32
	v_exp_f32_e32 v31, v31
	v_cvt_i32_f32_e32 v32, v34
	s_mov_b32 s15, 0xc2ce8ed0
	v_cmp_ngt_f32_e32 vcc, s15, v30
	s_mov_b32 s15, 0x42b17218
	v_ldexp_f32 v31, v31, v32
	v_cndmask_b32_e32 v31, 0, v31, vcc
	v_mov_b32_e32 v32, 0x7f800000
	v_cmp_nlt_f32_e32 vcc, s15, v30
	v_cndmask_b32_e32 v51, v32, v31, vcc
	v_add_f32_e32 v32, 1.0, v51
	v_add_f32_e32 v30, -1.0, v32
	v_sub_f32_e32 v31, v30, v32
	v_add_f32_e32 v31, 1.0, v31
	v_sub_f32_e32 v30, v51, v30
	v_add_f32_e32 v34, v30, v31
	v_frexp_mant_f32_e32 v35, v32
	s_mov_b32 s15, 0x3f2aaaab
	v_cvt_f64_f32_e32 v[30:31], v32
	v_frexp_exp_i32_f64_e32 v30, v[30:31]
	v_cmp_gt_f32_e32 vcc, s15, v35
	v_subbrev_co_u32_e32 v54, vcc, 0, v30, vcc
	v_sub_u32_e32 v30, 0, v54
	v_ldexp_f32 v31, v32, v30
	v_add_f32_e32 v32, -1.0, v31
	v_add_f32_e32 v35, 1.0, v31
	v_ldexp_f32 v30, v34, v30
	v_add_f32_e32 v34, 1.0, v32
	v_add_f32_e32 v36, -1.0, v35
	v_sub_f32_e32 v34, v31, v34
	v_sub_f32_e32 v31, v31, v36
	v_add_f32_e32 v34, v30, v34
	v_add_f32_e32 v30, v30, v31
	;; [unrolled: 1-line block ×3, first 2 shown]
	v_rcp_f32_e32 v65, v55
	v_sub_f32_e32 v31, v35, v55
	v_add_f32_e32 v64, v30, v31
	v_add_f32_e32 v31, v32, v34
	v_sub_f32_e32 v30, v32, v31
	v_mul_f32_e32 v66, v31, v65
	v_add_f32_e32 v32, v34, v30
	v_mul_f32_e32 v34, v55, v66
	v_fma_f32 v36, v66, v55, -v34
	v_fmac_f32_e32 v36, v66, v64
	v_add_f32_e32 v30, v34, v36
	v_sub_f32_e32 v35, v31, v30
	v_pk_add_f32 v[52:53], v[30:31], v[34:35] neg_lo:[0,1] neg_hi:[0,1]
	v_mov_b32_e32 v37, v30
	v_pk_add_f32 v[30:31], v[52:53], v[36:37] neg_lo:[0,1] neg_hi:[0,1]
	v_add_f32_e32 v31, v32, v31
	v_add_f32_e32 v30, v30, v31
	;; [unrolled: 1-line block ×3, first 2 shown]
	v_mul_f32_e32 v32, v65, v31
	v_mul_f32_e32 v34, v55, v32
	v_fma_f32 v36, v32, v55, -v34
	v_fmac_f32_e32 v36, v32, v64
	v_sub_f32_e32 v35, v35, v31
	v_add_f32_e32 v55, v30, v35
	v_add_f32_e32 v30, v34, v36
	v_sub_f32_e32 v35, v31, v30
	v_pk_add_f32 v[52:53], v[30:31], v[34:35] neg_lo:[0,1] neg_hi:[0,1]
	v_mov_b32_e32 v37, v30
	v_pk_add_f32 v[30:31], v[52:53], v[36:37] neg_lo:[0,1] neg_hi:[0,1]
	v_add_f32_e32 v31, v55, v31
	v_add_f32_e32 v30, v30, v31
	;; [unrolled: 1-line block ×4, first 2 shown]
	v_sub_f32_e32 v31, v35, v66
	v_mul_f32_e32 v30, v65, v30
	v_sub_f32_e32 v31, v32, v31
	v_add_f32_e32 v30, v31, v30
	v_add_f32_e32 v32, v35, v30
	v_mul_f32_e32 v36, v32, v32
	v_mov_b32_e32 v34, 0x3ecc95a3
	v_fmac_f32_e32 v34, 0x3e9b6dac, v36
	v_mov_b32_e32 v31, 0x3f2aaada
	v_fmac_f32_e32 v31, v36, v34
	v_cvt_f32_i32_e32 v34, v54
	v_sub_f32_e32 v35, v32, v35
	v_sub_f32_e32 v30, v30, v35
	v_ldexp_f32 v52, v30, 1
	v_mul_f32_e32 v35, v32, v36
	v_mov_b32_e32 v30, 0x3f317218
	s_mov_b32 s15, 0x3f317218
	v_pk_mul_f32 v[30:31], v[34:35], v[30:31]
	v_fma_f32 v36, v34, s15, -v30
	v_ldexp_f32 v37, v32, 1
	v_fmac_f32_e32 v36, 0xb102e308, v34
	v_pk_add_f32 v[34:35], v[30:31], v[36:37]
	v_sub_f32_e32 v32, v35, v37
	v_sub_f32_e32 v32, v31, v32
	v_add_f32_e32 v53, v52, v32
	v_mov_b32_e32 v52, v30
	v_pk_add_f32 v[30:31], v[34:35], v[30:31] neg_lo:[0,1] neg_hi:[0,1]
	v_pk_add_f32 v[54:55], v[34:35], v[52:53]
	v_mov_b32_e32 v31, v55
	v_mov_b32_e32 v37, v34
	v_pk_add_f32 v[64:65], v[36:37], v[30:31] neg_lo:[0,1] neg_hi:[0,1]
	v_pk_add_f32 v[30:31], v[36:37], v[30:31]
	v_mov_b32_e32 v32, v31
	v_pk_add_f32 v[36:37], v[32:33], v[34:35] neg_lo:[0,1] neg_hi:[0,1]
	v_mov_b32_e32 v37, v36
	v_pk_add_f32 v[66:67], v[54:55], v[36:37] neg_lo:[0,1] neg_hi:[0,1]
	v_mov_b32_e32 v30, v55
	v_mov_b32_e32 v54, v35
	;; [unrolled: 1-line block ×4, first 2 shown]
	v_pk_add_f32 v[30:31], v[30:31], v[54:55] neg_lo:[0,1] neg_hi:[0,1]
	v_mov_b32_e32 v36, v53
	v_mov_b32_e32 v37, v34
	v_pk_add_f32 v[30:31], v[36:37], v[30:31] neg_lo:[0,1] neg_hi:[0,1]
	v_mov_b32_e32 v66, v64
	v_pk_add_f32 v[34:35], v[66:67], v[30:31]
	v_mov_b32_e32 v36, v35
	v_pk_add_f32 v[36:37], v[34:35], v[36:37]
	v_pk_add_f32 v[52:53], v[32:33], v[36:37]
	v_mov_b32_e32 v35, v52
	v_pk_add_f32 v[54:55], v[34:35], v[64:65] neg_lo:[0,1] neg_hi:[0,1]
	v_mov_b32_e32 v31, v36
	v_sub_f32_e32 v32, v34, v54
	v_pk_add_f32 v[30:31], v[30:31], v[54:55] neg_lo:[0,1] neg_hi:[0,1]
	v_sub_f32_e32 v32, v64, v32
	s_mov_b32 s16, 0x7f800000
	v_add_f32_e32 v30, v30, v32
	s_mov_b32 s15, 0x33800000
	v_add_f32_e32 v30, v30, v31
	v_cmp_eq_f32_e32 vcc, s16, v51
	v_cmp_lt_f32_e64 s[16:17], |v51|, s15
	v_add_f32_e32 v30, v52, v30
	s_or_b64 vcc, vcc, s[16:17]
	v_cndmask_b32_e32 v30, v30, v51, vcc
	v_add_f32_e32 v30, v33, v30
	v_cvt_f16_f32_e32 v31, v30
	v_cvt_f32_f16_e32 v32, v31
	v_mov_b32_e32 v30, v31
.LBB421_57:
	s_or_b64 exec, exec, s[12:13]
	v_cvt_f32_f16_e32 v51, v21
	v_max_f32_e32 v33, v32, v32
	v_cmp_u_f16_e32 vcc, v31, v31
	v_cmp_u_f16_e64 s[12:13], v21, v21
	v_min_f32_e32 v34, v33, v51
	v_max_f32_e32 v33, v33, v51
	v_cndmask_b32_e32 v34, v34, v32, vcc
	v_cndmask_b32_e32 v33, v33, v32, vcc
	v_cndmask_b32_e64 v34, v34, v51, s[12:13]
	v_cndmask_b32_e64 v33, v33, v51, s[12:13]
	v_cmp_neq_f32_e32 vcc, v34, v33
	v_cmp_class_f32_e64 s[14:15], v34, s14
	s_or_b64 s[16:17], vcc, s[14:15]
	s_and_saveexec_b64 s[14:15], s[16:17]
	s_cbranch_execz .LBB421_59
; %bb.58:
	v_sub_f32_e32 v30, v34, v33
	s_mov_b32 s16, 0x3fb8aa3b
	v_mul_f32_e32 v31, 0x3fb8aa3b, v30
	v_fma_f32 v32, v30, s16, -v31
	v_rndne_f32_e32 v34, v31
	v_fmac_f32_e32 v32, 0x32a5705f, v30
	v_sub_f32_e32 v31, v31, v34
	v_add_f32_e32 v31, v31, v32
	v_exp_f32_e32 v31, v31
	v_cvt_i32_f32_e32 v32, v34
	s_mov_b32 s16, 0xc2ce8ed0
	v_cmp_ngt_f32_e32 vcc, s16, v30
	s_mov_b32 s16, 0x42b17218
	v_ldexp_f32 v31, v31, v32
	v_cndmask_b32_e32 v31, 0, v31, vcc
	v_mov_b32_e32 v32, 0x7f800000
	v_cmp_nlt_f32_e32 vcc, s16, v30
	v_cndmask_b32_e32 v68, v32, v31, vcc
	v_add_f32_e32 v32, 1.0, v68
	v_add_f32_e32 v30, -1.0, v32
	v_sub_f32_e32 v31, v30, v32
	v_add_f32_e32 v31, 1.0, v31
	v_sub_f32_e32 v30, v68, v30
	v_add_f32_e32 v34, v30, v31
	v_frexp_mant_f32_e32 v35, v32
	s_mov_b32 s16, 0x3f2aaaab
	v_cvt_f64_f32_e32 v[30:31], v32
	v_frexp_exp_i32_f64_e32 v30, v[30:31]
	v_cmp_gt_f32_e32 vcc, s16, v35
	v_subbrev_co_u32_e32 v54, vcc, 0, v30, vcc
	v_sub_u32_e32 v30, 0, v54
	v_ldexp_f32 v31, v32, v30
	v_add_f32_e32 v32, -1.0, v31
	v_add_f32_e32 v35, 1.0, v31
	v_ldexp_f32 v30, v34, v30
	v_add_f32_e32 v34, 1.0, v32
	v_add_f32_e32 v36, -1.0, v35
	v_sub_f32_e32 v34, v31, v34
	v_sub_f32_e32 v31, v31, v36
	v_add_f32_e32 v34, v30, v34
	v_add_f32_e32 v30, v30, v31
	;; [unrolled: 1-line block ×3, first 2 shown]
	v_rcp_f32_e32 v65, v55
	v_sub_f32_e32 v31, v35, v55
	v_add_f32_e32 v64, v30, v31
	v_add_f32_e32 v31, v32, v34
	v_sub_f32_e32 v30, v32, v31
	v_mul_f32_e32 v66, v31, v65
	v_add_f32_e32 v32, v34, v30
	v_mul_f32_e32 v34, v55, v66
	v_fma_f32 v36, v66, v55, -v34
	v_fmac_f32_e32 v36, v66, v64
	v_add_f32_e32 v30, v34, v36
	v_sub_f32_e32 v35, v31, v30
	v_pk_add_f32 v[52:53], v[30:31], v[34:35] neg_lo:[0,1] neg_hi:[0,1]
	v_mov_b32_e32 v37, v30
	v_pk_add_f32 v[30:31], v[52:53], v[36:37] neg_lo:[0,1] neg_hi:[0,1]
	v_add_f32_e32 v31, v32, v31
	v_add_f32_e32 v30, v30, v31
	;; [unrolled: 1-line block ×3, first 2 shown]
	v_mul_f32_e32 v32, v65, v31
	v_mul_f32_e32 v34, v55, v32
	v_fma_f32 v36, v32, v55, -v34
	v_fmac_f32_e32 v36, v32, v64
	v_sub_f32_e32 v35, v35, v31
	v_add_f32_e32 v55, v30, v35
	v_add_f32_e32 v30, v34, v36
	v_sub_f32_e32 v35, v31, v30
	v_pk_add_f32 v[52:53], v[30:31], v[34:35] neg_lo:[0,1] neg_hi:[0,1]
	v_mov_b32_e32 v37, v30
	v_pk_add_f32 v[30:31], v[52:53], v[36:37] neg_lo:[0,1] neg_hi:[0,1]
	v_add_f32_e32 v31, v55, v31
	v_add_f32_e32 v30, v30, v31
	;; [unrolled: 1-line block ×4, first 2 shown]
	v_sub_f32_e32 v31, v35, v66
	v_mul_f32_e32 v30, v65, v30
	v_sub_f32_e32 v31, v32, v31
	v_add_f32_e32 v30, v31, v30
	v_add_f32_e32 v32, v35, v30
	v_mul_f32_e32 v36, v32, v32
	v_mov_b32_e32 v34, 0x3ecc95a3
	v_fmac_f32_e32 v34, 0x3e9b6dac, v36
	v_mov_b32_e32 v31, 0x3f2aaada
	v_fmac_f32_e32 v31, v36, v34
	v_cvt_f32_i32_e32 v34, v54
	v_sub_f32_e32 v35, v32, v35
	v_sub_f32_e32 v30, v30, v35
	v_ldexp_f32 v52, v30, 1
	v_mul_f32_e32 v35, v32, v36
	v_mov_b32_e32 v30, 0x3f317218
	s_mov_b32 s16, 0x3f317218
	v_pk_mul_f32 v[30:31], v[34:35], v[30:31]
	v_fma_f32 v36, v34, s16, -v30
	v_ldexp_f32 v37, v32, 1
	v_fmac_f32_e32 v36, 0xb102e308, v34
	v_pk_add_f32 v[34:35], v[30:31], v[36:37]
	v_sub_f32_e32 v32, v35, v37
	v_sub_f32_e32 v32, v31, v32
	v_add_f32_e32 v53, v52, v32
	v_mov_b32_e32 v52, v30
	v_pk_add_f32 v[30:31], v[34:35], v[30:31] neg_lo:[0,1] neg_hi:[0,1]
	v_pk_add_f32 v[54:55], v[34:35], v[52:53]
	v_mov_b32_e32 v31, v55
	v_mov_b32_e32 v37, v34
	v_pk_add_f32 v[64:65], v[36:37], v[30:31] neg_lo:[0,1] neg_hi:[0,1]
	v_pk_add_f32 v[30:31], v[36:37], v[30:31]
	v_mov_b32_e32 v32, v31
	v_pk_add_f32 v[36:37], v[32:33], v[34:35] neg_lo:[0,1] neg_hi:[0,1]
	v_mov_b32_e32 v37, v36
	v_pk_add_f32 v[66:67], v[54:55], v[36:37] neg_lo:[0,1] neg_hi:[0,1]
	v_mov_b32_e32 v30, v55
	v_mov_b32_e32 v54, v35
	;; [unrolled: 1-line block ×4, first 2 shown]
	v_pk_add_f32 v[30:31], v[30:31], v[54:55] neg_lo:[0,1] neg_hi:[0,1]
	v_mov_b32_e32 v36, v53
	v_mov_b32_e32 v37, v34
	v_pk_add_f32 v[30:31], v[36:37], v[30:31] neg_lo:[0,1] neg_hi:[0,1]
	v_mov_b32_e32 v66, v64
	v_pk_add_f32 v[34:35], v[66:67], v[30:31]
	v_mov_b32_e32 v36, v35
	v_pk_add_f32 v[36:37], v[34:35], v[36:37]
	v_pk_add_f32 v[52:53], v[32:33], v[36:37]
	v_mov_b32_e32 v35, v52
	v_pk_add_f32 v[54:55], v[34:35], v[64:65] neg_lo:[0,1] neg_hi:[0,1]
	v_mov_b32_e32 v31, v36
	v_sub_f32_e32 v32, v34, v54
	v_pk_add_f32 v[30:31], v[30:31], v[54:55] neg_lo:[0,1] neg_hi:[0,1]
	v_sub_f32_e32 v32, v64, v32
	s_mov_b32 s17, 0x7f800000
	v_add_f32_e32 v30, v30, v32
	s_mov_b32 s16, 0x33800000
	v_add_f32_e32 v30, v30, v31
	v_cmp_eq_f32_e32 vcc, s17, v68
	v_cmp_lt_f32_e64 s[16:17], |v68|, s16
	v_add_f32_e32 v30, v52, v30
	s_or_b64 vcc, vcc, s[16:17]
	v_cndmask_b32_e32 v30, v30, v68, vcc
	v_add_f32_e32 v30, v33, v30
	v_cvt_f16_f32_e32 v31, v30
	v_cvt_f32_f16_e32 v32, v31
	v_mov_b32_e32 v30, v31
.LBB421_59:
	s_or_b64 exec, exec, s[14:15]
	v_cvt_f32_f16_sdwa v52, v21 dst_sel:DWORD dst_unused:UNUSED_PAD src0_sel:WORD_1
	v_max_f32_e32 v33, v32, v32
	v_cmp_u_f16_e32 vcc, v31, v31
	v_cmp_u_f16_sdwa s[14:15], v21, v21 src0_sel:WORD_1 src1_sel:WORD_1
	v_min_f32_e32 v34, v33, v52
	v_max_f32_e32 v33, v33, v52
	v_cndmask_b32_e32 v34, v34, v32, vcc
	v_cndmask_b32_e32 v33, v33, v32, vcc
	v_cndmask_b32_e64 v34, v34, v52, s[14:15]
	v_cndmask_b32_e64 v33, v33, v52, s[14:15]
	s_movk_i32 s18, 0x1f8
	v_cmp_neq_f32_e32 vcc, v34, v33
	v_cmp_class_f32_e64 s[16:17], v34, s18
	s_or_b64 s[20:21], vcc, s[16:17]
	s_and_saveexec_b64 s[16:17], s[20:21]
	s_cbranch_execz .LBB421_61
; %bb.60:
	v_sub_f32_e32 v30, v34, v33
	s_mov_b32 s19, 0x3fb8aa3b
	v_mul_f32_e32 v31, 0x3fb8aa3b, v30
	v_fma_f32 v32, v30, s19, -v31
	v_rndne_f32_e32 v34, v31
	v_fmac_f32_e32 v32, 0x32a5705f, v30
	v_sub_f32_e32 v31, v31, v34
	v_add_f32_e32 v31, v31, v32
	v_exp_f32_e32 v31, v31
	v_cvt_i32_f32_e32 v32, v34
	s_mov_b32 s19, 0xc2ce8ed0
	v_cmp_ngt_f32_e32 vcc, s19, v30
	s_mov_b32 s19, 0x42b17218
	v_ldexp_f32 v31, v31, v32
	v_cndmask_b32_e32 v31, 0, v31, vcc
	v_mov_b32_e32 v32, 0x7f800000
	v_cmp_nlt_f32_e32 vcc, s19, v30
	v_cndmask_b32_e32 v53, v32, v31, vcc
	v_add_f32_e32 v32, 1.0, v53
	v_add_f32_e32 v30, -1.0, v32
	v_sub_f32_e32 v31, v30, v32
	v_add_f32_e32 v31, 1.0, v31
	v_sub_f32_e32 v30, v53, v30
	v_add_f32_e32 v34, v30, v31
	v_frexp_mant_f32_e32 v35, v32
	s_mov_b32 s19, 0x3f2aaaab
	v_cvt_f64_f32_e32 v[30:31], v32
	v_frexp_exp_i32_f64_e32 v30, v[30:31]
	v_cmp_gt_f32_e32 vcc, s19, v35
	v_subbrev_co_u32_e32 v64, vcc, 0, v30, vcc
	v_sub_u32_e32 v30, 0, v64
	v_ldexp_f32 v31, v32, v30
	v_add_f32_e32 v32, -1.0, v31
	v_add_f32_e32 v35, 1.0, v31
	v_ldexp_f32 v30, v34, v30
	v_add_f32_e32 v34, 1.0, v32
	v_add_f32_e32 v36, -1.0, v35
	v_sub_f32_e32 v34, v31, v34
	v_sub_f32_e32 v31, v31, v36
	v_add_f32_e32 v34, v30, v34
	v_add_f32_e32 v30, v30, v31
	;; [unrolled: 1-line block ×3, first 2 shown]
	v_rcp_f32_e32 v67, v65
	v_sub_f32_e32 v31, v35, v65
	v_add_f32_e32 v66, v30, v31
	v_add_f32_e32 v31, v32, v34
	v_sub_f32_e32 v30, v32, v31
	v_mul_f32_e32 v68, v31, v67
	v_add_f32_e32 v32, v34, v30
	v_mul_f32_e32 v34, v65, v68
	v_fma_f32 v36, v68, v65, -v34
	v_fmac_f32_e32 v36, v68, v66
	v_add_f32_e32 v30, v34, v36
	v_sub_f32_e32 v35, v31, v30
	v_pk_add_f32 v[54:55], v[30:31], v[34:35] neg_lo:[0,1] neg_hi:[0,1]
	v_mov_b32_e32 v37, v30
	v_pk_add_f32 v[30:31], v[54:55], v[36:37] neg_lo:[0,1] neg_hi:[0,1]
	v_add_f32_e32 v31, v32, v31
	v_add_f32_e32 v30, v30, v31
	;; [unrolled: 1-line block ×3, first 2 shown]
	v_mul_f32_e32 v32, v67, v31
	v_mul_f32_e32 v34, v65, v32
	v_fma_f32 v36, v32, v65, -v34
	v_fmac_f32_e32 v36, v32, v66
	v_sub_f32_e32 v35, v35, v31
	v_add_f32_e32 v65, v30, v35
	v_add_f32_e32 v30, v34, v36
	v_sub_f32_e32 v35, v31, v30
	v_pk_add_f32 v[54:55], v[30:31], v[34:35] neg_lo:[0,1] neg_hi:[0,1]
	v_mov_b32_e32 v37, v30
	v_pk_add_f32 v[30:31], v[54:55], v[36:37] neg_lo:[0,1] neg_hi:[0,1]
	v_add_f32_e32 v31, v65, v31
	v_add_f32_e32 v30, v30, v31
	;; [unrolled: 1-line block ×4, first 2 shown]
	v_sub_f32_e32 v31, v35, v68
	v_mul_f32_e32 v30, v67, v30
	v_sub_f32_e32 v31, v32, v31
	v_add_f32_e32 v30, v31, v30
	v_add_f32_e32 v32, v35, v30
	v_mul_f32_e32 v36, v32, v32
	v_mov_b32_e32 v34, 0x3ecc95a3
	v_fmac_f32_e32 v34, 0x3e9b6dac, v36
	v_mov_b32_e32 v31, 0x3f2aaada
	v_fmac_f32_e32 v31, v36, v34
	v_cvt_f32_i32_e32 v34, v64
	v_sub_f32_e32 v35, v32, v35
	v_sub_f32_e32 v30, v30, v35
	v_ldexp_f32 v54, v30, 1
	v_mul_f32_e32 v35, v32, v36
	v_mov_b32_e32 v30, 0x3f317218
	s_mov_b32 s19, 0x3f317218
	v_pk_mul_f32 v[30:31], v[34:35], v[30:31]
	v_fma_f32 v36, v34, s19, -v30
	v_ldexp_f32 v37, v32, 1
	v_fmac_f32_e32 v36, 0xb102e308, v34
	v_pk_add_f32 v[34:35], v[30:31], v[36:37]
	v_sub_f32_e32 v32, v35, v37
	v_sub_f32_e32 v32, v31, v32
	v_add_f32_e32 v55, v54, v32
	v_mov_b32_e32 v54, v30
	v_pk_add_f32 v[30:31], v[34:35], v[30:31] neg_lo:[0,1] neg_hi:[0,1]
	v_pk_add_f32 v[64:65], v[34:35], v[54:55]
	v_mov_b32_e32 v31, v65
	v_mov_b32_e32 v37, v34
	v_pk_add_f32 v[66:67], v[36:37], v[30:31] neg_lo:[0,1] neg_hi:[0,1]
	v_pk_add_f32 v[30:31], v[36:37], v[30:31]
	v_mov_b32_e32 v32, v31
	v_pk_add_f32 v[36:37], v[32:33], v[34:35] neg_lo:[0,1] neg_hi:[0,1]
	v_mov_b32_e32 v37, v36
	v_pk_add_f32 v[68:69], v[64:65], v[36:37] neg_lo:[0,1] neg_hi:[0,1]
	v_mov_b32_e32 v30, v65
	v_mov_b32_e32 v64, v35
	;; [unrolled: 1-line block ×4, first 2 shown]
	v_pk_add_f32 v[30:31], v[30:31], v[64:65] neg_lo:[0,1] neg_hi:[0,1]
	v_mov_b32_e32 v36, v55
	v_mov_b32_e32 v37, v34
	v_pk_add_f32 v[30:31], v[36:37], v[30:31] neg_lo:[0,1] neg_hi:[0,1]
	v_mov_b32_e32 v68, v66
	v_pk_add_f32 v[34:35], v[68:69], v[30:31]
	v_mov_b32_e32 v36, v35
	v_pk_add_f32 v[36:37], v[34:35], v[36:37]
	v_pk_add_f32 v[54:55], v[32:33], v[36:37]
	v_mov_b32_e32 v35, v54
	v_pk_add_f32 v[64:65], v[34:35], v[66:67] neg_lo:[0,1] neg_hi:[0,1]
	v_mov_b32_e32 v31, v36
	v_sub_f32_e32 v32, v34, v64
	v_pk_add_f32 v[30:31], v[30:31], v[64:65] neg_lo:[0,1] neg_hi:[0,1]
	v_sub_f32_e32 v32, v66, v32
	s_mov_b32 s20, 0x7f800000
	v_add_f32_e32 v30, v30, v32
	s_mov_b32 s19, 0x33800000
	v_add_f32_e32 v30, v30, v31
	v_cmp_eq_f32_e32 vcc, s20, v53
	v_cmp_lt_f32_e64 s[20:21], |v53|, s19
	v_add_f32_e32 v30, v54, v30
	s_or_b64 vcc, vcc, s[20:21]
	v_cndmask_b32_e32 v30, v30, v53, vcc
	v_add_f32_e32 v30, v33, v30
	v_cvt_f16_f32_e32 v31, v30
	v_cvt_f32_f16_e32 v32, v31
	v_mov_b32_e32 v30, v31
.LBB421_61:
	s_or_b64 exec, exec, s[16:17]
	v_cvt_f32_f16_e32 v53, v22
	v_max_f32_e32 v33, v32, v32
	v_cmp_u_f16_e32 vcc, v31, v31
	v_cmp_u_f16_e64 s[16:17], v22, v22
	v_min_f32_e32 v34, v33, v53
	v_max_f32_e32 v33, v33, v53
	v_cndmask_b32_e32 v34, v34, v32, vcc
	v_cndmask_b32_e32 v33, v33, v32, vcc
	v_cndmask_b32_e64 v34, v34, v53, s[16:17]
	v_cndmask_b32_e64 v33, v33, v53, s[16:17]
	v_cmp_neq_f32_e32 vcc, v34, v33
	v_cmp_class_f32_e64 s[18:19], v34, s18
	s_or_b64 s[20:21], vcc, s[18:19]
	s_and_saveexec_b64 s[18:19], s[20:21]
	s_cbranch_execz .LBB421_63
; %bb.62:
	v_sub_f32_e32 v30, v34, v33
	s_mov_b32 s20, 0x3fb8aa3b
	v_mul_f32_e32 v31, 0x3fb8aa3b, v30
	v_fma_f32 v32, v30, s20, -v31
	v_rndne_f32_e32 v34, v31
	v_fmac_f32_e32 v32, 0x32a5705f, v30
	v_sub_f32_e32 v31, v31, v34
	v_add_f32_e32 v31, v31, v32
	v_exp_f32_e32 v31, v31
	v_cvt_i32_f32_e32 v32, v34
	s_mov_b32 s20, 0xc2ce8ed0
	v_cmp_ngt_f32_e32 vcc, s20, v30
	s_mov_b32 s20, 0x42b17218
	v_ldexp_f32 v31, v31, v32
	v_cndmask_b32_e32 v31, 0, v31, vcc
	v_mov_b32_e32 v32, 0x7f800000
	v_cmp_nlt_f32_e32 vcc, s20, v30
	v_cndmask_b32_e32 v70, v32, v31, vcc
	v_add_f32_e32 v32, 1.0, v70
	v_add_f32_e32 v30, -1.0, v32
	v_sub_f32_e32 v31, v30, v32
	v_add_f32_e32 v31, 1.0, v31
	v_sub_f32_e32 v30, v70, v30
	v_add_f32_e32 v34, v30, v31
	v_frexp_mant_f32_e32 v35, v32
	s_mov_b32 s20, 0x3f2aaaab
	v_cvt_f64_f32_e32 v[30:31], v32
	v_frexp_exp_i32_f64_e32 v30, v[30:31]
	v_cmp_gt_f32_e32 vcc, s20, v35
	v_subbrev_co_u32_e32 v64, vcc, 0, v30, vcc
	v_sub_u32_e32 v30, 0, v64
	v_ldexp_f32 v31, v32, v30
	v_add_f32_e32 v32, -1.0, v31
	v_add_f32_e32 v35, 1.0, v31
	v_ldexp_f32 v30, v34, v30
	v_add_f32_e32 v34, 1.0, v32
	v_add_f32_e32 v36, -1.0, v35
	v_sub_f32_e32 v34, v31, v34
	v_sub_f32_e32 v31, v31, v36
	v_add_f32_e32 v34, v30, v34
	v_add_f32_e32 v30, v30, v31
	;; [unrolled: 1-line block ×3, first 2 shown]
	v_rcp_f32_e32 v67, v65
	v_sub_f32_e32 v31, v35, v65
	v_add_f32_e32 v66, v30, v31
	v_add_f32_e32 v31, v32, v34
	v_sub_f32_e32 v30, v32, v31
	v_mul_f32_e32 v68, v31, v67
	v_add_f32_e32 v32, v34, v30
	v_mul_f32_e32 v34, v65, v68
	v_fma_f32 v36, v68, v65, -v34
	v_fmac_f32_e32 v36, v68, v66
	v_add_f32_e32 v30, v34, v36
	v_sub_f32_e32 v35, v31, v30
	v_pk_add_f32 v[54:55], v[30:31], v[34:35] neg_lo:[0,1] neg_hi:[0,1]
	v_mov_b32_e32 v37, v30
	v_pk_add_f32 v[30:31], v[54:55], v[36:37] neg_lo:[0,1] neg_hi:[0,1]
	v_add_f32_e32 v31, v32, v31
	v_add_f32_e32 v30, v30, v31
	;; [unrolled: 1-line block ×3, first 2 shown]
	v_mul_f32_e32 v32, v67, v31
	v_mul_f32_e32 v34, v65, v32
	v_fma_f32 v36, v32, v65, -v34
	v_fmac_f32_e32 v36, v32, v66
	v_sub_f32_e32 v35, v35, v31
	v_add_f32_e32 v65, v30, v35
	v_add_f32_e32 v30, v34, v36
	v_sub_f32_e32 v35, v31, v30
	v_pk_add_f32 v[54:55], v[30:31], v[34:35] neg_lo:[0,1] neg_hi:[0,1]
	v_mov_b32_e32 v37, v30
	v_pk_add_f32 v[30:31], v[54:55], v[36:37] neg_lo:[0,1] neg_hi:[0,1]
	v_add_f32_e32 v31, v65, v31
	v_add_f32_e32 v30, v30, v31
	;; [unrolled: 1-line block ×4, first 2 shown]
	v_sub_f32_e32 v31, v35, v68
	v_mul_f32_e32 v30, v67, v30
	v_sub_f32_e32 v31, v32, v31
	v_add_f32_e32 v30, v31, v30
	v_add_f32_e32 v32, v35, v30
	v_mul_f32_e32 v36, v32, v32
	v_mov_b32_e32 v34, 0x3ecc95a3
	v_fmac_f32_e32 v34, 0x3e9b6dac, v36
	v_mov_b32_e32 v31, 0x3f2aaada
	v_fmac_f32_e32 v31, v36, v34
	v_cvt_f32_i32_e32 v34, v64
	v_sub_f32_e32 v35, v32, v35
	v_sub_f32_e32 v30, v30, v35
	v_ldexp_f32 v54, v30, 1
	v_mul_f32_e32 v35, v32, v36
	v_mov_b32_e32 v30, 0x3f317218
	s_mov_b32 s20, 0x3f317218
	v_pk_mul_f32 v[30:31], v[34:35], v[30:31]
	v_fma_f32 v36, v34, s20, -v30
	v_ldexp_f32 v37, v32, 1
	v_fmac_f32_e32 v36, 0xb102e308, v34
	v_pk_add_f32 v[34:35], v[30:31], v[36:37]
	v_sub_f32_e32 v32, v35, v37
	v_sub_f32_e32 v32, v31, v32
	v_add_f32_e32 v55, v54, v32
	v_mov_b32_e32 v54, v30
	v_pk_add_f32 v[30:31], v[34:35], v[30:31] neg_lo:[0,1] neg_hi:[0,1]
	v_pk_add_f32 v[64:65], v[34:35], v[54:55]
	v_mov_b32_e32 v31, v65
	v_mov_b32_e32 v37, v34
	v_pk_add_f32 v[66:67], v[36:37], v[30:31] neg_lo:[0,1] neg_hi:[0,1]
	v_pk_add_f32 v[30:31], v[36:37], v[30:31]
	v_mov_b32_e32 v32, v31
	v_pk_add_f32 v[36:37], v[32:33], v[34:35] neg_lo:[0,1] neg_hi:[0,1]
	v_mov_b32_e32 v37, v36
	v_pk_add_f32 v[68:69], v[64:65], v[36:37] neg_lo:[0,1] neg_hi:[0,1]
	v_mov_b32_e32 v30, v65
	v_mov_b32_e32 v64, v35
	;; [unrolled: 1-line block ×4, first 2 shown]
	v_pk_add_f32 v[30:31], v[30:31], v[64:65] neg_lo:[0,1] neg_hi:[0,1]
	v_mov_b32_e32 v36, v55
	v_mov_b32_e32 v37, v34
	v_pk_add_f32 v[30:31], v[36:37], v[30:31] neg_lo:[0,1] neg_hi:[0,1]
	v_mov_b32_e32 v68, v66
	v_pk_add_f32 v[34:35], v[68:69], v[30:31]
	v_mov_b32_e32 v36, v35
	v_pk_add_f32 v[36:37], v[34:35], v[36:37]
	v_pk_add_f32 v[54:55], v[32:33], v[36:37]
	v_mov_b32_e32 v35, v54
	v_pk_add_f32 v[64:65], v[34:35], v[66:67] neg_lo:[0,1] neg_hi:[0,1]
	v_mov_b32_e32 v31, v36
	v_sub_f32_e32 v32, v34, v64
	v_pk_add_f32 v[30:31], v[30:31], v[64:65] neg_lo:[0,1] neg_hi:[0,1]
	v_sub_f32_e32 v32, v66, v32
	s_mov_b32 s21, 0x7f800000
	v_add_f32_e32 v30, v30, v32
	s_mov_b32 s20, 0x33800000
	v_add_f32_e32 v30, v30, v31
	v_cmp_eq_f32_e32 vcc, s21, v70
	v_cmp_lt_f32_e64 s[20:21], |v70|, s20
	v_add_f32_e32 v30, v54, v30
	s_or_b64 vcc, vcc, s[20:21]
	v_cndmask_b32_e32 v30, v30, v70, vcc
	v_add_f32_e32 v30, v33, v30
	v_cvt_f16_f32_e32 v31, v30
	v_cvt_f32_f16_e32 v32, v31
	v_mov_b32_e32 v30, v31
.LBB421_63:
	s_or_b64 exec, exec, s[18:19]
	v_cvt_f32_f16_sdwa v54, v22 dst_sel:DWORD dst_unused:UNUSED_PAD src0_sel:WORD_1
	v_max_f32_e32 v33, v32, v32
	v_cmp_u_f16_e32 vcc, v31, v31
	v_cmp_u_f16_sdwa s[18:19], v22, v22 src0_sel:WORD_1 src1_sel:WORD_1
	v_min_f32_e32 v34, v33, v54
	v_max_f32_e32 v33, v33, v54
	v_cndmask_b32_e32 v34, v34, v32, vcc
	v_cndmask_b32_e32 v33, v33, v32, vcc
	v_cndmask_b32_e64 v34, v34, v54, s[18:19]
	v_cndmask_b32_e64 v33, v33, v54, s[18:19]
	s_movk_i32 s22, 0x1f8
	v_cmp_neq_f32_e32 vcc, v34, v33
	v_cmp_class_f32_e64 s[20:21], v34, s22
	s_or_b64 s[24:25], vcc, s[20:21]
	s_and_saveexec_b64 s[20:21], s[24:25]
	s_cbranch_execz .LBB421_65
; %bb.64:
	v_sub_f32_e32 v30, v34, v33
	s_mov_b32 s23, 0x3fb8aa3b
	v_mul_f32_e32 v31, 0x3fb8aa3b, v30
	v_fma_f32 v32, v30, s23, -v31
	v_rndne_f32_e32 v34, v31
	v_fmac_f32_e32 v32, 0x32a5705f, v30
	v_sub_f32_e32 v31, v31, v34
	v_add_f32_e32 v31, v31, v32
	v_exp_f32_e32 v31, v31
	v_cvt_i32_f32_e32 v32, v34
	s_mov_b32 s23, 0xc2ce8ed0
	v_cmp_ngt_f32_e32 vcc, s23, v30
	s_mov_b32 s23, 0x42b17218
	v_ldexp_f32 v31, v31, v32
	v_cndmask_b32_e32 v31, 0, v31, vcc
	v_mov_b32_e32 v32, 0x7f800000
	v_cmp_nlt_f32_e32 vcc, s23, v30
	v_cndmask_b32_e32 v55, v32, v31, vcc
	v_add_f32_e32 v32, 1.0, v55
	v_add_f32_e32 v30, -1.0, v32
	v_sub_f32_e32 v31, v30, v32
	v_add_f32_e32 v31, 1.0, v31
	v_sub_f32_e32 v30, v55, v30
	v_add_f32_e32 v34, v30, v31
	v_frexp_mant_f32_e32 v35, v32
	s_mov_b32 s23, 0x3f2aaaab
	v_cvt_f64_f32_e32 v[30:31], v32
	v_frexp_exp_i32_f64_e32 v30, v[30:31]
	v_cmp_gt_f32_e32 vcc, s23, v35
	v_subbrev_co_u32_e32 v66, vcc, 0, v30, vcc
	v_sub_u32_e32 v30, 0, v66
	v_ldexp_f32 v31, v32, v30
	v_add_f32_e32 v32, -1.0, v31
	v_add_f32_e32 v35, 1.0, v31
	v_ldexp_f32 v30, v34, v30
	v_add_f32_e32 v34, 1.0, v32
	v_add_f32_e32 v36, -1.0, v35
	v_sub_f32_e32 v34, v31, v34
	v_sub_f32_e32 v31, v31, v36
	v_add_f32_e32 v34, v30, v34
	v_add_f32_e32 v30, v30, v31
	;; [unrolled: 1-line block ×3, first 2 shown]
	v_rcp_f32_e32 v69, v67
	v_sub_f32_e32 v31, v35, v67
	v_add_f32_e32 v68, v30, v31
	v_add_f32_e32 v31, v32, v34
	v_sub_f32_e32 v30, v32, v31
	v_mul_f32_e32 v70, v31, v69
	v_add_f32_e32 v32, v34, v30
	v_mul_f32_e32 v34, v67, v70
	v_fma_f32 v36, v70, v67, -v34
	v_fmac_f32_e32 v36, v70, v68
	v_add_f32_e32 v30, v34, v36
	v_sub_f32_e32 v35, v31, v30
	v_pk_add_f32 v[64:65], v[30:31], v[34:35] neg_lo:[0,1] neg_hi:[0,1]
	v_mov_b32_e32 v37, v30
	v_pk_add_f32 v[30:31], v[64:65], v[36:37] neg_lo:[0,1] neg_hi:[0,1]
	v_add_f32_e32 v31, v32, v31
	v_add_f32_e32 v30, v30, v31
	;; [unrolled: 1-line block ×3, first 2 shown]
	v_mul_f32_e32 v32, v69, v31
	v_mul_f32_e32 v34, v67, v32
	v_fma_f32 v36, v32, v67, -v34
	v_fmac_f32_e32 v36, v32, v68
	v_sub_f32_e32 v35, v35, v31
	v_add_f32_e32 v67, v30, v35
	v_add_f32_e32 v30, v34, v36
	v_sub_f32_e32 v35, v31, v30
	v_pk_add_f32 v[64:65], v[30:31], v[34:35] neg_lo:[0,1] neg_hi:[0,1]
	v_mov_b32_e32 v37, v30
	v_pk_add_f32 v[30:31], v[64:65], v[36:37] neg_lo:[0,1] neg_hi:[0,1]
	v_add_f32_e32 v31, v67, v31
	v_add_f32_e32 v30, v30, v31
	v_add_f32_e32 v30, v35, v30
	v_add_f32_e32 v35, v70, v32
	v_sub_f32_e32 v31, v35, v70
	v_mul_f32_e32 v30, v69, v30
	v_sub_f32_e32 v31, v32, v31
	v_add_f32_e32 v30, v31, v30
	v_add_f32_e32 v32, v35, v30
	v_mul_f32_e32 v36, v32, v32
	v_mov_b32_e32 v34, 0x3ecc95a3
	v_fmac_f32_e32 v34, 0x3e9b6dac, v36
	v_mov_b32_e32 v31, 0x3f2aaada
	v_fmac_f32_e32 v31, v36, v34
	v_cvt_f32_i32_e32 v34, v66
	v_sub_f32_e32 v35, v32, v35
	v_sub_f32_e32 v30, v30, v35
	v_ldexp_f32 v64, v30, 1
	v_mul_f32_e32 v35, v32, v36
	v_mov_b32_e32 v30, 0x3f317218
	s_mov_b32 s23, 0x3f317218
	v_pk_mul_f32 v[30:31], v[34:35], v[30:31]
	v_fma_f32 v36, v34, s23, -v30
	v_ldexp_f32 v37, v32, 1
	v_fmac_f32_e32 v36, 0xb102e308, v34
	v_pk_add_f32 v[34:35], v[30:31], v[36:37]
	v_sub_f32_e32 v32, v35, v37
	v_sub_f32_e32 v32, v31, v32
	v_add_f32_e32 v65, v64, v32
	v_mov_b32_e32 v64, v30
	v_pk_add_f32 v[30:31], v[34:35], v[30:31] neg_lo:[0,1] neg_hi:[0,1]
	v_pk_add_f32 v[66:67], v[34:35], v[64:65]
	v_mov_b32_e32 v31, v67
	v_mov_b32_e32 v37, v34
	v_pk_add_f32 v[68:69], v[36:37], v[30:31] neg_lo:[0,1] neg_hi:[0,1]
	v_pk_add_f32 v[30:31], v[36:37], v[30:31]
	v_mov_b32_e32 v32, v31
	v_pk_add_f32 v[36:37], v[32:33], v[34:35] neg_lo:[0,1] neg_hi:[0,1]
	v_mov_b32_e32 v37, v36
	v_pk_add_f32 v[70:71], v[66:67], v[36:37] neg_lo:[0,1] neg_hi:[0,1]
	v_mov_b32_e32 v30, v67
	v_mov_b32_e32 v66, v35
	;; [unrolled: 1-line block ×4, first 2 shown]
	v_pk_add_f32 v[30:31], v[30:31], v[66:67] neg_lo:[0,1] neg_hi:[0,1]
	v_mov_b32_e32 v36, v65
	v_mov_b32_e32 v37, v34
	v_pk_add_f32 v[30:31], v[36:37], v[30:31] neg_lo:[0,1] neg_hi:[0,1]
	v_mov_b32_e32 v70, v68
	v_pk_add_f32 v[34:35], v[70:71], v[30:31]
	v_mov_b32_e32 v36, v35
	v_pk_add_f32 v[36:37], v[34:35], v[36:37]
	v_pk_add_f32 v[64:65], v[32:33], v[36:37]
	v_mov_b32_e32 v35, v64
	v_pk_add_f32 v[66:67], v[34:35], v[68:69] neg_lo:[0,1] neg_hi:[0,1]
	v_mov_b32_e32 v31, v36
	v_sub_f32_e32 v32, v34, v66
	v_pk_add_f32 v[30:31], v[30:31], v[66:67] neg_lo:[0,1] neg_hi:[0,1]
	v_sub_f32_e32 v32, v68, v32
	s_mov_b32 s24, 0x7f800000
	v_add_f32_e32 v30, v30, v32
	s_mov_b32 s23, 0x33800000
	v_add_f32_e32 v30, v30, v31
	v_cmp_eq_f32_e32 vcc, s24, v55
	v_cmp_lt_f32_e64 s[24:25], |v55|, s23
	v_add_f32_e32 v30, v64, v30
	s_or_b64 vcc, vcc, s[24:25]
	v_cndmask_b32_e32 v30, v30, v55, vcc
	v_add_f32_e32 v30, v33, v30
	v_cvt_f16_f32_e32 v31, v30
	v_cvt_f32_f16_e32 v32, v31
	v_mov_b32_e32 v30, v31
.LBB421_65:
	s_or_b64 exec, exec, s[20:21]
	v_cvt_f32_f16_e32 v55, v23
	v_max_f32_e32 v33, v32, v32
	v_cmp_u_f16_e32 vcc, v31, v31
	v_cmp_u_f16_e64 s[20:21], v23, v23
	v_min_f32_e32 v34, v33, v55
	v_max_f32_e32 v33, v33, v55
	v_cndmask_b32_e32 v34, v34, v32, vcc
	v_cndmask_b32_e32 v33, v33, v32, vcc
	v_cndmask_b32_e64 v34, v34, v55, s[20:21]
	v_cndmask_b32_e64 v33, v33, v55, s[20:21]
	v_cmp_neq_f32_e32 vcc, v34, v33
	v_cmp_class_f32_e64 s[22:23], v34, s22
	s_or_b64 s[24:25], vcc, s[22:23]
	s_and_saveexec_b64 s[22:23], s[24:25]
	s_cbranch_execz .LBB421_67
; %bb.66:
	v_sub_f32_e32 v30, v34, v33
	s_mov_b32 s24, 0x3fb8aa3b
	v_mul_f32_e32 v31, 0x3fb8aa3b, v30
	v_fma_f32 v32, v30, s24, -v31
	v_rndne_f32_e32 v34, v31
	v_fmac_f32_e32 v32, 0x32a5705f, v30
	v_sub_f32_e32 v31, v31, v34
	v_add_f32_e32 v31, v31, v32
	v_exp_f32_e32 v31, v31
	v_cvt_i32_f32_e32 v32, v34
	s_mov_b32 s24, 0xc2ce8ed0
	v_cmp_ngt_f32_e32 vcc, s24, v30
	s_mov_b32 s24, 0x42b17218
	v_ldexp_f32 v31, v31, v32
	v_cndmask_b32_e32 v31, 0, v31, vcc
	v_mov_b32_e32 v32, 0x7f800000
	v_cmp_nlt_f32_e32 vcc, s24, v30
	v_cndmask_b32_e32 v80, v32, v31, vcc
	v_add_f32_e32 v32, 1.0, v80
	v_add_f32_e32 v30, -1.0, v32
	v_sub_f32_e32 v31, v30, v32
	v_add_f32_e32 v31, 1.0, v31
	v_sub_f32_e32 v30, v80, v30
	v_add_f32_e32 v34, v30, v31
	v_frexp_mant_f32_e32 v35, v32
	s_mov_b32 s24, 0x3f2aaaab
	v_cvt_f64_f32_e32 v[30:31], v32
	v_frexp_exp_i32_f64_e32 v30, v[30:31]
	v_cmp_gt_f32_e32 vcc, s24, v35
	v_subbrev_co_u32_e32 v66, vcc, 0, v30, vcc
	v_sub_u32_e32 v30, 0, v66
	v_ldexp_f32 v31, v32, v30
	v_add_f32_e32 v32, -1.0, v31
	v_add_f32_e32 v35, 1.0, v31
	v_ldexp_f32 v30, v34, v30
	v_add_f32_e32 v34, 1.0, v32
	v_add_f32_e32 v36, -1.0, v35
	v_sub_f32_e32 v34, v31, v34
	v_sub_f32_e32 v31, v31, v36
	v_add_f32_e32 v34, v30, v34
	v_add_f32_e32 v30, v30, v31
	v_add_f32_e32 v67, v35, v30
	v_rcp_f32_e32 v69, v67
	v_sub_f32_e32 v31, v35, v67
	v_add_f32_e32 v68, v30, v31
	v_add_f32_e32 v31, v32, v34
	v_sub_f32_e32 v30, v32, v31
	v_mul_f32_e32 v70, v31, v69
	v_add_f32_e32 v32, v34, v30
	v_mul_f32_e32 v34, v67, v70
	v_fma_f32 v36, v70, v67, -v34
	v_fmac_f32_e32 v36, v70, v68
	v_add_f32_e32 v30, v34, v36
	v_sub_f32_e32 v35, v31, v30
	v_pk_add_f32 v[64:65], v[30:31], v[34:35] neg_lo:[0,1] neg_hi:[0,1]
	v_mov_b32_e32 v37, v30
	v_pk_add_f32 v[30:31], v[64:65], v[36:37] neg_lo:[0,1] neg_hi:[0,1]
	v_add_f32_e32 v31, v32, v31
	v_add_f32_e32 v30, v30, v31
	;; [unrolled: 1-line block ×3, first 2 shown]
	v_mul_f32_e32 v32, v69, v31
	v_mul_f32_e32 v34, v67, v32
	v_fma_f32 v36, v32, v67, -v34
	v_fmac_f32_e32 v36, v32, v68
	v_sub_f32_e32 v35, v35, v31
	v_add_f32_e32 v67, v30, v35
	v_add_f32_e32 v30, v34, v36
	v_sub_f32_e32 v35, v31, v30
	v_pk_add_f32 v[64:65], v[30:31], v[34:35] neg_lo:[0,1] neg_hi:[0,1]
	v_mov_b32_e32 v37, v30
	v_pk_add_f32 v[30:31], v[64:65], v[36:37] neg_lo:[0,1] neg_hi:[0,1]
	v_add_f32_e32 v31, v67, v31
	v_add_f32_e32 v30, v30, v31
	;; [unrolled: 1-line block ×4, first 2 shown]
	v_sub_f32_e32 v31, v35, v70
	v_mul_f32_e32 v30, v69, v30
	v_sub_f32_e32 v31, v32, v31
	v_add_f32_e32 v30, v31, v30
	v_add_f32_e32 v32, v35, v30
	v_mul_f32_e32 v36, v32, v32
	v_mov_b32_e32 v34, 0x3ecc95a3
	v_fmac_f32_e32 v34, 0x3e9b6dac, v36
	v_mov_b32_e32 v31, 0x3f2aaada
	v_fmac_f32_e32 v31, v36, v34
	v_cvt_f32_i32_e32 v34, v66
	v_sub_f32_e32 v35, v32, v35
	v_sub_f32_e32 v30, v30, v35
	v_ldexp_f32 v64, v30, 1
	v_mul_f32_e32 v35, v32, v36
	v_mov_b32_e32 v30, 0x3f317218
	s_mov_b32 s24, 0x3f317218
	v_pk_mul_f32 v[30:31], v[34:35], v[30:31]
	v_fma_f32 v36, v34, s24, -v30
	v_ldexp_f32 v37, v32, 1
	v_fmac_f32_e32 v36, 0xb102e308, v34
	v_pk_add_f32 v[34:35], v[30:31], v[36:37]
	v_sub_f32_e32 v32, v35, v37
	v_sub_f32_e32 v32, v31, v32
	v_add_f32_e32 v65, v64, v32
	v_mov_b32_e32 v64, v30
	v_pk_add_f32 v[30:31], v[34:35], v[30:31] neg_lo:[0,1] neg_hi:[0,1]
	v_pk_add_f32 v[66:67], v[34:35], v[64:65]
	v_mov_b32_e32 v31, v67
	v_mov_b32_e32 v37, v34
	v_pk_add_f32 v[68:69], v[36:37], v[30:31] neg_lo:[0,1] neg_hi:[0,1]
	v_pk_add_f32 v[30:31], v[36:37], v[30:31]
	v_mov_b32_e32 v32, v31
	v_pk_add_f32 v[36:37], v[32:33], v[34:35] neg_lo:[0,1] neg_hi:[0,1]
	v_mov_b32_e32 v37, v36
	v_pk_add_f32 v[70:71], v[66:67], v[36:37] neg_lo:[0,1] neg_hi:[0,1]
	v_mov_b32_e32 v30, v67
	v_mov_b32_e32 v66, v35
	;; [unrolled: 1-line block ×4, first 2 shown]
	v_pk_add_f32 v[30:31], v[30:31], v[66:67] neg_lo:[0,1] neg_hi:[0,1]
	v_mov_b32_e32 v36, v65
	v_mov_b32_e32 v37, v34
	v_pk_add_f32 v[30:31], v[36:37], v[30:31] neg_lo:[0,1] neg_hi:[0,1]
	v_mov_b32_e32 v70, v68
	v_pk_add_f32 v[34:35], v[70:71], v[30:31]
	v_mov_b32_e32 v36, v35
	v_pk_add_f32 v[36:37], v[34:35], v[36:37]
	v_pk_add_f32 v[64:65], v[32:33], v[36:37]
	v_mov_b32_e32 v35, v64
	v_pk_add_f32 v[66:67], v[34:35], v[68:69] neg_lo:[0,1] neg_hi:[0,1]
	v_mov_b32_e32 v31, v36
	v_sub_f32_e32 v32, v34, v66
	v_pk_add_f32 v[30:31], v[30:31], v[66:67] neg_lo:[0,1] neg_hi:[0,1]
	v_sub_f32_e32 v32, v68, v32
	s_mov_b32 s25, 0x7f800000
	v_add_f32_e32 v30, v30, v32
	s_mov_b32 s24, 0x33800000
	v_add_f32_e32 v30, v30, v31
	v_cmp_eq_f32_e32 vcc, s25, v80
	v_cmp_lt_f32_e64 s[24:25], |v80|, s24
	v_add_f32_e32 v30, v64, v30
	s_or_b64 vcc, vcc, s[24:25]
	v_cndmask_b32_e32 v30, v30, v80, vcc
	v_add_f32_e32 v30, v33, v30
	v_cvt_f16_f32_e32 v31, v30
	v_cvt_f32_f16_e32 v32, v31
	v_mov_b32_e32 v30, v31
.LBB421_67:
	s_or_b64 exec, exec, s[22:23]
	v_cvt_f32_f16_sdwa v64, v23 dst_sel:DWORD dst_unused:UNUSED_PAD src0_sel:WORD_1
	v_max_f32_e32 v33, v32, v32
	v_cmp_u_f16_e32 vcc, v31, v31
	v_cmp_u_f16_sdwa s[22:23], v23, v23 src0_sel:WORD_1 src1_sel:WORD_1
	v_min_f32_e32 v34, v33, v64
	v_max_f32_e32 v33, v33, v64
	v_cndmask_b32_e32 v34, v34, v32, vcc
	v_cndmask_b32_e32 v33, v33, v32, vcc
	v_cndmask_b32_e64 v34, v34, v64, s[22:23]
	v_cndmask_b32_e64 v33, v33, v64, s[22:23]
	s_movk_i32 s26, 0x1f8
	v_cmp_neq_f32_e32 vcc, v34, v33
	v_cmp_class_f32_e64 s[24:25], v34, s26
	s_or_b64 s[28:29], vcc, s[24:25]
	s_and_saveexec_b64 s[24:25], s[28:29]
	s_cbranch_execz .LBB421_69
; %bb.68:
	v_sub_f32_e32 v30, v34, v33
	s_mov_b32 s27, 0x3fb8aa3b
	v_mul_f32_e32 v31, 0x3fb8aa3b, v30
	v_fma_f32 v32, v30, s27, -v31
	v_rndne_f32_e32 v34, v31
	v_fmac_f32_e32 v32, 0x32a5705f, v30
	v_sub_f32_e32 v31, v31, v34
	v_add_f32_e32 v31, v31, v32
	v_exp_f32_e32 v31, v31
	v_cvt_i32_f32_e32 v32, v34
	s_mov_b32 s27, 0xc2ce8ed0
	v_cmp_ngt_f32_e32 vcc, s27, v30
	s_mov_b32 s27, 0x42b17218
	v_ldexp_f32 v31, v31, v32
	v_cndmask_b32_e32 v31, 0, v31, vcc
	v_mov_b32_e32 v32, 0x7f800000
	v_cmp_nlt_f32_e32 vcc, s27, v30
	v_cndmask_b32_e32 v65, v32, v31, vcc
	v_add_f32_e32 v32, 1.0, v65
	v_add_f32_e32 v30, -1.0, v32
	v_sub_f32_e32 v31, v30, v32
	v_add_f32_e32 v31, 1.0, v31
	v_sub_f32_e32 v30, v65, v30
	v_add_f32_e32 v34, v30, v31
	v_frexp_mant_f32_e32 v35, v32
	s_mov_b32 s27, 0x3f2aaaab
	v_cvt_f64_f32_e32 v[30:31], v32
	v_frexp_exp_i32_f64_e32 v30, v[30:31]
	v_cmp_gt_f32_e32 vcc, s27, v35
	v_subbrev_co_u32_e32 v68, vcc, 0, v30, vcc
	v_sub_u32_e32 v30, 0, v68
	v_ldexp_f32 v31, v32, v30
	v_add_f32_e32 v32, -1.0, v31
	v_add_f32_e32 v35, 1.0, v31
	v_ldexp_f32 v30, v34, v30
	v_add_f32_e32 v34, 1.0, v32
	v_add_f32_e32 v36, -1.0, v35
	v_sub_f32_e32 v34, v31, v34
	v_sub_f32_e32 v31, v31, v36
	v_add_f32_e32 v34, v30, v34
	v_add_f32_e32 v30, v30, v31
	;; [unrolled: 1-line block ×3, first 2 shown]
	v_rcp_f32_e32 v71, v69
	v_sub_f32_e32 v31, v35, v69
	v_add_f32_e32 v70, v30, v31
	v_add_f32_e32 v31, v32, v34
	v_sub_f32_e32 v30, v32, v31
	v_mul_f32_e32 v80, v31, v71
	v_add_f32_e32 v32, v34, v30
	v_mul_f32_e32 v34, v69, v80
	v_fma_f32 v36, v80, v69, -v34
	v_fmac_f32_e32 v36, v80, v70
	v_add_f32_e32 v30, v34, v36
	v_sub_f32_e32 v35, v31, v30
	v_pk_add_f32 v[66:67], v[30:31], v[34:35] neg_lo:[0,1] neg_hi:[0,1]
	v_mov_b32_e32 v37, v30
	v_pk_add_f32 v[30:31], v[66:67], v[36:37] neg_lo:[0,1] neg_hi:[0,1]
	v_add_f32_e32 v31, v32, v31
	v_add_f32_e32 v30, v30, v31
	;; [unrolled: 1-line block ×3, first 2 shown]
	v_mul_f32_e32 v32, v71, v31
	v_mul_f32_e32 v34, v69, v32
	v_fma_f32 v36, v32, v69, -v34
	v_fmac_f32_e32 v36, v32, v70
	v_sub_f32_e32 v35, v35, v31
	v_add_f32_e32 v69, v30, v35
	v_add_f32_e32 v30, v34, v36
	v_sub_f32_e32 v35, v31, v30
	v_pk_add_f32 v[66:67], v[30:31], v[34:35] neg_lo:[0,1] neg_hi:[0,1]
	v_mov_b32_e32 v37, v30
	v_pk_add_f32 v[30:31], v[66:67], v[36:37] neg_lo:[0,1] neg_hi:[0,1]
	v_add_f32_e32 v31, v69, v31
	v_add_f32_e32 v30, v30, v31
	;; [unrolled: 1-line block ×4, first 2 shown]
	v_sub_f32_e32 v31, v35, v80
	v_mul_f32_e32 v30, v71, v30
	v_sub_f32_e32 v31, v32, v31
	v_add_f32_e32 v30, v31, v30
	v_add_f32_e32 v32, v35, v30
	v_mul_f32_e32 v36, v32, v32
	v_mov_b32_e32 v34, 0x3ecc95a3
	v_fmac_f32_e32 v34, 0x3e9b6dac, v36
	v_mov_b32_e32 v31, 0x3f2aaada
	v_fmac_f32_e32 v31, v36, v34
	v_cvt_f32_i32_e32 v34, v68
	v_sub_f32_e32 v35, v32, v35
	v_sub_f32_e32 v30, v30, v35
	v_ldexp_f32 v66, v30, 1
	v_mul_f32_e32 v35, v32, v36
	v_mov_b32_e32 v30, 0x3f317218
	s_mov_b32 s27, 0x3f317218
	v_pk_mul_f32 v[30:31], v[34:35], v[30:31]
	v_fma_f32 v36, v34, s27, -v30
	v_ldexp_f32 v37, v32, 1
	v_fmac_f32_e32 v36, 0xb102e308, v34
	v_pk_add_f32 v[34:35], v[30:31], v[36:37]
	v_sub_f32_e32 v32, v35, v37
	v_sub_f32_e32 v32, v31, v32
	v_add_f32_e32 v67, v66, v32
	v_mov_b32_e32 v66, v30
	v_pk_add_f32 v[30:31], v[34:35], v[30:31] neg_lo:[0,1] neg_hi:[0,1]
	v_pk_add_f32 v[68:69], v[34:35], v[66:67]
	v_mov_b32_e32 v31, v69
	v_mov_b32_e32 v37, v34
	v_pk_add_f32 v[70:71], v[36:37], v[30:31] neg_lo:[0,1] neg_hi:[0,1]
	v_pk_add_f32 v[30:31], v[36:37], v[30:31]
	v_mov_b32_e32 v32, v31
	v_pk_add_f32 v[36:37], v[32:33], v[34:35] neg_lo:[0,1] neg_hi:[0,1]
	v_mov_b32_e32 v37, v36
	v_pk_add_f32 v[80:81], v[68:69], v[36:37] neg_lo:[0,1] neg_hi:[0,1]
	v_mov_b32_e32 v30, v69
	v_mov_b32_e32 v68, v35
	;; [unrolled: 1-line block ×4, first 2 shown]
	v_pk_add_f32 v[30:31], v[30:31], v[68:69] neg_lo:[0,1] neg_hi:[0,1]
	v_mov_b32_e32 v36, v67
	v_mov_b32_e32 v37, v34
	v_pk_add_f32 v[30:31], v[36:37], v[30:31] neg_lo:[0,1] neg_hi:[0,1]
	v_mov_b32_e32 v80, v70
	v_pk_add_f32 v[34:35], v[80:81], v[30:31]
	v_mov_b32_e32 v36, v35
	v_pk_add_f32 v[36:37], v[34:35], v[36:37]
	v_pk_add_f32 v[66:67], v[32:33], v[36:37]
	v_mov_b32_e32 v35, v66
	v_pk_add_f32 v[68:69], v[34:35], v[70:71] neg_lo:[0,1] neg_hi:[0,1]
	v_mov_b32_e32 v31, v36
	v_sub_f32_e32 v32, v34, v68
	v_pk_add_f32 v[30:31], v[30:31], v[68:69] neg_lo:[0,1] neg_hi:[0,1]
	v_sub_f32_e32 v32, v70, v32
	s_mov_b32 s28, 0x7f800000
	v_add_f32_e32 v30, v30, v32
	s_mov_b32 s27, 0x33800000
	v_add_f32_e32 v30, v30, v31
	v_cmp_eq_f32_e32 vcc, s28, v65
	v_cmp_lt_f32_e64 s[28:29], |v65|, s27
	v_add_f32_e32 v30, v66, v30
	s_or_b64 vcc, vcc, s[28:29]
	v_cndmask_b32_e32 v30, v30, v65, vcc
	v_add_f32_e32 v30, v33, v30
	v_cvt_f16_f32_e32 v31, v30
	v_cvt_f32_f16_e32 v32, v31
	v_mov_b32_e32 v30, v31
.LBB421_69:
	s_or_b64 exec, exec, s[24:25]
	v_cvt_f32_f16_e32 v65, v16
	v_max_f32_e32 v33, v32, v32
	v_cmp_u_f16_e32 vcc, v31, v31
	v_cmp_u_f16_e64 s[24:25], v16, v16
	v_min_f32_e32 v34, v33, v65
	v_max_f32_e32 v33, v33, v65
	v_cndmask_b32_e32 v34, v34, v32, vcc
	v_cndmask_b32_e32 v33, v33, v32, vcc
	v_cndmask_b32_e64 v34, v34, v65, s[24:25]
	v_cndmask_b32_e64 v33, v33, v65, s[24:25]
	v_cmp_neq_f32_e32 vcc, v34, v33
	v_cmp_class_f32_e64 s[26:27], v34, s26
	s_or_b64 s[28:29], vcc, s[26:27]
	s_and_saveexec_b64 s[26:27], s[28:29]
	s_cbranch_execz .LBB421_71
; %bb.70:
	v_sub_f32_e32 v30, v34, v33
	s_mov_b32 s28, 0x3fb8aa3b
	v_mul_f32_e32 v31, 0x3fb8aa3b, v30
	v_fma_f32 v32, v30, s28, -v31
	v_rndne_f32_e32 v34, v31
	v_fmac_f32_e32 v32, 0x32a5705f, v30
	v_sub_f32_e32 v31, v31, v34
	v_add_f32_e32 v31, v31, v32
	v_exp_f32_e32 v31, v31
	v_cvt_i32_f32_e32 v32, v34
	s_mov_b32 s28, 0xc2ce8ed0
	v_cmp_ngt_f32_e32 vcc, s28, v30
	s_mov_b32 s28, 0x42b17218
	v_ldexp_f32 v31, v31, v32
	v_cndmask_b32_e32 v31, 0, v31, vcc
	v_mov_b32_e32 v32, 0x7f800000
	v_cmp_nlt_f32_e32 vcc, s28, v30
	v_cndmask_b32_e32 v82, v32, v31, vcc
	v_add_f32_e32 v32, 1.0, v82
	v_add_f32_e32 v30, -1.0, v32
	v_sub_f32_e32 v31, v30, v32
	v_add_f32_e32 v31, 1.0, v31
	v_sub_f32_e32 v30, v82, v30
	v_add_f32_e32 v34, v30, v31
	v_frexp_mant_f32_e32 v35, v32
	s_mov_b32 s28, 0x3f2aaaab
	v_cvt_f64_f32_e32 v[30:31], v32
	v_frexp_exp_i32_f64_e32 v30, v[30:31]
	v_cmp_gt_f32_e32 vcc, s28, v35
	v_subbrev_co_u32_e32 v68, vcc, 0, v30, vcc
	v_sub_u32_e32 v30, 0, v68
	v_ldexp_f32 v31, v32, v30
	v_add_f32_e32 v32, -1.0, v31
	v_add_f32_e32 v35, 1.0, v31
	v_ldexp_f32 v30, v34, v30
	v_add_f32_e32 v34, 1.0, v32
	v_add_f32_e32 v36, -1.0, v35
	v_sub_f32_e32 v34, v31, v34
	v_sub_f32_e32 v31, v31, v36
	v_add_f32_e32 v34, v30, v34
	v_add_f32_e32 v30, v30, v31
	;; [unrolled: 1-line block ×3, first 2 shown]
	v_rcp_f32_e32 v71, v69
	v_sub_f32_e32 v31, v35, v69
	v_add_f32_e32 v70, v30, v31
	v_add_f32_e32 v31, v32, v34
	v_sub_f32_e32 v30, v32, v31
	v_mul_f32_e32 v80, v31, v71
	v_add_f32_e32 v32, v34, v30
	v_mul_f32_e32 v34, v69, v80
	v_fma_f32 v36, v80, v69, -v34
	v_fmac_f32_e32 v36, v80, v70
	v_add_f32_e32 v30, v34, v36
	v_sub_f32_e32 v35, v31, v30
	v_pk_add_f32 v[66:67], v[30:31], v[34:35] neg_lo:[0,1] neg_hi:[0,1]
	v_mov_b32_e32 v37, v30
	v_pk_add_f32 v[30:31], v[66:67], v[36:37] neg_lo:[0,1] neg_hi:[0,1]
	v_add_f32_e32 v31, v32, v31
	v_add_f32_e32 v30, v30, v31
	;; [unrolled: 1-line block ×3, first 2 shown]
	v_mul_f32_e32 v32, v71, v31
	v_mul_f32_e32 v34, v69, v32
	v_fma_f32 v36, v32, v69, -v34
	v_fmac_f32_e32 v36, v32, v70
	v_sub_f32_e32 v35, v35, v31
	v_add_f32_e32 v69, v30, v35
	v_add_f32_e32 v30, v34, v36
	v_sub_f32_e32 v35, v31, v30
	v_pk_add_f32 v[66:67], v[30:31], v[34:35] neg_lo:[0,1] neg_hi:[0,1]
	v_mov_b32_e32 v37, v30
	v_pk_add_f32 v[30:31], v[66:67], v[36:37] neg_lo:[0,1] neg_hi:[0,1]
	v_add_f32_e32 v31, v69, v31
	v_add_f32_e32 v30, v30, v31
	;; [unrolled: 1-line block ×4, first 2 shown]
	v_sub_f32_e32 v31, v35, v80
	v_mul_f32_e32 v30, v71, v30
	v_sub_f32_e32 v31, v32, v31
	v_add_f32_e32 v30, v31, v30
	v_add_f32_e32 v32, v35, v30
	v_mul_f32_e32 v36, v32, v32
	v_mov_b32_e32 v34, 0x3ecc95a3
	v_fmac_f32_e32 v34, 0x3e9b6dac, v36
	v_mov_b32_e32 v31, 0x3f2aaada
	v_fmac_f32_e32 v31, v36, v34
	v_cvt_f32_i32_e32 v34, v68
	v_sub_f32_e32 v35, v32, v35
	v_sub_f32_e32 v30, v30, v35
	v_ldexp_f32 v66, v30, 1
	v_mul_f32_e32 v35, v32, v36
	v_mov_b32_e32 v30, 0x3f317218
	s_mov_b32 s28, 0x3f317218
	v_pk_mul_f32 v[30:31], v[34:35], v[30:31]
	v_fma_f32 v36, v34, s28, -v30
	v_ldexp_f32 v37, v32, 1
	v_fmac_f32_e32 v36, 0xb102e308, v34
	v_pk_add_f32 v[34:35], v[30:31], v[36:37]
	v_sub_f32_e32 v32, v35, v37
	v_sub_f32_e32 v32, v31, v32
	v_add_f32_e32 v67, v66, v32
	v_mov_b32_e32 v66, v30
	v_pk_add_f32 v[30:31], v[34:35], v[30:31] neg_lo:[0,1] neg_hi:[0,1]
	v_pk_add_f32 v[68:69], v[34:35], v[66:67]
	v_mov_b32_e32 v31, v69
	v_mov_b32_e32 v37, v34
	v_pk_add_f32 v[70:71], v[36:37], v[30:31] neg_lo:[0,1] neg_hi:[0,1]
	v_pk_add_f32 v[30:31], v[36:37], v[30:31]
	v_mov_b32_e32 v32, v31
	v_pk_add_f32 v[36:37], v[32:33], v[34:35] neg_lo:[0,1] neg_hi:[0,1]
	v_mov_b32_e32 v37, v36
	v_pk_add_f32 v[80:81], v[68:69], v[36:37] neg_lo:[0,1] neg_hi:[0,1]
	v_mov_b32_e32 v30, v69
	v_mov_b32_e32 v68, v35
	;; [unrolled: 1-line block ×4, first 2 shown]
	v_pk_add_f32 v[30:31], v[30:31], v[68:69] neg_lo:[0,1] neg_hi:[0,1]
	v_mov_b32_e32 v36, v67
	v_mov_b32_e32 v37, v34
	v_pk_add_f32 v[30:31], v[36:37], v[30:31] neg_lo:[0,1] neg_hi:[0,1]
	v_mov_b32_e32 v80, v70
	v_pk_add_f32 v[34:35], v[80:81], v[30:31]
	v_mov_b32_e32 v36, v35
	v_pk_add_f32 v[36:37], v[34:35], v[36:37]
	v_pk_add_f32 v[66:67], v[32:33], v[36:37]
	v_mov_b32_e32 v35, v66
	v_pk_add_f32 v[68:69], v[34:35], v[70:71] neg_lo:[0,1] neg_hi:[0,1]
	v_mov_b32_e32 v31, v36
	v_sub_f32_e32 v32, v34, v68
	v_pk_add_f32 v[30:31], v[30:31], v[68:69] neg_lo:[0,1] neg_hi:[0,1]
	v_sub_f32_e32 v32, v70, v32
	s_mov_b32 s29, 0x7f800000
	v_add_f32_e32 v30, v30, v32
	s_mov_b32 s28, 0x33800000
	v_add_f32_e32 v30, v30, v31
	v_cmp_eq_f32_e32 vcc, s29, v82
	v_cmp_lt_f32_e64 s[28:29], |v82|, s28
	v_add_f32_e32 v30, v66, v30
	s_or_b64 vcc, vcc, s[28:29]
	v_cndmask_b32_e32 v30, v30, v82, vcc
	v_add_f32_e32 v30, v33, v30
	v_cvt_f16_f32_e32 v31, v30
	v_cvt_f32_f16_e32 v32, v31
	v_mov_b32_e32 v30, v31
.LBB421_71:
	s_or_b64 exec, exec, s[26:27]
	v_cvt_f32_f16_sdwa v66, v16 dst_sel:DWORD dst_unused:UNUSED_PAD src0_sel:WORD_1
	v_max_f32_e32 v33, v32, v32
	v_cmp_u_f16_e32 vcc, v31, v31
	v_cmp_u_f16_sdwa s[26:27], v16, v16 src0_sel:WORD_1 src1_sel:WORD_1
	v_min_f32_e32 v34, v33, v66
	v_max_f32_e32 v33, v33, v66
	v_cndmask_b32_e32 v34, v34, v32, vcc
	v_cndmask_b32_e32 v33, v33, v32, vcc
	v_cndmask_b32_e64 v34, v34, v66, s[26:27]
	v_cndmask_b32_e64 v33, v33, v66, s[26:27]
	s_movk_i32 s30, 0x1f8
	v_cmp_neq_f32_e32 vcc, v34, v33
	v_cmp_class_f32_e64 s[28:29], v34, s30
	s_or_b64 vcc, vcc, s[28:29]
	s_and_saveexec_b64 s[28:29], vcc
	s_cbranch_execz .LBB421_73
; %bb.72:
	v_sub_f32_e32 v30, v34, v33
	s_mov_b32 s31, 0x3fb8aa3b
	v_mul_f32_e32 v31, 0x3fb8aa3b, v30
	v_fma_f32 v32, v30, s31, -v31
	v_rndne_f32_e32 v34, v31
	v_fmac_f32_e32 v32, 0x32a5705f, v30
	v_sub_f32_e32 v31, v31, v34
	v_add_f32_e32 v31, v31, v32
	v_exp_f32_e32 v31, v31
	v_cvt_i32_f32_e32 v32, v34
	s_mov_b32 s31, 0xc2ce8ed0
	v_cmp_ngt_f32_e32 vcc, s31, v30
	s_mov_b32 s31, 0x42b17218
	v_ldexp_f32 v31, v31, v32
	v_cndmask_b32_e32 v31, 0, v31, vcc
	v_mov_b32_e32 v32, 0x7f800000
	v_cmp_nlt_f32_e32 vcc, s31, v30
	v_cndmask_b32_e32 v67, v32, v31, vcc
	v_add_f32_e32 v32, 1.0, v67
	v_add_f32_e32 v30, -1.0, v32
	v_sub_f32_e32 v31, v30, v32
	v_add_f32_e32 v31, 1.0, v31
	v_sub_f32_e32 v30, v67, v30
	v_add_f32_e32 v34, v30, v31
	v_frexp_mant_f32_e32 v35, v32
	s_mov_b32 s31, 0x3f2aaaab
	v_cvt_f64_f32_e32 v[30:31], v32
	v_frexp_exp_i32_f64_e32 v30, v[30:31]
	v_cmp_gt_f32_e32 vcc, s31, v35
	v_subbrev_co_u32_e32 v70, vcc, 0, v30, vcc
	v_sub_u32_e32 v30, 0, v70
	v_ldexp_f32 v31, v32, v30
	v_add_f32_e32 v32, -1.0, v31
	v_add_f32_e32 v35, 1.0, v31
	v_ldexp_f32 v30, v34, v30
	v_add_f32_e32 v34, 1.0, v32
	v_add_f32_e32 v36, -1.0, v35
	v_sub_f32_e32 v34, v31, v34
	v_sub_f32_e32 v31, v31, v36
	v_add_f32_e32 v34, v30, v34
	v_add_f32_e32 v30, v30, v31
	;; [unrolled: 1-line block ×3, first 2 shown]
	v_rcp_f32_e32 v81, v71
	v_sub_f32_e32 v31, v35, v71
	v_add_f32_e32 v80, v30, v31
	v_add_f32_e32 v31, v32, v34
	v_sub_f32_e32 v30, v32, v31
	v_mul_f32_e32 v82, v31, v81
	v_add_f32_e32 v32, v34, v30
	v_mul_f32_e32 v34, v71, v82
	v_fma_f32 v36, v82, v71, -v34
	v_fmac_f32_e32 v36, v82, v80
	v_add_f32_e32 v30, v34, v36
	v_sub_f32_e32 v35, v31, v30
	v_pk_add_f32 v[68:69], v[30:31], v[34:35] neg_lo:[0,1] neg_hi:[0,1]
	v_mov_b32_e32 v37, v30
	v_pk_add_f32 v[30:31], v[68:69], v[36:37] neg_lo:[0,1] neg_hi:[0,1]
	v_add_f32_e32 v31, v32, v31
	v_add_f32_e32 v30, v30, v31
	;; [unrolled: 1-line block ×3, first 2 shown]
	v_mul_f32_e32 v32, v81, v31
	v_mul_f32_e32 v34, v71, v32
	v_fma_f32 v36, v32, v71, -v34
	v_fmac_f32_e32 v36, v32, v80
	v_sub_f32_e32 v35, v35, v31
	v_add_f32_e32 v71, v30, v35
	v_add_f32_e32 v30, v34, v36
	v_sub_f32_e32 v35, v31, v30
	v_pk_add_f32 v[68:69], v[30:31], v[34:35] neg_lo:[0,1] neg_hi:[0,1]
	v_mov_b32_e32 v37, v30
	v_pk_add_f32 v[30:31], v[68:69], v[36:37] neg_lo:[0,1] neg_hi:[0,1]
	v_add_f32_e32 v31, v71, v31
	v_add_f32_e32 v30, v30, v31
	;; [unrolled: 1-line block ×4, first 2 shown]
	v_sub_f32_e32 v31, v35, v82
	v_mul_f32_e32 v30, v81, v30
	v_sub_f32_e32 v31, v32, v31
	v_add_f32_e32 v30, v31, v30
	v_add_f32_e32 v32, v35, v30
	v_mul_f32_e32 v36, v32, v32
	v_mov_b32_e32 v34, 0x3ecc95a3
	v_fmac_f32_e32 v34, 0x3e9b6dac, v36
	v_mov_b32_e32 v31, 0x3f2aaada
	v_fmac_f32_e32 v31, v36, v34
	v_cvt_f32_i32_e32 v34, v70
	v_sub_f32_e32 v35, v32, v35
	v_sub_f32_e32 v30, v30, v35
	v_ldexp_f32 v68, v30, 1
	v_mul_f32_e32 v35, v32, v36
	v_mov_b32_e32 v30, 0x3f317218
	s_mov_b32 s31, 0x3f317218
	v_pk_mul_f32 v[30:31], v[34:35], v[30:31]
	v_fma_f32 v36, v34, s31, -v30
	v_ldexp_f32 v37, v32, 1
	v_fmac_f32_e32 v36, 0xb102e308, v34
	v_pk_add_f32 v[34:35], v[30:31], v[36:37]
	v_sub_f32_e32 v32, v35, v37
	v_sub_f32_e32 v32, v31, v32
	v_add_f32_e32 v69, v68, v32
	v_mov_b32_e32 v68, v30
	v_pk_add_f32 v[30:31], v[34:35], v[30:31] neg_lo:[0,1] neg_hi:[0,1]
	v_pk_add_f32 v[70:71], v[34:35], v[68:69]
	v_mov_b32_e32 v31, v71
	v_mov_b32_e32 v37, v34
	v_pk_add_f32 v[80:81], v[36:37], v[30:31] neg_lo:[0,1] neg_hi:[0,1]
	v_pk_add_f32 v[30:31], v[36:37], v[30:31]
	v_mov_b32_e32 v32, v31
	v_pk_add_f32 v[36:37], v[32:33], v[34:35] neg_lo:[0,1] neg_hi:[0,1]
	v_mov_b32_e32 v37, v36
	v_pk_add_f32 v[82:83], v[70:71], v[36:37] neg_lo:[0,1] neg_hi:[0,1]
	v_mov_b32_e32 v30, v71
	v_mov_b32_e32 v70, v35
	;; [unrolled: 1-line block ×4, first 2 shown]
	v_pk_add_f32 v[30:31], v[30:31], v[70:71] neg_lo:[0,1] neg_hi:[0,1]
	v_mov_b32_e32 v36, v69
	v_mov_b32_e32 v37, v34
	v_pk_add_f32 v[30:31], v[36:37], v[30:31] neg_lo:[0,1] neg_hi:[0,1]
	v_mov_b32_e32 v82, v80
	v_pk_add_f32 v[34:35], v[82:83], v[30:31]
	v_mov_b32_e32 v36, v35
	v_pk_add_f32 v[36:37], v[34:35], v[36:37]
	v_pk_add_f32 v[68:69], v[32:33], v[36:37]
	v_mov_b32_e32 v35, v68
	v_pk_add_f32 v[70:71], v[34:35], v[80:81] neg_lo:[0,1] neg_hi:[0,1]
	v_mov_b32_e32 v31, v36
	v_sub_f32_e32 v32, v34, v70
	v_pk_add_f32 v[30:31], v[30:31], v[70:71] neg_lo:[0,1] neg_hi:[0,1]
	v_sub_f32_e32 v32, v80, v32
	s_mov_b32 s34, 0x7f800000
	v_add_f32_e32 v30, v30, v32
	s_mov_b32 s31, 0x33800000
	v_add_f32_e32 v30, v30, v31
	v_cmp_eq_f32_e32 vcc, s34, v67
	v_cmp_lt_f32_e64 s[34:35], |v67|, s31
	v_add_f32_e32 v30, v68, v30
	s_or_b64 vcc, vcc, s[34:35]
	v_cndmask_b32_e32 v30, v30, v67, vcc
	v_add_f32_e32 v30, v33, v30
	v_cvt_f16_f32_e32 v31, v30
	v_cvt_f32_f16_e32 v32, v31
	v_mov_b32_e32 v30, v31
.LBB421_73:
	s_or_b64 exec, exec, s[28:29]
	v_cvt_f32_f16_e32 v67, v17
	v_max_f32_e32 v33, v32, v32
	v_cmp_u_f16_e32 vcc, v31, v31
	v_cmp_u_f16_e64 s[28:29], v17, v17
	v_min_f32_e32 v34, v33, v67
	v_max_f32_e32 v33, v33, v67
	v_cndmask_b32_e32 v34, v34, v32, vcc
	v_cndmask_b32_e32 v33, v33, v32, vcc
	v_cndmask_b32_e64 v34, v34, v67, s[28:29]
	v_cndmask_b32_e64 v33, v33, v67, s[28:29]
	v_cmp_neq_f32_e32 vcc, v34, v33
	v_cmp_class_f32_e64 s[30:31], v34, s30
	s_or_b64 vcc, vcc, s[30:31]
	s_and_saveexec_b64 s[30:31], vcc
	s_cbranch_execz .LBB421_75
; %bb.74:
	v_sub_f32_e32 v30, v34, v33
	s_mov_b32 s34, 0x3fb8aa3b
	v_mul_f32_e32 v31, 0x3fb8aa3b, v30
	v_fma_f32 v32, v30, s34, -v31
	v_rndne_f32_e32 v34, v31
	v_fmac_f32_e32 v32, 0x32a5705f, v30
	v_sub_f32_e32 v31, v31, v34
	v_add_f32_e32 v31, v31, v32
	v_exp_f32_e32 v31, v31
	v_cvt_i32_f32_e32 v32, v34
	s_mov_b32 s34, 0xc2ce8ed0
	v_cmp_ngt_f32_e32 vcc, s34, v30
	s_mov_b32 s34, 0x42b17218
	v_ldexp_f32 v31, v31, v32
	v_cndmask_b32_e32 v31, 0, v31, vcc
	v_mov_b32_e32 v32, 0x7f800000
	v_cmp_nlt_f32_e32 vcc, s34, v30
	v_cndmask_b32_e32 v84, v32, v31, vcc
	v_add_f32_e32 v32, 1.0, v84
	v_add_f32_e32 v30, -1.0, v32
	v_sub_f32_e32 v31, v30, v32
	v_add_f32_e32 v31, 1.0, v31
	v_sub_f32_e32 v30, v84, v30
	v_add_f32_e32 v34, v30, v31
	v_frexp_mant_f32_e32 v35, v32
	s_mov_b32 s34, 0x3f2aaaab
	v_cvt_f64_f32_e32 v[30:31], v32
	v_frexp_exp_i32_f64_e32 v30, v[30:31]
	v_cmp_gt_f32_e32 vcc, s34, v35
	v_subbrev_co_u32_e32 v70, vcc, 0, v30, vcc
	v_sub_u32_e32 v30, 0, v70
	v_ldexp_f32 v31, v32, v30
	v_add_f32_e32 v32, -1.0, v31
	v_add_f32_e32 v35, 1.0, v31
	v_ldexp_f32 v30, v34, v30
	v_add_f32_e32 v34, 1.0, v32
	v_add_f32_e32 v36, -1.0, v35
	v_sub_f32_e32 v34, v31, v34
	v_sub_f32_e32 v31, v31, v36
	v_add_f32_e32 v34, v30, v34
	v_add_f32_e32 v30, v30, v31
	;; [unrolled: 1-line block ×3, first 2 shown]
	v_rcp_f32_e32 v81, v71
	v_sub_f32_e32 v31, v35, v71
	v_add_f32_e32 v80, v30, v31
	v_add_f32_e32 v31, v32, v34
	v_sub_f32_e32 v30, v32, v31
	v_mul_f32_e32 v82, v31, v81
	v_add_f32_e32 v32, v34, v30
	v_mul_f32_e32 v34, v71, v82
	v_fma_f32 v36, v82, v71, -v34
	v_fmac_f32_e32 v36, v82, v80
	v_add_f32_e32 v30, v34, v36
	v_sub_f32_e32 v35, v31, v30
	v_pk_add_f32 v[68:69], v[30:31], v[34:35] neg_lo:[0,1] neg_hi:[0,1]
	v_mov_b32_e32 v37, v30
	v_pk_add_f32 v[30:31], v[68:69], v[36:37] neg_lo:[0,1] neg_hi:[0,1]
	v_add_f32_e32 v31, v32, v31
	v_add_f32_e32 v30, v30, v31
	;; [unrolled: 1-line block ×3, first 2 shown]
	v_mul_f32_e32 v32, v81, v31
	v_mul_f32_e32 v34, v71, v32
	v_fma_f32 v36, v32, v71, -v34
	v_fmac_f32_e32 v36, v32, v80
	v_sub_f32_e32 v35, v35, v31
	v_add_f32_e32 v71, v30, v35
	v_add_f32_e32 v30, v34, v36
	v_sub_f32_e32 v35, v31, v30
	v_pk_add_f32 v[68:69], v[30:31], v[34:35] neg_lo:[0,1] neg_hi:[0,1]
	v_mov_b32_e32 v37, v30
	v_pk_add_f32 v[30:31], v[68:69], v[36:37] neg_lo:[0,1] neg_hi:[0,1]
	v_add_f32_e32 v31, v71, v31
	v_add_f32_e32 v30, v30, v31
	;; [unrolled: 1-line block ×4, first 2 shown]
	v_sub_f32_e32 v31, v35, v82
	v_mul_f32_e32 v30, v81, v30
	v_sub_f32_e32 v31, v32, v31
	v_add_f32_e32 v30, v31, v30
	v_add_f32_e32 v32, v35, v30
	v_mul_f32_e32 v36, v32, v32
	v_mov_b32_e32 v34, 0x3ecc95a3
	v_fmac_f32_e32 v34, 0x3e9b6dac, v36
	v_mov_b32_e32 v31, 0x3f2aaada
	v_fmac_f32_e32 v31, v36, v34
	v_cvt_f32_i32_e32 v34, v70
	v_sub_f32_e32 v35, v32, v35
	v_sub_f32_e32 v30, v30, v35
	v_ldexp_f32 v68, v30, 1
	v_mul_f32_e32 v35, v32, v36
	v_mov_b32_e32 v30, 0x3f317218
	s_mov_b32 s34, 0x3f317218
	v_pk_mul_f32 v[30:31], v[34:35], v[30:31]
	v_fma_f32 v36, v34, s34, -v30
	v_ldexp_f32 v37, v32, 1
	v_fmac_f32_e32 v36, 0xb102e308, v34
	v_pk_add_f32 v[34:35], v[30:31], v[36:37]
	v_sub_f32_e32 v32, v35, v37
	v_sub_f32_e32 v32, v31, v32
	v_add_f32_e32 v69, v68, v32
	v_mov_b32_e32 v68, v30
	v_pk_add_f32 v[30:31], v[34:35], v[30:31] neg_lo:[0,1] neg_hi:[0,1]
	v_pk_add_f32 v[70:71], v[34:35], v[68:69]
	v_mov_b32_e32 v31, v71
	v_mov_b32_e32 v37, v34
	v_pk_add_f32 v[80:81], v[36:37], v[30:31] neg_lo:[0,1] neg_hi:[0,1]
	v_pk_add_f32 v[30:31], v[36:37], v[30:31]
	v_mov_b32_e32 v32, v31
	v_pk_add_f32 v[36:37], v[32:33], v[34:35] neg_lo:[0,1] neg_hi:[0,1]
	v_mov_b32_e32 v37, v36
	v_pk_add_f32 v[82:83], v[70:71], v[36:37] neg_lo:[0,1] neg_hi:[0,1]
	v_mov_b32_e32 v30, v71
	v_mov_b32_e32 v70, v35
	;; [unrolled: 1-line block ×4, first 2 shown]
	v_pk_add_f32 v[30:31], v[30:31], v[70:71] neg_lo:[0,1] neg_hi:[0,1]
	v_mov_b32_e32 v36, v69
	v_mov_b32_e32 v37, v34
	v_pk_add_f32 v[30:31], v[36:37], v[30:31] neg_lo:[0,1] neg_hi:[0,1]
	v_mov_b32_e32 v82, v80
	v_pk_add_f32 v[34:35], v[82:83], v[30:31]
	v_mov_b32_e32 v36, v35
	v_pk_add_f32 v[36:37], v[34:35], v[36:37]
	v_pk_add_f32 v[68:69], v[32:33], v[36:37]
	v_mov_b32_e32 v35, v68
	v_pk_add_f32 v[70:71], v[34:35], v[80:81] neg_lo:[0,1] neg_hi:[0,1]
	v_mov_b32_e32 v31, v36
	v_sub_f32_e32 v32, v34, v70
	v_pk_add_f32 v[30:31], v[30:31], v[70:71] neg_lo:[0,1] neg_hi:[0,1]
	v_sub_f32_e32 v32, v80, v32
	s_mov_b32 s35, 0x7f800000
	v_add_f32_e32 v30, v30, v32
	s_mov_b32 s34, 0x33800000
	v_add_f32_e32 v30, v30, v31
	v_cmp_eq_f32_e32 vcc, s35, v84
	v_cmp_lt_f32_e64 s[34:35], |v84|, s34
	v_add_f32_e32 v30, v68, v30
	s_or_b64 vcc, vcc, s[34:35]
	v_cndmask_b32_e32 v30, v30, v84, vcc
	v_add_f32_e32 v30, v33, v30
	v_cvt_f16_f32_e32 v31, v30
	v_cvt_f32_f16_e32 v32, v31
	v_mov_b32_e32 v30, v31
.LBB421_75:
	s_or_b64 exec, exec, s[30:31]
	v_cvt_f32_f16_sdwa v68, v17 dst_sel:DWORD dst_unused:UNUSED_PAD src0_sel:WORD_1
	v_max_f32_e32 v33, v32, v32
	v_cmp_u_f16_e32 vcc, v31, v31
	v_cmp_u_f16_sdwa s[30:31], v17, v17 src0_sel:WORD_1 src1_sel:WORD_1
	v_min_f32_e32 v34, v33, v68
	v_max_f32_e32 v33, v33, v68
	v_cndmask_b32_e32 v34, v34, v32, vcc
	v_cndmask_b32_e32 v33, v33, v32, vcc
	v_cndmask_b32_e64 v34, v34, v68, s[30:31]
	v_cndmask_b32_e64 v33, v33, v68, s[30:31]
	s_movk_i32 s36, 0x1f8
	v_cmp_neq_f32_e32 vcc, v34, v33
	v_cmp_class_f32_e64 s[34:35], v34, s36
	s_or_b64 vcc, vcc, s[34:35]
	s_and_saveexec_b64 s[34:35], vcc
	s_cbranch_execz .LBB421_77
; %bb.76:
	v_sub_f32_e32 v30, v34, v33
	s_mov_b32 s37, 0x3fb8aa3b
	v_mul_f32_e32 v31, 0x3fb8aa3b, v30
	v_fma_f32 v32, v30, s37, -v31
	v_rndne_f32_e32 v34, v31
	v_fmac_f32_e32 v32, 0x32a5705f, v30
	v_sub_f32_e32 v31, v31, v34
	v_add_f32_e32 v31, v31, v32
	v_exp_f32_e32 v31, v31
	v_cvt_i32_f32_e32 v32, v34
	s_mov_b32 s37, 0xc2ce8ed0
	v_cmp_ngt_f32_e32 vcc, s37, v30
	s_mov_b32 s37, 0x42b17218
	v_ldexp_f32 v31, v31, v32
	v_cndmask_b32_e32 v31, 0, v31, vcc
	v_mov_b32_e32 v32, 0x7f800000
	v_cmp_nlt_f32_e32 vcc, s37, v30
	v_cndmask_b32_e32 v69, v32, v31, vcc
	v_add_f32_e32 v32, 1.0, v69
	v_add_f32_e32 v30, -1.0, v32
	v_sub_f32_e32 v31, v30, v32
	v_add_f32_e32 v31, 1.0, v31
	v_sub_f32_e32 v30, v69, v30
	v_add_f32_e32 v34, v30, v31
	v_frexp_mant_f32_e32 v35, v32
	s_mov_b32 s37, 0x3f2aaaab
	v_cvt_f64_f32_e32 v[30:31], v32
	v_frexp_exp_i32_f64_e32 v30, v[30:31]
	v_cmp_gt_f32_e32 vcc, s37, v35
	v_subbrev_co_u32_e32 v80, vcc, 0, v30, vcc
	v_sub_u32_e32 v30, 0, v80
	v_ldexp_f32 v31, v32, v30
	v_add_f32_e32 v32, -1.0, v31
	v_add_f32_e32 v35, 1.0, v31
	v_ldexp_f32 v30, v34, v30
	v_add_f32_e32 v34, 1.0, v32
	v_add_f32_e32 v36, -1.0, v35
	v_sub_f32_e32 v34, v31, v34
	v_sub_f32_e32 v31, v31, v36
	v_add_f32_e32 v34, v30, v34
	v_add_f32_e32 v30, v30, v31
	;; [unrolled: 1-line block ×3, first 2 shown]
	v_rcp_f32_e32 v83, v81
	v_sub_f32_e32 v31, v35, v81
	v_add_f32_e32 v82, v30, v31
	v_add_f32_e32 v31, v32, v34
	v_sub_f32_e32 v30, v32, v31
	v_mul_f32_e32 v84, v31, v83
	v_add_f32_e32 v32, v34, v30
	v_mul_f32_e32 v34, v81, v84
	v_fma_f32 v36, v84, v81, -v34
	v_fmac_f32_e32 v36, v84, v82
	v_add_f32_e32 v30, v34, v36
	v_sub_f32_e32 v35, v31, v30
	v_pk_add_f32 v[70:71], v[30:31], v[34:35] neg_lo:[0,1] neg_hi:[0,1]
	v_mov_b32_e32 v37, v30
	v_pk_add_f32 v[30:31], v[70:71], v[36:37] neg_lo:[0,1] neg_hi:[0,1]
	v_add_f32_e32 v31, v32, v31
	v_add_f32_e32 v30, v30, v31
	;; [unrolled: 1-line block ×3, first 2 shown]
	v_mul_f32_e32 v32, v83, v31
	v_mul_f32_e32 v34, v81, v32
	v_fma_f32 v36, v32, v81, -v34
	v_fmac_f32_e32 v36, v32, v82
	v_sub_f32_e32 v35, v35, v31
	v_add_f32_e32 v81, v30, v35
	v_add_f32_e32 v30, v34, v36
	v_sub_f32_e32 v35, v31, v30
	v_pk_add_f32 v[70:71], v[30:31], v[34:35] neg_lo:[0,1] neg_hi:[0,1]
	v_mov_b32_e32 v37, v30
	v_pk_add_f32 v[30:31], v[70:71], v[36:37] neg_lo:[0,1] neg_hi:[0,1]
	v_add_f32_e32 v31, v81, v31
	v_add_f32_e32 v30, v30, v31
	v_add_f32_e32 v30, v35, v30
	v_add_f32_e32 v35, v84, v32
	v_sub_f32_e32 v31, v35, v84
	v_mul_f32_e32 v30, v83, v30
	v_sub_f32_e32 v31, v32, v31
	v_add_f32_e32 v30, v31, v30
	v_add_f32_e32 v32, v35, v30
	v_mul_f32_e32 v36, v32, v32
	v_mov_b32_e32 v34, 0x3ecc95a3
	v_fmac_f32_e32 v34, 0x3e9b6dac, v36
	v_mov_b32_e32 v31, 0x3f2aaada
	v_fmac_f32_e32 v31, v36, v34
	v_cvt_f32_i32_e32 v34, v80
	v_sub_f32_e32 v35, v32, v35
	v_sub_f32_e32 v30, v30, v35
	v_ldexp_f32 v70, v30, 1
	v_mul_f32_e32 v35, v32, v36
	v_mov_b32_e32 v30, 0x3f317218
	s_mov_b32 s37, 0x3f317218
	v_pk_mul_f32 v[30:31], v[34:35], v[30:31]
	v_fma_f32 v36, v34, s37, -v30
	v_ldexp_f32 v37, v32, 1
	v_fmac_f32_e32 v36, 0xb102e308, v34
	v_pk_add_f32 v[34:35], v[30:31], v[36:37]
	v_sub_f32_e32 v32, v35, v37
	v_sub_f32_e32 v32, v31, v32
	v_add_f32_e32 v71, v70, v32
	v_mov_b32_e32 v70, v30
	v_pk_add_f32 v[30:31], v[34:35], v[30:31] neg_lo:[0,1] neg_hi:[0,1]
	v_pk_add_f32 v[80:81], v[34:35], v[70:71]
	v_mov_b32_e32 v31, v81
	v_mov_b32_e32 v37, v34
	v_pk_add_f32 v[82:83], v[36:37], v[30:31] neg_lo:[0,1] neg_hi:[0,1]
	v_pk_add_f32 v[30:31], v[36:37], v[30:31]
	v_mov_b32_e32 v32, v31
	v_pk_add_f32 v[36:37], v[32:33], v[34:35] neg_lo:[0,1] neg_hi:[0,1]
	v_mov_b32_e32 v37, v36
	v_pk_add_f32 v[84:85], v[80:81], v[36:37] neg_lo:[0,1] neg_hi:[0,1]
	v_mov_b32_e32 v30, v81
	v_mov_b32_e32 v80, v35
	;; [unrolled: 1-line block ×4, first 2 shown]
	v_pk_add_f32 v[30:31], v[30:31], v[80:81] neg_lo:[0,1] neg_hi:[0,1]
	v_mov_b32_e32 v36, v71
	v_mov_b32_e32 v37, v34
	v_pk_add_f32 v[30:31], v[36:37], v[30:31] neg_lo:[0,1] neg_hi:[0,1]
	v_mov_b32_e32 v84, v82
	v_pk_add_f32 v[34:35], v[84:85], v[30:31]
	v_mov_b32_e32 v36, v35
	v_pk_add_f32 v[36:37], v[34:35], v[36:37]
	v_pk_add_f32 v[70:71], v[32:33], v[36:37]
	v_mov_b32_e32 v35, v70
	v_pk_add_f32 v[80:81], v[34:35], v[82:83] neg_lo:[0,1] neg_hi:[0,1]
	v_mov_b32_e32 v31, v36
	v_sub_f32_e32 v32, v34, v80
	v_pk_add_f32 v[30:31], v[30:31], v[80:81] neg_lo:[0,1] neg_hi:[0,1]
	v_sub_f32_e32 v32, v82, v32
	s_mov_b32 s38, 0x7f800000
	v_add_f32_e32 v30, v30, v32
	s_mov_b32 s37, 0x33800000
	v_add_f32_e32 v30, v30, v31
	v_cmp_eq_f32_e32 vcc, s38, v69
	v_cmp_lt_f32_e64 s[38:39], |v69|, s37
	v_add_f32_e32 v30, v70, v30
	s_or_b64 vcc, vcc, s[38:39]
	v_cndmask_b32_e32 v30, v30, v69, vcc
	v_add_f32_e32 v30, v33, v30
	v_cvt_f16_f32_e32 v31, v30
	v_cvt_f32_f16_e32 v32, v31
	v_mov_b32_e32 v30, v31
.LBB421_77:
	s_or_b64 exec, exec, s[34:35]
	v_cvt_f32_f16_e32 v69, v18
	v_max_f32_e32 v33, v32, v32
	v_cmp_u_f16_e32 vcc, v31, v31
	v_cmp_u_f16_e64 s[34:35], v18, v18
	v_min_f32_e32 v34, v33, v69
	v_max_f32_e32 v33, v33, v69
	v_cndmask_b32_e32 v34, v34, v32, vcc
	v_cndmask_b32_e32 v33, v33, v32, vcc
	v_cndmask_b32_e64 v34, v34, v69, s[34:35]
	v_cndmask_b32_e64 v33, v33, v69, s[34:35]
	v_cmp_neq_f32_e32 vcc, v34, v33
	v_cmp_class_f32_e64 s[36:37], v34, s36
	s_or_b64 vcc, vcc, s[36:37]
	s_and_saveexec_b64 s[36:37], vcc
	s_cbranch_execz .LBB421_79
; %bb.78:
	v_sub_f32_e32 v30, v34, v33
	s_mov_b32 s38, 0x3fb8aa3b
	v_mul_f32_e32 v31, 0x3fb8aa3b, v30
	v_fma_f32 v32, v30, s38, -v31
	v_rndne_f32_e32 v34, v31
	v_fmac_f32_e32 v32, 0x32a5705f, v30
	v_sub_f32_e32 v31, v31, v34
	v_add_f32_e32 v31, v31, v32
	v_exp_f32_e32 v31, v31
	v_cvt_i32_f32_e32 v32, v34
	s_mov_b32 s38, 0xc2ce8ed0
	v_cmp_ngt_f32_e32 vcc, s38, v30
	s_mov_b32 s38, 0x42b17218
	v_ldexp_f32 v31, v31, v32
	v_cndmask_b32_e32 v31, 0, v31, vcc
	v_mov_b32_e32 v32, 0x7f800000
	v_cmp_nlt_f32_e32 vcc, s38, v30
	v_cndmask_b32_e32 v86, v32, v31, vcc
	v_add_f32_e32 v32, 1.0, v86
	v_add_f32_e32 v30, -1.0, v32
	v_sub_f32_e32 v31, v30, v32
	v_add_f32_e32 v31, 1.0, v31
	v_sub_f32_e32 v30, v86, v30
	v_add_f32_e32 v34, v30, v31
	v_frexp_mant_f32_e32 v35, v32
	s_mov_b32 s38, 0x3f2aaaab
	v_cvt_f64_f32_e32 v[30:31], v32
	v_frexp_exp_i32_f64_e32 v30, v[30:31]
	v_cmp_gt_f32_e32 vcc, s38, v35
	v_subbrev_co_u32_e32 v80, vcc, 0, v30, vcc
	v_sub_u32_e32 v30, 0, v80
	v_ldexp_f32 v31, v32, v30
	v_add_f32_e32 v32, -1.0, v31
	v_add_f32_e32 v35, 1.0, v31
	v_ldexp_f32 v30, v34, v30
	v_add_f32_e32 v34, 1.0, v32
	v_add_f32_e32 v36, -1.0, v35
	v_sub_f32_e32 v34, v31, v34
	v_sub_f32_e32 v31, v31, v36
	v_add_f32_e32 v34, v30, v34
	v_add_f32_e32 v30, v30, v31
	;; [unrolled: 1-line block ×3, first 2 shown]
	v_rcp_f32_e32 v83, v81
	v_sub_f32_e32 v31, v35, v81
	v_add_f32_e32 v82, v30, v31
	v_add_f32_e32 v31, v32, v34
	v_sub_f32_e32 v30, v32, v31
	v_mul_f32_e32 v84, v31, v83
	v_add_f32_e32 v32, v34, v30
	v_mul_f32_e32 v34, v81, v84
	v_fma_f32 v36, v84, v81, -v34
	v_fmac_f32_e32 v36, v84, v82
	v_add_f32_e32 v30, v34, v36
	v_sub_f32_e32 v35, v31, v30
	v_pk_add_f32 v[70:71], v[30:31], v[34:35] neg_lo:[0,1] neg_hi:[0,1]
	v_mov_b32_e32 v37, v30
	v_pk_add_f32 v[30:31], v[70:71], v[36:37] neg_lo:[0,1] neg_hi:[0,1]
	v_add_f32_e32 v31, v32, v31
	v_add_f32_e32 v30, v30, v31
	;; [unrolled: 1-line block ×3, first 2 shown]
	v_mul_f32_e32 v32, v83, v31
	v_mul_f32_e32 v34, v81, v32
	v_fma_f32 v36, v32, v81, -v34
	v_fmac_f32_e32 v36, v32, v82
	v_sub_f32_e32 v35, v35, v31
	v_add_f32_e32 v81, v30, v35
	v_add_f32_e32 v30, v34, v36
	v_sub_f32_e32 v35, v31, v30
	v_pk_add_f32 v[70:71], v[30:31], v[34:35] neg_lo:[0,1] neg_hi:[0,1]
	v_mov_b32_e32 v37, v30
	v_pk_add_f32 v[30:31], v[70:71], v[36:37] neg_lo:[0,1] neg_hi:[0,1]
	v_add_f32_e32 v31, v81, v31
	v_add_f32_e32 v30, v30, v31
	v_add_f32_e32 v30, v35, v30
	v_add_f32_e32 v35, v84, v32
	v_sub_f32_e32 v31, v35, v84
	v_mul_f32_e32 v30, v83, v30
	v_sub_f32_e32 v31, v32, v31
	v_add_f32_e32 v30, v31, v30
	v_add_f32_e32 v32, v35, v30
	v_mul_f32_e32 v36, v32, v32
	v_mov_b32_e32 v34, 0x3ecc95a3
	v_fmac_f32_e32 v34, 0x3e9b6dac, v36
	v_mov_b32_e32 v31, 0x3f2aaada
	v_fmac_f32_e32 v31, v36, v34
	v_cvt_f32_i32_e32 v34, v80
	v_sub_f32_e32 v35, v32, v35
	v_sub_f32_e32 v30, v30, v35
	v_ldexp_f32 v70, v30, 1
	v_mul_f32_e32 v35, v32, v36
	v_mov_b32_e32 v30, 0x3f317218
	s_mov_b32 s38, 0x3f317218
	v_pk_mul_f32 v[30:31], v[34:35], v[30:31]
	v_fma_f32 v36, v34, s38, -v30
	v_ldexp_f32 v37, v32, 1
	v_fmac_f32_e32 v36, 0xb102e308, v34
	v_pk_add_f32 v[34:35], v[30:31], v[36:37]
	v_sub_f32_e32 v32, v35, v37
	v_sub_f32_e32 v32, v31, v32
	v_add_f32_e32 v71, v70, v32
	v_mov_b32_e32 v70, v30
	v_pk_add_f32 v[30:31], v[34:35], v[30:31] neg_lo:[0,1] neg_hi:[0,1]
	v_pk_add_f32 v[80:81], v[34:35], v[70:71]
	v_mov_b32_e32 v31, v81
	v_mov_b32_e32 v37, v34
	v_pk_add_f32 v[82:83], v[36:37], v[30:31] neg_lo:[0,1] neg_hi:[0,1]
	v_pk_add_f32 v[30:31], v[36:37], v[30:31]
	v_mov_b32_e32 v32, v31
	v_pk_add_f32 v[36:37], v[32:33], v[34:35] neg_lo:[0,1] neg_hi:[0,1]
	v_mov_b32_e32 v37, v36
	v_pk_add_f32 v[84:85], v[80:81], v[36:37] neg_lo:[0,1] neg_hi:[0,1]
	v_mov_b32_e32 v30, v81
	v_mov_b32_e32 v80, v35
	;; [unrolled: 1-line block ×4, first 2 shown]
	v_pk_add_f32 v[30:31], v[30:31], v[80:81] neg_lo:[0,1] neg_hi:[0,1]
	v_mov_b32_e32 v36, v71
	v_mov_b32_e32 v37, v34
	v_pk_add_f32 v[30:31], v[36:37], v[30:31] neg_lo:[0,1] neg_hi:[0,1]
	v_mov_b32_e32 v84, v82
	v_pk_add_f32 v[34:35], v[84:85], v[30:31]
	v_mov_b32_e32 v36, v35
	v_pk_add_f32 v[36:37], v[34:35], v[36:37]
	v_pk_add_f32 v[70:71], v[32:33], v[36:37]
	v_mov_b32_e32 v35, v70
	v_pk_add_f32 v[80:81], v[34:35], v[82:83] neg_lo:[0,1] neg_hi:[0,1]
	v_mov_b32_e32 v31, v36
	v_sub_f32_e32 v32, v34, v80
	v_pk_add_f32 v[30:31], v[30:31], v[80:81] neg_lo:[0,1] neg_hi:[0,1]
	v_sub_f32_e32 v32, v82, v32
	s_mov_b32 s39, 0x7f800000
	v_add_f32_e32 v30, v30, v32
	s_mov_b32 s38, 0x33800000
	v_add_f32_e32 v30, v30, v31
	v_cmp_eq_f32_e32 vcc, s39, v86
	v_cmp_lt_f32_e64 s[38:39], |v86|, s38
	v_add_f32_e32 v30, v70, v30
	s_or_b64 vcc, vcc, s[38:39]
	v_cndmask_b32_e32 v30, v30, v86, vcc
	v_add_f32_e32 v30, v33, v30
	v_cvt_f16_f32_e32 v31, v30
	v_cvt_f32_f16_e32 v32, v31
	v_mov_b32_e32 v30, v31
.LBB421_79:
	s_or_b64 exec, exec, s[36:37]
	v_cvt_f32_f16_sdwa v70, v18 dst_sel:DWORD dst_unused:UNUSED_PAD src0_sel:WORD_1
	v_max_f32_e32 v33, v32, v32
	v_cmp_u_f16_e32 vcc, v31, v31
	v_cmp_u_f16_sdwa s[36:37], v18, v18 src0_sel:WORD_1 src1_sel:WORD_1
	v_min_f32_e32 v34, v33, v70
	v_max_f32_e32 v33, v33, v70
	v_cndmask_b32_e32 v34, v34, v32, vcc
	v_cndmask_b32_e32 v33, v33, v32, vcc
	v_cndmask_b32_e64 v34, v34, v70, s[36:37]
	v_cndmask_b32_e64 v33, v33, v70, s[36:37]
	s_movk_i32 s40, 0x1f8
	v_cmp_neq_f32_e32 vcc, v34, v33
	v_cmp_class_f32_e64 s[38:39], v34, s40
	s_or_b64 vcc, vcc, s[38:39]
	s_and_saveexec_b64 s[38:39], vcc
	s_cbranch_execz .LBB421_81
; %bb.80:
	v_sub_f32_e32 v30, v34, v33
	s_mov_b32 s41, 0x3fb8aa3b
	v_mul_f32_e32 v31, 0x3fb8aa3b, v30
	v_fma_f32 v32, v30, s41, -v31
	v_rndne_f32_e32 v34, v31
	v_fmac_f32_e32 v32, 0x32a5705f, v30
	v_sub_f32_e32 v31, v31, v34
	v_add_f32_e32 v31, v31, v32
	v_exp_f32_e32 v31, v31
	v_cvt_i32_f32_e32 v32, v34
	s_mov_b32 s41, 0xc2ce8ed0
	v_cmp_ngt_f32_e32 vcc, s41, v30
	s_mov_b32 s41, 0x42b17218
	v_ldexp_f32 v31, v31, v32
	v_cndmask_b32_e32 v31, 0, v31, vcc
	v_mov_b32_e32 v32, 0x7f800000
	v_cmp_nlt_f32_e32 vcc, s41, v30
	v_cndmask_b32_e32 v71, v32, v31, vcc
	v_add_f32_e32 v32, 1.0, v71
	v_add_f32_e32 v30, -1.0, v32
	v_sub_f32_e32 v31, v30, v32
	v_add_f32_e32 v31, 1.0, v31
	v_sub_f32_e32 v30, v71, v30
	v_add_f32_e32 v34, v30, v31
	v_frexp_mant_f32_e32 v35, v32
	s_mov_b32 s41, 0x3f2aaaab
	v_cvt_f64_f32_e32 v[30:31], v32
	v_frexp_exp_i32_f64_e32 v30, v[30:31]
	v_cmp_gt_f32_e32 vcc, s41, v35
	v_subbrev_co_u32_e32 v82, vcc, 0, v30, vcc
	v_sub_u32_e32 v30, 0, v82
	v_ldexp_f32 v31, v32, v30
	v_add_f32_e32 v32, -1.0, v31
	v_add_f32_e32 v35, 1.0, v31
	v_ldexp_f32 v30, v34, v30
	v_add_f32_e32 v34, 1.0, v32
	v_add_f32_e32 v36, -1.0, v35
	v_sub_f32_e32 v34, v31, v34
	v_sub_f32_e32 v31, v31, v36
	v_add_f32_e32 v34, v30, v34
	v_add_f32_e32 v30, v30, v31
	;; [unrolled: 1-line block ×3, first 2 shown]
	v_rcp_f32_e32 v85, v83
	v_sub_f32_e32 v31, v35, v83
	v_add_f32_e32 v84, v30, v31
	v_add_f32_e32 v31, v32, v34
	v_sub_f32_e32 v30, v32, v31
	v_mul_f32_e32 v86, v31, v85
	v_add_f32_e32 v32, v34, v30
	v_mul_f32_e32 v34, v83, v86
	v_fma_f32 v36, v86, v83, -v34
	v_fmac_f32_e32 v36, v86, v84
	v_add_f32_e32 v30, v34, v36
	v_sub_f32_e32 v35, v31, v30
	v_pk_add_f32 v[80:81], v[30:31], v[34:35] neg_lo:[0,1] neg_hi:[0,1]
	v_mov_b32_e32 v37, v30
	v_pk_add_f32 v[30:31], v[80:81], v[36:37] neg_lo:[0,1] neg_hi:[0,1]
	v_add_f32_e32 v31, v32, v31
	v_add_f32_e32 v30, v30, v31
	;; [unrolled: 1-line block ×3, first 2 shown]
	v_mul_f32_e32 v32, v85, v31
	v_mul_f32_e32 v34, v83, v32
	v_fma_f32 v36, v32, v83, -v34
	v_fmac_f32_e32 v36, v32, v84
	v_sub_f32_e32 v35, v35, v31
	v_add_f32_e32 v83, v30, v35
	v_add_f32_e32 v30, v34, v36
	v_sub_f32_e32 v35, v31, v30
	v_pk_add_f32 v[80:81], v[30:31], v[34:35] neg_lo:[0,1] neg_hi:[0,1]
	v_mov_b32_e32 v37, v30
	v_pk_add_f32 v[30:31], v[80:81], v[36:37] neg_lo:[0,1] neg_hi:[0,1]
	v_add_f32_e32 v31, v83, v31
	v_add_f32_e32 v30, v30, v31
	;; [unrolled: 1-line block ×4, first 2 shown]
	v_sub_f32_e32 v31, v35, v86
	v_mul_f32_e32 v30, v85, v30
	v_sub_f32_e32 v31, v32, v31
	v_add_f32_e32 v30, v31, v30
	v_add_f32_e32 v32, v35, v30
	v_mul_f32_e32 v36, v32, v32
	v_mov_b32_e32 v34, 0x3ecc95a3
	v_fmac_f32_e32 v34, 0x3e9b6dac, v36
	v_mov_b32_e32 v31, 0x3f2aaada
	v_fmac_f32_e32 v31, v36, v34
	v_cvt_f32_i32_e32 v34, v82
	v_sub_f32_e32 v35, v32, v35
	v_sub_f32_e32 v30, v30, v35
	v_ldexp_f32 v80, v30, 1
	v_mul_f32_e32 v35, v32, v36
	v_mov_b32_e32 v30, 0x3f317218
	s_mov_b32 s41, 0x3f317218
	v_pk_mul_f32 v[30:31], v[34:35], v[30:31]
	v_fma_f32 v36, v34, s41, -v30
	v_ldexp_f32 v37, v32, 1
	v_fmac_f32_e32 v36, 0xb102e308, v34
	v_pk_add_f32 v[34:35], v[30:31], v[36:37]
	v_sub_f32_e32 v32, v35, v37
	v_sub_f32_e32 v32, v31, v32
	v_add_f32_e32 v81, v80, v32
	v_mov_b32_e32 v80, v30
	v_pk_add_f32 v[30:31], v[34:35], v[30:31] neg_lo:[0,1] neg_hi:[0,1]
	v_pk_add_f32 v[82:83], v[34:35], v[80:81]
	v_mov_b32_e32 v31, v83
	v_mov_b32_e32 v37, v34
	v_pk_add_f32 v[84:85], v[36:37], v[30:31] neg_lo:[0,1] neg_hi:[0,1]
	v_pk_add_f32 v[30:31], v[36:37], v[30:31]
	v_mov_b32_e32 v32, v31
	v_pk_add_f32 v[36:37], v[32:33], v[34:35] neg_lo:[0,1] neg_hi:[0,1]
	v_mov_b32_e32 v37, v36
	v_pk_add_f32 v[86:87], v[82:83], v[36:37] neg_lo:[0,1] neg_hi:[0,1]
	v_mov_b32_e32 v30, v83
	v_mov_b32_e32 v82, v35
	;; [unrolled: 1-line block ×4, first 2 shown]
	v_pk_add_f32 v[30:31], v[30:31], v[82:83] neg_lo:[0,1] neg_hi:[0,1]
	v_mov_b32_e32 v36, v81
	v_mov_b32_e32 v37, v34
	v_pk_add_f32 v[30:31], v[36:37], v[30:31] neg_lo:[0,1] neg_hi:[0,1]
	v_mov_b32_e32 v86, v84
	v_pk_add_f32 v[34:35], v[86:87], v[30:31]
	v_mov_b32_e32 v36, v35
	v_pk_add_f32 v[36:37], v[34:35], v[36:37]
	v_pk_add_f32 v[80:81], v[32:33], v[36:37]
	v_mov_b32_e32 v35, v80
	v_pk_add_f32 v[82:83], v[34:35], v[84:85] neg_lo:[0,1] neg_hi:[0,1]
	v_mov_b32_e32 v31, v36
	v_sub_f32_e32 v32, v34, v82
	v_pk_add_f32 v[30:31], v[30:31], v[82:83] neg_lo:[0,1] neg_hi:[0,1]
	v_sub_f32_e32 v32, v84, v32
	s_mov_b32 s42, 0x7f800000
	v_add_f32_e32 v30, v30, v32
	s_mov_b32 s41, 0x33800000
	v_add_f32_e32 v30, v30, v31
	v_cmp_eq_f32_e32 vcc, s42, v71
	v_cmp_lt_f32_e64 s[42:43], |v71|, s41
	v_add_f32_e32 v30, v80, v30
	s_or_b64 vcc, vcc, s[42:43]
	v_cndmask_b32_e32 v30, v30, v71, vcc
	v_add_f32_e32 v30, v33, v30
	v_cvt_f16_f32_e32 v31, v30
	v_cvt_f32_f16_e32 v32, v31
	v_mov_b32_e32 v30, v31
.LBB421_81:
	s_or_b64 exec, exec, s[38:39]
	v_cvt_f32_f16_e32 v71, v19
	v_max_f32_e32 v33, v32, v32
	v_cmp_u_f16_e32 vcc, v31, v31
	v_cmp_u_f16_e64 s[38:39], v19, v19
	v_min_f32_e32 v34, v33, v71
	v_max_f32_e32 v33, v33, v71
	v_cndmask_b32_e32 v34, v34, v32, vcc
	v_cndmask_b32_e32 v33, v33, v32, vcc
	v_cndmask_b32_e64 v34, v34, v71, s[38:39]
	v_cndmask_b32_e64 v33, v33, v71, s[38:39]
	v_cmp_neq_f32_e32 vcc, v34, v33
	v_cmp_class_f32_e64 s[40:41], v34, s40
	s_or_b64 vcc, vcc, s[40:41]
	s_and_saveexec_b64 s[40:41], vcc
	s_cbranch_execz .LBB421_83
; %bb.82:
	v_sub_f32_e32 v30, v34, v33
	s_mov_b32 s42, 0x3fb8aa3b
	v_mul_f32_e32 v31, 0x3fb8aa3b, v30
	v_fma_f32 v32, v30, s42, -v31
	v_rndne_f32_e32 v34, v31
	v_fmac_f32_e32 v32, 0x32a5705f, v30
	v_sub_f32_e32 v31, v31, v34
	v_add_f32_e32 v31, v31, v32
	v_exp_f32_e32 v31, v31
	v_cvt_i32_f32_e32 v32, v34
	s_mov_b32 s42, 0xc2ce8ed0
	v_cmp_ngt_f32_e32 vcc, s42, v30
	s_mov_b32 s42, 0x42b17218
	v_ldexp_f32 v31, v31, v32
	v_cndmask_b32_e32 v31, 0, v31, vcc
	v_mov_b32_e32 v32, 0x7f800000
	v_cmp_nlt_f32_e32 vcc, s42, v30
	v_cndmask_b32_e32 v96, v32, v31, vcc
	v_add_f32_e32 v32, 1.0, v96
	v_add_f32_e32 v30, -1.0, v32
	v_sub_f32_e32 v31, v30, v32
	v_add_f32_e32 v31, 1.0, v31
	v_sub_f32_e32 v30, v96, v30
	v_add_f32_e32 v34, v30, v31
	v_frexp_mant_f32_e32 v35, v32
	s_mov_b32 s42, 0x3f2aaaab
	v_cvt_f64_f32_e32 v[30:31], v32
	v_frexp_exp_i32_f64_e32 v30, v[30:31]
	v_cmp_gt_f32_e32 vcc, s42, v35
	v_subbrev_co_u32_e32 v82, vcc, 0, v30, vcc
	v_sub_u32_e32 v30, 0, v82
	v_ldexp_f32 v31, v32, v30
	v_add_f32_e32 v32, -1.0, v31
	v_add_f32_e32 v35, 1.0, v31
	v_ldexp_f32 v30, v34, v30
	v_add_f32_e32 v34, 1.0, v32
	v_add_f32_e32 v36, -1.0, v35
	v_sub_f32_e32 v34, v31, v34
	v_sub_f32_e32 v31, v31, v36
	v_add_f32_e32 v34, v30, v34
	v_add_f32_e32 v30, v30, v31
	;; [unrolled: 1-line block ×3, first 2 shown]
	v_rcp_f32_e32 v85, v83
	v_sub_f32_e32 v31, v35, v83
	v_add_f32_e32 v84, v30, v31
	v_add_f32_e32 v31, v32, v34
	v_sub_f32_e32 v30, v32, v31
	v_mul_f32_e32 v86, v31, v85
	v_add_f32_e32 v32, v34, v30
	v_mul_f32_e32 v34, v83, v86
	v_fma_f32 v36, v86, v83, -v34
	v_fmac_f32_e32 v36, v86, v84
	v_add_f32_e32 v30, v34, v36
	v_sub_f32_e32 v35, v31, v30
	v_pk_add_f32 v[80:81], v[30:31], v[34:35] neg_lo:[0,1] neg_hi:[0,1]
	v_mov_b32_e32 v37, v30
	v_pk_add_f32 v[30:31], v[80:81], v[36:37] neg_lo:[0,1] neg_hi:[0,1]
	v_add_f32_e32 v31, v32, v31
	v_add_f32_e32 v30, v30, v31
	;; [unrolled: 1-line block ×3, first 2 shown]
	v_mul_f32_e32 v32, v85, v31
	v_mul_f32_e32 v34, v83, v32
	v_fma_f32 v36, v32, v83, -v34
	v_fmac_f32_e32 v36, v32, v84
	v_sub_f32_e32 v35, v35, v31
	v_add_f32_e32 v83, v30, v35
	v_add_f32_e32 v30, v34, v36
	v_sub_f32_e32 v35, v31, v30
	v_pk_add_f32 v[80:81], v[30:31], v[34:35] neg_lo:[0,1] neg_hi:[0,1]
	v_mov_b32_e32 v37, v30
	v_pk_add_f32 v[30:31], v[80:81], v[36:37] neg_lo:[0,1] neg_hi:[0,1]
	v_add_f32_e32 v31, v83, v31
	v_add_f32_e32 v30, v30, v31
	;; [unrolled: 1-line block ×4, first 2 shown]
	v_sub_f32_e32 v31, v35, v86
	v_mul_f32_e32 v30, v85, v30
	v_sub_f32_e32 v31, v32, v31
	v_add_f32_e32 v30, v31, v30
	v_add_f32_e32 v32, v35, v30
	v_mul_f32_e32 v36, v32, v32
	v_mov_b32_e32 v34, 0x3ecc95a3
	v_fmac_f32_e32 v34, 0x3e9b6dac, v36
	v_mov_b32_e32 v31, 0x3f2aaada
	v_fmac_f32_e32 v31, v36, v34
	v_cvt_f32_i32_e32 v34, v82
	v_sub_f32_e32 v35, v32, v35
	v_sub_f32_e32 v30, v30, v35
	v_ldexp_f32 v80, v30, 1
	v_mul_f32_e32 v35, v32, v36
	v_mov_b32_e32 v30, 0x3f317218
	s_mov_b32 s42, 0x3f317218
	v_pk_mul_f32 v[30:31], v[34:35], v[30:31]
	v_fma_f32 v36, v34, s42, -v30
	v_ldexp_f32 v37, v32, 1
	v_fmac_f32_e32 v36, 0xb102e308, v34
	v_pk_add_f32 v[34:35], v[30:31], v[36:37]
	v_sub_f32_e32 v32, v35, v37
	v_sub_f32_e32 v32, v31, v32
	v_add_f32_e32 v81, v80, v32
	v_mov_b32_e32 v80, v30
	v_pk_add_f32 v[30:31], v[34:35], v[30:31] neg_lo:[0,1] neg_hi:[0,1]
	v_pk_add_f32 v[82:83], v[34:35], v[80:81]
	v_mov_b32_e32 v31, v83
	v_mov_b32_e32 v37, v34
	v_pk_add_f32 v[84:85], v[36:37], v[30:31] neg_lo:[0,1] neg_hi:[0,1]
	v_pk_add_f32 v[30:31], v[36:37], v[30:31]
	v_mov_b32_e32 v32, v31
	v_pk_add_f32 v[36:37], v[32:33], v[34:35] neg_lo:[0,1] neg_hi:[0,1]
	v_mov_b32_e32 v37, v36
	v_pk_add_f32 v[86:87], v[82:83], v[36:37] neg_lo:[0,1] neg_hi:[0,1]
	v_mov_b32_e32 v30, v83
	v_mov_b32_e32 v82, v35
	;; [unrolled: 1-line block ×4, first 2 shown]
	v_pk_add_f32 v[30:31], v[30:31], v[82:83] neg_lo:[0,1] neg_hi:[0,1]
	v_mov_b32_e32 v36, v81
	v_mov_b32_e32 v37, v34
	v_pk_add_f32 v[30:31], v[36:37], v[30:31] neg_lo:[0,1] neg_hi:[0,1]
	v_mov_b32_e32 v86, v84
	v_pk_add_f32 v[34:35], v[86:87], v[30:31]
	v_mov_b32_e32 v36, v35
	v_pk_add_f32 v[36:37], v[34:35], v[36:37]
	v_pk_add_f32 v[80:81], v[32:33], v[36:37]
	v_mov_b32_e32 v35, v80
	v_pk_add_f32 v[82:83], v[34:35], v[84:85] neg_lo:[0,1] neg_hi:[0,1]
	v_mov_b32_e32 v31, v36
	v_sub_f32_e32 v32, v34, v82
	v_pk_add_f32 v[30:31], v[30:31], v[82:83] neg_lo:[0,1] neg_hi:[0,1]
	v_sub_f32_e32 v32, v84, v32
	s_mov_b32 s43, 0x7f800000
	v_add_f32_e32 v30, v30, v32
	s_mov_b32 s42, 0x33800000
	v_add_f32_e32 v30, v30, v31
	v_cmp_eq_f32_e32 vcc, s43, v96
	v_cmp_lt_f32_e64 s[42:43], |v96|, s42
	v_add_f32_e32 v30, v80, v30
	s_or_b64 vcc, vcc, s[42:43]
	v_cndmask_b32_e32 v30, v30, v96, vcc
	v_add_f32_e32 v30, v33, v30
	v_cvt_f16_f32_e32 v31, v30
	v_cvt_f32_f16_e32 v32, v31
	v_mov_b32_e32 v30, v31
.LBB421_83:
	s_or_b64 exec, exec, s[40:41]
	v_cvt_f32_f16_sdwa v80, v19 dst_sel:DWORD dst_unused:UNUSED_PAD src0_sel:WORD_1
	v_max_f32_e32 v33, v32, v32
	v_cmp_u_f16_e32 vcc, v31, v31
	v_cmp_u_f16_sdwa s[40:41], v19, v19 src0_sel:WORD_1 src1_sel:WORD_1
	v_min_f32_e32 v34, v33, v80
	v_max_f32_e32 v33, v33, v80
	v_cndmask_b32_e32 v34, v34, v32, vcc
	v_cndmask_b32_e32 v33, v33, v32, vcc
	v_cndmask_b32_e64 v34, v34, v80, s[40:41]
	v_cndmask_b32_e64 v33, v33, v80, s[40:41]
	s_movk_i32 s44, 0x1f8
	v_cmp_neq_f32_e32 vcc, v34, v33
	v_cmp_class_f32_e64 s[42:43], v34, s44
	s_or_b64 vcc, vcc, s[42:43]
	s_and_saveexec_b64 s[42:43], vcc
	s_cbranch_execz .LBB421_85
; %bb.84:
	v_sub_f32_e32 v30, v34, v33
	s_mov_b32 s45, 0x3fb8aa3b
	v_mul_f32_e32 v31, 0x3fb8aa3b, v30
	v_fma_f32 v32, v30, s45, -v31
	v_rndne_f32_e32 v34, v31
	v_fmac_f32_e32 v32, 0x32a5705f, v30
	v_sub_f32_e32 v31, v31, v34
	v_add_f32_e32 v31, v31, v32
	v_exp_f32_e32 v31, v31
	v_cvt_i32_f32_e32 v32, v34
	s_mov_b32 s45, 0xc2ce8ed0
	v_cmp_ngt_f32_e32 vcc, s45, v30
	s_mov_b32 s45, 0x42b17218
	v_ldexp_f32 v31, v31, v32
	v_cndmask_b32_e32 v31, 0, v31, vcc
	v_mov_b32_e32 v32, 0x7f800000
	v_cmp_nlt_f32_e32 vcc, s45, v30
	v_cndmask_b32_e32 v81, v32, v31, vcc
	v_add_f32_e32 v32, 1.0, v81
	v_add_f32_e32 v30, -1.0, v32
	v_sub_f32_e32 v31, v30, v32
	v_add_f32_e32 v31, 1.0, v31
	v_sub_f32_e32 v30, v81, v30
	v_add_f32_e32 v34, v30, v31
	v_frexp_mant_f32_e32 v35, v32
	s_mov_b32 s45, 0x3f2aaaab
	v_cvt_f64_f32_e32 v[30:31], v32
	v_frexp_exp_i32_f64_e32 v30, v[30:31]
	v_cmp_gt_f32_e32 vcc, s45, v35
	v_subbrev_co_u32_e32 v84, vcc, 0, v30, vcc
	v_sub_u32_e32 v30, 0, v84
	v_ldexp_f32 v31, v32, v30
	v_add_f32_e32 v32, -1.0, v31
	v_add_f32_e32 v35, 1.0, v31
	v_ldexp_f32 v30, v34, v30
	v_add_f32_e32 v34, 1.0, v32
	v_add_f32_e32 v36, -1.0, v35
	v_sub_f32_e32 v34, v31, v34
	v_sub_f32_e32 v31, v31, v36
	v_add_f32_e32 v34, v30, v34
	v_add_f32_e32 v30, v30, v31
	;; [unrolled: 1-line block ×3, first 2 shown]
	v_rcp_f32_e32 v87, v85
	v_sub_f32_e32 v31, v35, v85
	v_add_f32_e32 v86, v30, v31
	v_add_f32_e32 v31, v32, v34
	v_sub_f32_e32 v30, v32, v31
	v_mul_f32_e32 v96, v31, v87
	v_add_f32_e32 v32, v34, v30
	v_mul_f32_e32 v34, v85, v96
	v_fma_f32 v36, v96, v85, -v34
	v_fmac_f32_e32 v36, v96, v86
	v_add_f32_e32 v30, v34, v36
	v_sub_f32_e32 v35, v31, v30
	v_pk_add_f32 v[82:83], v[30:31], v[34:35] neg_lo:[0,1] neg_hi:[0,1]
	v_mov_b32_e32 v37, v30
	v_pk_add_f32 v[30:31], v[82:83], v[36:37] neg_lo:[0,1] neg_hi:[0,1]
	v_add_f32_e32 v31, v32, v31
	v_add_f32_e32 v30, v30, v31
	;; [unrolled: 1-line block ×3, first 2 shown]
	v_mul_f32_e32 v32, v87, v31
	v_mul_f32_e32 v34, v85, v32
	v_fma_f32 v36, v32, v85, -v34
	v_fmac_f32_e32 v36, v32, v86
	v_sub_f32_e32 v35, v35, v31
	v_add_f32_e32 v85, v30, v35
	v_add_f32_e32 v30, v34, v36
	v_sub_f32_e32 v35, v31, v30
	v_pk_add_f32 v[82:83], v[30:31], v[34:35] neg_lo:[0,1] neg_hi:[0,1]
	v_mov_b32_e32 v37, v30
	v_pk_add_f32 v[30:31], v[82:83], v[36:37] neg_lo:[0,1] neg_hi:[0,1]
	v_add_f32_e32 v31, v85, v31
	v_add_f32_e32 v30, v30, v31
	;; [unrolled: 1-line block ×4, first 2 shown]
	v_sub_f32_e32 v31, v35, v96
	v_mul_f32_e32 v30, v87, v30
	v_sub_f32_e32 v31, v32, v31
	v_add_f32_e32 v30, v31, v30
	v_add_f32_e32 v32, v35, v30
	v_mul_f32_e32 v36, v32, v32
	v_mov_b32_e32 v34, 0x3ecc95a3
	v_fmac_f32_e32 v34, 0x3e9b6dac, v36
	v_mov_b32_e32 v31, 0x3f2aaada
	v_fmac_f32_e32 v31, v36, v34
	v_cvt_f32_i32_e32 v34, v84
	v_sub_f32_e32 v35, v32, v35
	v_sub_f32_e32 v30, v30, v35
	v_ldexp_f32 v82, v30, 1
	v_mul_f32_e32 v35, v32, v36
	v_mov_b32_e32 v30, 0x3f317218
	s_mov_b32 s45, 0x3f317218
	v_pk_mul_f32 v[30:31], v[34:35], v[30:31]
	v_fma_f32 v36, v34, s45, -v30
	v_ldexp_f32 v37, v32, 1
	v_fmac_f32_e32 v36, 0xb102e308, v34
	v_pk_add_f32 v[34:35], v[30:31], v[36:37]
	v_sub_f32_e32 v32, v35, v37
	v_sub_f32_e32 v32, v31, v32
	v_add_f32_e32 v83, v82, v32
	v_mov_b32_e32 v82, v30
	v_pk_add_f32 v[30:31], v[34:35], v[30:31] neg_lo:[0,1] neg_hi:[0,1]
	v_pk_add_f32 v[84:85], v[34:35], v[82:83]
	v_mov_b32_e32 v31, v85
	v_mov_b32_e32 v37, v34
	v_pk_add_f32 v[86:87], v[36:37], v[30:31] neg_lo:[0,1] neg_hi:[0,1]
	v_pk_add_f32 v[30:31], v[36:37], v[30:31]
	v_mov_b32_e32 v32, v31
	v_pk_add_f32 v[36:37], v[32:33], v[34:35] neg_lo:[0,1] neg_hi:[0,1]
	v_mov_b32_e32 v37, v36
	v_pk_add_f32 v[98:99], v[84:85], v[36:37] neg_lo:[0,1] neg_hi:[0,1]
	v_mov_b32_e32 v30, v85
	v_mov_b32_e32 v84, v35
	;; [unrolled: 1-line block ×4, first 2 shown]
	v_pk_add_f32 v[30:31], v[30:31], v[84:85] neg_lo:[0,1] neg_hi:[0,1]
	v_mov_b32_e32 v36, v83
	v_mov_b32_e32 v37, v34
	v_pk_add_f32 v[30:31], v[36:37], v[30:31] neg_lo:[0,1] neg_hi:[0,1]
	v_mov_b32_e32 v98, v86
	v_pk_add_f32 v[34:35], v[98:99], v[30:31]
	v_mov_b32_e32 v36, v35
	v_pk_add_f32 v[36:37], v[34:35], v[36:37]
	v_pk_add_f32 v[82:83], v[32:33], v[36:37]
	v_mov_b32_e32 v35, v82
	v_pk_add_f32 v[84:85], v[34:35], v[86:87] neg_lo:[0,1] neg_hi:[0,1]
	v_mov_b32_e32 v31, v36
	v_sub_f32_e32 v32, v34, v84
	v_pk_add_f32 v[30:31], v[30:31], v[84:85] neg_lo:[0,1] neg_hi:[0,1]
	v_sub_f32_e32 v32, v86, v32
	s_mov_b32 s46, 0x7f800000
	v_add_f32_e32 v30, v30, v32
	s_mov_b32 s45, 0x33800000
	v_add_f32_e32 v30, v30, v31
	v_cmp_eq_f32_e32 vcc, s46, v81
	v_cmp_lt_f32_e64 s[46:47], |v81|, s45
	v_add_f32_e32 v30, v82, v30
	s_or_b64 vcc, vcc, s[46:47]
	v_cndmask_b32_e32 v30, v30, v81, vcc
	v_add_f32_e32 v30, v33, v30
	v_cvt_f16_f32_e32 v31, v30
	v_cvt_f32_f16_e32 v32, v31
	v_mov_b32_e32 v30, v31
.LBB421_85:
	s_or_b64 exec, exec, s[42:43]
	v_cvt_f32_f16_e32 v81, v12
	v_max_f32_e32 v33, v32, v32
	v_cmp_u_f16_e32 vcc, v31, v31
	v_cmp_u_f16_e64 s[42:43], v12, v12
	v_min_f32_e32 v34, v33, v81
	v_max_f32_e32 v33, v33, v81
	v_cndmask_b32_e32 v34, v34, v32, vcc
	v_cndmask_b32_e32 v33, v33, v32, vcc
	v_cndmask_b32_e64 v34, v34, v81, s[42:43]
	v_cndmask_b32_e64 v33, v33, v81, s[42:43]
	v_cmp_neq_f32_e32 vcc, v34, v33
	v_cmp_class_f32_e64 s[44:45], v34, s44
	s_or_b64 vcc, vcc, s[44:45]
	s_and_saveexec_b64 s[44:45], vcc
	s_cbranch_execz .LBB421_87
; %bb.86:
	v_sub_f32_e32 v30, v34, v33
	s_mov_b32 s46, 0x3fb8aa3b
	v_mul_f32_e32 v31, 0x3fb8aa3b, v30
	v_fma_f32 v32, v30, s46, -v31
	v_rndne_f32_e32 v34, v31
	v_fmac_f32_e32 v32, 0x32a5705f, v30
	v_sub_f32_e32 v31, v31, v34
	v_add_f32_e32 v31, v31, v32
	v_exp_f32_e32 v31, v31
	v_cvt_i32_f32_e32 v32, v34
	s_mov_b32 s46, 0xc2ce8ed0
	v_cmp_ngt_f32_e32 vcc, s46, v30
	s_mov_b32 s46, 0x42b17218
	v_ldexp_f32 v31, v31, v32
	v_cndmask_b32_e32 v31, 0, v31, vcc
	v_mov_b32_e32 v32, 0x7f800000
	v_cmp_nlt_f32_e32 vcc, s46, v30
	v_cndmask_b32_e32 v96, v32, v31, vcc
	v_add_f32_e32 v32, 1.0, v96
	v_add_f32_e32 v30, -1.0, v32
	v_sub_f32_e32 v31, v30, v32
	v_add_f32_e32 v31, 1.0, v31
	v_sub_f32_e32 v30, v96, v30
	v_add_f32_e32 v34, v30, v31
	v_frexp_mant_f32_e32 v35, v32
	s_mov_b32 s46, 0x3f2aaaab
	v_cvt_f64_f32_e32 v[30:31], v32
	v_frexp_exp_i32_f64_e32 v30, v[30:31]
	v_cmp_gt_f32_e32 vcc, s46, v35
	v_subbrev_co_u32_e32 v84, vcc, 0, v30, vcc
	v_sub_u32_e32 v30, 0, v84
	v_ldexp_f32 v31, v32, v30
	v_add_f32_e32 v32, -1.0, v31
	v_add_f32_e32 v35, 1.0, v31
	v_ldexp_f32 v30, v34, v30
	v_add_f32_e32 v34, 1.0, v32
	v_add_f32_e32 v36, -1.0, v35
	v_sub_f32_e32 v34, v31, v34
	v_sub_f32_e32 v31, v31, v36
	v_add_f32_e32 v34, v30, v34
	v_add_f32_e32 v30, v30, v31
	;; [unrolled: 1-line block ×3, first 2 shown]
	v_rcp_f32_e32 v87, v85
	v_sub_f32_e32 v31, v35, v85
	v_add_f32_e32 v86, v30, v31
	v_add_f32_e32 v31, v32, v34
	v_sub_f32_e32 v30, v32, v31
	v_mul_f32_e32 v98, v31, v87
	v_add_f32_e32 v32, v34, v30
	v_mul_f32_e32 v34, v85, v98
	v_fma_f32 v36, v98, v85, -v34
	v_fmac_f32_e32 v36, v98, v86
	v_add_f32_e32 v30, v34, v36
	v_sub_f32_e32 v35, v31, v30
	v_pk_add_f32 v[82:83], v[30:31], v[34:35] neg_lo:[0,1] neg_hi:[0,1]
	v_mov_b32_e32 v37, v30
	v_pk_add_f32 v[30:31], v[82:83], v[36:37] neg_lo:[0,1] neg_hi:[0,1]
	v_add_f32_e32 v31, v32, v31
	v_add_f32_e32 v30, v30, v31
	;; [unrolled: 1-line block ×3, first 2 shown]
	v_mul_f32_e32 v32, v87, v31
	v_mul_f32_e32 v34, v85, v32
	v_fma_f32 v36, v32, v85, -v34
	v_fmac_f32_e32 v36, v32, v86
	v_sub_f32_e32 v35, v35, v31
	v_add_f32_e32 v85, v30, v35
	v_add_f32_e32 v30, v34, v36
	v_sub_f32_e32 v35, v31, v30
	v_pk_add_f32 v[82:83], v[30:31], v[34:35] neg_lo:[0,1] neg_hi:[0,1]
	v_mov_b32_e32 v37, v30
	v_pk_add_f32 v[30:31], v[82:83], v[36:37] neg_lo:[0,1] neg_hi:[0,1]
	v_add_f32_e32 v31, v85, v31
	v_add_f32_e32 v30, v30, v31
	;; [unrolled: 1-line block ×4, first 2 shown]
	v_sub_f32_e32 v31, v35, v98
	v_mul_f32_e32 v30, v87, v30
	v_sub_f32_e32 v31, v32, v31
	v_add_f32_e32 v30, v31, v30
	v_add_f32_e32 v32, v35, v30
	v_mul_f32_e32 v36, v32, v32
	v_mov_b32_e32 v34, 0x3ecc95a3
	v_fmac_f32_e32 v34, 0x3e9b6dac, v36
	v_mov_b32_e32 v31, 0x3f2aaada
	v_fmac_f32_e32 v31, v36, v34
	v_cvt_f32_i32_e32 v34, v84
	v_sub_f32_e32 v35, v32, v35
	v_sub_f32_e32 v30, v30, v35
	v_ldexp_f32 v82, v30, 1
	v_mul_f32_e32 v35, v32, v36
	v_mov_b32_e32 v30, 0x3f317218
	s_mov_b32 s46, 0x3f317218
	v_pk_mul_f32 v[30:31], v[34:35], v[30:31]
	v_fma_f32 v36, v34, s46, -v30
	v_ldexp_f32 v37, v32, 1
	v_fmac_f32_e32 v36, 0xb102e308, v34
	v_pk_add_f32 v[34:35], v[30:31], v[36:37]
	v_sub_f32_e32 v32, v35, v37
	v_sub_f32_e32 v32, v31, v32
	v_add_f32_e32 v83, v82, v32
	v_mov_b32_e32 v82, v30
	v_pk_add_f32 v[30:31], v[34:35], v[30:31] neg_lo:[0,1] neg_hi:[0,1]
	v_pk_add_f32 v[84:85], v[34:35], v[82:83]
	v_mov_b32_e32 v31, v85
	v_mov_b32_e32 v37, v34
	v_pk_add_f32 v[86:87], v[36:37], v[30:31] neg_lo:[0,1] neg_hi:[0,1]
	v_pk_add_f32 v[30:31], v[36:37], v[30:31]
	v_mov_b32_e32 v32, v31
	v_pk_add_f32 v[36:37], v[32:33], v[34:35] neg_lo:[0,1] neg_hi:[0,1]
	v_mov_b32_e32 v37, v36
	v_pk_add_f32 v[98:99], v[84:85], v[36:37] neg_lo:[0,1] neg_hi:[0,1]
	v_mov_b32_e32 v30, v85
	v_mov_b32_e32 v84, v35
	;; [unrolled: 1-line block ×4, first 2 shown]
	v_pk_add_f32 v[30:31], v[30:31], v[84:85] neg_lo:[0,1] neg_hi:[0,1]
	v_mov_b32_e32 v36, v83
	v_mov_b32_e32 v37, v34
	v_pk_add_f32 v[30:31], v[36:37], v[30:31] neg_lo:[0,1] neg_hi:[0,1]
	v_mov_b32_e32 v98, v86
	v_pk_add_f32 v[34:35], v[98:99], v[30:31]
	v_mov_b32_e32 v36, v35
	v_pk_add_f32 v[36:37], v[34:35], v[36:37]
	v_pk_add_f32 v[82:83], v[32:33], v[36:37]
	v_mov_b32_e32 v35, v82
	v_pk_add_f32 v[84:85], v[34:35], v[86:87] neg_lo:[0,1] neg_hi:[0,1]
	v_mov_b32_e32 v31, v36
	v_sub_f32_e32 v32, v34, v84
	v_pk_add_f32 v[30:31], v[30:31], v[84:85] neg_lo:[0,1] neg_hi:[0,1]
	v_sub_f32_e32 v32, v86, v32
	s_mov_b32 s47, 0x7f800000
	v_add_f32_e32 v30, v30, v32
	s_mov_b32 s46, 0x33800000
	v_add_f32_e32 v30, v30, v31
	v_cmp_eq_f32_e32 vcc, s47, v96
	v_cmp_lt_f32_e64 s[46:47], |v96|, s46
	v_add_f32_e32 v30, v82, v30
	s_or_b64 vcc, vcc, s[46:47]
	v_cndmask_b32_e32 v30, v30, v96, vcc
	v_add_f32_e32 v30, v33, v30
	v_cvt_f16_f32_e32 v31, v30
	v_cvt_f32_f16_e32 v32, v31
	v_mov_b32_e32 v30, v31
.LBB421_87:
	s_or_b64 exec, exec, s[44:45]
	v_cvt_f32_f16_sdwa v82, v12 dst_sel:DWORD dst_unused:UNUSED_PAD src0_sel:WORD_1
	v_max_f32_e32 v33, v32, v32
	v_cmp_u_f16_e32 vcc, v31, v31
	v_cmp_u_f16_sdwa s[44:45], v12, v12 src0_sel:WORD_1 src1_sel:WORD_1
	v_min_f32_e32 v34, v33, v82
	v_max_f32_e32 v33, v33, v82
	v_cndmask_b32_e32 v34, v34, v32, vcc
	v_cndmask_b32_e32 v33, v33, v32, vcc
	v_cndmask_b32_e64 v34, v34, v82, s[44:45]
	v_cndmask_b32_e64 v33, v33, v82, s[44:45]
	s_movk_i32 s48, 0x1f8
	v_cmp_neq_f32_e32 vcc, v34, v33
	v_cmp_class_f32_e64 s[46:47], v34, s48
	s_or_b64 vcc, vcc, s[46:47]
	s_and_saveexec_b64 s[46:47], vcc
	s_cbranch_execz .LBB421_89
; %bb.88:
	v_sub_f32_e32 v30, v34, v33
	s_mov_b32 s49, 0x3fb8aa3b
	v_mul_f32_e32 v31, 0x3fb8aa3b, v30
	v_fma_f32 v32, v30, s49, -v31
	v_rndne_f32_e32 v34, v31
	v_fmac_f32_e32 v32, 0x32a5705f, v30
	v_sub_f32_e32 v31, v31, v34
	v_add_f32_e32 v31, v31, v32
	v_exp_f32_e32 v31, v31
	v_cvt_i32_f32_e32 v32, v34
	s_mov_b32 s49, 0xc2ce8ed0
	v_cmp_ngt_f32_e32 vcc, s49, v30
	s_mov_b32 s49, 0x42b17218
	v_ldexp_f32 v31, v31, v32
	v_cndmask_b32_e32 v31, 0, v31, vcc
	v_mov_b32_e32 v32, 0x7f800000
	v_cmp_nlt_f32_e32 vcc, s49, v30
	v_cndmask_b32_e32 v83, v32, v31, vcc
	v_add_f32_e32 v32, 1.0, v83
	v_add_f32_e32 v30, -1.0, v32
	v_sub_f32_e32 v31, v30, v32
	v_add_f32_e32 v31, 1.0, v31
	v_sub_f32_e32 v30, v83, v30
	v_add_f32_e32 v34, v30, v31
	v_frexp_mant_f32_e32 v35, v32
	s_mov_b32 s49, 0x3f2aaaab
	v_cvt_f64_f32_e32 v[30:31], v32
	v_frexp_exp_i32_f64_e32 v30, v[30:31]
	v_cmp_gt_f32_e32 vcc, s49, v35
	v_subbrev_co_u32_e32 v86, vcc, 0, v30, vcc
	v_sub_u32_e32 v30, 0, v86
	v_ldexp_f32 v31, v32, v30
	v_add_f32_e32 v32, -1.0, v31
	v_add_f32_e32 v35, 1.0, v31
	v_ldexp_f32 v30, v34, v30
	v_add_f32_e32 v34, 1.0, v32
	v_add_f32_e32 v36, -1.0, v35
	v_sub_f32_e32 v34, v31, v34
	v_sub_f32_e32 v31, v31, v36
	v_add_f32_e32 v34, v30, v34
	v_add_f32_e32 v30, v30, v31
	;; [unrolled: 1-line block ×3, first 2 shown]
	v_rcp_f32_e32 v98, v87
	v_sub_f32_e32 v31, v35, v87
	v_add_f32_e32 v96, v30, v31
	v_add_f32_e32 v31, v32, v34
	v_sub_f32_e32 v30, v32, v31
	v_mul_f32_e32 v99, v31, v98
	v_add_f32_e32 v32, v34, v30
	v_mul_f32_e32 v34, v87, v99
	v_fma_f32 v36, v99, v87, -v34
	v_fmac_f32_e32 v36, v99, v96
	v_add_f32_e32 v30, v34, v36
	v_sub_f32_e32 v35, v31, v30
	v_pk_add_f32 v[84:85], v[30:31], v[34:35] neg_lo:[0,1] neg_hi:[0,1]
	v_mov_b32_e32 v37, v30
	v_pk_add_f32 v[30:31], v[84:85], v[36:37] neg_lo:[0,1] neg_hi:[0,1]
	v_add_f32_e32 v31, v32, v31
	v_add_f32_e32 v30, v30, v31
	;; [unrolled: 1-line block ×3, first 2 shown]
	v_mul_f32_e32 v32, v98, v31
	v_mul_f32_e32 v34, v87, v32
	v_fma_f32 v36, v32, v87, -v34
	v_fmac_f32_e32 v36, v32, v96
	v_sub_f32_e32 v35, v35, v31
	v_add_f32_e32 v87, v30, v35
	v_add_f32_e32 v30, v34, v36
	v_sub_f32_e32 v35, v31, v30
	v_pk_add_f32 v[84:85], v[30:31], v[34:35] neg_lo:[0,1] neg_hi:[0,1]
	v_mov_b32_e32 v37, v30
	v_pk_add_f32 v[30:31], v[84:85], v[36:37] neg_lo:[0,1] neg_hi:[0,1]
	v_add_f32_e32 v31, v87, v31
	v_add_f32_e32 v30, v30, v31
	;; [unrolled: 1-line block ×4, first 2 shown]
	v_sub_f32_e32 v31, v35, v99
	v_mul_f32_e32 v30, v98, v30
	v_sub_f32_e32 v31, v32, v31
	v_add_f32_e32 v30, v31, v30
	v_add_f32_e32 v32, v35, v30
	v_mul_f32_e32 v36, v32, v32
	v_mov_b32_e32 v34, 0x3ecc95a3
	v_fmac_f32_e32 v34, 0x3e9b6dac, v36
	v_mov_b32_e32 v31, 0x3f2aaada
	v_fmac_f32_e32 v31, v36, v34
	v_cvt_f32_i32_e32 v34, v86
	v_sub_f32_e32 v35, v32, v35
	v_sub_f32_e32 v30, v30, v35
	v_ldexp_f32 v84, v30, 1
	v_mul_f32_e32 v35, v32, v36
	v_mov_b32_e32 v30, 0x3f317218
	s_mov_b32 s49, 0x3f317218
	v_pk_mul_f32 v[30:31], v[34:35], v[30:31]
	v_fma_f32 v36, v34, s49, -v30
	v_ldexp_f32 v37, v32, 1
	v_fmac_f32_e32 v36, 0xb102e308, v34
	v_pk_add_f32 v[34:35], v[30:31], v[36:37]
	v_sub_f32_e32 v32, v35, v37
	v_sub_f32_e32 v32, v31, v32
	v_add_f32_e32 v85, v84, v32
	v_mov_b32_e32 v84, v30
	v_pk_add_f32 v[30:31], v[34:35], v[30:31] neg_lo:[0,1] neg_hi:[0,1]
	v_pk_add_f32 v[86:87], v[34:35], v[84:85]
	v_mov_b32_e32 v31, v87
	v_mov_b32_e32 v37, v34
	v_pk_add_f32 v[98:99], v[36:37], v[30:31] neg_lo:[0,1] neg_hi:[0,1]
	v_pk_add_f32 v[30:31], v[36:37], v[30:31]
	v_mov_b32_e32 v32, v31
	v_pk_add_f32 v[36:37], v[32:33], v[34:35] neg_lo:[0,1] neg_hi:[0,1]
	v_mov_b32_e32 v37, v36
	v_pk_add_f32 v[100:101], v[86:87], v[36:37] neg_lo:[0,1] neg_hi:[0,1]
	v_mov_b32_e32 v30, v87
	v_mov_b32_e32 v86, v35
	;; [unrolled: 1-line block ×4, first 2 shown]
	v_pk_add_f32 v[30:31], v[30:31], v[86:87] neg_lo:[0,1] neg_hi:[0,1]
	v_mov_b32_e32 v36, v85
	v_mov_b32_e32 v37, v34
	v_pk_add_f32 v[30:31], v[36:37], v[30:31] neg_lo:[0,1] neg_hi:[0,1]
	v_mov_b32_e32 v100, v98
	v_pk_add_f32 v[34:35], v[100:101], v[30:31]
	v_mov_b32_e32 v36, v35
	v_pk_add_f32 v[36:37], v[34:35], v[36:37]
	v_pk_add_f32 v[84:85], v[32:33], v[36:37]
	v_mov_b32_e32 v35, v84
	v_pk_add_f32 v[86:87], v[34:35], v[98:99] neg_lo:[0,1] neg_hi:[0,1]
	v_mov_b32_e32 v31, v36
	v_sub_f32_e32 v32, v34, v86
	v_pk_add_f32 v[30:31], v[30:31], v[86:87] neg_lo:[0,1] neg_hi:[0,1]
	v_sub_f32_e32 v32, v98, v32
	s_mov_b32 s50, 0x7f800000
	v_add_f32_e32 v30, v30, v32
	s_mov_b32 s49, 0x33800000
	v_add_f32_e32 v30, v30, v31
	v_cmp_eq_f32_e32 vcc, s50, v83
	v_cmp_lt_f32_e64 s[50:51], |v83|, s49
	v_add_f32_e32 v30, v84, v30
	s_or_b64 vcc, vcc, s[50:51]
	v_cndmask_b32_e32 v30, v30, v83, vcc
	v_add_f32_e32 v30, v33, v30
	v_cvt_f16_f32_e32 v31, v30
	v_cvt_f32_f16_e32 v32, v31
	v_mov_b32_e32 v30, v31
.LBB421_89:
	s_or_b64 exec, exec, s[46:47]
	v_cvt_f32_f16_e32 v83, v13
	v_max_f32_e32 v33, v32, v32
	v_cmp_u_f16_e32 vcc, v31, v31
	v_cmp_u_f16_e64 s[46:47], v13, v13
	v_min_f32_e32 v34, v33, v83
	v_max_f32_e32 v33, v33, v83
	v_cndmask_b32_e32 v34, v34, v32, vcc
	v_cndmask_b32_e32 v33, v33, v32, vcc
	v_cndmask_b32_e64 v34, v34, v83, s[46:47]
	v_cndmask_b32_e64 v33, v33, v83, s[46:47]
	v_cmp_neq_f32_e32 vcc, v34, v33
	v_cmp_class_f32_e64 s[48:49], v34, s48
	s_or_b64 vcc, vcc, s[48:49]
	s_and_saveexec_b64 s[48:49], vcc
	s_cbranch_execz .LBB421_91
; %bb.90:
	v_sub_f32_e32 v30, v34, v33
	s_mov_b32 s50, 0x3fb8aa3b
	v_mul_f32_e32 v31, 0x3fb8aa3b, v30
	v_fma_f32 v32, v30, s50, -v31
	v_rndne_f32_e32 v34, v31
	v_fmac_f32_e32 v32, 0x32a5705f, v30
	v_sub_f32_e32 v31, v31, v34
	v_add_f32_e32 v31, v31, v32
	v_exp_f32_e32 v31, v31
	v_cvt_i32_f32_e32 v32, v34
	s_mov_b32 s50, 0xc2ce8ed0
	v_cmp_ngt_f32_e32 vcc, s50, v30
	s_mov_b32 s50, 0x42b17218
	v_ldexp_f32 v31, v31, v32
	v_cndmask_b32_e32 v31, 0, v31, vcc
	v_mov_b32_e32 v32, 0x7f800000
	v_cmp_nlt_f32_e32 vcc, s50, v30
	v_cndmask_b32_e32 v96, v32, v31, vcc
	v_add_f32_e32 v32, 1.0, v96
	v_add_f32_e32 v30, -1.0, v32
	v_sub_f32_e32 v31, v30, v32
	v_add_f32_e32 v31, 1.0, v31
	v_sub_f32_e32 v30, v96, v30
	v_add_f32_e32 v34, v30, v31
	v_frexp_mant_f32_e32 v35, v32
	s_mov_b32 s50, 0x3f2aaaab
	v_cvt_f64_f32_e32 v[30:31], v32
	v_frexp_exp_i32_f64_e32 v30, v[30:31]
	v_cmp_gt_f32_e32 vcc, s50, v35
	v_subbrev_co_u32_e32 v86, vcc, 0, v30, vcc
	v_sub_u32_e32 v30, 0, v86
	v_ldexp_f32 v31, v32, v30
	v_add_f32_e32 v32, -1.0, v31
	v_add_f32_e32 v35, 1.0, v31
	v_ldexp_f32 v30, v34, v30
	v_add_f32_e32 v34, 1.0, v32
	v_add_f32_e32 v36, -1.0, v35
	v_sub_f32_e32 v34, v31, v34
	v_sub_f32_e32 v31, v31, v36
	v_add_f32_e32 v34, v30, v34
	v_add_f32_e32 v30, v30, v31
	;; [unrolled: 1-line block ×3, first 2 shown]
	v_rcp_f32_e32 v99, v87
	v_sub_f32_e32 v31, v35, v87
	v_add_f32_e32 v98, v30, v31
	v_add_f32_e32 v31, v32, v34
	v_sub_f32_e32 v30, v32, v31
	v_mul_f32_e32 v100, v31, v99
	v_add_f32_e32 v32, v34, v30
	v_mul_f32_e32 v34, v87, v100
	v_fma_f32 v36, v100, v87, -v34
	v_fmac_f32_e32 v36, v100, v98
	v_add_f32_e32 v30, v34, v36
	v_sub_f32_e32 v35, v31, v30
	v_pk_add_f32 v[84:85], v[30:31], v[34:35] neg_lo:[0,1] neg_hi:[0,1]
	v_mov_b32_e32 v37, v30
	v_pk_add_f32 v[30:31], v[84:85], v[36:37] neg_lo:[0,1] neg_hi:[0,1]
	v_add_f32_e32 v31, v32, v31
	v_add_f32_e32 v30, v30, v31
	v_add_f32_e32 v31, v35, v30
	v_mul_f32_e32 v32, v99, v31
	v_mul_f32_e32 v34, v87, v32
	v_fma_f32 v36, v32, v87, -v34
	v_fmac_f32_e32 v36, v32, v98
	v_sub_f32_e32 v35, v35, v31
	v_add_f32_e32 v87, v30, v35
	v_add_f32_e32 v30, v34, v36
	v_sub_f32_e32 v35, v31, v30
	v_pk_add_f32 v[84:85], v[30:31], v[34:35] neg_lo:[0,1] neg_hi:[0,1]
	v_mov_b32_e32 v37, v30
	v_pk_add_f32 v[30:31], v[84:85], v[36:37] neg_lo:[0,1] neg_hi:[0,1]
	v_add_f32_e32 v31, v87, v31
	v_add_f32_e32 v30, v30, v31
	;; [unrolled: 1-line block ×4, first 2 shown]
	v_sub_f32_e32 v31, v35, v100
	v_mul_f32_e32 v30, v99, v30
	v_sub_f32_e32 v31, v32, v31
	v_add_f32_e32 v30, v31, v30
	v_add_f32_e32 v32, v35, v30
	v_mul_f32_e32 v36, v32, v32
	v_mov_b32_e32 v34, 0x3ecc95a3
	v_fmac_f32_e32 v34, 0x3e9b6dac, v36
	v_mov_b32_e32 v31, 0x3f2aaada
	v_fmac_f32_e32 v31, v36, v34
	v_cvt_f32_i32_e32 v34, v86
	v_sub_f32_e32 v35, v32, v35
	v_sub_f32_e32 v30, v30, v35
	v_ldexp_f32 v84, v30, 1
	v_mul_f32_e32 v35, v32, v36
	v_mov_b32_e32 v30, 0x3f317218
	s_mov_b32 s50, 0x3f317218
	v_pk_mul_f32 v[30:31], v[34:35], v[30:31]
	v_fma_f32 v36, v34, s50, -v30
	v_ldexp_f32 v37, v32, 1
	v_fmac_f32_e32 v36, 0xb102e308, v34
	v_pk_add_f32 v[34:35], v[30:31], v[36:37]
	v_sub_f32_e32 v32, v35, v37
	v_sub_f32_e32 v32, v31, v32
	v_add_f32_e32 v85, v84, v32
	v_mov_b32_e32 v84, v30
	v_pk_add_f32 v[30:31], v[34:35], v[30:31] neg_lo:[0,1] neg_hi:[0,1]
	v_pk_add_f32 v[86:87], v[34:35], v[84:85]
	v_mov_b32_e32 v31, v87
	v_mov_b32_e32 v37, v34
	v_pk_add_f32 v[98:99], v[36:37], v[30:31] neg_lo:[0,1] neg_hi:[0,1]
	v_pk_add_f32 v[30:31], v[36:37], v[30:31]
	v_mov_b32_e32 v32, v31
	v_pk_add_f32 v[36:37], v[32:33], v[34:35] neg_lo:[0,1] neg_hi:[0,1]
	v_mov_b32_e32 v37, v36
	v_pk_add_f32 v[100:101], v[86:87], v[36:37] neg_lo:[0,1] neg_hi:[0,1]
	v_mov_b32_e32 v30, v87
	v_mov_b32_e32 v86, v35
	v_mov_b32_e32 v87, v36
	v_mov_b32_e32 v99, v31
	v_pk_add_f32 v[30:31], v[30:31], v[86:87] neg_lo:[0,1] neg_hi:[0,1]
	v_mov_b32_e32 v36, v85
	v_mov_b32_e32 v37, v34
	v_pk_add_f32 v[30:31], v[36:37], v[30:31] neg_lo:[0,1] neg_hi:[0,1]
	v_mov_b32_e32 v100, v98
	v_pk_add_f32 v[34:35], v[100:101], v[30:31]
	v_mov_b32_e32 v36, v35
	v_pk_add_f32 v[36:37], v[34:35], v[36:37]
	v_pk_add_f32 v[84:85], v[32:33], v[36:37]
	v_mov_b32_e32 v35, v84
	v_pk_add_f32 v[86:87], v[34:35], v[98:99] neg_lo:[0,1] neg_hi:[0,1]
	v_mov_b32_e32 v31, v36
	v_sub_f32_e32 v32, v34, v86
	v_pk_add_f32 v[30:31], v[30:31], v[86:87] neg_lo:[0,1] neg_hi:[0,1]
	v_sub_f32_e32 v32, v98, v32
	s_mov_b32 s51, 0x7f800000
	v_add_f32_e32 v30, v30, v32
	s_mov_b32 s50, 0x33800000
	v_add_f32_e32 v30, v30, v31
	v_cmp_eq_f32_e32 vcc, s51, v96
	v_cmp_lt_f32_e64 s[50:51], |v96|, s50
	v_add_f32_e32 v30, v84, v30
	s_or_b64 vcc, vcc, s[50:51]
	v_cndmask_b32_e32 v30, v30, v96, vcc
	v_add_f32_e32 v30, v33, v30
	v_cvt_f16_f32_e32 v31, v30
	v_cvt_f32_f16_e32 v32, v31
	v_mov_b32_e32 v30, v31
.LBB421_91:
	s_or_b64 exec, exec, s[48:49]
	v_cvt_f32_f16_sdwa v84, v13 dst_sel:DWORD dst_unused:UNUSED_PAD src0_sel:WORD_1
	v_max_f32_e32 v33, v32, v32
	v_cmp_u_f16_e32 vcc, v31, v31
	v_cmp_u_f16_sdwa s[48:49], v13, v13 src0_sel:WORD_1 src1_sel:WORD_1
	v_min_f32_e32 v34, v33, v84
	v_max_f32_e32 v33, v33, v84
	v_cndmask_b32_e32 v34, v34, v32, vcc
	v_cndmask_b32_e32 v33, v33, v32, vcc
	v_cndmask_b32_e64 v34, v34, v84, s[48:49]
	v_cndmask_b32_e64 v33, v33, v84, s[48:49]
	s_movk_i32 s52, 0x1f8
	v_cmp_neq_f32_e32 vcc, v34, v33
	v_cmp_class_f32_e64 s[50:51], v34, s52
	s_or_b64 vcc, vcc, s[50:51]
	s_and_saveexec_b64 s[50:51], vcc
	s_cbranch_execz .LBB421_93
; %bb.92:
	v_sub_f32_e32 v30, v34, v33
	s_mov_b32 s53, 0x3fb8aa3b
	v_mul_f32_e32 v31, 0x3fb8aa3b, v30
	v_fma_f32 v32, v30, s53, -v31
	v_rndne_f32_e32 v34, v31
	v_fmac_f32_e32 v32, 0x32a5705f, v30
	v_sub_f32_e32 v31, v31, v34
	v_add_f32_e32 v31, v31, v32
	v_exp_f32_e32 v31, v31
	v_cvt_i32_f32_e32 v32, v34
	s_mov_b32 s53, 0xc2ce8ed0
	v_cmp_ngt_f32_e32 vcc, s53, v30
	s_mov_b32 s53, 0x42b17218
	v_ldexp_f32 v31, v31, v32
	v_cndmask_b32_e32 v31, 0, v31, vcc
	v_mov_b32_e32 v32, 0x7f800000
	v_cmp_nlt_f32_e32 vcc, s53, v30
	v_cndmask_b32_e32 v85, v32, v31, vcc
	v_add_f32_e32 v32, 1.0, v85
	v_add_f32_e32 v30, -1.0, v32
	v_sub_f32_e32 v31, v30, v32
	v_add_f32_e32 v31, 1.0, v31
	v_sub_f32_e32 v30, v85, v30
	v_add_f32_e32 v34, v30, v31
	v_frexp_mant_f32_e32 v35, v32
	s_mov_b32 s53, 0x3f2aaaab
	v_cvt_f64_f32_e32 v[30:31], v32
	v_frexp_exp_i32_f64_e32 v30, v[30:31]
	v_cmp_gt_f32_e32 vcc, s53, v35
	v_subbrev_co_u32_e32 v96, vcc, 0, v30, vcc
	v_sub_u32_e32 v30, 0, v96
	v_ldexp_f32 v31, v32, v30
	v_add_f32_e32 v32, -1.0, v31
	v_add_f32_e32 v35, 1.0, v31
	v_ldexp_f32 v30, v34, v30
	v_add_f32_e32 v34, 1.0, v32
	v_add_f32_e32 v36, -1.0, v35
	v_sub_f32_e32 v34, v31, v34
	v_sub_f32_e32 v31, v31, v36
	v_add_f32_e32 v34, v30, v34
	v_add_f32_e32 v30, v30, v31
	;; [unrolled: 1-line block ×3, first 2 shown]
	v_rcp_f32_e32 v100, v98
	v_sub_f32_e32 v31, v35, v98
	v_add_f32_e32 v99, v30, v31
	v_add_f32_e32 v31, v32, v34
	v_sub_f32_e32 v30, v32, v31
	v_mul_f32_e32 v101, v31, v100
	v_add_f32_e32 v32, v34, v30
	v_mul_f32_e32 v34, v98, v101
	v_fma_f32 v36, v101, v98, -v34
	v_fmac_f32_e32 v36, v101, v99
	v_add_f32_e32 v30, v34, v36
	v_sub_f32_e32 v35, v31, v30
	v_pk_add_f32 v[86:87], v[30:31], v[34:35] neg_lo:[0,1] neg_hi:[0,1]
	v_mov_b32_e32 v37, v30
	v_pk_add_f32 v[30:31], v[86:87], v[36:37] neg_lo:[0,1] neg_hi:[0,1]
	v_add_f32_e32 v31, v32, v31
	v_add_f32_e32 v30, v30, v31
	;; [unrolled: 1-line block ×3, first 2 shown]
	v_mul_f32_e32 v32, v100, v31
	v_mul_f32_e32 v34, v98, v32
	v_fma_f32 v36, v32, v98, -v34
	v_fmac_f32_e32 v36, v32, v99
	v_sub_f32_e32 v35, v35, v31
	v_add_f32_e32 v98, v30, v35
	v_add_f32_e32 v30, v34, v36
	v_sub_f32_e32 v35, v31, v30
	v_pk_add_f32 v[86:87], v[30:31], v[34:35] neg_lo:[0,1] neg_hi:[0,1]
	v_mov_b32_e32 v37, v30
	v_pk_add_f32 v[30:31], v[86:87], v[36:37] neg_lo:[0,1] neg_hi:[0,1]
	v_add_f32_e32 v31, v98, v31
	v_add_f32_e32 v30, v30, v31
	;; [unrolled: 1-line block ×4, first 2 shown]
	v_sub_f32_e32 v31, v35, v101
	v_mul_f32_e32 v30, v100, v30
	v_sub_f32_e32 v31, v32, v31
	v_add_f32_e32 v30, v31, v30
	v_add_f32_e32 v32, v35, v30
	v_mul_f32_e32 v36, v32, v32
	v_mov_b32_e32 v34, 0x3ecc95a3
	v_fmac_f32_e32 v34, 0x3e9b6dac, v36
	v_mov_b32_e32 v31, 0x3f2aaada
	v_fmac_f32_e32 v31, v36, v34
	v_cvt_f32_i32_e32 v34, v96
	v_sub_f32_e32 v35, v32, v35
	v_sub_f32_e32 v30, v30, v35
	v_ldexp_f32 v86, v30, 1
	v_mul_f32_e32 v35, v32, v36
	v_mov_b32_e32 v30, 0x3f317218
	s_mov_b32 s53, 0x3f317218
	v_pk_mul_f32 v[30:31], v[34:35], v[30:31]
	v_fma_f32 v36, v34, s53, -v30
	v_ldexp_f32 v37, v32, 1
	v_fmac_f32_e32 v36, 0xb102e308, v34
	v_pk_add_f32 v[34:35], v[30:31], v[36:37]
	v_sub_f32_e32 v32, v35, v37
	v_sub_f32_e32 v32, v31, v32
	v_add_f32_e32 v87, v86, v32
	v_mov_b32_e32 v86, v30
	v_pk_add_f32 v[30:31], v[34:35], v[30:31] neg_lo:[0,1] neg_hi:[0,1]
	v_pk_add_f32 v[98:99], v[34:35], v[86:87]
	v_mov_b32_e32 v31, v99
	v_mov_b32_e32 v37, v34
	v_pk_add_f32 v[100:101], v[36:37], v[30:31] neg_lo:[0,1] neg_hi:[0,1]
	v_pk_add_f32 v[30:31], v[36:37], v[30:31]
	v_mov_b32_e32 v32, v31
	v_pk_add_f32 v[36:37], v[32:33], v[34:35] neg_lo:[0,1] neg_hi:[0,1]
	v_mov_b32_e32 v37, v36
	v_pk_add_f32 v[102:103], v[98:99], v[36:37] neg_lo:[0,1] neg_hi:[0,1]
	v_mov_b32_e32 v30, v99
	v_mov_b32_e32 v98, v35
	;; [unrolled: 1-line block ×4, first 2 shown]
	v_pk_add_f32 v[30:31], v[30:31], v[98:99] neg_lo:[0,1] neg_hi:[0,1]
	v_mov_b32_e32 v36, v87
	v_mov_b32_e32 v37, v34
	v_pk_add_f32 v[30:31], v[36:37], v[30:31] neg_lo:[0,1] neg_hi:[0,1]
	v_mov_b32_e32 v102, v100
	v_pk_add_f32 v[34:35], v[102:103], v[30:31]
	v_mov_b32_e32 v36, v35
	v_pk_add_f32 v[36:37], v[34:35], v[36:37]
	v_pk_add_f32 v[86:87], v[32:33], v[36:37]
	v_mov_b32_e32 v35, v86
	v_pk_add_f32 v[98:99], v[34:35], v[100:101] neg_lo:[0,1] neg_hi:[0,1]
	v_mov_b32_e32 v31, v36
	v_sub_f32_e32 v32, v34, v98
	v_pk_add_f32 v[30:31], v[30:31], v[98:99] neg_lo:[0,1] neg_hi:[0,1]
	v_sub_f32_e32 v32, v100, v32
	s_mov_b32 s54, 0x7f800000
	v_add_f32_e32 v30, v30, v32
	s_mov_b32 s53, 0x33800000
	v_add_f32_e32 v30, v30, v31
	v_cmp_eq_f32_e32 vcc, s54, v85
	v_cmp_lt_f32_e64 s[54:55], |v85|, s53
	v_add_f32_e32 v30, v86, v30
	s_or_b64 vcc, vcc, s[54:55]
	v_cndmask_b32_e32 v30, v30, v85, vcc
	v_add_f32_e32 v30, v33, v30
	v_cvt_f16_f32_e32 v31, v30
	v_cvt_f32_f16_e32 v32, v31
	v_mov_b32_e32 v30, v31
.LBB421_93:
	s_or_b64 exec, exec, s[50:51]
	v_cvt_f32_f16_e32 v85, v14
	v_max_f32_e32 v33, v32, v32
	v_cmp_u_f16_e32 vcc, v31, v31
	v_cmp_u_f16_e64 s[50:51], v14, v14
	v_min_f32_e32 v34, v33, v85
	v_max_f32_e32 v33, v33, v85
	v_cndmask_b32_e32 v34, v34, v32, vcc
	v_cndmask_b32_e32 v33, v33, v32, vcc
	v_cndmask_b32_e64 v34, v34, v85, s[50:51]
	v_cndmask_b32_e64 v33, v33, v85, s[50:51]
	v_cmp_neq_f32_e32 vcc, v34, v33
	v_cmp_class_f32_e64 s[52:53], v34, s52
	s_or_b64 vcc, vcc, s[52:53]
	s_and_saveexec_b64 s[52:53], vcc
	s_cbranch_execz .LBB421_95
; %bb.94:
	v_sub_f32_e32 v30, v34, v33
	s_mov_b32 s54, 0x3fb8aa3b
	v_mul_f32_e32 v31, 0x3fb8aa3b, v30
	v_fma_f32 v32, v30, s54, -v31
	v_rndne_f32_e32 v34, v31
	v_fmac_f32_e32 v32, 0x32a5705f, v30
	v_sub_f32_e32 v31, v31, v34
	v_add_f32_e32 v31, v31, v32
	v_exp_f32_e32 v31, v31
	v_cvt_i32_f32_e32 v32, v34
	s_mov_b32 s54, 0xc2ce8ed0
	v_cmp_ngt_f32_e32 vcc, s54, v30
	s_mov_b32 s54, 0x42b17218
	v_ldexp_f32 v31, v31, v32
	v_cndmask_b32_e32 v31, 0, v31, vcc
	v_mov_b32_e32 v32, 0x7f800000
	v_cmp_nlt_f32_e32 vcc, s54, v30
	v_cndmask_b32_e32 v96, v32, v31, vcc
	v_add_f32_e32 v32, 1.0, v96
	v_add_f32_e32 v30, -1.0, v32
	v_sub_f32_e32 v31, v30, v32
	v_add_f32_e32 v31, 1.0, v31
	v_sub_f32_e32 v30, v96, v30
	v_add_f32_e32 v34, v30, v31
	v_frexp_mant_f32_e32 v35, v32
	s_mov_b32 s54, 0x3f2aaaab
	v_cvt_f64_f32_e32 v[30:31], v32
	v_frexp_exp_i32_f64_e32 v30, v[30:31]
	v_cmp_gt_f32_e32 vcc, s54, v35
	v_subbrev_co_u32_e32 v98, vcc, 0, v30, vcc
	v_sub_u32_e32 v30, 0, v98
	v_ldexp_f32 v31, v32, v30
	v_add_f32_e32 v32, -1.0, v31
	v_add_f32_e32 v35, 1.0, v31
	v_ldexp_f32 v30, v34, v30
	v_add_f32_e32 v34, 1.0, v32
	v_add_f32_e32 v36, -1.0, v35
	v_sub_f32_e32 v34, v31, v34
	v_sub_f32_e32 v31, v31, v36
	v_add_f32_e32 v34, v30, v34
	v_add_f32_e32 v30, v30, v31
	;; [unrolled: 1-line block ×3, first 2 shown]
	v_rcp_f32_e32 v101, v99
	v_sub_f32_e32 v31, v35, v99
	v_add_f32_e32 v100, v30, v31
	v_add_f32_e32 v31, v32, v34
	v_sub_f32_e32 v30, v32, v31
	v_mul_f32_e32 v102, v31, v101
	v_add_f32_e32 v32, v34, v30
	v_mul_f32_e32 v34, v99, v102
	v_fma_f32 v36, v102, v99, -v34
	v_fmac_f32_e32 v36, v102, v100
	v_add_f32_e32 v30, v34, v36
	v_sub_f32_e32 v35, v31, v30
	v_pk_add_f32 v[86:87], v[30:31], v[34:35] neg_lo:[0,1] neg_hi:[0,1]
	v_mov_b32_e32 v37, v30
	v_pk_add_f32 v[30:31], v[86:87], v[36:37] neg_lo:[0,1] neg_hi:[0,1]
	v_add_f32_e32 v31, v32, v31
	v_add_f32_e32 v30, v30, v31
	;; [unrolled: 1-line block ×3, first 2 shown]
	v_mul_f32_e32 v32, v101, v31
	v_mul_f32_e32 v34, v99, v32
	v_fma_f32 v36, v32, v99, -v34
	v_fmac_f32_e32 v36, v32, v100
	v_sub_f32_e32 v35, v35, v31
	v_add_f32_e32 v99, v30, v35
	v_add_f32_e32 v30, v34, v36
	v_sub_f32_e32 v35, v31, v30
	v_pk_add_f32 v[86:87], v[30:31], v[34:35] neg_lo:[0,1] neg_hi:[0,1]
	v_mov_b32_e32 v37, v30
	v_pk_add_f32 v[30:31], v[86:87], v[36:37] neg_lo:[0,1] neg_hi:[0,1]
	v_add_f32_e32 v31, v99, v31
	v_add_f32_e32 v30, v30, v31
	;; [unrolled: 1-line block ×4, first 2 shown]
	v_sub_f32_e32 v31, v35, v102
	v_mul_f32_e32 v30, v101, v30
	v_sub_f32_e32 v31, v32, v31
	v_add_f32_e32 v30, v31, v30
	v_add_f32_e32 v32, v35, v30
	v_mul_f32_e32 v36, v32, v32
	v_mov_b32_e32 v34, 0x3ecc95a3
	v_fmac_f32_e32 v34, 0x3e9b6dac, v36
	v_mov_b32_e32 v31, 0x3f2aaada
	v_fmac_f32_e32 v31, v36, v34
	v_cvt_f32_i32_e32 v34, v98
	v_sub_f32_e32 v35, v32, v35
	v_sub_f32_e32 v30, v30, v35
	v_ldexp_f32 v86, v30, 1
	v_mul_f32_e32 v35, v32, v36
	v_mov_b32_e32 v30, 0x3f317218
	s_mov_b32 s54, 0x3f317218
	v_pk_mul_f32 v[30:31], v[34:35], v[30:31]
	v_fma_f32 v36, v34, s54, -v30
	v_ldexp_f32 v37, v32, 1
	v_fmac_f32_e32 v36, 0xb102e308, v34
	v_pk_add_f32 v[34:35], v[30:31], v[36:37]
	v_sub_f32_e32 v32, v35, v37
	v_sub_f32_e32 v32, v31, v32
	v_add_f32_e32 v87, v86, v32
	v_mov_b32_e32 v86, v30
	v_pk_add_f32 v[30:31], v[34:35], v[30:31] neg_lo:[0,1] neg_hi:[0,1]
	v_pk_add_f32 v[98:99], v[34:35], v[86:87]
	v_mov_b32_e32 v31, v99
	v_mov_b32_e32 v37, v34
	v_pk_add_f32 v[100:101], v[36:37], v[30:31] neg_lo:[0,1] neg_hi:[0,1]
	v_pk_add_f32 v[30:31], v[36:37], v[30:31]
	v_mov_b32_e32 v32, v31
	v_pk_add_f32 v[36:37], v[32:33], v[34:35] neg_lo:[0,1] neg_hi:[0,1]
	v_mov_b32_e32 v37, v36
	v_pk_add_f32 v[102:103], v[98:99], v[36:37] neg_lo:[0,1] neg_hi:[0,1]
	v_mov_b32_e32 v30, v99
	v_mov_b32_e32 v98, v35
	v_mov_b32_e32 v99, v36
	v_mov_b32_e32 v101, v31
	v_pk_add_f32 v[30:31], v[30:31], v[98:99] neg_lo:[0,1] neg_hi:[0,1]
	v_mov_b32_e32 v36, v87
	v_mov_b32_e32 v37, v34
	v_pk_add_f32 v[30:31], v[36:37], v[30:31] neg_lo:[0,1] neg_hi:[0,1]
	v_mov_b32_e32 v102, v100
	v_pk_add_f32 v[34:35], v[102:103], v[30:31]
	v_mov_b32_e32 v36, v35
	v_pk_add_f32 v[36:37], v[34:35], v[36:37]
	v_pk_add_f32 v[86:87], v[32:33], v[36:37]
	v_mov_b32_e32 v35, v86
	v_pk_add_f32 v[98:99], v[34:35], v[100:101] neg_lo:[0,1] neg_hi:[0,1]
	v_mov_b32_e32 v31, v36
	v_sub_f32_e32 v32, v34, v98
	v_pk_add_f32 v[30:31], v[30:31], v[98:99] neg_lo:[0,1] neg_hi:[0,1]
	v_sub_f32_e32 v32, v100, v32
	s_mov_b32 s55, 0x7f800000
	v_add_f32_e32 v30, v30, v32
	s_mov_b32 s54, 0x33800000
	v_add_f32_e32 v30, v30, v31
	v_cmp_eq_f32_e32 vcc, s55, v96
	v_cmp_lt_f32_e64 s[54:55], |v96|, s54
	v_add_f32_e32 v30, v86, v30
	s_or_b64 vcc, vcc, s[54:55]
	v_cndmask_b32_e32 v30, v30, v96, vcc
	v_add_f32_e32 v30, v33, v30
	v_cvt_f16_f32_e32 v31, v30
	v_cvt_f32_f16_e32 v32, v31
	v_mov_b32_e32 v30, v31
.LBB421_95:
	s_or_b64 exec, exec, s[52:53]
	v_cvt_f32_f16_sdwa v86, v14 dst_sel:DWORD dst_unused:UNUSED_PAD src0_sel:WORD_1
	v_max_f32_e32 v33, v32, v32
	v_cmp_u_f16_e32 vcc, v31, v31
	v_cmp_u_f16_sdwa s[52:53], v14, v14 src0_sel:WORD_1 src1_sel:WORD_1
	v_min_f32_e32 v34, v33, v86
	v_max_f32_e32 v33, v33, v86
	v_cndmask_b32_e32 v34, v34, v32, vcc
	v_cndmask_b32_e32 v33, v33, v32, vcc
	v_cndmask_b32_e64 v34, v34, v86, s[52:53]
	v_cndmask_b32_e64 v33, v33, v86, s[52:53]
	s_movk_i32 s56, 0x1f8
	v_cmp_neq_f32_e32 vcc, v34, v33
	v_cmp_class_f32_e64 s[54:55], v34, s56
	s_or_b64 vcc, vcc, s[54:55]
	s_and_saveexec_b64 s[54:55], vcc
	s_cbranch_execz .LBB421_97
; %bb.96:
	v_sub_f32_e32 v30, v34, v33
	s_mov_b32 s57, 0x3fb8aa3b
	v_mul_f32_e32 v31, 0x3fb8aa3b, v30
	v_fma_f32 v32, v30, s57, -v31
	v_rndne_f32_e32 v34, v31
	v_fmac_f32_e32 v32, 0x32a5705f, v30
	v_sub_f32_e32 v31, v31, v34
	v_add_f32_e32 v31, v31, v32
	v_exp_f32_e32 v31, v31
	v_cvt_i32_f32_e32 v32, v34
	s_mov_b32 s57, 0xc2ce8ed0
	v_cmp_ngt_f32_e32 vcc, s57, v30
	s_mov_b32 s57, 0x42b17218
	v_ldexp_f32 v31, v31, v32
	v_cndmask_b32_e32 v31, 0, v31, vcc
	v_mov_b32_e32 v32, 0x7f800000
	v_cmp_nlt_f32_e32 vcc, s57, v30
	v_cndmask_b32_e32 v87, v32, v31, vcc
	v_add_f32_e32 v32, 1.0, v87
	v_add_f32_e32 v30, -1.0, v32
	v_sub_f32_e32 v31, v30, v32
	v_add_f32_e32 v31, 1.0, v31
	v_sub_f32_e32 v30, v87, v30
	v_add_f32_e32 v34, v30, v31
	v_frexp_mant_f32_e32 v35, v32
	s_mov_b32 s57, 0x3f2aaaab
	v_cvt_f64_f32_e32 v[30:31], v32
	v_frexp_exp_i32_f64_e32 v30, v[30:31]
	v_cmp_gt_f32_e32 vcc, s57, v35
	v_subbrev_co_u32_e32 v96, vcc, 0, v30, vcc
	v_sub_u32_e32 v30, 0, v96
	v_ldexp_f32 v31, v32, v30
	v_add_f32_e32 v32, -1.0, v31
	v_add_f32_e32 v35, 1.0, v31
	v_ldexp_f32 v30, v34, v30
	v_add_f32_e32 v34, 1.0, v32
	v_add_f32_e32 v36, -1.0, v35
	v_sub_f32_e32 v34, v31, v34
	v_sub_f32_e32 v31, v31, v36
	v_add_f32_e32 v34, v30, v34
	v_add_f32_e32 v30, v30, v31
	v_add_f32_e32 v100, v35, v30
	v_rcp_f32_e32 v102, v100
	v_sub_f32_e32 v31, v35, v100
	v_add_f32_e32 v101, v30, v31
	v_add_f32_e32 v31, v32, v34
	v_sub_f32_e32 v30, v32, v31
	v_mul_f32_e32 v103, v31, v102
	v_add_f32_e32 v32, v34, v30
	v_mul_f32_e32 v34, v100, v103
	v_fma_f32 v36, v103, v100, -v34
	v_fmac_f32_e32 v36, v103, v101
	v_add_f32_e32 v30, v34, v36
	v_sub_f32_e32 v35, v31, v30
	v_pk_add_f32 v[98:99], v[30:31], v[34:35] neg_lo:[0,1] neg_hi:[0,1]
	v_mov_b32_e32 v37, v30
	v_pk_add_f32 v[30:31], v[98:99], v[36:37] neg_lo:[0,1] neg_hi:[0,1]
	v_add_f32_e32 v31, v32, v31
	v_add_f32_e32 v30, v30, v31
	;; [unrolled: 1-line block ×3, first 2 shown]
	v_mul_f32_e32 v32, v102, v31
	v_mul_f32_e32 v34, v100, v32
	v_fma_f32 v36, v32, v100, -v34
	v_fmac_f32_e32 v36, v32, v101
	v_sub_f32_e32 v35, v35, v31
	v_add_f32_e32 v100, v30, v35
	v_add_f32_e32 v30, v34, v36
	v_sub_f32_e32 v35, v31, v30
	v_pk_add_f32 v[98:99], v[30:31], v[34:35] neg_lo:[0,1] neg_hi:[0,1]
	v_mov_b32_e32 v37, v30
	v_pk_add_f32 v[30:31], v[98:99], v[36:37] neg_lo:[0,1] neg_hi:[0,1]
	v_add_f32_e32 v31, v100, v31
	v_add_f32_e32 v30, v30, v31
	;; [unrolled: 1-line block ×4, first 2 shown]
	v_sub_f32_e32 v31, v35, v103
	v_mul_f32_e32 v30, v102, v30
	v_sub_f32_e32 v31, v32, v31
	v_add_f32_e32 v30, v31, v30
	v_add_f32_e32 v32, v35, v30
	v_mul_f32_e32 v36, v32, v32
	v_mov_b32_e32 v34, 0x3ecc95a3
	v_fmac_f32_e32 v34, 0x3e9b6dac, v36
	v_mov_b32_e32 v31, 0x3f2aaada
	v_fmac_f32_e32 v31, v36, v34
	v_cvt_f32_i32_e32 v34, v96
	v_sub_f32_e32 v35, v32, v35
	v_sub_f32_e32 v30, v30, v35
	v_ldexp_f32 v96, v30, 1
	v_mul_f32_e32 v35, v32, v36
	v_mov_b32_e32 v30, 0x3f317218
	s_mov_b32 s57, 0x3f317218
	v_pk_mul_f32 v[30:31], v[34:35], v[30:31]
	v_fma_f32 v36, v34, s57, -v30
	v_ldexp_f32 v37, v32, 1
	v_fmac_f32_e32 v36, 0xb102e308, v34
	v_pk_add_f32 v[34:35], v[30:31], v[36:37]
	v_sub_f32_e32 v32, v35, v37
	v_sub_f32_e32 v32, v31, v32
	v_add_f32_e32 v99, v96, v32
	v_mov_b32_e32 v98, v30
	v_pk_add_f32 v[30:31], v[34:35], v[30:31] neg_lo:[0,1] neg_hi:[0,1]
	v_pk_add_f32 v[100:101], v[34:35], v[98:99]
	v_mov_b32_e32 v31, v101
	v_mov_b32_e32 v37, v34
	v_pk_add_f32 v[102:103], v[36:37], v[30:31] neg_lo:[0,1] neg_hi:[0,1]
	v_pk_add_f32 v[30:31], v[36:37], v[30:31]
	v_mov_b32_e32 v32, v31
	v_pk_add_f32 v[36:37], v[32:33], v[34:35] neg_lo:[0,1] neg_hi:[0,1]
	v_mov_b32_e32 v37, v36
	v_pk_add_f32 v[112:113], v[100:101], v[36:37] neg_lo:[0,1] neg_hi:[0,1]
	v_mov_b32_e32 v30, v101
	v_mov_b32_e32 v100, v35
	;; [unrolled: 1-line block ×4, first 2 shown]
	v_pk_add_f32 v[30:31], v[30:31], v[100:101] neg_lo:[0,1] neg_hi:[0,1]
	v_mov_b32_e32 v36, v99
	v_mov_b32_e32 v37, v34
	v_pk_add_f32 v[30:31], v[36:37], v[30:31] neg_lo:[0,1] neg_hi:[0,1]
	v_mov_b32_e32 v112, v102
	v_pk_add_f32 v[34:35], v[112:113], v[30:31]
	v_mov_b32_e32 v36, v35
	v_pk_add_f32 v[36:37], v[34:35], v[36:37]
	v_pk_add_f32 v[98:99], v[32:33], v[36:37]
	v_mov_b32_e32 v35, v98
	v_pk_add_f32 v[100:101], v[34:35], v[102:103] neg_lo:[0,1] neg_hi:[0,1]
	v_mov_b32_e32 v31, v36
	v_sub_f32_e32 v32, v34, v100
	v_pk_add_f32 v[30:31], v[30:31], v[100:101] neg_lo:[0,1] neg_hi:[0,1]
	v_sub_f32_e32 v32, v102, v32
	s_mov_b32 s60, 0x7f800000
	v_add_f32_e32 v30, v30, v32
	s_mov_b32 s57, 0x33800000
	v_add_f32_e32 v30, v30, v31
	v_cmp_eq_f32_e32 vcc, s60, v87
	v_cmp_lt_f32_e64 s[60:61], |v87|, s57
	v_add_f32_e32 v30, v98, v30
	s_or_b64 vcc, vcc, s[60:61]
	v_cndmask_b32_e32 v30, v30, v87, vcc
	v_add_f32_e32 v30, v33, v30
	v_cvt_f16_f32_e32 v31, v30
	v_cvt_f32_f16_e32 v32, v31
	v_mov_b32_e32 v30, v31
.LBB421_97:
	s_or_b64 exec, exec, s[54:55]
	v_cvt_f32_f16_e32 v87, v15
	v_max_f32_e32 v33, v32, v32
	v_cmp_u_f16_e32 vcc, v31, v31
	v_cmp_u_f16_e64 s[54:55], v15, v15
	v_min_f32_e32 v34, v33, v87
	v_max_f32_e32 v33, v33, v87
	v_cndmask_b32_e32 v34, v34, v32, vcc
	v_cndmask_b32_e32 v33, v33, v32, vcc
	v_cndmask_b32_e64 v34, v34, v87, s[54:55]
	v_cndmask_b32_e64 v33, v33, v87, s[54:55]
	v_cmp_neq_f32_e32 vcc, v34, v33
	v_cmp_class_f32_e64 s[56:57], v34, s56
	s_or_b64 vcc, vcc, s[56:57]
	s_and_saveexec_b64 s[56:57], vcc
	s_cbranch_execz .LBB421_99
; %bb.98:
	v_sub_f32_e32 v30, v34, v33
	s_mov_b32 s60, 0x3fb8aa3b
	v_mul_f32_e32 v31, 0x3fb8aa3b, v30
	v_fma_f32 v32, v30, s60, -v31
	v_rndne_f32_e32 v34, v31
	v_fmac_f32_e32 v32, 0x32a5705f, v30
	v_sub_f32_e32 v31, v31, v34
	v_add_f32_e32 v31, v31, v32
	v_exp_f32_e32 v31, v31
	v_cvt_i32_f32_e32 v32, v34
	s_mov_b32 s60, 0xc2ce8ed0
	v_cmp_ngt_f32_e32 vcc, s60, v30
	s_mov_b32 s60, 0x42b17218
	v_ldexp_f32 v31, v31, v32
	v_cndmask_b32_e32 v31, 0, v31, vcc
	v_mov_b32_e32 v32, 0x7f800000
	v_cmp_nlt_f32_e32 vcc, s60, v30
	v_cndmask_b32_e32 v96, v32, v31, vcc
	v_add_f32_e32 v32, 1.0, v96
	v_add_f32_e32 v30, -1.0, v32
	v_sub_f32_e32 v31, v30, v32
	v_add_f32_e32 v31, 1.0, v31
	v_sub_f32_e32 v30, v96, v30
	v_add_f32_e32 v34, v30, v31
	v_frexp_mant_f32_e32 v35, v32
	s_mov_b32 s60, 0x3f2aaaab
	v_cvt_f64_f32_e32 v[30:31], v32
	v_frexp_exp_i32_f64_e32 v30, v[30:31]
	v_cmp_gt_f32_e32 vcc, s60, v35
	v_subbrev_co_u32_e32 v100, vcc, 0, v30, vcc
	v_sub_u32_e32 v30, 0, v100
	v_ldexp_f32 v31, v32, v30
	v_add_f32_e32 v32, -1.0, v31
	v_add_f32_e32 v35, 1.0, v31
	v_ldexp_f32 v30, v34, v30
	v_add_f32_e32 v34, 1.0, v32
	v_add_f32_e32 v36, -1.0, v35
	v_sub_f32_e32 v34, v31, v34
	v_sub_f32_e32 v31, v31, v36
	v_add_f32_e32 v34, v30, v34
	v_add_f32_e32 v30, v30, v31
	;; [unrolled: 1-line block ×3, first 2 shown]
	v_rcp_f32_e32 v103, v101
	v_sub_f32_e32 v31, v35, v101
	v_add_f32_e32 v102, v30, v31
	v_add_f32_e32 v31, v32, v34
	v_sub_f32_e32 v30, v32, v31
	v_mul_f32_e32 v112, v31, v103
	v_add_f32_e32 v32, v34, v30
	v_mul_f32_e32 v34, v101, v112
	v_fma_f32 v36, v112, v101, -v34
	v_fmac_f32_e32 v36, v112, v102
	v_add_f32_e32 v30, v34, v36
	v_sub_f32_e32 v35, v31, v30
	v_pk_add_f32 v[98:99], v[30:31], v[34:35] neg_lo:[0,1] neg_hi:[0,1]
	v_mov_b32_e32 v37, v30
	v_pk_add_f32 v[30:31], v[98:99], v[36:37] neg_lo:[0,1] neg_hi:[0,1]
	v_add_f32_e32 v31, v32, v31
	v_add_f32_e32 v30, v30, v31
	v_add_f32_e32 v31, v35, v30
	v_mul_f32_e32 v32, v103, v31
	v_mul_f32_e32 v34, v101, v32
	v_fma_f32 v36, v32, v101, -v34
	v_fmac_f32_e32 v36, v32, v102
	v_sub_f32_e32 v35, v35, v31
	v_add_f32_e32 v101, v30, v35
	v_add_f32_e32 v30, v34, v36
	v_sub_f32_e32 v35, v31, v30
	v_pk_add_f32 v[98:99], v[30:31], v[34:35] neg_lo:[0,1] neg_hi:[0,1]
	v_mov_b32_e32 v37, v30
	v_pk_add_f32 v[30:31], v[98:99], v[36:37] neg_lo:[0,1] neg_hi:[0,1]
	v_add_f32_e32 v31, v101, v31
	v_add_f32_e32 v30, v30, v31
	;; [unrolled: 1-line block ×4, first 2 shown]
	v_sub_f32_e32 v31, v35, v112
	v_mul_f32_e32 v30, v103, v30
	v_sub_f32_e32 v31, v32, v31
	v_add_f32_e32 v30, v31, v30
	v_add_f32_e32 v32, v35, v30
	v_mul_f32_e32 v36, v32, v32
	v_mov_b32_e32 v34, 0x3ecc95a3
	v_fmac_f32_e32 v34, 0x3e9b6dac, v36
	v_mov_b32_e32 v31, 0x3f2aaada
	v_fmac_f32_e32 v31, v36, v34
	v_cvt_f32_i32_e32 v34, v100
	v_sub_f32_e32 v35, v32, v35
	v_sub_f32_e32 v30, v30, v35
	v_ldexp_f32 v98, v30, 1
	v_mul_f32_e32 v35, v32, v36
	v_mov_b32_e32 v30, 0x3f317218
	s_mov_b32 s60, 0x3f317218
	v_pk_mul_f32 v[30:31], v[34:35], v[30:31]
	v_fma_f32 v36, v34, s60, -v30
	v_ldexp_f32 v37, v32, 1
	v_fmac_f32_e32 v36, 0xb102e308, v34
	v_pk_add_f32 v[34:35], v[30:31], v[36:37]
	v_sub_f32_e32 v32, v35, v37
	v_sub_f32_e32 v32, v31, v32
	v_add_f32_e32 v99, v98, v32
	v_mov_b32_e32 v98, v30
	v_pk_add_f32 v[30:31], v[34:35], v[30:31] neg_lo:[0,1] neg_hi:[0,1]
	v_pk_add_f32 v[100:101], v[34:35], v[98:99]
	v_mov_b32_e32 v31, v101
	v_mov_b32_e32 v37, v34
	v_pk_add_f32 v[102:103], v[36:37], v[30:31] neg_lo:[0,1] neg_hi:[0,1]
	v_pk_add_f32 v[30:31], v[36:37], v[30:31]
	v_mov_b32_e32 v32, v31
	v_pk_add_f32 v[36:37], v[32:33], v[34:35] neg_lo:[0,1] neg_hi:[0,1]
	v_mov_b32_e32 v37, v36
	v_pk_add_f32 v[112:113], v[100:101], v[36:37] neg_lo:[0,1] neg_hi:[0,1]
	v_mov_b32_e32 v30, v101
	v_mov_b32_e32 v100, v35
	v_mov_b32_e32 v101, v36
	v_mov_b32_e32 v103, v31
	v_pk_add_f32 v[30:31], v[30:31], v[100:101] neg_lo:[0,1] neg_hi:[0,1]
	v_mov_b32_e32 v36, v99
	v_mov_b32_e32 v37, v34
	v_pk_add_f32 v[30:31], v[36:37], v[30:31] neg_lo:[0,1] neg_hi:[0,1]
	v_mov_b32_e32 v112, v102
	v_pk_add_f32 v[34:35], v[112:113], v[30:31]
	v_mov_b32_e32 v36, v35
	v_pk_add_f32 v[36:37], v[34:35], v[36:37]
	v_pk_add_f32 v[98:99], v[32:33], v[36:37]
	v_mov_b32_e32 v35, v98
	v_pk_add_f32 v[100:101], v[34:35], v[102:103] neg_lo:[0,1] neg_hi:[0,1]
	v_mov_b32_e32 v31, v36
	v_sub_f32_e32 v32, v34, v100
	v_pk_add_f32 v[30:31], v[30:31], v[100:101] neg_lo:[0,1] neg_hi:[0,1]
	v_sub_f32_e32 v32, v102, v32
	s_mov_b32 s61, 0x7f800000
	v_add_f32_e32 v30, v30, v32
	s_mov_b32 s60, 0x33800000
	v_add_f32_e32 v30, v30, v31
	v_cmp_eq_f32_e32 vcc, s61, v96
	v_cmp_lt_f32_e64 s[60:61], |v96|, s60
	v_add_f32_e32 v30, v98, v30
	s_or_b64 vcc, vcc, s[60:61]
	v_cndmask_b32_e32 v30, v30, v96, vcc
	v_add_f32_e32 v30, v33, v30
	v_cvt_f16_f32_e32 v31, v30
	v_cvt_f32_f16_e32 v32, v31
	v_mov_b32_e32 v30, v31
.LBB421_99:
	s_or_b64 exec, exec, s[56:57]
	v_cvt_f32_f16_sdwa v96, v15 dst_sel:DWORD dst_unused:UNUSED_PAD src0_sel:WORD_1
	v_max_f32_e32 v34, v32, v32
	v_cmp_u_f16_e32 vcc, v31, v31
	v_cmp_u_f16_sdwa s[56:57], v15, v15 src0_sel:WORD_1 src1_sel:WORD_1
	v_min_f32_e32 v33, v34, v96
	v_cndmask_b32_e32 v31, v33, v32, vcc
	v_cndmask_b32_e64 v33, v31, v96, s[56:57]
	v_max_f32_e32 v31, v34, v96
	v_cndmask_b32_e32 v31, v31, v32, vcc
	v_cndmask_b32_e64 v31, v31, v96, s[56:57]
	s_movk_i32 s60, 0x1f8
	v_cmp_neq_f32_e32 vcc, v33, v31
	v_cmp_class_f32_e64 s[60:61], v33, s60
	s_or_b64 vcc, vcc, s[60:61]
	s_and_saveexec_b64 s[60:61], vcc
	s_cbranch_execz .LBB421_101
; %bb.100:
	v_sub_f32_e32 v30, v33, v31
	s_mov_b32 s62, 0x3fb8aa3b
	v_mul_f32_e32 v32, 0x3fb8aa3b, v30
	v_fma_f32 v33, v30, s62, -v32
	v_rndne_f32_e32 v34, v32
	v_fmac_f32_e32 v33, 0x32a5705f, v30
	v_sub_f32_e32 v32, v32, v34
	v_add_f32_e32 v32, v32, v33
	v_exp_f32_e32 v32, v32
	v_cvt_i32_f32_e32 v33, v34
	s_mov_b32 s62, 0xc2ce8ed0
	v_cmp_ngt_f32_e32 vcc, s62, v30
	s_mov_b32 s62, 0x42b17218
	v_ldexp_f32 v32, v32, v33
	v_cndmask_b32_e32 v32, 0, v32, vcc
	v_mov_b32_e32 v33, 0x7f800000
	v_cmp_nlt_f32_e32 vcc, s62, v30
	v_cndmask_b32_e32 v114, v33, v32, vcc
	v_add_f32_e32 v30, 1.0, v114
	v_add_f32_e32 v32, -1.0, v30
	v_sub_f32_e32 v33, v32, v30
	v_add_f32_e32 v33, 1.0, v33
	v_sub_f32_e32 v32, v114, v32
	v_add_f32_e32 v34, v32, v33
	v_frexp_mant_f32_e32 v35, v30
	s_mov_b32 s62, 0x3f2aaaab
	v_cvt_f64_f32_e32 v[32:33], v30
	v_frexp_exp_i32_f64_e32 v32, v[32:33]
	v_cmp_gt_f32_e32 vcc, s62, v35
	v_subbrev_co_u32_e32 v100, vcc, 0, v32, vcc
	v_sub_u32_e32 v32, 0, v100
	v_ldexp_f32 v30, v30, v32
	v_ldexp_f32 v32, v34, v32
	v_add_f32_e32 v34, -1.0, v30
	v_add_f32_e32 v33, 1.0, v34
	v_sub_f32_e32 v33, v30, v33
	v_add_f32_e32 v35, v32, v33
	v_add_f32_e32 v33, 1.0, v30
	v_add_f32_e32 v36, -1.0, v33
	v_sub_f32_e32 v30, v30, v36
	v_add_f32_e32 v30, v32, v30
	v_add_f32_e32 v101, v33, v30
	v_rcp_f32_e32 v102, v101
	v_sub_f32_e32 v32, v33, v101
	v_add_f32_e32 v33, v34, v35
	v_add_f32_e32 v30, v30, v32
	v_mul_f32_e32 v112, v33, v102
	v_sub_f32_e32 v32, v34, v33
	v_mul_f32_e32 v34, v101, v112
	v_fma_f32 v36, v112, v101, -v34
	v_fmac_f32_e32 v36, v112, v30
	v_add_f32_e32 v103, v35, v32
	v_add_f32_e32 v32, v34, v36
	v_sub_f32_e32 v35, v33, v32
	v_pk_add_f32 v[98:99], v[32:33], v[34:35] neg_lo:[0,1] neg_hi:[0,1]
	v_mov_b32_e32 v37, v32
	v_pk_add_f32 v[32:33], v[98:99], v[36:37] neg_lo:[0,1] neg_hi:[0,1]
	v_add_f32_e32 v33, v103, v33
	v_add_f32_e32 v32, v32, v33
	;; [unrolled: 1-line block ×3, first 2 shown]
	v_mul_f32_e32 v103, v102, v33
	v_mul_f32_e32 v34, v101, v103
	v_fma_f32 v36, v103, v101, -v34
	v_fmac_f32_e32 v36, v103, v30
	v_sub_f32_e32 v30, v35, v33
	v_add_f32_e32 v30, v32, v30
	v_add_f32_e32 v32, v34, v36
	v_sub_f32_e32 v35, v33, v32
	v_pk_add_f32 v[98:99], v[32:33], v[34:35] neg_lo:[0,1] neg_hi:[0,1]
	v_mov_b32_e32 v37, v32
	v_pk_add_f32 v[32:33], v[98:99], v[36:37] neg_lo:[0,1] neg_hi:[0,1]
	v_add_f32_e32 v30, v30, v33
	v_add_f32_e32 v30, v32, v30
	;; [unrolled: 1-line block ×4, first 2 shown]
	v_sub_f32_e32 v33, v32, v112
	v_mul_f32_e32 v30, v102, v30
	v_sub_f32_e32 v33, v103, v33
	v_add_f32_e32 v30, v33, v30
	v_add_f32_e32 v35, v32, v30
	v_mul_f32_e32 v36, v35, v35
	v_mov_b32_e32 v34, 0x3ecc95a3
	v_fmac_f32_e32 v34, 0x3e9b6dac, v36
	v_mov_b32_e32 v33, 0x3f2aaada
	v_fmac_f32_e32 v33, v36, v34
	v_cvt_f32_i32_e32 v34, v100
	v_sub_f32_e32 v32, v35, v32
	v_sub_f32_e32 v30, v30, v32
	v_ldexp_f32 v37, v35, 1
	v_mul_f32_e32 v35, v35, v36
	v_mov_b32_e32 v32, 0x3f317218
	s_mov_b32 s62, 0x3f317218
	v_pk_mul_f32 v[32:33], v[34:35], v[32:33]
	v_fma_f32 v36, v34, s62, -v32
	v_fmac_f32_e32 v36, 0xb102e308, v34
	v_pk_add_f32 v[34:35], v[32:33], v[36:37]
	v_sub_f32_e32 v37, v35, v37
	v_ldexp_f32 v30, v30, 1
	v_sub_f32_e32 v37, v33, v37
	v_add_f32_e32 v99, v30, v37
	v_mov_b32_e32 v98, v32
	v_pk_add_f32 v[32:33], v[34:35], v[32:33] neg_lo:[0,1] neg_hi:[0,1]
	v_pk_add_f32 v[100:101], v[34:35], v[98:99]
	v_mov_b32_e32 v33, v101
	v_mov_b32_e32 v37, v34
	v_pk_add_f32 v[102:103], v[36:37], v[32:33] neg_lo:[0,1] neg_hi:[0,1]
	v_pk_add_f32 v[32:33], v[36:37], v[32:33]
	v_mov_b32_e32 v30, v33
	v_pk_add_f32 v[36:37], v[30:31], v[34:35] neg_lo:[0,1] neg_hi:[0,1]
	v_mov_b32_e32 v37, v36
	v_pk_add_f32 v[112:113], v[100:101], v[36:37] neg_lo:[0,1] neg_hi:[0,1]
	v_mov_b32_e32 v32, v101
	v_mov_b32_e32 v100, v35
	;; [unrolled: 1-line block ×4, first 2 shown]
	v_pk_add_f32 v[32:33], v[32:33], v[100:101] neg_lo:[0,1] neg_hi:[0,1]
	v_mov_b32_e32 v36, v99
	v_mov_b32_e32 v37, v34
	v_pk_add_f32 v[32:33], v[36:37], v[32:33] neg_lo:[0,1] neg_hi:[0,1]
	v_mov_b32_e32 v112, v102
	v_pk_add_f32 v[34:35], v[112:113], v[32:33]
	v_mov_b32_e32 v36, v35
	v_pk_add_f32 v[36:37], v[34:35], v[36:37]
	v_pk_add_f32 v[98:99], v[30:31], v[36:37]
	v_mov_b32_e32 v35, v98
	v_pk_add_f32 v[100:101], v[34:35], v[102:103] neg_lo:[0,1] neg_hi:[0,1]
	v_mov_b32_e32 v33, v36
	v_sub_f32_e32 v30, v34, v100
	v_pk_add_f32 v[32:33], v[32:33], v[100:101] neg_lo:[0,1] neg_hi:[0,1]
	v_sub_f32_e32 v30, v102, v30
	s_mov_b32 s63, 0x7f800000
	v_add_f32_e32 v30, v32, v30
	s_mov_b32 s62, 0x33800000
	v_add_f32_e32 v30, v30, v33
	v_cmp_eq_f32_e32 vcc, s63, v114
	v_cmp_lt_f32_e64 s[62:63], |v114|, s62
	v_add_f32_e32 v30, v98, v30
	s_or_b64 vcc, vcc, s[62:63]
	v_cndmask_b32_e32 v30, v30, v114, vcc
	v_add_f32_e32 v30, v31, v30
	v_cvt_f16_f32_e32 v30, v30
.LBB421_101:
	s_or_b64 exec, exec, s[60:61]
	v_mbcnt_lo_u32_b32 v31, -1, 0
	v_mbcnt_hi_u32_b32 v31, -1, v31
	v_and_b32_e32 v32, 15, v31
	v_and_b32_e32 v33, 0xffff, v30
	v_cmp_ne_u32_e32 vcc, 0, v32
	s_nop 0
	v_mov_b32_dpp v34, v33 row_shr:1 row_mask:0xf bank_mask:0xf
	s_and_saveexec_b64 s[62:63], vcc
	s_cbranch_execz .LBB421_105
; %bb.102:
	v_cvt_f32_f16_e32 v35, v34
	v_cvt_f32_f16_e32 v36, v30
	v_cmp_u_f16_e32 vcc, v34, v34
	v_cmp_u_f16_e64 s[60:61], v30, v30
	v_min_f32_e32 v33, v35, v36
	v_max_f32_e32 v30, v35, v36
	v_cndmask_b32_e32 v33, v33, v35, vcc
	v_cndmask_b32_e32 v30, v30, v35, vcc
	v_cndmask_b32_e64 v33, v33, v36, s[60:61]
	v_cndmask_b32_e64 v30, v30, v36, s[60:61]
	s_movk_i32 s60, 0x1f8
	v_cmp_neq_f32_e32 vcc, v33, v30
	v_cmp_class_f32_e64 s[60:61], v33, s60
	s_or_b64 vcc, vcc, s[60:61]
	s_and_saveexec_b64 s[60:61], vcc
	s_cbranch_execz .LBB421_104
; %bb.103:
	v_sub_f32_e32 v33, v33, v30
	s_mov_b32 s64, 0x3fb8aa3b
	v_mul_f32_e32 v34, 0x3fb8aa3b, v33
	v_fma_f32 v35, v33, s64, -v34
	v_rndne_f32_e32 v36, v34
	v_fmac_f32_e32 v35, 0x32a5705f, v33
	v_sub_f32_e32 v34, v34, v36
	v_add_f32_e32 v34, v34, v35
	v_exp_f32_e32 v34, v34
	v_cvt_i32_f32_e32 v35, v36
	s_mov_b32 s64, 0xc2ce8ed0
	v_cmp_ngt_f32_e32 vcc, s64, v33
	s_mov_b32 s64, 0x42b17218
	v_ldexp_f32 v34, v34, v35
	v_cndmask_b32_e32 v34, 0, v34, vcc
	v_mov_b32_e32 v35, 0x7f800000
	v_cmp_nlt_f32_e32 vcc, s64, v33
	v_cndmask_b32_e32 v118, v35, v34, vcc
	v_add_f32_e32 v33, 1.0, v118
	v_add_f32_e32 v34, -1.0, v33
	v_sub_f32_e32 v35, v34, v33
	v_add_f32_e32 v35, 1.0, v35
	v_sub_f32_e32 v34, v118, v34
	v_add_f32_e32 v36, v34, v35
	v_frexp_mant_f32_e32 v37, v33
	s_mov_b32 s64, 0x3f2aaaab
	v_cvt_f64_f32_e32 v[34:35], v33
	v_frexp_exp_i32_f64_e32 v34, v[34:35]
	v_cmp_gt_f32_e32 vcc, s64, v37
	v_subbrev_co_u32_e32 v102, vcc, 0, v34, vcc
	v_sub_u32_e32 v34, 0, v102
	v_ldexp_f32 v33, v33, v34
	v_ldexp_f32 v34, v36, v34
	v_add_f32_e32 v36, -1.0, v33
	v_add_f32_e32 v35, 1.0, v36
	v_sub_f32_e32 v35, v33, v35
	v_add_f32_e32 v37, v34, v35
	v_add_f32_e32 v35, 1.0, v33
	v_add_f32_e32 v98, -1.0, v35
	v_sub_f32_e32 v33, v33, v98
	v_add_f32_e32 v33, v34, v33
	v_add_f32_e32 v103, v35, v33
	v_rcp_f32_e32 v112, v103
	v_sub_f32_e32 v34, v35, v103
	v_add_f32_e32 v35, v36, v37
	v_add_f32_e32 v33, v33, v34
	v_mul_f32_e32 v114, v35, v112
	v_sub_f32_e32 v34, v36, v35
	v_mul_f32_e32 v36, v103, v114
	v_fma_f32 v98, v114, v103, -v36
	v_fmac_f32_e32 v98, v114, v33
	v_add_f32_e32 v113, v37, v34
	v_add_f32_e32 v34, v36, v98
	v_sub_f32_e32 v37, v35, v34
	v_pk_add_f32 v[100:101], v[34:35], v[36:37] neg_lo:[0,1] neg_hi:[0,1]
	v_mov_b32_e32 v99, v34
	v_pk_add_f32 v[34:35], v[100:101], v[98:99] neg_lo:[0,1] neg_hi:[0,1]
	v_add_f32_e32 v35, v113, v35
	v_add_f32_e32 v34, v34, v35
	;; [unrolled: 1-line block ×3, first 2 shown]
	v_mul_f32_e32 v113, v112, v35
	v_mul_f32_e32 v36, v103, v113
	v_fma_f32 v98, v113, v103, -v36
	v_fmac_f32_e32 v98, v113, v33
	v_sub_f32_e32 v33, v37, v35
	v_add_f32_e32 v33, v34, v33
	v_add_f32_e32 v34, v36, v98
	v_sub_f32_e32 v37, v35, v34
	v_pk_add_f32 v[100:101], v[34:35], v[36:37] neg_lo:[0,1] neg_hi:[0,1]
	v_mov_b32_e32 v99, v34
	v_pk_add_f32 v[34:35], v[100:101], v[98:99] neg_lo:[0,1] neg_hi:[0,1]
	v_add_f32_e32 v33, v33, v35
	v_add_f32_e32 v33, v34, v33
	;; [unrolled: 1-line block ×4, first 2 shown]
	v_sub_f32_e32 v35, v34, v114
	v_mul_f32_e32 v33, v112, v33
	v_sub_f32_e32 v35, v113, v35
	v_add_f32_e32 v33, v35, v33
	v_add_f32_e32 v37, v34, v33
	v_mul_f32_e32 v98, v37, v37
	v_mov_b32_e32 v36, 0x3ecc95a3
	v_fmac_f32_e32 v36, 0x3e9b6dac, v98
	v_mov_b32_e32 v35, 0x3f2aaada
	v_fmac_f32_e32 v35, v98, v36
	v_cvt_f32_i32_e32 v36, v102
	v_sub_f32_e32 v34, v37, v34
	v_sub_f32_e32 v33, v33, v34
	v_ldexp_f32 v99, v37, 1
	v_mul_f32_e32 v37, v37, v98
	v_mov_b32_e32 v34, 0x3f317218
	s_mov_b32 s64, 0x3f317218
	v_pk_mul_f32 v[34:35], v[36:37], v[34:35]
	v_fma_f32 v98, v36, s64, -v34
	v_fmac_f32_e32 v98, 0xb102e308, v36
	v_pk_add_f32 v[36:37], v[34:35], v[98:99]
	v_sub_f32_e32 v99, v37, v99
	v_ldexp_f32 v33, v33, 1
	v_sub_f32_e32 v99, v35, v99
	v_add_f32_e32 v101, v33, v99
	v_mov_b32_e32 v100, v34
	v_pk_add_f32 v[34:35], v[36:37], v[34:35] neg_lo:[0,1] neg_hi:[0,1]
	v_pk_add_f32 v[102:103], v[36:37], v[100:101]
	v_mov_b32_e32 v35, v103
	v_mov_b32_e32 v99, v36
	v_pk_add_f32 v[112:113], v[98:99], v[34:35] neg_lo:[0,1] neg_hi:[0,1]
	v_pk_add_f32 v[34:35], v[98:99], v[34:35]
	v_mov_b32_e32 v98, v35
	v_pk_add_f32 v[114:115], v[98:99], v[36:37] neg_lo:[0,1] neg_hi:[0,1]
	v_mov_b32_e32 v33, v114
	v_pk_add_f32 v[116:117], v[102:103], v[32:33] neg_lo:[0,1] neg_hi:[0,1]
	v_mov_b32_e32 v34, v103
	v_mov_b32_e32 v102, v37
	;; [unrolled: 1-line block ×4, first 2 shown]
	v_pk_add_f32 v[34:35], v[34:35], v[102:103] neg_lo:[0,1] neg_hi:[0,1]
	v_mov_b32_e32 v100, v101
	v_mov_b32_e32 v101, v36
	v_pk_add_f32 v[34:35], v[100:101], v[34:35] neg_lo:[0,1] neg_hi:[0,1]
	v_mov_b32_e32 v116, v112
	v_pk_add_f32 v[36:37], v[116:117], v[34:35]
	v_mov_b32_e32 v100, v37
	v_pk_add_f32 v[100:101], v[36:37], v[100:101]
	v_pk_add_f32 v[98:99], v[98:99], v[100:101]
	v_mov_b32_e32 v37, v98
	v_pk_add_f32 v[102:103], v[36:37], v[112:113] neg_lo:[0,1] neg_hi:[0,1]
	v_mov_b32_e32 v35, v100
	v_sub_f32_e32 v33, v36, v102
	v_pk_add_f32 v[34:35], v[34:35], v[102:103] neg_lo:[0,1] neg_hi:[0,1]
	v_sub_f32_e32 v33, v112, v33
	s_mov_b32 s65, 0x7f800000
	v_add_f32_e32 v33, v34, v33
	s_mov_b32 s64, 0x33800000
	v_add_f32_e32 v33, v33, v35
	v_cmp_eq_f32_e32 vcc, s65, v118
	v_cmp_lt_f32_e64 s[64:65], |v118|, s64
	v_add_f32_e32 v33, v98, v33
	s_or_b64 vcc, vcc, s[64:65]
	v_cndmask_b32_e32 v33, v33, v118, vcc
	v_add_f32_e32 v30, v30, v33
	v_cvt_f16_f32_e32 v34, v30
.LBB421_104:
	s_or_b64 exec, exec, s[60:61]
	v_and_b32_e32 v33, 0xffff, v34
	v_mov_b32_e32 v30, v34
.LBB421_105:
	s_or_b64 exec, exec, s[62:63]
	v_mov_b32_dpp v34, v33 row_shr:2 row_mask:0xf bank_mask:0xf
	v_cmp_lt_u32_e32 vcc, 1, v32
	s_and_saveexec_b64 s[62:63], vcc
	s_cbranch_execz .LBB421_109
; %bb.106:
	v_cvt_f32_f16_e32 v35, v34
	v_cvt_f32_f16_e32 v36, v30
	v_cmp_u_f16_e32 vcc, v34, v34
	v_cmp_u_f16_e64 s[60:61], v30, v30
	v_min_f32_e32 v33, v35, v36
	v_max_f32_e32 v30, v35, v36
	v_cndmask_b32_e32 v33, v33, v35, vcc
	v_cndmask_b32_e32 v30, v30, v35, vcc
	v_cndmask_b32_e64 v33, v33, v36, s[60:61]
	v_cndmask_b32_e64 v30, v30, v36, s[60:61]
	s_movk_i32 s60, 0x1f8
	v_cmp_neq_f32_e32 vcc, v33, v30
	v_cmp_class_f32_e64 s[60:61], v33, s60
	s_or_b64 vcc, vcc, s[60:61]
	s_and_saveexec_b64 s[60:61], vcc
	s_cbranch_execz .LBB421_108
; %bb.107:
	v_sub_f32_e32 v33, v33, v30
	s_mov_b32 s64, 0x3fb8aa3b
	v_mul_f32_e32 v34, 0x3fb8aa3b, v33
	v_fma_f32 v35, v33, s64, -v34
	v_rndne_f32_e32 v36, v34
	v_fmac_f32_e32 v35, 0x32a5705f, v33
	v_sub_f32_e32 v34, v34, v36
	v_add_f32_e32 v34, v34, v35
	v_exp_f32_e32 v34, v34
	v_cvt_i32_f32_e32 v35, v36
	s_mov_b32 s64, 0xc2ce8ed0
	v_cmp_ngt_f32_e32 vcc, s64, v33
	s_mov_b32 s64, 0x42b17218
	v_ldexp_f32 v34, v34, v35
	v_cndmask_b32_e32 v34, 0, v34, vcc
	v_mov_b32_e32 v35, 0x7f800000
	v_cmp_nlt_f32_e32 vcc, s64, v33
	v_cndmask_b32_e32 v118, v35, v34, vcc
	v_add_f32_e32 v33, 1.0, v118
	v_add_f32_e32 v34, -1.0, v33
	v_sub_f32_e32 v35, v34, v33
	v_add_f32_e32 v35, 1.0, v35
	v_sub_f32_e32 v34, v118, v34
	v_add_f32_e32 v36, v34, v35
	v_frexp_mant_f32_e32 v37, v33
	s_mov_b32 s64, 0x3f2aaaab
	v_cvt_f64_f32_e32 v[34:35], v33
	v_frexp_exp_i32_f64_e32 v34, v[34:35]
	v_cmp_gt_f32_e32 vcc, s64, v37
	v_subbrev_co_u32_e32 v102, vcc, 0, v34, vcc
	v_sub_u32_e32 v34, 0, v102
	v_ldexp_f32 v33, v33, v34
	v_ldexp_f32 v34, v36, v34
	v_add_f32_e32 v36, -1.0, v33
	v_add_f32_e32 v35, 1.0, v36
	v_sub_f32_e32 v35, v33, v35
	v_add_f32_e32 v37, v34, v35
	v_add_f32_e32 v35, 1.0, v33
	v_add_f32_e32 v98, -1.0, v35
	v_sub_f32_e32 v33, v33, v98
	v_add_f32_e32 v33, v34, v33
	v_add_f32_e32 v103, v35, v33
	v_rcp_f32_e32 v112, v103
	v_sub_f32_e32 v34, v35, v103
	v_add_f32_e32 v35, v36, v37
	v_add_f32_e32 v33, v33, v34
	v_mul_f32_e32 v114, v35, v112
	v_sub_f32_e32 v34, v36, v35
	v_mul_f32_e32 v36, v103, v114
	v_fma_f32 v98, v114, v103, -v36
	v_fmac_f32_e32 v98, v114, v33
	v_add_f32_e32 v113, v37, v34
	v_add_f32_e32 v34, v36, v98
	v_sub_f32_e32 v37, v35, v34
	v_pk_add_f32 v[100:101], v[34:35], v[36:37] neg_lo:[0,1] neg_hi:[0,1]
	v_mov_b32_e32 v99, v34
	v_pk_add_f32 v[34:35], v[100:101], v[98:99] neg_lo:[0,1] neg_hi:[0,1]
	v_add_f32_e32 v35, v113, v35
	v_add_f32_e32 v34, v34, v35
	;; [unrolled: 1-line block ×3, first 2 shown]
	v_mul_f32_e32 v113, v112, v35
	v_mul_f32_e32 v36, v103, v113
	v_fma_f32 v98, v113, v103, -v36
	v_fmac_f32_e32 v98, v113, v33
	v_sub_f32_e32 v33, v37, v35
	v_add_f32_e32 v33, v34, v33
	v_add_f32_e32 v34, v36, v98
	v_sub_f32_e32 v37, v35, v34
	v_pk_add_f32 v[100:101], v[34:35], v[36:37] neg_lo:[0,1] neg_hi:[0,1]
	v_mov_b32_e32 v99, v34
	v_pk_add_f32 v[34:35], v[100:101], v[98:99] neg_lo:[0,1] neg_hi:[0,1]
	v_add_f32_e32 v33, v33, v35
	v_add_f32_e32 v33, v34, v33
	;; [unrolled: 1-line block ×4, first 2 shown]
	v_sub_f32_e32 v35, v34, v114
	v_mul_f32_e32 v33, v112, v33
	v_sub_f32_e32 v35, v113, v35
	v_add_f32_e32 v33, v35, v33
	v_add_f32_e32 v37, v34, v33
	v_mul_f32_e32 v98, v37, v37
	v_mov_b32_e32 v36, 0x3ecc95a3
	v_fmac_f32_e32 v36, 0x3e9b6dac, v98
	v_mov_b32_e32 v35, 0x3f2aaada
	v_fmac_f32_e32 v35, v98, v36
	v_cvt_f32_i32_e32 v36, v102
	v_sub_f32_e32 v34, v37, v34
	v_sub_f32_e32 v33, v33, v34
	v_ldexp_f32 v99, v37, 1
	v_mul_f32_e32 v37, v37, v98
	v_mov_b32_e32 v34, 0x3f317218
	s_mov_b32 s64, 0x3f317218
	v_pk_mul_f32 v[34:35], v[36:37], v[34:35]
	v_fma_f32 v98, v36, s64, -v34
	v_fmac_f32_e32 v98, 0xb102e308, v36
	v_pk_add_f32 v[36:37], v[34:35], v[98:99]
	v_sub_f32_e32 v99, v37, v99
	v_ldexp_f32 v33, v33, 1
	v_sub_f32_e32 v99, v35, v99
	v_add_f32_e32 v101, v33, v99
	v_mov_b32_e32 v100, v34
	v_pk_add_f32 v[34:35], v[36:37], v[34:35] neg_lo:[0,1] neg_hi:[0,1]
	v_pk_add_f32 v[102:103], v[36:37], v[100:101]
	v_mov_b32_e32 v35, v103
	v_mov_b32_e32 v99, v36
	v_pk_add_f32 v[112:113], v[98:99], v[34:35] neg_lo:[0,1] neg_hi:[0,1]
	v_pk_add_f32 v[34:35], v[98:99], v[34:35]
	v_mov_b32_e32 v98, v35
	v_pk_add_f32 v[114:115], v[98:99], v[36:37] neg_lo:[0,1] neg_hi:[0,1]
	v_mov_b32_e32 v33, v114
	v_pk_add_f32 v[116:117], v[102:103], v[32:33] neg_lo:[0,1] neg_hi:[0,1]
	v_mov_b32_e32 v34, v103
	v_mov_b32_e32 v102, v37
	;; [unrolled: 1-line block ×4, first 2 shown]
	v_pk_add_f32 v[34:35], v[34:35], v[102:103] neg_lo:[0,1] neg_hi:[0,1]
	v_mov_b32_e32 v100, v101
	v_mov_b32_e32 v101, v36
	v_pk_add_f32 v[34:35], v[100:101], v[34:35] neg_lo:[0,1] neg_hi:[0,1]
	v_mov_b32_e32 v116, v112
	v_pk_add_f32 v[36:37], v[116:117], v[34:35]
	v_mov_b32_e32 v100, v37
	v_pk_add_f32 v[100:101], v[36:37], v[100:101]
	v_pk_add_f32 v[98:99], v[98:99], v[100:101]
	v_mov_b32_e32 v37, v98
	v_pk_add_f32 v[102:103], v[36:37], v[112:113] neg_lo:[0,1] neg_hi:[0,1]
	v_mov_b32_e32 v35, v100
	v_sub_f32_e32 v33, v36, v102
	v_pk_add_f32 v[34:35], v[34:35], v[102:103] neg_lo:[0,1] neg_hi:[0,1]
	v_sub_f32_e32 v33, v112, v33
	s_mov_b32 s65, 0x7f800000
	v_add_f32_e32 v33, v34, v33
	s_mov_b32 s64, 0x33800000
	v_add_f32_e32 v33, v33, v35
	v_cmp_eq_f32_e32 vcc, s65, v118
	v_cmp_lt_f32_e64 s[64:65], |v118|, s64
	v_add_f32_e32 v33, v98, v33
	s_or_b64 vcc, vcc, s[64:65]
	v_cndmask_b32_e32 v33, v33, v118, vcc
	v_add_f32_e32 v30, v30, v33
	v_cvt_f16_f32_e32 v34, v30
.LBB421_108:
	s_or_b64 exec, exec, s[60:61]
	v_and_b32_e32 v33, 0xffff, v34
	v_mov_b32_e32 v30, v34
.LBB421_109:
	s_or_b64 exec, exec, s[62:63]
	v_mov_b32_dpp v34, v33 row_shr:4 row_mask:0xf bank_mask:0xf
	v_cmp_lt_u32_e32 vcc, 3, v32
	s_and_saveexec_b64 s[62:63], vcc
	s_cbranch_execz .LBB421_113
; %bb.110:
	v_cvt_f32_f16_e32 v35, v34
	v_cvt_f32_f16_e32 v36, v30
	v_cmp_u_f16_e32 vcc, v34, v34
	v_cmp_u_f16_e64 s[60:61], v30, v30
	v_min_f32_e32 v33, v35, v36
	v_max_f32_e32 v30, v35, v36
	v_cndmask_b32_e32 v33, v33, v35, vcc
	v_cndmask_b32_e32 v30, v30, v35, vcc
	v_cndmask_b32_e64 v33, v33, v36, s[60:61]
	v_cndmask_b32_e64 v30, v30, v36, s[60:61]
	s_movk_i32 s60, 0x1f8
	v_cmp_neq_f32_e32 vcc, v33, v30
	v_cmp_class_f32_e64 s[60:61], v33, s60
	s_or_b64 vcc, vcc, s[60:61]
	s_and_saveexec_b64 s[60:61], vcc
	s_cbranch_execz .LBB421_112
; %bb.111:
	v_sub_f32_e32 v33, v33, v30
	s_mov_b32 s64, 0x3fb8aa3b
	v_mul_f32_e32 v34, 0x3fb8aa3b, v33
	v_fma_f32 v35, v33, s64, -v34
	v_rndne_f32_e32 v36, v34
	v_fmac_f32_e32 v35, 0x32a5705f, v33
	v_sub_f32_e32 v34, v34, v36
	v_add_f32_e32 v34, v34, v35
	v_exp_f32_e32 v34, v34
	v_cvt_i32_f32_e32 v35, v36
	s_mov_b32 s64, 0xc2ce8ed0
	v_cmp_ngt_f32_e32 vcc, s64, v33
	s_mov_b32 s64, 0x42b17218
	v_ldexp_f32 v34, v34, v35
	v_cndmask_b32_e32 v34, 0, v34, vcc
	v_mov_b32_e32 v35, 0x7f800000
	v_cmp_nlt_f32_e32 vcc, s64, v33
	v_cndmask_b32_e32 v118, v35, v34, vcc
	v_add_f32_e32 v33, 1.0, v118
	v_add_f32_e32 v34, -1.0, v33
	v_sub_f32_e32 v35, v34, v33
	v_add_f32_e32 v35, 1.0, v35
	v_sub_f32_e32 v34, v118, v34
	v_add_f32_e32 v36, v34, v35
	v_frexp_mant_f32_e32 v37, v33
	s_mov_b32 s64, 0x3f2aaaab
	v_cvt_f64_f32_e32 v[34:35], v33
	v_frexp_exp_i32_f64_e32 v34, v[34:35]
	v_cmp_gt_f32_e32 vcc, s64, v37
	v_subbrev_co_u32_e32 v102, vcc, 0, v34, vcc
	v_sub_u32_e32 v34, 0, v102
	v_ldexp_f32 v33, v33, v34
	v_ldexp_f32 v34, v36, v34
	v_add_f32_e32 v36, -1.0, v33
	v_add_f32_e32 v35, 1.0, v36
	v_sub_f32_e32 v35, v33, v35
	v_add_f32_e32 v37, v34, v35
	v_add_f32_e32 v35, 1.0, v33
	v_add_f32_e32 v98, -1.0, v35
	v_sub_f32_e32 v33, v33, v98
	v_add_f32_e32 v33, v34, v33
	v_add_f32_e32 v103, v35, v33
	v_rcp_f32_e32 v112, v103
	v_sub_f32_e32 v34, v35, v103
	v_add_f32_e32 v35, v36, v37
	v_add_f32_e32 v33, v33, v34
	v_mul_f32_e32 v114, v35, v112
	v_sub_f32_e32 v34, v36, v35
	v_mul_f32_e32 v36, v103, v114
	v_fma_f32 v98, v114, v103, -v36
	v_fmac_f32_e32 v98, v114, v33
	v_add_f32_e32 v113, v37, v34
	v_add_f32_e32 v34, v36, v98
	v_sub_f32_e32 v37, v35, v34
	v_pk_add_f32 v[100:101], v[34:35], v[36:37] neg_lo:[0,1] neg_hi:[0,1]
	v_mov_b32_e32 v99, v34
	v_pk_add_f32 v[34:35], v[100:101], v[98:99] neg_lo:[0,1] neg_hi:[0,1]
	v_add_f32_e32 v35, v113, v35
	v_add_f32_e32 v34, v34, v35
	;; [unrolled: 1-line block ×3, first 2 shown]
	v_mul_f32_e32 v113, v112, v35
	v_mul_f32_e32 v36, v103, v113
	v_fma_f32 v98, v113, v103, -v36
	v_fmac_f32_e32 v98, v113, v33
	v_sub_f32_e32 v33, v37, v35
	v_add_f32_e32 v33, v34, v33
	v_add_f32_e32 v34, v36, v98
	v_sub_f32_e32 v37, v35, v34
	v_pk_add_f32 v[100:101], v[34:35], v[36:37] neg_lo:[0,1] neg_hi:[0,1]
	v_mov_b32_e32 v99, v34
	v_pk_add_f32 v[34:35], v[100:101], v[98:99] neg_lo:[0,1] neg_hi:[0,1]
	v_add_f32_e32 v33, v33, v35
	v_add_f32_e32 v33, v34, v33
	;; [unrolled: 1-line block ×4, first 2 shown]
	v_sub_f32_e32 v35, v34, v114
	v_mul_f32_e32 v33, v112, v33
	v_sub_f32_e32 v35, v113, v35
	v_add_f32_e32 v33, v35, v33
	v_add_f32_e32 v37, v34, v33
	v_mul_f32_e32 v98, v37, v37
	v_mov_b32_e32 v36, 0x3ecc95a3
	v_fmac_f32_e32 v36, 0x3e9b6dac, v98
	v_mov_b32_e32 v35, 0x3f2aaada
	v_fmac_f32_e32 v35, v98, v36
	v_cvt_f32_i32_e32 v36, v102
	v_sub_f32_e32 v34, v37, v34
	v_sub_f32_e32 v33, v33, v34
	v_ldexp_f32 v99, v37, 1
	v_mul_f32_e32 v37, v37, v98
	v_mov_b32_e32 v34, 0x3f317218
	s_mov_b32 s64, 0x3f317218
	v_pk_mul_f32 v[34:35], v[36:37], v[34:35]
	v_fma_f32 v98, v36, s64, -v34
	v_fmac_f32_e32 v98, 0xb102e308, v36
	v_pk_add_f32 v[36:37], v[34:35], v[98:99]
	v_sub_f32_e32 v99, v37, v99
	v_ldexp_f32 v33, v33, 1
	v_sub_f32_e32 v99, v35, v99
	v_add_f32_e32 v101, v33, v99
	v_mov_b32_e32 v100, v34
	v_pk_add_f32 v[34:35], v[36:37], v[34:35] neg_lo:[0,1] neg_hi:[0,1]
	v_pk_add_f32 v[102:103], v[36:37], v[100:101]
	v_mov_b32_e32 v35, v103
	v_mov_b32_e32 v99, v36
	v_pk_add_f32 v[112:113], v[98:99], v[34:35] neg_lo:[0,1] neg_hi:[0,1]
	v_pk_add_f32 v[34:35], v[98:99], v[34:35]
	v_mov_b32_e32 v98, v35
	v_pk_add_f32 v[114:115], v[98:99], v[36:37] neg_lo:[0,1] neg_hi:[0,1]
	v_mov_b32_e32 v33, v114
	v_pk_add_f32 v[116:117], v[102:103], v[32:33] neg_lo:[0,1] neg_hi:[0,1]
	v_mov_b32_e32 v34, v103
	v_mov_b32_e32 v102, v37
	;; [unrolled: 1-line block ×4, first 2 shown]
	v_pk_add_f32 v[34:35], v[34:35], v[102:103] neg_lo:[0,1] neg_hi:[0,1]
	v_mov_b32_e32 v100, v101
	v_mov_b32_e32 v101, v36
	v_pk_add_f32 v[34:35], v[100:101], v[34:35] neg_lo:[0,1] neg_hi:[0,1]
	v_mov_b32_e32 v116, v112
	v_pk_add_f32 v[36:37], v[116:117], v[34:35]
	v_mov_b32_e32 v100, v37
	v_pk_add_f32 v[100:101], v[36:37], v[100:101]
	v_pk_add_f32 v[98:99], v[98:99], v[100:101]
	v_mov_b32_e32 v37, v98
	v_pk_add_f32 v[102:103], v[36:37], v[112:113] neg_lo:[0,1] neg_hi:[0,1]
	v_mov_b32_e32 v35, v100
	v_sub_f32_e32 v33, v36, v102
	v_pk_add_f32 v[34:35], v[34:35], v[102:103] neg_lo:[0,1] neg_hi:[0,1]
	v_sub_f32_e32 v33, v112, v33
	s_mov_b32 s65, 0x7f800000
	v_add_f32_e32 v33, v34, v33
	s_mov_b32 s64, 0x33800000
	v_add_f32_e32 v33, v33, v35
	v_cmp_eq_f32_e32 vcc, s65, v118
	v_cmp_lt_f32_e64 s[64:65], |v118|, s64
	v_add_f32_e32 v33, v98, v33
	s_or_b64 vcc, vcc, s[64:65]
	v_cndmask_b32_e32 v33, v33, v118, vcc
	v_add_f32_e32 v30, v30, v33
	v_cvt_f16_f32_e32 v34, v30
.LBB421_112:
	s_or_b64 exec, exec, s[60:61]
	v_and_b32_e32 v33, 0xffff, v34
	v_mov_b32_e32 v30, v34
.LBB421_113:
	s_or_b64 exec, exec, s[62:63]
	v_mov_b32_dpp v34, v33 row_shr:8 row_mask:0xf bank_mask:0xf
	v_cmp_lt_u32_e32 vcc, 7, v32
	s_and_saveexec_b64 s[62:63], vcc
	s_cbranch_execz .LBB421_117
; %bb.114:
	v_cvt_f32_f16_e32 v33, v34
	v_cvt_f32_f16_e32 v35, v30
	v_cmp_u_f16_e32 vcc, v34, v34
	v_cmp_u_f16_e64 s[60:61], v30, v30
	v_min_f32_e32 v32, v33, v35
	v_max_f32_e32 v30, v33, v35
	v_cndmask_b32_e32 v32, v32, v33, vcc
	v_cndmask_b32_e32 v30, v30, v33, vcc
	v_cndmask_b32_e64 v32, v32, v35, s[60:61]
	v_cndmask_b32_e64 v30, v30, v35, s[60:61]
	s_movk_i32 s60, 0x1f8
	v_cmp_neq_f32_e32 vcc, v32, v30
	v_cmp_class_f32_e64 s[60:61], v32, s60
	s_or_b64 vcc, vcc, s[60:61]
	s_and_saveexec_b64 s[60:61], vcc
	s_cbranch_execz .LBB421_116
; %bb.115:
	v_sub_f32_e32 v32, v32, v30
	s_mov_b32 s64, 0x3fb8aa3b
	v_mul_f32_e32 v33, 0x3fb8aa3b, v32
	v_fma_f32 v34, v32, s64, -v33
	v_rndne_f32_e32 v35, v33
	v_fmac_f32_e32 v34, 0x32a5705f, v32
	v_sub_f32_e32 v33, v33, v35
	v_add_f32_e32 v33, v33, v34
	v_exp_f32_e32 v33, v33
	v_cvt_i32_f32_e32 v34, v35
	s_mov_b32 s64, 0xc2ce8ed0
	v_cmp_ngt_f32_e32 vcc, s64, v32
	s_mov_b32 s64, 0x42b17218
	v_ldexp_f32 v33, v33, v34
	v_cndmask_b32_e32 v33, 0, v33, vcc
	v_mov_b32_e32 v34, 0x7f800000
	v_cmp_nlt_f32_e32 vcc, s64, v32
	v_cndmask_b32_e32 v116, v34, v33, vcc
	v_add_f32_e32 v34, 1.0, v116
	v_add_f32_e32 v32, -1.0, v34
	v_sub_f32_e32 v33, v32, v34
	v_add_f32_e32 v33, 1.0, v33
	v_sub_f32_e32 v32, v116, v32
	v_add_f32_e32 v35, v32, v33
	v_frexp_mant_f32_e32 v36, v34
	s_mov_b32 s64, 0x3f2aaaab
	v_cvt_f64_f32_e32 v[32:33], v34
	v_frexp_exp_i32_f64_e32 v32, v[32:33]
	v_cmp_gt_f32_e32 vcc, s64, v36
	v_subbrev_co_u32_e32 v100, vcc, 0, v32, vcc
	v_sub_u32_e32 v32, 0, v100
	v_ldexp_f32 v33, v34, v32
	v_add_f32_e32 v34, -1.0, v33
	v_add_f32_e32 v36, 1.0, v33
	v_ldexp_f32 v32, v35, v32
	v_add_f32_e32 v35, 1.0, v34
	v_add_f32_e32 v37, -1.0, v36
	v_sub_f32_e32 v35, v33, v35
	v_sub_f32_e32 v33, v33, v37
	v_add_f32_e32 v35, v32, v35
	v_add_f32_e32 v32, v32, v33
	;; [unrolled: 1-line block ×3, first 2 shown]
	v_rcp_f32_e32 v103, v101
	v_sub_f32_e32 v33, v36, v101
	v_add_f32_e32 v102, v32, v33
	v_add_f32_e32 v33, v34, v35
	v_mul_f32_e32 v113, v33, v103
	v_sub_f32_e32 v32, v34, v33
	v_mul_f32_e32 v34, v101, v113
	v_fma_f32 v36, v113, v101, -v34
	v_fmac_f32_e32 v36, v113, v102
	v_add_f32_e32 v112, v35, v32
	v_add_f32_e32 v32, v34, v36
	v_sub_f32_e32 v35, v33, v32
	v_pk_add_f32 v[98:99], v[32:33], v[34:35] neg_lo:[0,1] neg_hi:[0,1]
	v_mov_b32_e32 v37, v32
	v_pk_add_f32 v[32:33], v[98:99], v[36:37] neg_lo:[0,1] neg_hi:[0,1]
	v_add_f32_e32 v33, v112, v33
	v_add_f32_e32 v32, v32, v33
	;; [unrolled: 1-line block ×3, first 2 shown]
	v_mul_f32_e32 v112, v103, v33
	v_mul_f32_e32 v34, v101, v112
	v_fma_f32 v36, v112, v101, -v34
	v_fmac_f32_e32 v36, v112, v102
	v_sub_f32_e32 v35, v35, v33
	v_add_f32_e32 v101, v32, v35
	v_add_f32_e32 v32, v34, v36
	v_sub_f32_e32 v35, v33, v32
	v_pk_add_f32 v[98:99], v[32:33], v[34:35] neg_lo:[0,1] neg_hi:[0,1]
	v_mov_b32_e32 v37, v32
	v_pk_add_f32 v[32:33], v[98:99], v[36:37] neg_lo:[0,1] neg_hi:[0,1]
	v_add_f32_e32 v33, v101, v33
	v_add_f32_e32 v32, v32, v33
	;; [unrolled: 1-line block ×4, first 2 shown]
	v_sub_f32_e32 v33, v35, v113
	v_mul_f32_e32 v32, v103, v32
	v_sub_f32_e32 v33, v112, v33
	v_add_f32_e32 v32, v33, v32
	v_add_f32_e32 v36, v35, v32
	v_mul_f32_e32 v98, v36, v36
	v_mov_b32_e32 v34, 0x3ecc95a3
	v_fmac_f32_e32 v34, 0x3e9b6dac, v98
	v_mov_b32_e32 v33, 0x3f2aaada
	v_fmac_f32_e32 v33, v98, v34
	v_cvt_f32_i32_e32 v34, v100
	v_sub_f32_e32 v35, v36, v35
	v_sub_f32_e32 v32, v32, v35
	v_ldexp_f32 v99, v32, 1
	v_mul_f32_e32 v35, v36, v98
	v_mov_b32_e32 v32, 0x3f317218
	s_mov_b32 s64, 0x3f317218
	v_pk_mul_f32 v[32:33], v[34:35], v[32:33]
	v_ldexp_f32 v37, v36, 1
	v_fma_f32 v36, v34, s64, -v32
	v_fmac_f32_e32 v36, 0xb102e308, v34
	v_pk_add_f32 v[34:35], v[32:33], v[36:37]
	v_sub_f32_e32 v37, v35, v37
	v_sub_f32_e32 v37, v33, v37
	v_add_f32_e32 v99, v99, v37
	v_mov_b32_e32 v98, v32
	v_pk_add_f32 v[32:33], v[34:35], v[32:33] neg_lo:[0,1] neg_hi:[0,1]
	v_pk_add_f32 v[100:101], v[34:35], v[98:99]
	v_mov_b32_e32 v33, v101
	v_mov_b32_e32 v37, v34
	v_pk_add_f32 v[102:103], v[36:37], v[32:33] neg_lo:[0,1] neg_hi:[0,1]
	v_pk_add_f32 v[32:33], v[36:37], v[32:33]
	v_mov_b32_e32 v36, v33
	v_pk_add_f32 v[112:113], v[36:37], v[34:35] neg_lo:[0,1] neg_hi:[0,1]
	v_mov_b32_e32 v37, v112
	v_pk_add_f32 v[114:115], v[100:101], v[36:37] neg_lo:[0,1] neg_hi:[0,1]
	v_mov_b32_e32 v32, v101
	v_mov_b32_e32 v100, v35
	;; [unrolled: 1-line block ×4, first 2 shown]
	v_pk_add_f32 v[32:33], v[32:33], v[100:101] neg_lo:[0,1] neg_hi:[0,1]
	v_mov_b32_e32 v98, v99
	v_mov_b32_e32 v99, v34
	v_pk_add_f32 v[32:33], v[98:99], v[32:33] neg_lo:[0,1] neg_hi:[0,1]
	v_mov_b32_e32 v114, v102
	v_pk_add_f32 v[34:35], v[114:115], v[32:33]
	v_mov_b32_e32 v98, v35
	v_pk_add_f32 v[98:99], v[34:35], v[98:99]
	v_pk_add_f32 v[36:37], v[36:37], v[98:99]
	v_mov_b32_e32 v35, v36
	v_pk_add_f32 v[100:101], v[34:35], v[102:103] neg_lo:[0,1] neg_hi:[0,1]
	v_mov_b32_e32 v33, v98
	v_sub_f32_e32 v34, v34, v100
	v_pk_add_f32 v[32:33], v[32:33], v[100:101] neg_lo:[0,1] neg_hi:[0,1]
	v_sub_f32_e32 v34, v102, v34
	s_mov_b32 s65, 0x7f800000
	v_add_f32_e32 v32, v32, v34
	s_mov_b32 s64, 0x33800000
	v_add_f32_e32 v32, v32, v33
	v_cmp_eq_f32_e32 vcc, s65, v116
	v_cmp_lt_f32_e64 s[64:65], |v116|, s64
	v_add_f32_e32 v32, v36, v32
	s_or_b64 vcc, vcc, s[64:65]
	v_cndmask_b32_e32 v32, v32, v116, vcc
	v_add_f32_e32 v30, v30, v32
	v_cvt_f16_f32_e32 v34, v30
.LBB421_116:
	s_or_b64 exec, exec, s[60:61]
	v_and_b32_e32 v33, 0xffff, v34
	v_mov_b32_e32 v30, v34
.LBB421_117:
	s_or_b64 exec, exec, s[62:63]
	v_and_b32_e32 v34, 16, v31
	v_mov_b32_dpp v32, v33 row_bcast:15 row_mask:0xf bank_mask:0xf
	v_cmp_ne_u32_e32 vcc, 0, v34
	s_and_saveexec_b64 s[62:63], vcc
	s_cbranch_execz .LBB421_121
; %bb.118:
	v_cvt_f32_f16_e32 v34, v32
	v_cvt_f32_f16_e32 v35, v30
	v_cmp_u_f16_e32 vcc, v32, v32
	v_cmp_u_f16_e64 s[60:61], v30, v30
	v_min_f32_e32 v33, v34, v35
	v_max_f32_e32 v30, v34, v35
	v_cndmask_b32_e32 v33, v33, v34, vcc
	v_cndmask_b32_e32 v30, v30, v34, vcc
	v_cndmask_b32_e64 v33, v33, v35, s[60:61]
	v_cndmask_b32_e64 v30, v30, v35, s[60:61]
	s_movk_i32 s60, 0x1f8
	v_cmp_neq_f32_e32 vcc, v33, v30
	v_cmp_class_f32_e64 s[60:61], v33, s60
	s_or_b64 vcc, vcc, s[60:61]
	s_and_saveexec_b64 s[60:61], vcc
	s_cbranch_execz .LBB421_120
; %bb.119:
	v_sub_f32_e32 v32, v33, v30
	s_mov_b32 s64, 0x3fb8aa3b
	v_mul_f32_e32 v33, 0x3fb8aa3b, v32
	v_fma_f32 v34, v32, s64, -v33
	v_rndne_f32_e32 v35, v33
	v_fmac_f32_e32 v34, 0x32a5705f, v32
	v_sub_f32_e32 v33, v33, v35
	v_add_f32_e32 v33, v33, v34
	v_exp_f32_e32 v33, v33
	v_cvt_i32_f32_e32 v34, v35
	s_mov_b32 s64, 0xc2ce8ed0
	v_cmp_ngt_f32_e32 vcc, s64, v32
	s_mov_b32 s64, 0x42b17218
	v_ldexp_f32 v33, v33, v34
	v_cndmask_b32_e32 v33, 0, v33, vcc
	v_mov_b32_e32 v34, 0x7f800000
	v_cmp_nlt_f32_e32 vcc, s64, v32
	v_cndmask_b32_e32 v116, v34, v33, vcc
	v_add_f32_e32 v34, 1.0, v116
	v_add_f32_e32 v32, -1.0, v34
	v_sub_f32_e32 v33, v32, v34
	v_add_f32_e32 v33, 1.0, v33
	v_sub_f32_e32 v32, v116, v32
	v_add_f32_e32 v35, v32, v33
	v_frexp_mant_f32_e32 v36, v34
	s_mov_b32 s64, 0x3f2aaaab
	v_cvt_f64_f32_e32 v[32:33], v34
	v_frexp_exp_i32_f64_e32 v32, v[32:33]
	v_cmp_gt_f32_e32 vcc, s64, v36
	v_subbrev_co_u32_e32 v100, vcc, 0, v32, vcc
	v_sub_u32_e32 v32, 0, v100
	v_ldexp_f32 v33, v34, v32
	v_add_f32_e32 v34, -1.0, v33
	v_add_f32_e32 v36, 1.0, v33
	v_ldexp_f32 v32, v35, v32
	v_add_f32_e32 v35, 1.0, v34
	v_add_f32_e32 v37, -1.0, v36
	v_sub_f32_e32 v35, v33, v35
	v_sub_f32_e32 v33, v33, v37
	v_add_f32_e32 v35, v32, v35
	v_add_f32_e32 v32, v32, v33
	;; [unrolled: 1-line block ×3, first 2 shown]
	v_rcp_f32_e32 v103, v101
	v_sub_f32_e32 v33, v36, v101
	v_add_f32_e32 v102, v32, v33
	v_add_f32_e32 v33, v34, v35
	v_mul_f32_e32 v113, v33, v103
	v_sub_f32_e32 v32, v34, v33
	v_mul_f32_e32 v34, v101, v113
	v_fma_f32 v36, v113, v101, -v34
	v_fmac_f32_e32 v36, v113, v102
	v_add_f32_e32 v112, v35, v32
	v_add_f32_e32 v32, v34, v36
	v_sub_f32_e32 v35, v33, v32
	v_pk_add_f32 v[98:99], v[32:33], v[34:35] neg_lo:[0,1] neg_hi:[0,1]
	v_mov_b32_e32 v37, v32
	v_pk_add_f32 v[32:33], v[98:99], v[36:37] neg_lo:[0,1] neg_hi:[0,1]
	v_add_f32_e32 v33, v112, v33
	v_add_f32_e32 v32, v32, v33
	;; [unrolled: 1-line block ×3, first 2 shown]
	v_mul_f32_e32 v112, v103, v33
	v_mul_f32_e32 v34, v101, v112
	v_fma_f32 v36, v112, v101, -v34
	v_fmac_f32_e32 v36, v112, v102
	v_sub_f32_e32 v35, v35, v33
	v_add_f32_e32 v101, v32, v35
	v_add_f32_e32 v32, v34, v36
	v_sub_f32_e32 v35, v33, v32
	v_pk_add_f32 v[98:99], v[32:33], v[34:35] neg_lo:[0,1] neg_hi:[0,1]
	v_mov_b32_e32 v37, v32
	v_pk_add_f32 v[32:33], v[98:99], v[36:37] neg_lo:[0,1] neg_hi:[0,1]
	v_add_f32_e32 v33, v101, v33
	v_add_f32_e32 v32, v32, v33
	v_add_f32_e32 v32, v35, v32
	v_add_f32_e32 v35, v113, v112
	v_sub_f32_e32 v33, v35, v113
	v_mul_f32_e32 v32, v103, v32
	v_sub_f32_e32 v33, v112, v33
	v_add_f32_e32 v32, v33, v32
	v_add_f32_e32 v36, v35, v32
	v_mul_f32_e32 v98, v36, v36
	v_mov_b32_e32 v34, 0x3ecc95a3
	v_fmac_f32_e32 v34, 0x3e9b6dac, v98
	v_mov_b32_e32 v33, 0x3f2aaada
	v_fmac_f32_e32 v33, v98, v34
	v_cvt_f32_i32_e32 v34, v100
	v_sub_f32_e32 v35, v36, v35
	v_sub_f32_e32 v32, v32, v35
	v_ldexp_f32 v99, v32, 1
	v_mul_f32_e32 v35, v36, v98
	v_mov_b32_e32 v32, 0x3f317218
	s_mov_b32 s64, 0x3f317218
	v_pk_mul_f32 v[32:33], v[34:35], v[32:33]
	v_ldexp_f32 v37, v36, 1
	v_fma_f32 v36, v34, s64, -v32
	v_fmac_f32_e32 v36, 0xb102e308, v34
	v_pk_add_f32 v[34:35], v[32:33], v[36:37]
	v_sub_f32_e32 v37, v35, v37
	v_sub_f32_e32 v37, v33, v37
	v_add_f32_e32 v99, v99, v37
	v_mov_b32_e32 v98, v32
	v_pk_add_f32 v[32:33], v[34:35], v[32:33] neg_lo:[0,1] neg_hi:[0,1]
	v_pk_add_f32 v[100:101], v[34:35], v[98:99]
	v_mov_b32_e32 v33, v101
	v_mov_b32_e32 v37, v34
	v_pk_add_f32 v[102:103], v[36:37], v[32:33] neg_lo:[0,1] neg_hi:[0,1]
	v_pk_add_f32 v[32:33], v[36:37], v[32:33]
	v_mov_b32_e32 v36, v33
	v_pk_add_f32 v[112:113], v[36:37], v[34:35] neg_lo:[0,1] neg_hi:[0,1]
	v_mov_b32_e32 v37, v112
	v_pk_add_f32 v[114:115], v[100:101], v[36:37] neg_lo:[0,1] neg_hi:[0,1]
	v_mov_b32_e32 v32, v101
	v_mov_b32_e32 v100, v35
	v_mov_b32_e32 v101, v112
	v_mov_b32_e32 v103, v33
	v_pk_add_f32 v[32:33], v[32:33], v[100:101] neg_lo:[0,1] neg_hi:[0,1]
	v_mov_b32_e32 v98, v99
	v_mov_b32_e32 v99, v34
	v_pk_add_f32 v[32:33], v[98:99], v[32:33] neg_lo:[0,1] neg_hi:[0,1]
	v_mov_b32_e32 v114, v102
	v_pk_add_f32 v[34:35], v[114:115], v[32:33]
	v_mov_b32_e32 v98, v35
	v_pk_add_f32 v[98:99], v[34:35], v[98:99]
	v_pk_add_f32 v[36:37], v[36:37], v[98:99]
	v_mov_b32_e32 v35, v36
	v_pk_add_f32 v[100:101], v[34:35], v[102:103] neg_lo:[0,1] neg_hi:[0,1]
	v_mov_b32_e32 v33, v98
	v_sub_f32_e32 v34, v34, v100
	v_pk_add_f32 v[32:33], v[32:33], v[100:101] neg_lo:[0,1] neg_hi:[0,1]
	v_sub_f32_e32 v34, v102, v34
	s_mov_b32 s65, 0x7f800000
	v_add_f32_e32 v32, v32, v34
	s_mov_b32 s64, 0x33800000
	v_add_f32_e32 v32, v32, v33
	v_cmp_eq_f32_e32 vcc, s65, v116
	v_cmp_lt_f32_e64 s[64:65], |v116|, s64
	v_add_f32_e32 v32, v36, v32
	s_or_b64 vcc, vcc, s[64:65]
	v_cndmask_b32_e32 v32, v32, v116, vcc
	v_add_f32_e32 v30, v30, v32
	v_cvt_f16_f32_e32 v32, v30
.LBB421_120:
	s_or_b64 exec, exec, s[60:61]
	v_and_b32_e32 v33, 0xffff, v32
	v_mov_b32_e32 v30, v32
.LBB421_121:
	s_or_b64 exec, exec, s[62:63]
	v_mov_b32_dpp v32, v33 row_bcast:31 row_mask:0xf bank_mask:0xf
	v_cmp_lt_u32_e32 vcc, 31, v31
	s_and_saveexec_b64 s[62:63], vcc
	s_cbranch_execz .LBB421_125
; %bb.122:
	v_cvt_f32_f16_e32 v34, v32
	v_cvt_f32_f16_e32 v35, v30
	v_cmp_u_f16_e32 vcc, v32, v32
	v_cmp_u_f16_e64 s[60:61], v30, v30
	v_min_f32_e32 v33, v34, v35
	v_max_f32_e32 v30, v34, v35
	v_cndmask_b32_e32 v33, v33, v34, vcc
	v_cndmask_b32_e32 v30, v30, v34, vcc
	v_cndmask_b32_e64 v33, v33, v35, s[60:61]
	v_cndmask_b32_e64 v30, v30, v35, s[60:61]
	s_movk_i32 s60, 0x1f8
	v_cmp_neq_f32_e32 vcc, v33, v30
	v_cmp_class_f32_e64 s[60:61], v33, s60
	s_or_b64 vcc, vcc, s[60:61]
	s_and_saveexec_b64 s[60:61], vcc
	s_cbranch_execz .LBB421_124
; %bb.123:
	v_sub_f32_e32 v32, v33, v30
	s_mov_b32 s64, 0x3fb8aa3b
	v_mul_f32_e32 v33, 0x3fb8aa3b, v32
	v_fma_f32 v34, v32, s64, -v33
	v_rndne_f32_e32 v35, v33
	v_fmac_f32_e32 v34, 0x32a5705f, v32
	v_sub_f32_e32 v33, v33, v35
	v_add_f32_e32 v33, v33, v34
	v_exp_f32_e32 v33, v33
	v_cvt_i32_f32_e32 v34, v35
	s_mov_b32 s64, 0xc2ce8ed0
	v_cmp_ngt_f32_e32 vcc, s64, v32
	s_mov_b32 s64, 0x42b17218
	v_ldexp_f32 v33, v33, v34
	v_cndmask_b32_e32 v33, 0, v33, vcc
	v_mov_b32_e32 v34, 0x7f800000
	v_cmp_nlt_f32_e32 vcc, s64, v32
	v_cndmask_b32_e32 v116, v34, v33, vcc
	v_add_f32_e32 v34, 1.0, v116
	v_add_f32_e32 v32, -1.0, v34
	v_sub_f32_e32 v33, v32, v34
	v_add_f32_e32 v33, 1.0, v33
	v_sub_f32_e32 v32, v116, v32
	v_add_f32_e32 v35, v32, v33
	v_frexp_mant_f32_e32 v36, v34
	s_mov_b32 s64, 0x3f2aaaab
	v_cvt_f64_f32_e32 v[32:33], v34
	v_frexp_exp_i32_f64_e32 v32, v[32:33]
	v_cmp_gt_f32_e32 vcc, s64, v36
	v_subbrev_co_u32_e32 v100, vcc, 0, v32, vcc
	v_sub_u32_e32 v32, 0, v100
	v_ldexp_f32 v33, v34, v32
	v_add_f32_e32 v34, -1.0, v33
	v_add_f32_e32 v36, 1.0, v33
	v_ldexp_f32 v32, v35, v32
	v_add_f32_e32 v35, 1.0, v34
	v_add_f32_e32 v37, -1.0, v36
	v_sub_f32_e32 v35, v33, v35
	v_sub_f32_e32 v33, v33, v37
	v_add_f32_e32 v35, v32, v35
	v_add_f32_e32 v32, v32, v33
	;; [unrolled: 1-line block ×3, first 2 shown]
	v_rcp_f32_e32 v103, v101
	v_sub_f32_e32 v33, v36, v101
	v_add_f32_e32 v102, v32, v33
	v_add_f32_e32 v33, v34, v35
	v_mul_f32_e32 v113, v33, v103
	v_sub_f32_e32 v32, v34, v33
	v_mul_f32_e32 v34, v101, v113
	v_fma_f32 v36, v113, v101, -v34
	v_fmac_f32_e32 v36, v113, v102
	v_add_f32_e32 v112, v35, v32
	v_add_f32_e32 v32, v34, v36
	v_sub_f32_e32 v35, v33, v32
	v_pk_add_f32 v[98:99], v[32:33], v[34:35] neg_lo:[0,1] neg_hi:[0,1]
	v_mov_b32_e32 v37, v32
	v_pk_add_f32 v[32:33], v[98:99], v[36:37] neg_lo:[0,1] neg_hi:[0,1]
	v_add_f32_e32 v33, v112, v33
	v_add_f32_e32 v32, v32, v33
	;; [unrolled: 1-line block ×3, first 2 shown]
	v_mul_f32_e32 v112, v103, v33
	v_mul_f32_e32 v34, v101, v112
	v_fma_f32 v36, v112, v101, -v34
	v_fmac_f32_e32 v36, v112, v102
	v_sub_f32_e32 v35, v35, v33
	v_add_f32_e32 v101, v32, v35
	v_add_f32_e32 v32, v34, v36
	v_sub_f32_e32 v35, v33, v32
	v_pk_add_f32 v[98:99], v[32:33], v[34:35] neg_lo:[0,1] neg_hi:[0,1]
	v_mov_b32_e32 v37, v32
	v_pk_add_f32 v[32:33], v[98:99], v[36:37] neg_lo:[0,1] neg_hi:[0,1]
	v_add_f32_e32 v33, v101, v33
	v_add_f32_e32 v32, v32, v33
	;; [unrolled: 1-line block ×4, first 2 shown]
	v_sub_f32_e32 v33, v35, v113
	v_mul_f32_e32 v32, v103, v32
	v_sub_f32_e32 v33, v112, v33
	v_add_f32_e32 v32, v33, v32
	v_add_f32_e32 v36, v35, v32
	v_mul_f32_e32 v98, v36, v36
	v_mov_b32_e32 v34, 0x3ecc95a3
	v_fmac_f32_e32 v34, 0x3e9b6dac, v98
	v_mov_b32_e32 v33, 0x3f2aaada
	v_fmac_f32_e32 v33, v98, v34
	v_cvt_f32_i32_e32 v34, v100
	v_sub_f32_e32 v35, v36, v35
	v_sub_f32_e32 v32, v32, v35
	v_ldexp_f32 v99, v32, 1
	v_mul_f32_e32 v35, v36, v98
	v_mov_b32_e32 v32, 0x3f317218
	s_mov_b32 s64, 0x3f317218
	v_pk_mul_f32 v[32:33], v[34:35], v[32:33]
	v_ldexp_f32 v37, v36, 1
	v_fma_f32 v36, v34, s64, -v32
	v_fmac_f32_e32 v36, 0xb102e308, v34
	v_pk_add_f32 v[34:35], v[32:33], v[36:37]
	v_sub_f32_e32 v37, v35, v37
	v_sub_f32_e32 v37, v33, v37
	v_add_f32_e32 v99, v99, v37
	v_mov_b32_e32 v98, v32
	v_pk_add_f32 v[32:33], v[34:35], v[32:33] neg_lo:[0,1] neg_hi:[0,1]
	v_pk_add_f32 v[100:101], v[34:35], v[98:99]
	v_mov_b32_e32 v33, v101
	v_mov_b32_e32 v37, v34
	v_pk_add_f32 v[102:103], v[36:37], v[32:33] neg_lo:[0,1] neg_hi:[0,1]
	v_pk_add_f32 v[32:33], v[36:37], v[32:33]
	v_mov_b32_e32 v36, v33
	v_pk_add_f32 v[112:113], v[36:37], v[34:35] neg_lo:[0,1] neg_hi:[0,1]
	v_mov_b32_e32 v37, v112
	v_pk_add_f32 v[114:115], v[100:101], v[36:37] neg_lo:[0,1] neg_hi:[0,1]
	v_mov_b32_e32 v32, v101
	v_mov_b32_e32 v100, v35
	v_mov_b32_e32 v101, v112
	v_mov_b32_e32 v103, v33
	v_pk_add_f32 v[32:33], v[32:33], v[100:101] neg_lo:[0,1] neg_hi:[0,1]
	v_mov_b32_e32 v98, v99
	v_mov_b32_e32 v99, v34
	v_pk_add_f32 v[32:33], v[98:99], v[32:33] neg_lo:[0,1] neg_hi:[0,1]
	v_mov_b32_e32 v114, v102
	v_pk_add_f32 v[34:35], v[114:115], v[32:33]
	v_mov_b32_e32 v98, v35
	v_pk_add_f32 v[98:99], v[34:35], v[98:99]
	v_pk_add_f32 v[36:37], v[36:37], v[98:99]
	v_mov_b32_e32 v35, v36
	v_pk_add_f32 v[100:101], v[34:35], v[102:103] neg_lo:[0,1] neg_hi:[0,1]
	v_mov_b32_e32 v33, v98
	v_sub_f32_e32 v34, v34, v100
	v_pk_add_f32 v[32:33], v[32:33], v[100:101] neg_lo:[0,1] neg_hi:[0,1]
	v_sub_f32_e32 v34, v102, v34
	s_mov_b32 s65, 0x7f800000
	v_add_f32_e32 v32, v32, v34
	s_mov_b32 s64, 0x33800000
	v_add_f32_e32 v32, v32, v33
	v_cmp_eq_f32_e32 vcc, s65, v116
	v_cmp_lt_f32_e64 s[64:65], |v116|, s64
	v_add_f32_e32 v32, v36, v32
	s_or_b64 vcc, vcc, s[64:65]
	v_cndmask_b32_e32 v32, v32, v116, vcc
	v_add_f32_e32 v30, v30, v32
	v_cvt_f16_f32_e32 v32, v30
.LBB421_124:
	s_or_b64 exec, exec, s[60:61]
	v_mov_b32_e32 v30, v32
.LBB421_125:
	s_or_b64 exec, exec, s[62:63]
	v_cmp_eq_u32_e32 vcc, 63, v28
	s_and_saveexec_b64 s[60:61], vcc
	s_cbranch_execz .LBB421_127
; %bb.126:
	v_mov_b32_e32 v32, 0
	ds_write_b16 v32, v30
.LBB421_127:
	s_or_b64 exec, exec, s[60:61]
	v_add_u32_e32 v32, -1, v31
	v_and_b32_e32 v33, 64, v31
	v_cmp_lt_i32_e32 vcc, v32, v33
	v_cndmask_b32_e32 v32, v32, v31, vcc
	v_and_b32_e32 v30, 0xffff, v30
	v_lshlrev_b32_e32 v32, 2, v32
	ds_bpermute_b32 v98, v32, v30
	v_cmp_gt_u32_e32 vcc, 64, v28
	s_waitcnt lgkmcnt(0)
	; wave barrier
	s_waitcnt lgkmcnt(0)
	s_and_saveexec_b64 s[64:65], vcc
	s_cbranch_execz .LBB421_198
; %bb.128:
	v_mov_b32_e32 v33, 0
	ds_read_u16 v99, v33
	s_mov_b32 vcc_hi, 0
	v_cmp_eq_u32_e64 s[60:61], 0, v31
	s_and_saveexec_b64 s[62:63], s[60:61]
	s_cbranch_execz .LBB421_130
; %bb.129:
	s_add_i32 vcc_lo, s68, 64
	s_lshl_b64 vcc, vcc, 2
	v_mov_b32_e32 v30, vcc_hi
	v_add_co_u32_e32 v34, vcc, vcc_lo, v24
	v_addc_co_u32_e32 v35, vcc, v25, v30, vcc
	s_waitcnt lgkmcnt(0)
	v_or_b32_e32 v30, 0x10000, v99
	flat_store_dword v[34:35], v30
.LBB421_130:
	s_or_b64 exec, exec, s[62:63]
	v_xad_u32 v30, v31, -1, s68
	v_add_u32_e32 v32, 64, v30
	v_lshlrev_b64 v[34:35], 2, v[32:33]
	v_add_co_u32_e32 v34, vcc, v24, v34
	v_addc_co_u32_e32 v35, vcc, v25, v35, vcc
	flat_load_dword v133, v[34:35] glc
	s_waitcnt vmcnt(0) lgkmcnt(0)
	v_lshrrev_b32_e32 v100, 16, v133
	v_cmp_eq_u16_sdwa s[62:63], v100, v33 src0_sel:BYTE_0 src1_sel:DWORD
	s_and_saveexec_b64 vcc, s[62:63]
	s_cbranch_execz .LBB421_134
; %bb.131:
	s_mov_b64 s[62:63], 0
	v_mov_b32_e32 v32, 0
.LBB421_132:                            ; =>This Inner Loop Header: Depth=1
	flat_load_dword v133, v[34:35] glc
	s_waitcnt vmcnt(0) lgkmcnt(0)
	v_lshrrev_b32_e32 v100, 16, v133
	v_cmp_ne_u16_sdwa s[66:67], v100, v32 src0_sel:BYTE_0 src1_sel:DWORD
	s_or_b64 s[62:63], s[66:67], s[62:63]
	s_andn2_b64 exec, exec, s[62:63]
	s_cbranch_execnz .LBB421_132
; %bb.133:
	s_or_b64 exec, exec, s[62:63]
.LBB421_134:
	s_or_b64 exec, exec, vcc
	v_mov_b32_e32 v32, 2
	v_cmp_eq_u16_sdwa vcc, v100, v32 src0_sel:BYTE_0 src1_sel:DWORD
	v_lshlrev_b64 v[32:33], v31, -1
	v_and_b32_e32 v101, 63, v31
	v_and_b32_e32 v34, vcc_hi, v33
	v_and_b32_e32 v37, vcc_lo, v32
	v_cmp_ne_u32_e32 vcc, 63, v101
	v_addc_co_u32_e32 v36, vcc, 0, v31, vcc
	v_and_b32_e32 v35, 0xffff, v133
	v_lshlrev_b32_e32 v102, 2, v36
	v_or_b32_e32 v34, 0x80000000, v34
	ds_bpermute_b32 v36, v102, v35
	v_ffbl_b32_e32 v34, v34
	v_add_u32_e32 v34, 32, v34
	v_ffbl_b32_e32 v37, v37
	v_min_u32_e32 v34, v37, v34
	v_cmp_lt_u32_e32 vcc, v101, v34
	s_and_saveexec_b64 s[66:67], vcc
	s_cbranch_execz .LBB421_138
; %bb.135:
	s_waitcnt lgkmcnt(0)
	v_cvt_f32_f16_e32 v35, v36
	v_cvt_f32_f16_e32 v103, v133
	v_cmp_u_f16_e32 vcc, v36, v36
	v_cmp_u_f16_e64 s[62:63], v133, v133
	v_min_f32_e32 v37, v35, v103
	v_max_f32_e32 v112, v35, v103
	v_cndmask_b32_e32 v37, v37, v35, vcc
	v_cndmask_b32_e32 v35, v112, v35, vcc
	v_cndmask_b32_e64 v37, v37, v103, s[62:63]
	v_cndmask_b32_e64 v35, v35, v103, s[62:63]
	s_movk_i32 s62, 0x1f8
	v_cmp_neq_f32_e32 vcc, v37, v35
	v_cmp_class_f32_e64 s[62:63], v37, s62
	s_or_b64 vcc, vcc, s[62:63]
	s_and_saveexec_b64 s[62:63], vcc
	s_cbranch_execz .LBB421_137
; %bb.136:
	v_sub_f32_e32 v36, v37, v35
	s_mov_b32 s69, 0x3fb8aa3b
	v_mul_f32_e32 v37, 0x3fb8aa3b, v36
	v_fma_f32 v103, v36, s69, -v37
	v_rndne_f32_e32 v112, v37
	v_fmac_f32_e32 v103, 0x32a5705f, v36
	v_sub_f32_e32 v37, v37, v112
	v_add_f32_e32 v37, v37, v103
	v_exp_f32_e32 v37, v37
	v_cvt_i32_f32_e32 v103, v112
	s_mov_b32 s69, 0xc2ce8ed0
	v_cmp_ngt_f32_e32 vcc, s69, v36
	s_mov_b32 s69, 0x42b17218
	v_ldexp_f32 v37, v37, v103
	v_cndmask_b32_e32 v37, 0, v37, vcc
	v_mov_b32_e32 v103, 0x7f800000
	v_cmp_nlt_f32_e32 vcc, s69, v36
	v_cndmask_b32_e32 v134, v103, v37, vcc
	v_add_f32_e32 v103, 1.0, v134
	v_add_f32_e32 v36, -1.0, v103
	v_sub_f32_e32 v37, v36, v103
	v_add_f32_e32 v37, 1.0, v37
	v_sub_f32_e32 v36, v134, v36
	v_add_f32_e32 v112, v36, v37
	v_frexp_mant_f32_e32 v113, v103
	s_mov_b32 s69, 0x3f2aaaab
	v_cvt_f64_f32_e32 v[36:37], v103
	v_frexp_exp_i32_f64_e32 v36, v[36:37]
	v_cmp_gt_f32_e32 vcc, s69, v113
	v_subbrev_co_u32_e32 v118, vcc, 0, v36, vcc
	v_sub_u32_e32 v36, 0, v118
	v_ldexp_f32 v37, v103, v36
	v_add_f32_e32 v103, -1.0, v37
	v_add_f32_e32 v113, 1.0, v37
	v_ldexp_f32 v36, v112, v36
	v_add_f32_e32 v112, 1.0, v103
	v_add_f32_e32 v114, -1.0, v113
	v_sub_f32_e32 v112, v37, v112
	v_sub_f32_e32 v37, v37, v114
	v_add_f32_e32 v112, v36, v112
	v_add_f32_e32 v36, v36, v37
	;; [unrolled: 1-line block ×3, first 2 shown]
	v_rcp_f32_e32 v129, v119
	v_sub_f32_e32 v37, v113, v119
	v_add_f32_e32 v128, v36, v37
	v_add_f32_e32 v37, v103, v112
	v_sub_f32_e32 v36, v103, v37
	v_mul_f32_e32 v130, v37, v129
	v_add_f32_e32 v103, v112, v36
	v_mul_f32_e32 v112, v119, v130
	v_fma_f32 v114, v130, v119, -v112
	v_fmac_f32_e32 v114, v130, v128
	v_add_f32_e32 v36, v112, v114
	v_sub_f32_e32 v113, v37, v36
	v_pk_add_f32 v[116:117], v[36:37], v[112:113] neg_lo:[0,1] neg_hi:[0,1]
	v_mov_b32_e32 v115, v36
	v_pk_add_f32 v[36:37], v[116:117], v[114:115] neg_lo:[0,1] neg_hi:[0,1]
	v_add_f32_e32 v37, v103, v37
	v_add_f32_e32 v36, v36, v37
	;; [unrolled: 1-line block ×3, first 2 shown]
	v_mul_f32_e32 v103, v129, v37
	v_mul_f32_e32 v112, v119, v103
	v_fma_f32 v114, v103, v119, -v112
	v_fmac_f32_e32 v114, v103, v128
	v_sub_f32_e32 v113, v113, v37
	v_add_f32_e32 v119, v36, v113
	v_add_f32_e32 v36, v112, v114
	v_sub_f32_e32 v113, v37, v36
	v_pk_add_f32 v[116:117], v[36:37], v[112:113] neg_lo:[0,1] neg_hi:[0,1]
	v_mov_b32_e32 v115, v36
	v_pk_add_f32 v[36:37], v[116:117], v[114:115] neg_lo:[0,1] neg_hi:[0,1]
	v_add_f32_e32 v37, v119, v37
	v_add_f32_e32 v36, v36, v37
	v_add_f32_e32 v36, v113, v36
	v_add_f32_e32 v113, v130, v103
	v_sub_f32_e32 v37, v113, v130
	v_mul_f32_e32 v36, v129, v36
	v_sub_f32_e32 v37, v103, v37
	v_add_f32_e32 v36, v37, v36
	v_add_f32_e32 v103, v113, v36
	v_mul_f32_e32 v114, v103, v103
	v_mov_b32_e32 v112, 0x3ecc95a3
	v_fmac_f32_e32 v112, 0x3e9b6dac, v114
	v_mov_b32_e32 v37, 0x3f2aaada
	v_fmac_f32_e32 v37, v114, v112
	v_cvt_f32_i32_e32 v112, v118
	v_sub_f32_e32 v113, v103, v113
	v_sub_f32_e32 v36, v36, v113
	v_ldexp_f32 v116, v36, 1
	v_mul_f32_e32 v113, v103, v114
	v_mov_b32_e32 v36, 0x3f317218
	s_mov_b32 s69, 0x3f317218
	v_pk_mul_f32 v[36:37], v[112:113], v[36:37]
	v_fma_f32 v114, v112, s69, -v36
	v_ldexp_f32 v115, v103, 1
	v_fmac_f32_e32 v114, 0xb102e308, v112
	v_pk_add_f32 v[112:113], v[36:37], v[114:115]
	v_sub_f32_e32 v103, v113, v115
	v_sub_f32_e32 v103, v37, v103
	v_add_f32_e32 v117, v116, v103
	v_mov_b32_e32 v116, v36
	v_pk_add_f32 v[36:37], v[112:113], v[36:37] neg_lo:[0,1] neg_hi:[0,1]
	v_pk_add_f32 v[118:119], v[112:113], v[116:117]
	v_mov_b32_e32 v37, v119
	v_mov_b32_e32 v115, v112
	v_pk_add_f32 v[128:129], v[114:115], v[36:37] neg_lo:[0,1] neg_hi:[0,1]
	v_pk_add_f32 v[36:37], v[114:115], v[36:37]
	v_mov_b32_e32 v114, v37
	v_pk_add_f32 v[130:131], v[114:115], v[112:113] neg_lo:[0,1] neg_hi:[0,1]
	v_mov_b32_e32 v103, v130
	v_pk_add_f32 v[132:133], v[118:119], v[102:103] neg_lo:[0,1] neg_hi:[0,1]
	v_mov_b32_e32 v36, v119
	v_mov_b32_e32 v118, v113
	;; [unrolled: 1-line block ×4, first 2 shown]
	v_pk_add_f32 v[36:37], v[36:37], v[118:119] neg_lo:[0,1] neg_hi:[0,1]
	v_mov_b32_e32 v116, v117
	v_mov_b32_e32 v117, v112
	v_pk_add_f32 v[36:37], v[116:117], v[36:37] neg_lo:[0,1] neg_hi:[0,1]
	v_mov_b32_e32 v132, v128
	v_pk_add_f32 v[112:113], v[132:133], v[36:37]
	v_mov_b32_e32 v116, v113
	v_pk_add_f32 v[116:117], v[112:113], v[116:117]
	v_pk_add_f32 v[114:115], v[114:115], v[116:117]
	v_mov_b32_e32 v113, v114
	v_pk_add_f32 v[118:119], v[112:113], v[128:129] neg_lo:[0,1] neg_hi:[0,1]
	v_mov_b32_e32 v37, v116
	v_sub_f32_e32 v103, v112, v118
	v_pk_add_f32 v[36:37], v[36:37], v[118:119] neg_lo:[0,1] neg_hi:[0,1]
	v_sub_f32_e32 v103, v128, v103
	s_mov_b32 s70, 0x7f800000
	v_add_f32_e32 v36, v36, v103
	s_mov_b32 s69, 0x33800000
	v_add_f32_e32 v36, v36, v37
	v_cmp_eq_f32_e32 vcc, s70, v134
	v_cmp_lt_f32_e64 s[70:71], |v134|, s69
	v_add_f32_e32 v36, v114, v36
	s_or_b64 vcc, vcc, s[70:71]
	v_cndmask_b32_e32 v36, v36, v134, vcc
	v_add_f32_e32 v35, v35, v36
	v_cvt_f16_f32_e32 v36, v35
.LBB421_137:
	s_or_b64 exec, exec, s[62:63]
	v_and_b32_e32 v35, 0xffff, v36
	v_mov_b32_e32 v133, v36
.LBB421_138:
	s_or_b64 exec, exec, s[66:67]
	v_cmp_gt_u32_e32 vcc, 62, v101
	s_waitcnt lgkmcnt(0)
	v_cndmask_b32_e64 v36, 0, 1, vcc
	v_lshlrev_b32_e32 v36, 1, v36
	v_add_lshl_u32 v103, v36, v31, 2
	ds_bpermute_b32 v36, v103, v35
	v_add_u32_e32 v112, 2, v101
	v_cmp_le_u32_e32 vcc, v112, v34
	s_and_saveexec_b64 s[66:67], vcc
	s_cbranch_execz .LBB421_142
; %bb.139:
	s_waitcnt lgkmcnt(0)
	v_cvt_f32_f16_e32 v35, v36
	v_cvt_f32_f16_e32 v113, v133
	v_cmp_u_f16_e32 vcc, v36, v36
	v_cmp_u_f16_e64 s[62:63], v133, v133
	v_min_f32_e32 v37, v35, v113
	v_max_f32_e32 v114, v35, v113
	v_cndmask_b32_e32 v37, v37, v35, vcc
	v_cndmask_b32_e32 v35, v114, v35, vcc
	v_cndmask_b32_e64 v37, v37, v113, s[62:63]
	v_cndmask_b32_e64 v35, v35, v113, s[62:63]
	s_movk_i32 s62, 0x1f8
	v_cmp_neq_f32_e32 vcc, v37, v35
	v_cmp_class_f32_e64 s[62:63], v37, s62
	s_or_b64 vcc, vcc, s[62:63]
	s_and_saveexec_b64 s[62:63], vcc
	s_cbranch_execz .LBB421_141
; %bb.140:
	v_sub_f32_e32 v36, v37, v35
	s_mov_b32 s69, 0x3fb8aa3b
	v_mul_f32_e32 v37, 0x3fb8aa3b, v36
	v_fma_f32 v113, v36, s69, -v37
	v_rndne_f32_e32 v114, v37
	v_fmac_f32_e32 v113, 0x32a5705f, v36
	v_sub_f32_e32 v37, v37, v114
	v_add_f32_e32 v37, v37, v113
	v_exp_f32_e32 v37, v37
	v_cvt_i32_f32_e32 v113, v114
	s_mov_b32 s69, 0xc2ce8ed0
	v_cmp_ngt_f32_e32 vcc, s69, v36
	s_mov_b32 s69, 0x42b17218
	v_ldexp_f32 v37, v37, v113
	v_cndmask_b32_e32 v37, 0, v37, vcc
	v_mov_b32_e32 v113, 0x7f800000
	v_cmp_nlt_f32_e32 vcc, s69, v36
	v_cndmask_b32_e32 v144, v113, v37, vcc
	v_add_f32_e32 v113, 1.0, v144
	v_add_f32_e32 v36, -1.0, v113
	v_sub_f32_e32 v37, v36, v113
	v_add_f32_e32 v37, 1.0, v37
	v_sub_f32_e32 v36, v144, v36
	v_add_f32_e32 v114, v36, v37
	v_frexp_mant_f32_e32 v115, v113
	s_mov_b32 s69, 0x3f2aaaab
	v_cvt_f64_f32_e32 v[36:37], v113
	v_frexp_exp_i32_f64_e32 v36, v[36:37]
	v_cmp_gt_f32_e32 vcc, s69, v115
	v_subbrev_co_u32_e32 v128, vcc, 0, v36, vcc
	v_sub_u32_e32 v36, 0, v128
	v_ldexp_f32 v37, v113, v36
	v_add_f32_e32 v113, -1.0, v37
	v_add_f32_e32 v115, 1.0, v37
	v_ldexp_f32 v36, v114, v36
	v_add_f32_e32 v114, 1.0, v113
	v_add_f32_e32 v116, -1.0, v115
	v_sub_f32_e32 v114, v37, v114
	v_sub_f32_e32 v37, v37, v116
	v_add_f32_e32 v114, v36, v114
	v_add_f32_e32 v36, v36, v37
	v_add_f32_e32 v129, v115, v36
	v_rcp_f32_e32 v131, v129
	v_sub_f32_e32 v37, v115, v129
	v_add_f32_e32 v130, v36, v37
	v_add_f32_e32 v37, v113, v114
	v_sub_f32_e32 v36, v113, v37
	v_mul_f32_e32 v132, v37, v131
	v_add_f32_e32 v113, v114, v36
	v_mul_f32_e32 v114, v129, v132
	v_fma_f32 v116, v132, v129, -v114
	v_fmac_f32_e32 v116, v132, v130
	v_add_f32_e32 v36, v114, v116
	v_sub_f32_e32 v115, v37, v36
	v_pk_add_f32 v[118:119], v[36:37], v[114:115] neg_lo:[0,1] neg_hi:[0,1]
	v_mov_b32_e32 v117, v36
	v_pk_add_f32 v[36:37], v[118:119], v[116:117] neg_lo:[0,1] neg_hi:[0,1]
	v_add_f32_e32 v37, v113, v37
	v_add_f32_e32 v36, v36, v37
	;; [unrolled: 1-line block ×3, first 2 shown]
	v_mul_f32_e32 v113, v131, v37
	v_mul_f32_e32 v114, v129, v113
	v_fma_f32 v116, v113, v129, -v114
	v_fmac_f32_e32 v116, v113, v130
	v_sub_f32_e32 v115, v115, v37
	v_add_f32_e32 v129, v36, v115
	v_add_f32_e32 v36, v114, v116
	v_sub_f32_e32 v115, v37, v36
	v_pk_add_f32 v[118:119], v[36:37], v[114:115] neg_lo:[0,1] neg_hi:[0,1]
	v_mov_b32_e32 v117, v36
	v_pk_add_f32 v[36:37], v[118:119], v[116:117] neg_lo:[0,1] neg_hi:[0,1]
	v_add_f32_e32 v37, v129, v37
	v_add_f32_e32 v36, v36, v37
	;; [unrolled: 1-line block ×4, first 2 shown]
	v_sub_f32_e32 v37, v115, v132
	v_mul_f32_e32 v36, v131, v36
	v_sub_f32_e32 v37, v113, v37
	v_add_f32_e32 v36, v37, v36
	v_add_f32_e32 v113, v115, v36
	v_mul_f32_e32 v116, v113, v113
	v_mov_b32_e32 v114, 0x3ecc95a3
	v_fmac_f32_e32 v114, 0x3e9b6dac, v116
	v_mov_b32_e32 v37, 0x3f2aaada
	v_fmac_f32_e32 v37, v116, v114
	v_cvt_f32_i32_e32 v114, v128
	v_sub_f32_e32 v115, v113, v115
	v_sub_f32_e32 v36, v36, v115
	v_ldexp_f32 v118, v36, 1
	v_mul_f32_e32 v115, v113, v116
	v_mov_b32_e32 v36, 0x3f317218
	s_mov_b32 s69, 0x3f317218
	v_pk_mul_f32 v[36:37], v[114:115], v[36:37]
	v_fma_f32 v116, v114, s69, -v36
	v_ldexp_f32 v117, v113, 1
	v_fmac_f32_e32 v116, 0xb102e308, v114
	v_pk_add_f32 v[114:115], v[36:37], v[116:117]
	v_sub_f32_e32 v113, v115, v117
	v_sub_f32_e32 v113, v37, v113
	v_add_f32_e32 v119, v118, v113
	v_mov_b32_e32 v118, v36
	v_pk_add_f32 v[36:37], v[114:115], v[36:37] neg_lo:[0,1] neg_hi:[0,1]
	v_pk_add_f32 v[128:129], v[114:115], v[118:119]
	v_mov_b32_e32 v37, v129
	v_mov_b32_e32 v117, v114
	v_pk_add_f32 v[130:131], v[116:117], v[36:37] neg_lo:[0,1] neg_hi:[0,1]
	v_pk_add_f32 v[36:37], v[116:117], v[36:37]
	v_mov_b32_e32 v116, v37
	v_pk_add_f32 v[132:133], v[116:117], v[114:115] neg_lo:[0,1] neg_hi:[0,1]
	v_mov_b32_e32 v113, v132
	v_pk_add_f32 v[134:135], v[128:129], v[112:113] neg_lo:[0,1] neg_hi:[0,1]
	v_mov_b32_e32 v36, v129
	v_mov_b32_e32 v128, v115
	;; [unrolled: 1-line block ×4, first 2 shown]
	v_pk_add_f32 v[36:37], v[36:37], v[128:129] neg_lo:[0,1] neg_hi:[0,1]
	v_mov_b32_e32 v118, v119
	v_mov_b32_e32 v119, v114
	v_pk_add_f32 v[36:37], v[118:119], v[36:37] neg_lo:[0,1] neg_hi:[0,1]
	v_mov_b32_e32 v134, v130
	v_pk_add_f32 v[114:115], v[134:135], v[36:37]
	v_mov_b32_e32 v118, v115
	v_pk_add_f32 v[118:119], v[114:115], v[118:119]
	v_pk_add_f32 v[116:117], v[116:117], v[118:119]
	v_mov_b32_e32 v115, v116
	v_pk_add_f32 v[128:129], v[114:115], v[130:131] neg_lo:[0,1] neg_hi:[0,1]
	v_mov_b32_e32 v37, v118
	v_sub_f32_e32 v113, v114, v128
	v_pk_add_f32 v[36:37], v[36:37], v[128:129] neg_lo:[0,1] neg_hi:[0,1]
	v_sub_f32_e32 v113, v130, v113
	s_mov_b32 s70, 0x7f800000
	v_add_f32_e32 v36, v36, v113
	s_mov_b32 s69, 0x33800000
	v_add_f32_e32 v36, v36, v37
	v_cmp_eq_f32_e32 vcc, s70, v144
	v_cmp_lt_f32_e64 s[70:71], |v144|, s69
	v_add_f32_e32 v36, v116, v36
	s_or_b64 vcc, vcc, s[70:71]
	v_cndmask_b32_e32 v36, v36, v144, vcc
	v_add_f32_e32 v35, v35, v36
	v_cvt_f16_f32_e32 v36, v35
.LBB421_141:
	s_or_b64 exec, exec, s[62:63]
	v_and_b32_e32 v35, 0xffff, v36
	v_mov_b32_e32 v133, v36
.LBB421_142:
	s_or_b64 exec, exec, s[66:67]
	v_cmp_gt_u32_e32 vcc, 60, v101
	s_waitcnt lgkmcnt(0)
	v_cndmask_b32_e64 v36, 0, 1, vcc
	v_lshlrev_b32_e32 v36, 2, v36
	v_add_lshl_u32 v113, v36, v31, 2
	ds_bpermute_b32 v36, v113, v35
	v_add_u32_e32 v114, 4, v101
	v_cmp_le_u32_e32 vcc, v114, v34
	s_and_saveexec_b64 s[66:67], vcc
	s_cbranch_execz .LBB421_146
; %bb.143:
	s_waitcnt lgkmcnt(0)
	v_cvt_f32_f16_e32 v35, v36
	v_cvt_f32_f16_e32 v115, v133
	v_cmp_u_f16_e32 vcc, v36, v36
	v_cmp_u_f16_e64 s[62:63], v133, v133
	v_min_f32_e32 v37, v35, v115
	v_max_f32_e32 v116, v35, v115
	v_cndmask_b32_e32 v37, v37, v35, vcc
	v_cndmask_b32_e32 v35, v116, v35, vcc
	v_cndmask_b32_e64 v37, v37, v115, s[62:63]
	v_cndmask_b32_e64 v35, v35, v115, s[62:63]
	s_movk_i32 s62, 0x1f8
	v_cmp_neq_f32_e32 vcc, v37, v35
	v_cmp_class_f32_e64 s[62:63], v37, s62
	s_or_b64 vcc, vcc, s[62:63]
	s_and_saveexec_b64 s[62:63], vcc
	s_cbranch_execz .LBB421_145
; %bb.144:
	v_sub_f32_e32 v36, v37, v35
	s_mov_b32 s69, 0x3fb8aa3b
	v_mul_f32_e32 v37, 0x3fb8aa3b, v36
	v_fma_f32 v115, v36, s69, -v37
	v_rndne_f32_e32 v116, v37
	v_fmac_f32_e32 v115, 0x32a5705f, v36
	v_sub_f32_e32 v37, v37, v116
	v_add_f32_e32 v37, v37, v115
	v_exp_f32_e32 v37, v37
	v_cvt_i32_f32_e32 v115, v116
	s_mov_b32 s69, 0xc2ce8ed0
	v_cmp_ngt_f32_e32 vcc, s69, v36
	s_mov_b32 s69, 0x42b17218
	v_ldexp_f32 v37, v37, v115
	v_cndmask_b32_e32 v37, 0, v37, vcc
	v_mov_b32_e32 v115, 0x7f800000
	v_cmp_nlt_f32_e32 vcc, s69, v36
	v_cndmask_b32_e32 v146, v115, v37, vcc
	v_add_f32_e32 v115, 1.0, v146
	v_add_f32_e32 v36, -1.0, v115
	v_sub_f32_e32 v37, v36, v115
	v_add_f32_e32 v37, 1.0, v37
	v_sub_f32_e32 v36, v146, v36
	v_add_f32_e32 v116, v36, v37
	v_frexp_mant_f32_e32 v117, v115
	s_mov_b32 s69, 0x3f2aaaab
	v_cvt_f64_f32_e32 v[36:37], v115
	v_frexp_exp_i32_f64_e32 v36, v[36:37]
	v_cmp_gt_f32_e32 vcc, s69, v117
	v_subbrev_co_u32_e32 v130, vcc, 0, v36, vcc
	v_sub_u32_e32 v36, 0, v130
	v_ldexp_f32 v37, v115, v36
	v_add_f32_e32 v115, -1.0, v37
	v_add_f32_e32 v117, 1.0, v37
	v_ldexp_f32 v36, v116, v36
	v_add_f32_e32 v116, 1.0, v115
	v_add_f32_e32 v118, -1.0, v117
	v_sub_f32_e32 v116, v37, v116
	v_sub_f32_e32 v37, v37, v118
	v_add_f32_e32 v116, v36, v116
	v_add_f32_e32 v36, v36, v37
	v_add_f32_e32 v131, v117, v36
	v_rcp_f32_e32 v133, v131
	v_sub_f32_e32 v37, v117, v131
	v_add_f32_e32 v132, v36, v37
	v_add_f32_e32 v37, v115, v116
	v_sub_f32_e32 v36, v115, v37
	v_mul_f32_e32 v134, v37, v133
	v_add_f32_e32 v115, v116, v36
	v_mul_f32_e32 v116, v131, v134
	v_fma_f32 v118, v134, v131, -v116
	v_fmac_f32_e32 v118, v134, v132
	v_add_f32_e32 v36, v116, v118
	v_sub_f32_e32 v117, v37, v36
	v_pk_add_f32 v[128:129], v[36:37], v[116:117] neg_lo:[0,1] neg_hi:[0,1]
	v_mov_b32_e32 v119, v36
	v_pk_add_f32 v[36:37], v[128:129], v[118:119] neg_lo:[0,1] neg_hi:[0,1]
	v_add_f32_e32 v37, v115, v37
	v_add_f32_e32 v36, v36, v37
	;; [unrolled: 1-line block ×3, first 2 shown]
	v_mul_f32_e32 v115, v133, v37
	v_mul_f32_e32 v116, v131, v115
	v_fma_f32 v118, v115, v131, -v116
	v_fmac_f32_e32 v118, v115, v132
	v_sub_f32_e32 v117, v117, v37
	v_add_f32_e32 v131, v36, v117
	v_add_f32_e32 v36, v116, v118
	v_sub_f32_e32 v117, v37, v36
	v_pk_add_f32 v[128:129], v[36:37], v[116:117] neg_lo:[0,1] neg_hi:[0,1]
	v_mov_b32_e32 v119, v36
	v_pk_add_f32 v[36:37], v[128:129], v[118:119] neg_lo:[0,1] neg_hi:[0,1]
	v_add_f32_e32 v37, v131, v37
	v_add_f32_e32 v36, v36, v37
	;; [unrolled: 1-line block ×4, first 2 shown]
	v_sub_f32_e32 v37, v117, v134
	v_mul_f32_e32 v36, v133, v36
	v_sub_f32_e32 v37, v115, v37
	v_add_f32_e32 v36, v37, v36
	v_add_f32_e32 v115, v117, v36
	v_mul_f32_e32 v118, v115, v115
	v_mov_b32_e32 v116, 0x3ecc95a3
	v_fmac_f32_e32 v116, 0x3e9b6dac, v118
	v_mov_b32_e32 v37, 0x3f2aaada
	v_fmac_f32_e32 v37, v118, v116
	v_cvt_f32_i32_e32 v116, v130
	v_sub_f32_e32 v117, v115, v117
	v_sub_f32_e32 v36, v36, v117
	v_ldexp_f32 v128, v36, 1
	v_mul_f32_e32 v117, v115, v118
	v_mov_b32_e32 v36, 0x3f317218
	s_mov_b32 s69, 0x3f317218
	v_pk_mul_f32 v[36:37], v[116:117], v[36:37]
	v_fma_f32 v118, v116, s69, -v36
	v_ldexp_f32 v119, v115, 1
	v_fmac_f32_e32 v118, 0xb102e308, v116
	v_pk_add_f32 v[116:117], v[36:37], v[118:119]
	v_sub_f32_e32 v115, v117, v119
	v_sub_f32_e32 v115, v37, v115
	v_add_f32_e32 v129, v128, v115
	v_mov_b32_e32 v128, v36
	v_pk_add_f32 v[36:37], v[116:117], v[36:37] neg_lo:[0,1] neg_hi:[0,1]
	v_pk_add_f32 v[130:131], v[116:117], v[128:129]
	v_mov_b32_e32 v37, v131
	v_mov_b32_e32 v119, v116
	v_pk_add_f32 v[132:133], v[118:119], v[36:37] neg_lo:[0,1] neg_hi:[0,1]
	v_pk_add_f32 v[36:37], v[118:119], v[36:37]
	v_mov_b32_e32 v118, v37
	v_pk_add_f32 v[134:135], v[118:119], v[116:117] neg_lo:[0,1] neg_hi:[0,1]
	v_mov_b32_e32 v115, v134
	v_pk_add_f32 v[144:145], v[130:131], v[114:115] neg_lo:[0,1] neg_hi:[0,1]
	v_mov_b32_e32 v36, v131
	v_mov_b32_e32 v130, v117
	;; [unrolled: 1-line block ×4, first 2 shown]
	v_pk_add_f32 v[36:37], v[36:37], v[130:131] neg_lo:[0,1] neg_hi:[0,1]
	v_mov_b32_e32 v128, v129
	v_mov_b32_e32 v129, v116
	v_pk_add_f32 v[36:37], v[128:129], v[36:37] neg_lo:[0,1] neg_hi:[0,1]
	v_mov_b32_e32 v144, v132
	v_pk_add_f32 v[116:117], v[144:145], v[36:37]
	v_mov_b32_e32 v128, v117
	v_pk_add_f32 v[128:129], v[116:117], v[128:129]
	v_pk_add_f32 v[118:119], v[118:119], v[128:129]
	v_mov_b32_e32 v117, v118
	v_pk_add_f32 v[130:131], v[116:117], v[132:133] neg_lo:[0,1] neg_hi:[0,1]
	v_mov_b32_e32 v37, v128
	v_sub_f32_e32 v115, v116, v130
	v_pk_add_f32 v[36:37], v[36:37], v[130:131] neg_lo:[0,1] neg_hi:[0,1]
	v_sub_f32_e32 v115, v132, v115
	s_mov_b32 s70, 0x7f800000
	v_add_f32_e32 v36, v36, v115
	s_mov_b32 s69, 0x33800000
	v_add_f32_e32 v36, v36, v37
	v_cmp_eq_f32_e32 vcc, s70, v146
	v_cmp_lt_f32_e64 s[70:71], |v146|, s69
	v_add_f32_e32 v36, v118, v36
	s_or_b64 vcc, vcc, s[70:71]
	v_cndmask_b32_e32 v36, v36, v146, vcc
	v_add_f32_e32 v35, v35, v36
	v_cvt_f16_f32_e32 v36, v35
.LBB421_145:
	s_or_b64 exec, exec, s[62:63]
	v_and_b32_e32 v35, 0xffff, v36
	v_mov_b32_e32 v133, v36
.LBB421_146:
	s_or_b64 exec, exec, s[66:67]
	v_cmp_gt_u32_e32 vcc, 56, v101
	s_waitcnt lgkmcnt(0)
	v_cndmask_b32_e64 v36, 0, 1, vcc
	v_lshlrev_b32_e32 v36, 3, v36
	v_add_lshl_u32 v115, v36, v31, 2
	ds_bpermute_b32 v36, v115, v35
	v_add_u32_e32 v116, 8, v101
	v_cmp_le_u32_e32 vcc, v116, v34
	s_and_saveexec_b64 s[66:67], vcc
	s_cbranch_execz .LBB421_150
; %bb.147:
	s_waitcnt lgkmcnt(0)
	v_cvt_f32_f16_e32 v35, v36
	v_cvt_f32_f16_e32 v117, v133
	v_cmp_u_f16_e32 vcc, v36, v36
	v_cmp_u_f16_e64 s[62:63], v133, v133
	v_min_f32_e32 v37, v35, v117
	v_max_f32_e32 v118, v35, v117
	v_cndmask_b32_e32 v37, v37, v35, vcc
	v_cndmask_b32_e32 v35, v118, v35, vcc
	v_cndmask_b32_e64 v37, v37, v117, s[62:63]
	v_cndmask_b32_e64 v35, v35, v117, s[62:63]
	s_movk_i32 s62, 0x1f8
	v_cmp_neq_f32_e32 vcc, v37, v35
	v_cmp_class_f32_e64 s[62:63], v37, s62
	s_or_b64 vcc, vcc, s[62:63]
	s_and_saveexec_b64 s[62:63], vcc
	s_cbranch_execz .LBB421_149
; %bb.148:
	v_sub_f32_e32 v36, v37, v35
	s_mov_b32 s69, 0x3fb8aa3b
	v_mul_f32_e32 v37, 0x3fb8aa3b, v36
	v_fma_f32 v117, v36, s69, -v37
	v_rndne_f32_e32 v118, v37
	v_fmac_f32_e32 v117, 0x32a5705f, v36
	v_sub_f32_e32 v37, v37, v118
	v_add_f32_e32 v37, v37, v117
	v_exp_f32_e32 v37, v37
	v_cvt_i32_f32_e32 v117, v118
	s_mov_b32 s69, 0xc2ce8ed0
	v_cmp_ngt_f32_e32 vcc, s69, v36
	s_mov_b32 s69, 0x42b17218
	v_ldexp_f32 v37, v37, v117
	v_cndmask_b32_e32 v37, 0, v37, vcc
	v_mov_b32_e32 v117, 0x7f800000
	v_cmp_nlt_f32_e32 vcc, s69, v36
	v_cndmask_b32_e32 v148, v117, v37, vcc
	v_add_f32_e32 v117, 1.0, v148
	v_add_f32_e32 v36, -1.0, v117
	v_sub_f32_e32 v37, v36, v117
	v_add_f32_e32 v37, 1.0, v37
	v_sub_f32_e32 v36, v148, v36
	v_add_f32_e32 v118, v36, v37
	v_frexp_mant_f32_e32 v119, v117
	s_mov_b32 s69, 0x3f2aaaab
	v_cvt_f64_f32_e32 v[36:37], v117
	v_frexp_exp_i32_f64_e32 v36, v[36:37]
	v_cmp_gt_f32_e32 vcc, s69, v119
	v_subbrev_co_u32_e32 v132, vcc, 0, v36, vcc
	v_sub_u32_e32 v36, 0, v132
	v_ldexp_f32 v37, v117, v36
	v_add_f32_e32 v117, -1.0, v37
	v_add_f32_e32 v119, 1.0, v37
	v_ldexp_f32 v36, v118, v36
	v_add_f32_e32 v118, 1.0, v117
	v_add_f32_e32 v128, -1.0, v119
	v_sub_f32_e32 v118, v37, v118
	v_sub_f32_e32 v37, v37, v128
	v_add_f32_e32 v118, v36, v118
	v_add_f32_e32 v36, v36, v37
	;; [unrolled: 1-line block ×3, first 2 shown]
	v_rcp_f32_e32 v135, v133
	v_sub_f32_e32 v37, v119, v133
	v_add_f32_e32 v134, v36, v37
	v_add_f32_e32 v37, v117, v118
	v_sub_f32_e32 v36, v117, v37
	v_mul_f32_e32 v144, v37, v135
	v_add_f32_e32 v117, v118, v36
	v_mul_f32_e32 v118, v133, v144
	v_fma_f32 v128, v144, v133, -v118
	v_fmac_f32_e32 v128, v144, v134
	v_add_f32_e32 v36, v118, v128
	v_sub_f32_e32 v119, v37, v36
	v_pk_add_f32 v[130:131], v[36:37], v[118:119] neg_lo:[0,1] neg_hi:[0,1]
	v_mov_b32_e32 v129, v36
	v_pk_add_f32 v[36:37], v[130:131], v[128:129] neg_lo:[0,1] neg_hi:[0,1]
	v_add_f32_e32 v37, v117, v37
	v_add_f32_e32 v36, v36, v37
	;; [unrolled: 1-line block ×3, first 2 shown]
	v_mul_f32_e32 v117, v135, v37
	v_mul_f32_e32 v118, v133, v117
	v_fma_f32 v128, v117, v133, -v118
	v_fmac_f32_e32 v128, v117, v134
	v_sub_f32_e32 v119, v119, v37
	v_add_f32_e32 v133, v36, v119
	v_add_f32_e32 v36, v118, v128
	v_sub_f32_e32 v119, v37, v36
	v_pk_add_f32 v[130:131], v[36:37], v[118:119] neg_lo:[0,1] neg_hi:[0,1]
	v_mov_b32_e32 v129, v36
	v_pk_add_f32 v[36:37], v[130:131], v[128:129] neg_lo:[0,1] neg_hi:[0,1]
	v_add_f32_e32 v37, v133, v37
	v_add_f32_e32 v36, v36, v37
	;; [unrolled: 1-line block ×4, first 2 shown]
	v_sub_f32_e32 v37, v119, v144
	v_mul_f32_e32 v36, v135, v36
	v_sub_f32_e32 v37, v117, v37
	v_add_f32_e32 v36, v37, v36
	v_add_f32_e32 v117, v119, v36
	v_mul_f32_e32 v128, v117, v117
	v_mov_b32_e32 v118, 0x3ecc95a3
	v_fmac_f32_e32 v118, 0x3e9b6dac, v128
	v_mov_b32_e32 v37, 0x3f2aaada
	v_fmac_f32_e32 v37, v128, v118
	v_cvt_f32_i32_e32 v118, v132
	v_sub_f32_e32 v119, v117, v119
	v_sub_f32_e32 v36, v36, v119
	v_ldexp_f32 v130, v36, 1
	v_mul_f32_e32 v119, v117, v128
	v_mov_b32_e32 v36, 0x3f317218
	s_mov_b32 s69, 0x3f317218
	v_pk_mul_f32 v[36:37], v[118:119], v[36:37]
	v_fma_f32 v128, v118, s69, -v36
	v_ldexp_f32 v129, v117, 1
	v_fmac_f32_e32 v128, 0xb102e308, v118
	v_pk_add_f32 v[118:119], v[36:37], v[128:129]
	v_sub_f32_e32 v117, v119, v129
	v_sub_f32_e32 v117, v37, v117
	v_add_f32_e32 v131, v130, v117
	v_mov_b32_e32 v130, v36
	v_pk_add_f32 v[36:37], v[118:119], v[36:37] neg_lo:[0,1] neg_hi:[0,1]
	v_pk_add_f32 v[132:133], v[118:119], v[130:131]
	v_mov_b32_e32 v37, v133
	v_mov_b32_e32 v129, v118
	v_pk_add_f32 v[134:135], v[128:129], v[36:37] neg_lo:[0,1] neg_hi:[0,1]
	v_pk_add_f32 v[36:37], v[128:129], v[36:37]
	v_mov_b32_e32 v128, v37
	v_pk_add_f32 v[144:145], v[128:129], v[118:119] neg_lo:[0,1] neg_hi:[0,1]
	v_mov_b32_e32 v117, v144
	v_pk_add_f32 v[146:147], v[132:133], v[116:117] neg_lo:[0,1] neg_hi:[0,1]
	v_mov_b32_e32 v36, v133
	v_mov_b32_e32 v132, v119
	;; [unrolled: 1-line block ×4, first 2 shown]
	v_pk_add_f32 v[36:37], v[36:37], v[132:133] neg_lo:[0,1] neg_hi:[0,1]
	v_mov_b32_e32 v130, v131
	v_mov_b32_e32 v131, v118
	v_pk_add_f32 v[36:37], v[130:131], v[36:37] neg_lo:[0,1] neg_hi:[0,1]
	v_mov_b32_e32 v146, v134
	v_pk_add_f32 v[118:119], v[146:147], v[36:37]
	v_mov_b32_e32 v130, v119
	v_pk_add_f32 v[130:131], v[118:119], v[130:131]
	v_pk_add_f32 v[128:129], v[128:129], v[130:131]
	v_mov_b32_e32 v119, v128
	v_pk_add_f32 v[132:133], v[118:119], v[134:135] neg_lo:[0,1] neg_hi:[0,1]
	v_mov_b32_e32 v37, v130
	v_sub_f32_e32 v117, v118, v132
	v_pk_add_f32 v[36:37], v[36:37], v[132:133] neg_lo:[0,1] neg_hi:[0,1]
	v_sub_f32_e32 v117, v134, v117
	s_mov_b32 s70, 0x7f800000
	v_add_f32_e32 v36, v36, v117
	s_mov_b32 s69, 0x33800000
	v_add_f32_e32 v36, v36, v37
	v_cmp_eq_f32_e32 vcc, s70, v148
	v_cmp_lt_f32_e64 s[70:71], |v148|, s69
	v_add_f32_e32 v36, v128, v36
	s_or_b64 vcc, vcc, s[70:71]
	v_cndmask_b32_e32 v36, v36, v148, vcc
	v_add_f32_e32 v35, v35, v36
	v_cvt_f16_f32_e32 v36, v35
.LBB421_149:
	s_or_b64 exec, exec, s[62:63]
	v_and_b32_e32 v35, 0xffff, v36
	v_mov_b32_e32 v133, v36
.LBB421_150:
	s_or_b64 exec, exec, s[66:67]
	v_cmp_gt_u32_e32 vcc, 48, v101
	s_waitcnt lgkmcnt(0)
	v_cndmask_b32_e64 v36, 0, 1, vcc
	v_lshlrev_b32_e32 v36, 4, v36
	v_add_lshl_u32 v117, v36, v31, 2
	ds_bpermute_b32 v36, v117, v35
	v_add_u32_e32 v118, 16, v101
	v_cmp_le_u32_e32 vcc, v118, v34
	s_and_saveexec_b64 s[66:67], vcc
	s_cbranch_execz .LBB421_154
; %bb.151:
	s_waitcnt lgkmcnt(0)
	v_cvt_f32_f16_e32 v35, v36
	v_cvt_f32_f16_e32 v119, v133
	v_cmp_u_f16_e32 vcc, v36, v36
	v_cmp_u_f16_e64 s[62:63], v133, v133
	v_min_f32_e32 v37, v35, v119
	v_max_f32_e32 v128, v35, v119
	v_cndmask_b32_e32 v37, v37, v35, vcc
	v_cndmask_b32_e32 v35, v128, v35, vcc
	v_cndmask_b32_e64 v37, v37, v119, s[62:63]
	v_cndmask_b32_e64 v35, v35, v119, s[62:63]
	s_movk_i32 s62, 0x1f8
	v_cmp_neq_f32_e32 vcc, v37, v35
	v_cmp_class_f32_e64 s[62:63], v37, s62
	s_or_b64 vcc, vcc, s[62:63]
	s_and_saveexec_b64 s[62:63], vcc
	s_cbranch_execz .LBB421_153
; %bb.152:
	v_sub_f32_e32 v36, v37, v35
	s_mov_b32 s69, 0x3fb8aa3b
	v_mul_f32_e32 v37, 0x3fb8aa3b, v36
	v_fma_f32 v119, v36, s69, -v37
	v_rndne_f32_e32 v128, v37
	v_fmac_f32_e32 v119, 0x32a5705f, v36
	v_sub_f32_e32 v37, v37, v128
	v_add_f32_e32 v37, v37, v119
	v_exp_f32_e32 v37, v37
	v_cvt_i32_f32_e32 v119, v128
	s_mov_b32 s69, 0xc2ce8ed0
	v_cmp_ngt_f32_e32 vcc, s69, v36
	s_mov_b32 s69, 0x42b17218
	v_ldexp_f32 v37, v37, v119
	v_cndmask_b32_e32 v37, 0, v37, vcc
	v_mov_b32_e32 v119, 0x7f800000
	v_cmp_nlt_f32_e32 vcc, s69, v36
	v_cndmask_b32_e32 v150, v119, v37, vcc
	v_add_f32_e32 v119, 1.0, v150
	v_add_f32_e32 v36, -1.0, v119
	v_sub_f32_e32 v37, v36, v119
	v_add_f32_e32 v37, 1.0, v37
	v_sub_f32_e32 v36, v150, v36
	v_add_f32_e32 v128, v36, v37
	v_frexp_mant_f32_e32 v129, v119
	s_mov_b32 s69, 0x3f2aaaab
	v_cvt_f64_f32_e32 v[36:37], v119
	v_frexp_exp_i32_f64_e32 v36, v[36:37]
	v_cmp_gt_f32_e32 vcc, s69, v129
	v_subbrev_co_u32_e32 v134, vcc, 0, v36, vcc
	v_sub_u32_e32 v36, 0, v134
	v_ldexp_f32 v37, v119, v36
	v_add_f32_e32 v119, -1.0, v37
	v_add_f32_e32 v129, 1.0, v37
	v_ldexp_f32 v36, v128, v36
	v_add_f32_e32 v128, 1.0, v119
	v_add_f32_e32 v130, -1.0, v129
	v_sub_f32_e32 v128, v37, v128
	v_sub_f32_e32 v37, v37, v130
	v_add_f32_e32 v128, v36, v128
	v_add_f32_e32 v36, v36, v37
	;; [unrolled: 1-line block ×3, first 2 shown]
	v_rcp_f32_e32 v145, v135
	v_sub_f32_e32 v37, v129, v135
	v_add_f32_e32 v144, v36, v37
	v_add_f32_e32 v37, v119, v128
	v_sub_f32_e32 v36, v119, v37
	v_mul_f32_e32 v146, v37, v145
	v_add_f32_e32 v119, v128, v36
	v_mul_f32_e32 v128, v135, v146
	v_fma_f32 v130, v146, v135, -v128
	v_fmac_f32_e32 v130, v146, v144
	v_add_f32_e32 v36, v128, v130
	v_sub_f32_e32 v129, v37, v36
	v_pk_add_f32 v[132:133], v[36:37], v[128:129] neg_lo:[0,1] neg_hi:[0,1]
	v_mov_b32_e32 v131, v36
	v_pk_add_f32 v[36:37], v[132:133], v[130:131] neg_lo:[0,1] neg_hi:[0,1]
	v_add_f32_e32 v37, v119, v37
	v_add_f32_e32 v36, v36, v37
	;; [unrolled: 1-line block ×3, first 2 shown]
	v_mul_f32_e32 v119, v145, v37
	v_mul_f32_e32 v128, v135, v119
	v_fma_f32 v130, v119, v135, -v128
	v_fmac_f32_e32 v130, v119, v144
	v_sub_f32_e32 v129, v129, v37
	v_add_f32_e32 v135, v36, v129
	v_add_f32_e32 v36, v128, v130
	v_sub_f32_e32 v129, v37, v36
	v_pk_add_f32 v[132:133], v[36:37], v[128:129] neg_lo:[0,1] neg_hi:[0,1]
	v_mov_b32_e32 v131, v36
	v_pk_add_f32 v[36:37], v[132:133], v[130:131] neg_lo:[0,1] neg_hi:[0,1]
	v_add_f32_e32 v37, v135, v37
	v_add_f32_e32 v36, v36, v37
	v_add_f32_e32 v36, v129, v36
	v_add_f32_e32 v129, v146, v119
	v_sub_f32_e32 v37, v129, v146
	v_mul_f32_e32 v36, v145, v36
	v_sub_f32_e32 v37, v119, v37
	v_add_f32_e32 v36, v37, v36
	v_add_f32_e32 v119, v129, v36
	v_mul_f32_e32 v130, v119, v119
	v_mov_b32_e32 v128, 0x3ecc95a3
	v_fmac_f32_e32 v128, 0x3e9b6dac, v130
	v_mov_b32_e32 v37, 0x3f2aaada
	v_fmac_f32_e32 v37, v130, v128
	v_cvt_f32_i32_e32 v128, v134
	v_sub_f32_e32 v129, v119, v129
	v_sub_f32_e32 v36, v36, v129
	v_ldexp_f32 v132, v36, 1
	v_mul_f32_e32 v129, v119, v130
	v_mov_b32_e32 v36, 0x3f317218
	s_mov_b32 s69, 0x3f317218
	v_pk_mul_f32 v[36:37], v[128:129], v[36:37]
	v_fma_f32 v130, v128, s69, -v36
	v_ldexp_f32 v131, v119, 1
	v_fmac_f32_e32 v130, 0xb102e308, v128
	v_pk_add_f32 v[128:129], v[36:37], v[130:131]
	v_sub_f32_e32 v119, v129, v131
	v_sub_f32_e32 v119, v37, v119
	v_add_f32_e32 v133, v132, v119
	v_mov_b32_e32 v132, v36
	v_pk_add_f32 v[36:37], v[128:129], v[36:37] neg_lo:[0,1] neg_hi:[0,1]
	v_pk_add_f32 v[134:135], v[128:129], v[132:133]
	v_mov_b32_e32 v37, v135
	v_mov_b32_e32 v131, v128
	v_pk_add_f32 v[144:145], v[130:131], v[36:37] neg_lo:[0,1] neg_hi:[0,1]
	v_pk_add_f32 v[36:37], v[130:131], v[36:37]
	v_mov_b32_e32 v130, v37
	v_pk_add_f32 v[146:147], v[130:131], v[128:129] neg_lo:[0,1] neg_hi:[0,1]
	v_mov_b32_e32 v119, v146
	v_pk_add_f32 v[148:149], v[134:135], v[118:119] neg_lo:[0,1] neg_hi:[0,1]
	v_mov_b32_e32 v36, v135
	v_mov_b32_e32 v134, v129
	;; [unrolled: 1-line block ×4, first 2 shown]
	v_pk_add_f32 v[36:37], v[36:37], v[134:135] neg_lo:[0,1] neg_hi:[0,1]
	v_mov_b32_e32 v132, v133
	v_mov_b32_e32 v133, v128
	v_pk_add_f32 v[36:37], v[132:133], v[36:37] neg_lo:[0,1] neg_hi:[0,1]
	v_mov_b32_e32 v148, v144
	v_pk_add_f32 v[128:129], v[148:149], v[36:37]
	v_mov_b32_e32 v132, v129
	v_pk_add_f32 v[132:133], v[128:129], v[132:133]
	v_pk_add_f32 v[130:131], v[130:131], v[132:133]
	v_mov_b32_e32 v129, v130
	v_pk_add_f32 v[134:135], v[128:129], v[144:145] neg_lo:[0,1] neg_hi:[0,1]
	v_mov_b32_e32 v37, v132
	v_sub_f32_e32 v119, v128, v134
	v_pk_add_f32 v[36:37], v[36:37], v[134:135] neg_lo:[0,1] neg_hi:[0,1]
	v_sub_f32_e32 v119, v144, v119
	s_mov_b32 s70, 0x7f800000
	v_add_f32_e32 v36, v36, v119
	s_mov_b32 s69, 0x33800000
	v_add_f32_e32 v36, v36, v37
	v_cmp_eq_f32_e32 vcc, s70, v150
	v_cmp_lt_f32_e64 s[70:71], |v150|, s69
	v_add_f32_e32 v36, v130, v36
	s_or_b64 vcc, vcc, s[70:71]
	v_cndmask_b32_e32 v36, v36, v150, vcc
	v_add_f32_e32 v35, v35, v36
	v_cvt_f16_f32_e32 v36, v35
.LBB421_153:
	s_or_b64 exec, exec, s[62:63]
	v_and_b32_e32 v35, 0xffff, v36
	v_mov_b32_e32 v133, v36
.LBB421_154:
	s_or_b64 exec, exec, s[66:67]
	v_cmp_gt_u32_e32 vcc, 32, v101
	s_waitcnt lgkmcnt(0)
	v_cndmask_b32_e64 v36, 0, 1, vcc
	v_lshlrev_b32_e32 v36, 5, v36
	v_add_lshl_u32 v119, v36, v31, 2
	ds_bpermute_b32 v35, v119, v35
	v_add_u32_e32 v128, 32, v101
	v_cmp_le_u32_e32 vcc, v128, v34
	s_and_saveexec_b64 s[66:67], vcc
	s_cbranch_execz .LBB421_158
; %bb.155:
	s_waitcnt lgkmcnt(0)
	v_cvt_f32_f16_e32 v31, v35
	v_cvt_f32_f16_e32 v36, v133
	v_cmp_u_f16_e32 vcc, v35, v35
	v_cmp_u_f16_e64 s[62:63], v133, v133
	v_min_f32_e32 v34, v31, v36
	v_max_f32_e32 v37, v31, v36
	v_cndmask_b32_e32 v34, v34, v31, vcc
	v_cndmask_b32_e32 v31, v37, v31, vcc
	v_cndmask_b32_e64 v34, v34, v36, s[62:63]
	v_cndmask_b32_e64 v31, v31, v36, s[62:63]
	s_movk_i32 s62, 0x1f8
	v_cmp_neq_f32_e32 vcc, v34, v31
	v_cmp_class_f32_e64 s[62:63], v34, s62
	s_or_b64 vcc, vcc, s[62:63]
	s_and_saveexec_b64 s[62:63], vcc
	s_cbranch_execz .LBB421_157
; %bb.156:
	v_sub_f32_e32 v34, v34, v31
	s_mov_b32 s69, 0x3fb8aa3b
	v_mul_f32_e32 v35, 0x3fb8aa3b, v34
	v_fma_f32 v36, v34, s69, -v35
	v_rndne_f32_e32 v37, v35
	v_fmac_f32_e32 v36, 0x32a5705f, v34
	v_sub_f32_e32 v35, v35, v37
	v_add_f32_e32 v35, v35, v36
	v_exp_f32_e32 v35, v35
	v_cvt_i32_f32_e32 v36, v37
	s_mov_b32 s69, 0xc2ce8ed0
	v_cmp_ngt_f32_e32 vcc, s69, v34
	s_mov_b32 s69, 0x42b17218
	v_ldexp_f32 v35, v35, v36
	v_cndmask_b32_e32 v35, 0, v35, vcc
	v_mov_b32_e32 v36, 0x7f800000
	v_cmp_nlt_f32_e32 vcc, s69, v34
	v_cndmask_b32_e32 v150, v36, v35, vcc
	v_add_f32_e32 v36, 1.0, v150
	v_add_f32_e32 v34, -1.0, v36
	v_sub_f32_e32 v35, v34, v36
	v_add_f32_e32 v35, 1.0, v35
	v_sub_f32_e32 v34, v150, v34
	v_add_f32_e32 v37, v34, v35
	v_frexp_mant_f32_e32 v129, v36
	s_mov_b32 s69, 0x3f2aaaab
	v_cvt_f64_f32_e32 v[34:35], v36
	v_frexp_exp_i32_f64_e32 v34, v[34:35]
	v_cmp_gt_f32_e32 vcc, s69, v129
	v_subbrev_co_u32_e32 v129, vcc, 0, v34, vcc
	v_sub_u32_e32 v34, 0, v129
	v_ldexp_f32 v35, v36, v34
	v_add_f32_e32 v36, -1.0, v35
	v_add_f32_e32 v130, 1.0, v35
	v_ldexp_f32 v34, v37, v34
	v_add_f32_e32 v37, 1.0, v36
	v_add_f32_e32 v131, -1.0, v130
	v_sub_f32_e32 v37, v35, v37
	v_sub_f32_e32 v35, v35, v131
	v_add_f32_e32 v37, v34, v37
	v_add_f32_e32 v34, v34, v35
	;; [unrolled: 1-line block ×3, first 2 shown]
	v_rcp_f32_e32 v144, v134
	v_sub_f32_e32 v35, v130, v134
	v_add_f32_e32 v135, v34, v35
	v_add_f32_e32 v35, v36, v37
	v_mul_f32_e32 v146, v35, v144
	v_sub_f32_e32 v34, v36, v35
	v_mul_f32_e32 v36, v134, v146
	v_fma_f32 v130, v146, v134, -v36
	v_fmac_f32_e32 v130, v146, v135
	v_add_f32_e32 v145, v37, v34
	v_add_f32_e32 v34, v36, v130
	v_sub_f32_e32 v37, v35, v34
	v_pk_add_f32 v[132:133], v[34:35], v[36:37] neg_lo:[0,1] neg_hi:[0,1]
	v_mov_b32_e32 v131, v34
	v_pk_add_f32 v[34:35], v[132:133], v[130:131] neg_lo:[0,1] neg_hi:[0,1]
	v_add_f32_e32 v35, v145, v35
	v_add_f32_e32 v34, v34, v35
	;; [unrolled: 1-line block ×3, first 2 shown]
	v_mul_f32_e32 v145, v144, v35
	v_mul_f32_e32 v36, v134, v145
	v_fma_f32 v130, v145, v134, -v36
	v_fmac_f32_e32 v130, v145, v135
	v_sub_f32_e32 v37, v37, v35
	v_add_f32_e32 v134, v34, v37
	v_add_f32_e32 v34, v36, v130
	v_sub_f32_e32 v37, v35, v34
	v_pk_add_f32 v[132:133], v[34:35], v[36:37] neg_lo:[0,1] neg_hi:[0,1]
	v_mov_b32_e32 v131, v34
	v_pk_add_f32 v[34:35], v[132:133], v[130:131] neg_lo:[0,1] neg_hi:[0,1]
	v_add_f32_e32 v35, v134, v35
	v_add_f32_e32 v34, v34, v35
	;; [unrolled: 1-line block ×4, first 2 shown]
	v_sub_f32_e32 v35, v37, v146
	v_mul_f32_e32 v34, v144, v34
	v_sub_f32_e32 v35, v145, v35
	v_add_f32_e32 v34, v35, v34
	v_add_f32_e32 v130, v37, v34
	v_mul_f32_e32 v132, v130, v130
	v_mov_b32_e32 v36, 0x3ecc95a3
	v_fmac_f32_e32 v36, 0x3e9b6dac, v132
	v_mov_b32_e32 v35, 0x3f2aaada
	v_fmac_f32_e32 v35, v132, v36
	v_cvt_f32_i32_e32 v36, v129
	v_sub_f32_e32 v37, v130, v37
	v_sub_f32_e32 v34, v34, v37
	v_ldexp_f32 v129, v34, 1
	v_mul_f32_e32 v37, v130, v132
	v_mov_b32_e32 v34, 0x3f317218
	s_mov_b32 s69, 0x3f317218
	v_pk_mul_f32 v[34:35], v[36:37], v[34:35]
	v_ldexp_f32 v131, v130, 1
	v_fma_f32 v130, v36, s69, -v34
	v_fmac_f32_e32 v130, 0xb102e308, v36
	v_pk_add_f32 v[36:37], v[34:35], v[130:131]
	v_sub_f32_e32 v131, v37, v131
	v_sub_f32_e32 v131, v35, v131
	v_add_f32_e32 v133, v129, v131
	v_mov_b32_e32 v132, v34
	v_pk_add_f32 v[34:35], v[36:37], v[34:35] neg_lo:[0,1] neg_hi:[0,1]
	v_pk_add_f32 v[134:135], v[36:37], v[132:133]
	v_mov_b32_e32 v35, v135
	v_mov_b32_e32 v131, v36
	v_pk_add_f32 v[144:145], v[130:131], v[34:35] neg_lo:[0,1] neg_hi:[0,1]
	v_pk_add_f32 v[34:35], v[130:131], v[34:35]
	v_mov_b32_e32 v130, v35
	v_pk_add_f32 v[146:147], v[130:131], v[36:37] neg_lo:[0,1] neg_hi:[0,1]
	v_mov_b32_e32 v129, v146
	v_pk_add_f32 v[148:149], v[134:135], v[128:129] neg_lo:[0,1] neg_hi:[0,1]
	v_mov_b32_e32 v34, v135
	v_mov_b32_e32 v134, v37
	;; [unrolled: 1-line block ×4, first 2 shown]
	v_pk_add_f32 v[34:35], v[34:35], v[134:135] neg_lo:[0,1] neg_hi:[0,1]
	v_mov_b32_e32 v132, v133
	v_mov_b32_e32 v133, v36
	v_pk_add_f32 v[34:35], v[132:133], v[34:35] neg_lo:[0,1] neg_hi:[0,1]
	v_mov_b32_e32 v148, v144
	v_pk_add_f32 v[36:37], v[148:149], v[34:35]
	v_mov_b32_e32 v132, v37
	v_pk_add_f32 v[132:133], v[36:37], v[132:133]
	v_pk_add_f32 v[130:131], v[130:131], v[132:133]
	v_mov_b32_e32 v37, v130
	v_pk_add_f32 v[134:135], v[36:37], v[144:145] neg_lo:[0,1] neg_hi:[0,1]
	v_mov_b32_e32 v35, v132
	v_sub_f32_e32 v36, v36, v134
	v_pk_add_f32 v[34:35], v[34:35], v[134:135] neg_lo:[0,1] neg_hi:[0,1]
	v_sub_f32_e32 v36, v144, v36
	s_mov_b32 s70, 0x7f800000
	v_add_f32_e32 v34, v34, v36
	s_mov_b32 s69, 0x33800000
	v_add_f32_e32 v34, v34, v35
	v_cmp_eq_f32_e32 vcc, s70, v150
	v_cmp_lt_f32_e64 s[70:71], |v150|, s69
	v_add_f32_e32 v34, v130, v34
	s_or_b64 vcc, vcc, s[70:71]
	v_cndmask_b32_e32 v34, v34, v150, vcc
	v_add_f32_e32 v31, v31, v34
	v_cvt_f16_f32_e32 v35, v31
.LBB421_157:
	s_or_b64 exec, exec, s[62:63]
	v_mov_b32_e32 v133, v35
.LBB421_158:
	s_or_b64 exec, exec, s[66:67]
	v_mov_b32_e32 v31, 0
	s_movk_i32 s69, 0x1f8
	s_mov_b32 s70, 0x3fb8aa3b
	s_mov_b32 s71, 0xc2ce8ed0
	;; [unrolled: 1-line block ×5, first 2 shown]
	v_mov_b32_e32 v130, 0x3f2aaada
	s_mov_b32 s75, 0x3f317218
	s_mov_b32 s76, 0x33800000
	v_mov_b32_e32 v131, 2
	v_mov_b32_e32 v132, 0x7f800000
	;; [unrolled: 1-line block ×3, first 2 shown]
	s_branch .LBB421_160
.LBB421_159:                            ;   in Loop: Header=BB421_160 Depth=1
	s_or_b64 exec, exec, s[62:63]
	v_subrev_u32_e32 v30, 64, v30
.LBB421_160:                            ; =>This Loop Header: Depth=1
                                        ;     Child Loop BB421_163 Depth 2
	v_cmp_ne_u16_sdwa vcc, v100, v131 src0_sel:BYTE_0 src1_sel:DWORD
	s_waitcnt lgkmcnt(0)
	v_cndmask_b32_e64 v35, 0, 1, vcc
	;;#ASMSTART
	;;#ASMEND
	v_cmp_ne_u32_e32 vcc, 0, v35
	s_cmp_lg_u64 vcc, exec
	v_mov_b32_e32 v129, v133
	s_cbranch_scc1 .LBB421_191
; %bb.161:                              ;   in Loop: Header=BB421_160 Depth=1
	v_lshlrev_b64 v[36:37], 2, v[30:31]
	v_add_co_u32_e32 v36, vcc, v24, v36
	v_addc_co_u32_e32 v37, vcc, v25, v37, vcc
	flat_load_dword v133, v[36:37] glc
	s_waitcnt vmcnt(0) lgkmcnt(0)
	v_lshrrev_b32_e32 v100, 16, v133
	v_cmp_eq_u16_sdwa s[62:63], v100, v31 src0_sel:BYTE_0 src1_sel:DWORD
	s_and_saveexec_b64 vcc, s[62:63]
	s_cbranch_execz .LBB421_165
; %bb.162:                              ;   in Loop: Header=BB421_160 Depth=1
	s_mov_b64 s[62:63], 0
.LBB421_163:                            ;   Parent Loop BB421_160 Depth=1
                                        ; =>  This Inner Loop Header: Depth=2
	flat_load_dword v133, v[36:37] glc
	s_waitcnt vmcnt(0) lgkmcnt(0)
	v_lshrrev_b32_e32 v100, 16, v133
	v_cmp_ne_u16_sdwa s[66:67], v100, v31 src0_sel:BYTE_0 src1_sel:DWORD
	s_or_b64 s[62:63], s[66:67], s[62:63]
	s_andn2_b64 exec, exec, s[62:63]
	s_cbranch_execnz .LBB421_163
; %bb.164:                              ;   in Loop: Header=BB421_160 Depth=1
	s_or_b64 exec, exec, s[62:63]
.LBB421_165:                            ;   in Loop: Header=BB421_160 Depth=1
	s_or_b64 exec, exec, vcc
	v_cmp_eq_u16_sdwa vcc, v100, v131 src0_sel:BYTE_0 src1_sel:DWORD
	v_and_b32_e32 v35, vcc_hi, v33
	v_or_b32_e32 v35, 0x80000000, v35
	v_ffbl_b32_e32 v37, v35
	v_and_b32_e32 v35, 0xffff, v133
	ds_bpermute_b32 v134, v102, v35
	v_and_b32_e32 v36, vcc_lo, v32
	v_add_u32_e32 v37, 32, v37
	v_ffbl_b32_e32 v36, v36
	v_min_u32_e32 v36, v36, v37
	v_cmp_lt_u32_e32 vcc, v101, v36
	s_and_saveexec_b64 s[66:67], vcc
	s_cbranch_execz .LBB421_169
; %bb.166:                              ;   in Loop: Header=BB421_160 Depth=1
	s_waitcnt lgkmcnt(0)
	v_cvt_f32_f16_e32 v37, v134
	v_cvt_f32_f16_e32 v135, v133
	v_cmp_u_f16_e32 vcc, v134, v134
	v_cmp_u_f16_e64 s[62:63], v133, v133
	v_min_f32_e32 v35, v37, v135
	v_max_f32_e32 v133, v37, v135
	v_cndmask_b32_e32 v35, v35, v37, vcc
	v_cndmask_b32_e32 v37, v133, v37, vcc
	v_cndmask_b32_e64 v35, v35, v135, s[62:63]
	v_cndmask_b32_e64 v37, v37, v135, s[62:63]
	v_cmp_neq_f32_e32 vcc, v35, v37
	v_cmp_class_f32_e64 s[62:63], v35, s69
	s_or_b64 vcc, vcc, s[62:63]
	s_and_saveexec_b64 s[62:63], vcc
	s_cbranch_execz .LBB421_168
; %bb.167:                              ;   in Loop: Header=BB421_160 Depth=1
	v_sub_f32_e32 v35, v35, v37
	v_mul_f32_e32 v133, 0x3fb8aa3b, v35
	v_fma_f32 v134, v35, s70, -v133
	v_rndne_f32_e32 v135, v133
	v_fmac_f32_e32 v134, 0x32a5705f, v35
	v_sub_f32_e32 v133, v133, v135
	v_add_f32_e32 v133, v133, v134
	v_cvt_i32_f32_e32 v134, v135
	v_exp_f32_e32 v133, v133
	v_cmp_ngt_f32_e32 vcc, s71, v35
	v_ldexp_f32 v133, v133, v134
	v_cndmask_b32_e32 v133, 0, v133, vcc
	v_cmp_nlt_f32_e32 vcc, s72, v35
	v_cndmask_b32_e32 v133, v132, v133, vcc
	v_add_f32_e32 v35, 1.0, v133
	v_add_f32_e32 v134, -1.0, v35
	v_sub_f32_e32 v135, v134, v35
	v_add_f32_e32 v135, 1.0, v135
	v_sub_f32_e32 v134, v133, v134
	v_add_f32_e32 v144, v134, v135
	v_frexp_mant_f32_e32 v145, v35
	v_cvt_f64_f32_e32 v[134:135], v35
	v_frexp_exp_i32_f64_e32 v134, v[134:135]
	v_cmp_gt_f32_e32 vcc, s74, v145
	v_subbrev_co_u32_e32 v150, vcc, 0, v134, vcc
	v_sub_u32_e32 v134, 0, v150
	v_ldexp_f32 v35, v35, v134
	v_ldexp_f32 v134, v144, v134
	v_add_f32_e32 v144, -1.0, v35
	v_add_f32_e32 v135, 1.0, v144
	v_sub_f32_e32 v135, v35, v135
	v_add_f32_e32 v145, v134, v135
	v_add_f32_e32 v135, 1.0, v35
	v_add_f32_e32 v146, -1.0, v135
	v_sub_f32_e32 v35, v35, v146
	v_add_f32_e32 v35, v134, v35
	v_add_f32_e32 v151, v135, v35
	v_rcp_f32_e32 v160, v151
	v_sub_f32_e32 v134, v135, v151
	v_add_f32_e32 v135, v144, v145
	v_add_f32_e32 v35, v35, v134
	v_mul_f32_e32 v162, v135, v160
	v_sub_f32_e32 v134, v144, v135
	v_mul_f32_e32 v144, v151, v162
	v_fma_f32 v146, v162, v151, -v144
	v_fmac_f32_e32 v146, v162, v35
	v_add_f32_e32 v161, v145, v134
	v_add_f32_e32 v134, v144, v146
	v_sub_f32_e32 v145, v135, v134
	v_pk_add_f32 v[148:149], v[134:135], v[144:145] neg_lo:[0,1] neg_hi:[0,1]
	v_mov_b32_e32 v147, v134
	v_pk_add_f32 v[134:135], v[148:149], v[146:147] neg_lo:[0,1] neg_hi:[0,1]
	v_add_f32_e32 v135, v161, v135
	v_add_f32_e32 v134, v134, v135
	;; [unrolled: 1-line block ×3, first 2 shown]
	v_mul_f32_e32 v161, v160, v135
	v_mul_f32_e32 v144, v151, v161
	v_fma_f32 v146, v161, v151, -v144
	v_fmac_f32_e32 v146, v161, v35
	v_sub_f32_e32 v35, v145, v135
	v_add_f32_e32 v35, v134, v35
	v_add_f32_e32 v134, v144, v146
	v_sub_f32_e32 v145, v135, v134
	v_pk_add_f32 v[148:149], v[134:135], v[144:145] neg_lo:[0,1] neg_hi:[0,1]
	v_mov_b32_e32 v147, v134
	v_pk_add_f32 v[134:135], v[148:149], v[146:147] neg_lo:[0,1] neg_hi:[0,1]
	v_add_f32_e32 v35, v35, v135
	v_add_f32_e32 v35, v134, v35
	;; [unrolled: 1-line block ×4, first 2 shown]
	v_sub_f32_e32 v134, v135, v162
	v_mul_f32_e32 v35, v160, v35
	v_sub_f32_e32 v134, v161, v134
	v_add_f32_e32 v144, v134, v35
	v_add_f32_e32 v146, v135, v144
	v_cvt_f32_i32_e32 v134, v150
	v_mul_f32_e32 v147, v146, v146
	v_mov_b32_e32 v35, 0x3ecc95a3
	v_sub_f32_e32 v135, v146, v135
	v_fmac_f32_e32 v35, 0x3e9b6dac, v147
	v_sub_f32_e32 v135, v144, v135
	v_fma_f32 v35, v147, v35, v130
	v_ldexp_f32 v148, v135, 1
	v_mul_f32_e32 v135, v146, v147
	v_ldexp_f32 v145, v146, 1
	v_pk_mul_f32 v[146:147], v[134:135], v[34:35]
	v_fma_f32 v144, v134, s75, -v146
	v_fmac_f32_e32 v144, 0xb102e308, v134
	v_pk_add_f32 v[134:135], v[146:147], v[144:145]
	v_sub_f32_e32 v35, v135, v145
	v_sub_f32_e32 v35, v147, v35
	v_add_f32_e32 v149, v148, v35
	v_mov_b32_e32 v148, v146
	v_pk_add_f32 v[146:147], v[134:135], v[146:147] neg_lo:[0,1] neg_hi:[0,1]
	v_pk_add_f32 v[150:151], v[134:135], v[148:149]
	v_mov_b32_e32 v147, v151
	v_mov_b32_e32 v145, v134
	v_pk_add_f32 v[160:161], v[144:145], v[146:147] neg_lo:[0,1] neg_hi:[0,1]
	v_pk_add_f32 v[144:145], v[144:145], v[146:147]
	v_mov_b32_e32 v146, v145
	v_pk_add_f32 v[162:163], v[146:147], v[134:135] neg_lo:[0,1] neg_hi:[0,1]
	v_mov_b32_e32 v35, v162
	v_pk_add_f32 v[164:165], v[150:151], v[34:35] neg_lo:[0,1] neg_hi:[0,1]
	v_mov_b32_e32 v144, v151
	v_mov_b32_e32 v150, v135
	;; [unrolled: 1-line block ×4, first 2 shown]
	v_pk_add_f32 v[144:145], v[144:145], v[150:151] neg_lo:[0,1] neg_hi:[0,1]
	v_mov_b32_e32 v148, v149
	v_mov_b32_e32 v149, v134
	v_pk_add_f32 v[134:135], v[148:149], v[144:145] neg_lo:[0,1] neg_hi:[0,1]
	v_mov_b32_e32 v164, v160
	v_pk_add_f32 v[144:145], v[164:165], v[134:135]
	v_mov_b32_e32 v148, v145
	v_pk_add_f32 v[148:149], v[144:145], v[148:149]
	v_pk_add_f32 v[146:147], v[146:147], v[148:149]
	v_mov_b32_e32 v145, v146
	v_pk_add_f32 v[150:151], v[144:145], v[160:161] neg_lo:[0,1] neg_hi:[0,1]
	v_mov_b32_e32 v135, v148
	v_sub_f32_e32 v35, v144, v150
	v_pk_add_f32 v[134:135], v[134:135], v[150:151] neg_lo:[0,1] neg_hi:[0,1]
	v_sub_f32_e32 v35, v160, v35
	v_add_f32_e32 v35, v134, v35
	v_add_f32_e32 v35, v35, v135
	v_cmp_eq_f32_e32 vcc, s73, v133
	v_cmp_lt_f32_e64 s[78:79], |v133|, s76
	v_add_f32_e32 v35, v146, v35
	s_or_b64 vcc, vcc, s[78:79]
	v_cndmask_b32_e32 v35, v35, v133, vcc
	v_add_f32_e32 v35, v37, v35
	v_cvt_f16_f32_e32 v134, v35
.LBB421_168:                            ;   in Loop: Header=BB421_160 Depth=1
	s_or_b64 exec, exec, s[62:63]
	v_and_b32_e32 v35, 0xffff, v134
	v_mov_b32_e32 v133, v134
.LBB421_169:                            ;   in Loop: Header=BB421_160 Depth=1
	s_or_b64 exec, exec, s[66:67]
	s_waitcnt lgkmcnt(0)
	ds_bpermute_b32 v134, v103, v35
	v_cmp_le_u32_e32 vcc, v112, v36
	s_and_saveexec_b64 s[66:67], vcc
	s_cbranch_execz .LBB421_173
; %bb.170:                              ;   in Loop: Header=BB421_160 Depth=1
	s_waitcnt lgkmcnt(0)
	v_cvt_f32_f16_e32 v37, v134
	v_cvt_f32_f16_e32 v135, v133
	v_cmp_u_f16_e32 vcc, v134, v134
	v_cmp_u_f16_e64 s[62:63], v133, v133
	v_min_f32_e32 v35, v37, v135
	v_max_f32_e32 v133, v37, v135
	v_cndmask_b32_e32 v35, v35, v37, vcc
	v_cndmask_b32_e32 v37, v133, v37, vcc
	v_cndmask_b32_e64 v35, v35, v135, s[62:63]
	v_cndmask_b32_e64 v37, v37, v135, s[62:63]
	v_cmp_neq_f32_e32 vcc, v35, v37
	v_cmp_class_f32_e64 s[62:63], v35, s69
	s_or_b64 vcc, vcc, s[62:63]
	s_and_saveexec_b64 s[62:63], vcc
	s_cbranch_execz .LBB421_172
; %bb.171:                              ;   in Loop: Header=BB421_160 Depth=1
	v_sub_f32_e32 v35, v35, v37
	v_mul_f32_e32 v133, 0x3fb8aa3b, v35
	v_fma_f32 v134, v35, s70, -v133
	v_rndne_f32_e32 v135, v133
	v_fmac_f32_e32 v134, 0x32a5705f, v35
	v_sub_f32_e32 v133, v133, v135
	v_add_f32_e32 v133, v133, v134
	v_cvt_i32_f32_e32 v134, v135
	v_exp_f32_e32 v133, v133
	v_cmp_ngt_f32_e32 vcc, s71, v35
	v_ldexp_f32 v133, v133, v134
	v_cndmask_b32_e32 v133, 0, v133, vcc
	v_cmp_nlt_f32_e32 vcc, s72, v35
	v_cndmask_b32_e32 v133, v132, v133, vcc
	v_add_f32_e32 v35, 1.0, v133
	v_add_f32_e32 v134, -1.0, v35
	v_sub_f32_e32 v135, v134, v35
	v_add_f32_e32 v135, 1.0, v135
	v_sub_f32_e32 v134, v133, v134
	v_add_f32_e32 v144, v134, v135
	v_frexp_mant_f32_e32 v145, v35
	v_cvt_f64_f32_e32 v[134:135], v35
	v_frexp_exp_i32_f64_e32 v134, v[134:135]
	v_cmp_gt_f32_e32 vcc, s74, v145
	v_subbrev_co_u32_e32 v150, vcc, 0, v134, vcc
	v_sub_u32_e32 v134, 0, v150
	v_ldexp_f32 v35, v35, v134
	v_ldexp_f32 v134, v144, v134
	v_add_f32_e32 v144, -1.0, v35
	v_add_f32_e32 v135, 1.0, v144
	v_sub_f32_e32 v135, v35, v135
	v_add_f32_e32 v145, v134, v135
	v_add_f32_e32 v135, 1.0, v35
	v_add_f32_e32 v146, -1.0, v135
	v_sub_f32_e32 v35, v35, v146
	v_add_f32_e32 v35, v134, v35
	v_add_f32_e32 v151, v135, v35
	v_rcp_f32_e32 v160, v151
	v_sub_f32_e32 v134, v135, v151
	v_add_f32_e32 v135, v144, v145
	v_add_f32_e32 v35, v35, v134
	v_mul_f32_e32 v162, v135, v160
	v_sub_f32_e32 v134, v144, v135
	v_mul_f32_e32 v144, v151, v162
	v_fma_f32 v146, v162, v151, -v144
	v_fmac_f32_e32 v146, v162, v35
	v_add_f32_e32 v161, v145, v134
	v_add_f32_e32 v134, v144, v146
	v_sub_f32_e32 v145, v135, v134
	v_pk_add_f32 v[148:149], v[134:135], v[144:145] neg_lo:[0,1] neg_hi:[0,1]
	v_mov_b32_e32 v147, v134
	v_pk_add_f32 v[134:135], v[148:149], v[146:147] neg_lo:[0,1] neg_hi:[0,1]
	v_add_f32_e32 v135, v161, v135
	v_add_f32_e32 v134, v134, v135
	v_add_f32_e32 v135, v145, v134
	v_mul_f32_e32 v161, v160, v135
	v_mul_f32_e32 v144, v151, v161
	v_fma_f32 v146, v161, v151, -v144
	v_fmac_f32_e32 v146, v161, v35
	v_sub_f32_e32 v35, v145, v135
	v_add_f32_e32 v35, v134, v35
	v_add_f32_e32 v134, v144, v146
	v_sub_f32_e32 v145, v135, v134
	v_pk_add_f32 v[148:149], v[134:135], v[144:145] neg_lo:[0,1] neg_hi:[0,1]
	v_mov_b32_e32 v147, v134
	v_pk_add_f32 v[134:135], v[148:149], v[146:147] neg_lo:[0,1] neg_hi:[0,1]
	v_add_f32_e32 v35, v35, v135
	v_add_f32_e32 v35, v134, v35
	;; [unrolled: 1-line block ×4, first 2 shown]
	v_sub_f32_e32 v134, v135, v162
	v_mul_f32_e32 v35, v160, v35
	v_sub_f32_e32 v134, v161, v134
	v_add_f32_e32 v144, v134, v35
	v_add_f32_e32 v146, v135, v144
	v_cvt_f32_i32_e32 v134, v150
	v_mul_f32_e32 v147, v146, v146
	v_mov_b32_e32 v35, 0x3ecc95a3
	v_sub_f32_e32 v135, v146, v135
	v_fmac_f32_e32 v35, 0x3e9b6dac, v147
	v_sub_f32_e32 v135, v144, v135
	v_fma_f32 v35, v147, v35, v130
	v_ldexp_f32 v148, v135, 1
	v_mul_f32_e32 v135, v146, v147
	v_ldexp_f32 v145, v146, 1
	v_pk_mul_f32 v[146:147], v[134:135], v[34:35]
	v_fma_f32 v144, v134, s75, -v146
	v_fmac_f32_e32 v144, 0xb102e308, v134
	v_pk_add_f32 v[134:135], v[146:147], v[144:145]
	v_sub_f32_e32 v35, v135, v145
	v_sub_f32_e32 v35, v147, v35
	v_add_f32_e32 v149, v148, v35
	v_mov_b32_e32 v148, v146
	v_pk_add_f32 v[146:147], v[134:135], v[146:147] neg_lo:[0,1] neg_hi:[0,1]
	v_pk_add_f32 v[150:151], v[134:135], v[148:149]
	v_mov_b32_e32 v147, v151
	v_mov_b32_e32 v145, v134
	v_pk_add_f32 v[160:161], v[144:145], v[146:147] neg_lo:[0,1] neg_hi:[0,1]
	v_pk_add_f32 v[144:145], v[144:145], v[146:147]
	v_mov_b32_e32 v146, v145
	v_pk_add_f32 v[162:163], v[146:147], v[134:135] neg_lo:[0,1] neg_hi:[0,1]
	v_mov_b32_e32 v35, v162
	v_pk_add_f32 v[164:165], v[150:151], v[34:35] neg_lo:[0,1] neg_hi:[0,1]
	v_mov_b32_e32 v144, v151
	v_mov_b32_e32 v150, v135
	;; [unrolled: 1-line block ×4, first 2 shown]
	v_pk_add_f32 v[144:145], v[144:145], v[150:151] neg_lo:[0,1] neg_hi:[0,1]
	v_mov_b32_e32 v148, v149
	v_mov_b32_e32 v149, v134
	v_pk_add_f32 v[134:135], v[148:149], v[144:145] neg_lo:[0,1] neg_hi:[0,1]
	v_mov_b32_e32 v164, v160
	v_pk_add_f32 v[144:145], v[164:165], v[134:135]
	v_mov_b32_e32 v148, v145
	v_pk_add_f32 v[148:149], v[144:145], v[148:149]
	v_pk_add_f32 v[146:147], v[146:147], v[148:149]
	v_mov_b32_e32 v145, v146
	v_pk_add_f32 v[150:151], v[144:145], v[160:161] neg_lo:[0,1] neg_hi:[0,1]
	v_mov_b32_e32 v135, v148
	v_sub_f32_e32 v35, v144, v150
	v_pk_add_f32 v[134:135], v[134:135], v[150:151] neg_lo:[0,1] neg_hi:[0,1]
	v_sub_f32_e32 v35, v160, v35
	v_add_f32_e32 v35, v134, v35
	v_add_f32_e32 v35, v35, v135
	v_cmp_eq_f32_e32 vcc, s73, v133
	v_cmp_lt_f32_e64 s[78:79], |v133|, s76
	v_add_f32_e32 v35, v146, v35
	s_or_b64 vcc, vcc, s[78:79]
	v_cndmask_b32_e32 v35, v35, v133, vcc
	v_add_f32_e32 v35, v37, v35
	v_cvt_f16_f32_e32 v134, v35
.LBB421_172:                            ;   in Loop: Header=BB421_160 Depth=1
	s_or_b64 exec, exec, s[62:63]
	v_and_b32_e32 v35, 0xffff, v134
	v_mov_b32_e32 v133, v134
.LBB421_173:                            ;   in Loop: Header=BB421_160 Depth=1
	s_or_b64 exec, exec, s[66:67]
	s_waitcnt lgkmcnt(0)
	ds_bpermute_b32 v134, v113, v35
	v_cmp_le_u32_e32 vcc, v114, v36
	s_and_saveexec_b64 s[66:67], vcc
	s_cbranch_execz .LBB421_177
; %bb.174:                              ;   in Loop: Header=BB421_160 Depth=1
	s_waitcnt lgkmcnt(0)
	v_cvt_f32_f16_e32 v37, v134
	v_cvt_f32_f16_e32 v135, v133
	v_cmp_u_f16_e32 vcc, v134, v134
	v_cmp_u_f16_e64 s[62:63], v133, v133
	v_min_f32_e32 v35, v37, v135
	v_max_f32_e32 v133, v37, v135
	v_cndmask_b32_e32 v35, v35, v37, vcc
	v_cndmask_b32_e32 v37, v133, v37, vcc
	v_cndmask_b32_e64 v35, v35, v135, s[62:63]
	v_cndmask_b32_e64 v37, v37, v135, s[62:63]
	v_cmp_neq_f32_e32 vcc, v35, v37
	v_cmp_class_f32_e64 s[62:63], v35, s69
	s_or_b64 vcc, vcc, s[62:63]
	s_and_saveexec_b64 s[62:63], vcc
	s_cbranch_execz .LBB421_176
; %bb.175:                              ;   in Loop: Header=BB421_160 Depth=1
	v_sub_f32_e32 v35, v35, v37
	v_mul_f32_e32 v133, 0x3fb8aa3b, v35
	v_fma_f32 v134, v35, s70, -v133
	v_rndne_f32_e32 v135, v133
	v_fmac_f32_e32 v134, 0x32a5705f, v35
	v_sub_f32_e32 v133, v133, v135
	v_add_f32_e32 v133, v133, v134
	v_cvt_i32_f32_e32 v134, v135
	v_exp_f32_e32 v133, v133
	v_cmp_ngt_f32_e32 vcc, s71, v35
	v_ldexp_f32 v133, v133, v134
	v_cndmask_b32_e32 v133, 0, v133, vcc
	v_cmp_nlt_f32_e32 vcc, s72, v35
	v_cndmask_b32_e32 v133, v132, v133, vcc
	v_add_f32_e32 v35, 1.0, v133
	v_add_f32_e32 v134, -1.0, v35
	v_sub_f32_e32 v135, v134, v35
	v_add_f32_e32 v135, 1.0, v135
	v_sub_f32_e32 v134, v133, v134
	v_add_f32_e32 v144, v134, v135
	v_frexp_mant_f32_e32 v145, v35
	v_cvt_f64_f32_e32 v[134:135], v35
	v_frexp_exp_i32_f64_e32 v134, v[134:135]
	v_cmp_gt_f32_e32 vcc, s74, v145
	v_subbrev_co_u32_e32 v150, vcc, 0, v134, vcc
	v_sub_u32_e32 v134, 0, v150
	v_ldexp_f32 v35, v35, v134
	v_ldexp_f32 v134, v144, v134
	v_add_f32_e32 v144, -1.0, v35
	v_add_f32_e32 v135, 1.0, v144
	v_sub_f32_e32 v135, v35, v135
	v_add_f32_e32 v145, v134, v135
	v_add_f32_e32 v135, 1.0, v35
	v_add_f32_e32 v146, -1.0, v135
	v_sub_f32_e32 v35, v35, v146
	v_add_f32_e32 v35, v134, v35
	v_add_f32_e32 v151, v135, v35
	v_rcp_f32_e32 v160, v151
	v_sub_f32_e32 v134, v135, v151
	v_add_f32_e32 v135, v144, v145
	v_add_f32_e32 v35, v35, v134
	v_mul_f32_e32 v162, v135, v160
	v_sub_f32_e32 v134, v144, v135
	v_mul_f32_e32 v144, v151, v162
	v_fma_f32 v146, v162, v151, -v144
	v_fmac_f32_e32 v146, v162, v35
	v_add_f32_e32 v161, v145, v134
	v_add_f32_e32 v134, v144, v146
	v_sub_f32_e32 v145, v135, v134
	v_pk_add_f32 v[148:149], v[134:135], v[144:145] neg_lo:[0,1] neg_hi:[0,1]
	v_mov_b32_e32 v147, v134
	v_pk_add_f32 v[134:135], v[148:149], v[146:147] neg_lo:[0,1] neg_hi:[0,1]
	v_add_f32_e32 v135, v161, v135
	v_add_f32_e32 v134, v134, v135
	;; [unrolled: 1-line block ×3, first 2 shown]
	v_mul_f32_e32 v161, v160, v135
	v_mul_f32_e32 v144, v151, v161
	v_fma_f32 v146, v161, v151, -v144
	v_fmac_f32_e32 v146, v161, v35
	v_sub_f32_e32 v35, v145, v135
	v_add_f32_e32 v35, v134, v35
	v_add_f32_e32 v134, v144, v146
	v_sub_f32_e32 v145, v135, v134
	v_pk_add_f32 v[148:149], v[134:135], v[144:145] neg_lo:[0,1] neg_hi:[0,1]
	v_mov_b32_e32 v147, v134
	v_pk_add_f32 v[134:135], v[148:149], v[146:147] neg_lo:[0,1] neg_hi:[0,1]
	v_add_f32_e32 v35, v35, v135
	v_add_f32_e32 v35, v134, v35
	;; [unrolled: 1-line block ×4, first 2 shown]
	v_sub_f32_e32 v134, v135, v162
	v_mul_f32_e32 v35, v160, v35
	v_sub_f32_e32 v134, v161, v134
	v_add_f32_e32 v144, v134, v35
	v_add_f32_e32 v146, v135, v144
	v_cvt_f32_i32_e32 v134, v150
	v_mul_f32_e32 v147, v146, v146
	v_mov_b32_e32 v35, 0x3ecc95a3
	v_sub_f32_e32 v135, v146, v135
	v_fmac_f32_e32 v35, 0x3e9b6dac, v147
	v_sub_f32_e32 v135, v144, v135
	v_fma_f32 v35, v147, v35, v130
	v_ldexp_f32 v148, v135, 1
	v_mul_f32_e32 v135, v146, v147
	v_ldexp_f32 v145, v146, 1
	v_pk_mul_f32 v[146:147], v[134:135], v[34:35]
	v_fma_f32 v144, v134, s75, -v146
	v_fmac_f32_e32 v144, 0xb102e308, v134
	v_pk_add_f32 v[134:135], v[146:147], v[144:145]
	v_sub_f32_e32 v35, v135, v145
	v_sub_f32_e32 v35, v147, v35
	v_add_f32_e32 v149, v148, v35
	v_mov_b32_e32 v148, v146
	v_pk_add_f32 v[146:147], v[134:135], v[146:147] neg_lo:[0,1] neg_hi:[0,1]
	v_pk_add_f32 v[150:151], v[134:135], v[148:149]
	v_mov_b32_e32 v147, v151
	v_mov_b32_e32 v145, v134
	v_pk_add_f32 v[160:161], v[144:145], v[146:147] neg_lo:[0,1] neg_hi:[0,1]
	v_pk_add_f32 v[144:145], v[144:145], v[146:147]
	v_mov_b32_e32 v146, v145
	v_pk_add_f32 v[162:163], v[146:147], v[134:135] neg_lo:[0,1] neg_hi:[0,1]
	v_mov_b32_e32 v35, v162
	v_pk_add_f32 v[164:165], v[150:151], v[34:35] neg_lo:[0,1] neg_hi:[0,1]
	v_mov_b32_e32 v144, v151
	v_mov_b32_e32 v150, v135
	;; [unrolled: 1-line block ×4, first 2 shown]
	v_pk_add_f32 v[144:145], v[144:145], v[150:151] neg_lo:[0,1] neg_hi:[0,1]
	v_mov_b32_e32 v148, v149
	v_mov_b32_e32 v149, v134
	v_pk_add_f32 v[134:135], v[148:149], v[144:145] neg_lo:[0,1] neg_hi:[0,1]
	v_mov_b32_e32 v164, v160
	v_pk_add_f32 v[144:145], v[164:165], v[134:135]
	v_mov_b32_e32 v148, v145
	v_pk_add_f32 v[148:149], v[144:145], v[148:149]
	v_pk_add_f32 v[146:147], v[146:147], v[148:149]
	v_mov_b32_e32 v145, v146
	v_pk_add_f32 v[150:151], v[144:145], v[160:161] neg_lo:[0,1] neg_hi:[0,1]
	v_mov_b32_e32 v135, v148
	v_sub_f32_e32 v35, v144, v150
	v_pk_add_f32 v[134:135], v[134:135], v[150:151] neg_lo:[0,1] neg_hi:[0,1]
	v_sub_f32_e32 v35, v160, v35
	v_add_f32_e32 v35, v134, v35
	v_add_f32_e32 v35, v35, v135
	v_cmp_eq_f32_e32 vcc, s73, v133
	v_cmp_lt_f32_e64 s[78:79], |v133|, s76
	v_add_f32_e32 v35, v146, v35
	s_or_b64 vcc, vcc, s[78:79]
	v_cndmask_b32_e32 v35, v35, v133, vcc
	v_add_f32_e32 v35, v37, v35
	v_cvt_f16_f32_e32 v134, v35
.LBB421_176:                            ;   in Loop: Header=BB421_160 Depth=1
	s_or_b64 exec, exec, s[62:63]
	v_and_b32_e32 v35, 0xffff, v134
	v_mov_b32_e32 v133, v134
.LBB421_177:                            ;   in Loop: Header=BB421_160 Depth=1
	s_or_b64 exec, exec, s[66:67]
	s_waitcnt lgkmcnt(0)
	ds_bpermute_b32 v134, v115, v35
	v_cmp_le_u32_e32 vcc, v116, v36
	s_and_saveexec_b64 s[66:67], vcc
	s_cbranch_execz .LBB421_181
; %bb.178:                              ;   in Loop: Header=BB421_160 Depth=1
	s_waitcnt lgkmcnt(0)
	v_cvt_f32_f16_e32 v37, v134
	v_cvt_f32_f16_e32 v135, v133
	v_cmp_u_f16_e32 vcc, v134, v134
	v_cmp_u_f16_e64 s[62:63], v133, v133
	v_min_f32_e32 v35, v37, v135
	v_max_f32_e32 v133, v37, v135
	v_cndmask_b32_e32 v35, v35, v37, vcc
	v_cndmask_b32_e32 v37, v133, v37, vcc
	v_cndmask_b32_e64 v35, v35, v135, s[62:63]
	v_cndmask_b32_e64 v37, v37, v135, s[62:63]
	v_cmp_neq_f32_e32 vcc, v35, v37
	v_cmp_class_f32_e64 s[62:63], v35, s69
	s_or_b64 vcc, vcc, s[62:63]
	s_and_saveexec_b64 s[62:63], vcc
	s_cbranch_execz .LBB421_180
; %bb.179:                              ;   in Loop: Header=BB421_160 Depth=1
	v_sub_f32_e32 v35, v35, v37
	v_mul_f32_e32 v133, 0x3fb8aa3b, v35
	v_fma_f32 v134, v35, s70, -v133
	v_rndne_f32_e32 v135, v133
	v_fmac_f32_e32 v134, 0x32a5705f, v35
	v_sub_f32_e32 v133, v133, v135
	v_add_f32_e32 v133, v133, v134
	v_cvt_i32_f32_e32 v134, v135
	v_exp_f32_e32 v133, v133
	v_cmp_ngt_f32_e32 vcc, s71, v35
	v_ldexp_f32 v133, v133, v134
	v_cndmask_b32_e32 v133, 0, v133, vcc
	v_cmp_nlt_f32_e32 vcc, s72, v35
	v_cndmask_b32_e32 v133, v132, v133, vcc
	v_add_f32_e32 v35, 1.0, v133
	v_add_f32_e32 v134, -1.0, v35
	v_sub_f32_e32 v135, v134, v35
	v_add_f32_e32 v135, 1.0, v135
	v_sub_f32_e32 v134, v133, v134
	v_add_f32_e32 v144, v134, v135
	v_frexp_mant_f32_e32 v145, v35
	v_cvt_f64_f32_e32 v[134:135], v35
	v_frexp_exp_i32_f64_e32 v134, v[134:135]
	v_cmp_gt_f32_e32 vcc, s74, v145
	v_subbrev_co_u32_e32 v150, vcc, 0, v134, vcc
	v_sub_u32_e32 v134, 0, v150
	v_ldexp_f32 v35, v35, v134
	v_ldexp_f32 v134, v144, v134
	v_add_f32_e32 v144, -1.0, v35
	v_add_f32_e32 v135, 1.0, v144
	v_sub_f32_e32 v135, v35, v135
	v_add_f32_e32 v145, v134, v135
	v_add_f32_e32 v135, 1.0, v35
	v_add_f32_e32 v146, -1.0, v135
	v_sub_f32_e32 v35, v35, v146
	v_add_f32_e32 v35, v134, v35
	v_add_f32_e32 v151, v135, v35
	v_rcp_f32_e32 v160, v151
	v_sub_f32_e32 v134, v135, v151
	v_add_f32_e32 v135, v144, v145
	v_add_f32_e32 v35, v35, v134
	v_mul_f32_e32 v162, v135, v160
	v_sub_f32_e32 v134, v144, v135
	v_mul_f32_e32 v144, v151, v162
	v_fma_f32 v146, v162, v151, -v144
	v_fmac_f32_e32 v146, v162, v35
	v_add_f32_e32 v161, v145, v134
	v_add_f32_e32 v134, v144, v146
	v_sub_f32_e32 v145, v135, v134
	v_pk_add_f32 v[148:149], v[134:135], v[144:145] neg_lo:[0,1] neg_hi:[0,1]
	v_mov_b32_e32 v147, v134
	v_pk_add_f32 v[134:135], v[148:149], v[146:147] neg_lo:[0,1] neg_hi:[0,1]
	v_add_f32_e32 v135, v161, v135
	v_add_f32_e32 v134, v134, v135
	;; [unrolled: 1-line block ×3, first 2 shown]
	v_mul_f32_e32 v161, v160, v135
	v_mul_f32_e32 v144, v151, v161
	v_fma_f32 v146, v161, v151, -v144
	v_fmac_f32_e32 v146, v161, v35
	v_sub_f32_e32 v35, v145, v135
	v_add_f32_e32 v35, v134, v35
	v_add_f32_e32 v134, v144, v146
	v_sub_f32_e32 v145, v135, v134
	v_pk_add_f32 v[148:149], v[134:135], v[144:145] neg_lo:[0,1] neg_hi:[0,1]
	v_mov_b32_e32 v147, v134
	v_pk_add_f32 v[134:135], v[148:149], v[146:147] neg_lo:[0,1] neg_hi:[0,1]
	v_add_f32_e32 v35, v35, v135
	v_add_f32_e32 v35, v134, v35
	;; [unrolled: 1-line block ×4, first 2 shown]
	v_sub_f32_e32 v134, v135, v162
	v_mul_f32_e32 v35, v160, v35
	v_sub_f32_e32 v134, v161, v134
	v_add_f32_e32 v144, v134, v35
	v_add_f32_e32 v146, v135, v144
	v_cvt_f32_i32_e32 v134, v150
	v_mul_f32_e32 v147, v146, v146
	v_mov_b32_e32 v35, 0x3ecc95a3
	v_sub_f32_e32 v135, v146, v135
	v_fmac_f32_e32 v35, 0x3e9b6dac, v147
	v_sub_f32_e32 v135, v144, v135
	v_fma_f32 v35, v147, v35, v130
	v_ldexp_f32 v148, v135, 1
	v_mul_f32_e32 v135, v146, v147
	v_ldexp_f32 v145, v146, 1
	v_pk_mul_f32 v[146:147], v[134:135], v[34:35]
	v_fma_f32 v144, v134, s75, -v146
	v_fmac_f32_e32 v144, 0xb102e308, v134
	v_pk_add_f32 v[134:135], v[146:147], v[144:145]
	v_sub_f32_e32 v35, v135, v145
	v_sub_f32_e32 v35, v147, v35
	v_add_f32_e32 v149, v148, v35
	v_mov_b32_e32 v148, v146
	v_pk_add_f32 v[146:147], v[134:135], v[146:147] neg_lo:[0,1] neg_hi:[0,1]
	v_pk_add_f32 v[150:151], v[134:135], v[148:149]
	v_mov_b32_e32 v147, v151
	v_mov_b32_e32 v145, v134
	v_pk_add_f32 v[160:161], v[144:145], v[146:147] neg_lo:[0,1] neg_hi:[0,1]
	v_pk_add_f32 v[144:145], v[144:145], v[146:147]
	v_mov_b32_e32 v146, v145
	v_pk_add_f32 v[162:163], v[146:147], v[134:135] neg_lo:[0,1] neg_hi:[0,1]
	v_mov_b32_e32 v35, v162
	v_pk_add_f32 v[164:165], v[150:151], v[34:35] neg_lo:[0,1] neg_hi:[0,1]
	v_mov_b32_e32 v144, v151
	v_mov_b32_e32 v150, v135
	;; [unrolled: 1-line block ×4, first 2 shown]
	v_pk_add_f32 v[144:145], v[144:145], v[150:151] neg_lo:[0,1] neg_hi:[0,1]
	v_mov_b32_e32 v148, v149
	v_mov_b32_e32 v149, v134
	v_pk_add_f32 v[134:135], v[148:149], v[144:145] neg_lo:[0,1] neg_hi:[0,1]
	v_mov_b32_e32 v164, v160
	v_pk_add_f32 v[144:145], v[164:165], v[134:135]
	v_mov_b32_e32 v148, v145
	v_pk_add_f32 v[148:149], v[144:145], v[148:149]
	v_pk_add_f32 v[146:147], v[146:147], v[148:149]
	v_mov_b32_e32 v145, v146
	v_pk_add_f32 v[150:151], v[144:145], v[160:161] neg_lo:[0,1] neg_hi:[0,1]
	v_mov_b32_e32 v135, v148
	v_sub_f32_e32 v35, v144, v150
	v_pk_add_f32 v[134:135], v[134:135], v[150:151] neg_lo:[0,1] neg_hi:[0,1]
	v_sub_f32_e32 v35, v160, v35
	v_add_f32_e32 v35, v134, v35
	v_add_f32_e32 v35, v35, v135
	v_cmp_eq_f32_e32 vcc, s73, v133
	v_cmp_lt_f32_e64 s[78:79], |v133|, s76
	v_add_f32_e32 v35, v146, v35
	s_or_b64 vcc, vcc, s[78:79]
	v_cndmask_b32_e32 v35, v35, v133, vcc
	v_add_f32_e32 v35, v37, v35
	v_cvt_f16_f32_e32 v134, v35
.LBB421_180:                            ;   in Loop: Header=BB421_160 Depth=1
	s_or_b64 exec, exec, s[62:63]
	v_and_b32_e32 v35, 0xffff, v134
	v_mov_b32_e32 v133, v134
.LBB421_181:                            ;   in Loop: Header=BB421_160 Depth=1
	s_or_b64 exec, exec, s[66:67]
	s_waitcnt lgkmcnt(0)
	ds_bpermute_b32 v134, v117, v35
	v_cmp_le_u32_e32 vcc, v118, v36
	s_and_saveexec_b64 s[66:67], vcc
	s_cbranch_execz .LBB421_185
; %bb.182:                              ;   in Loop: Header=BB421_160 Depth=1
	s_waitcnt lgkmcnt(0)
	v_cvt_f32_f16_e32 v37, v134
	v_cvt_f32_f16_e32 v135, v133
	v_cmp_u_f16_e32 vcc, v134, v134
	v_cmp_u_f16_e64 s[62:63], v133, v133
	v_min_f32_e32 v35, v37, v135
	v_max_f32_e32 v133, v37, v135
	v_cndmask_b32_e32 v35, v35, v37, vcc
	v_cndmask_b32_e32 v37, v133, v37, vcc
	v_cndmask_b32_e64 v35, v35, v135, s[62:63]
	v_cndmask_b32_e64 v37, v37, v135, s[62:63]
	v_cmp_neq_f32_e32 vcc, v35, v37
	v_cmp_class_f32_e64 s[62:63], v35, s69
	s_or_b64 vcc, vcc, s[62:63]
	s_and_saveexec_b64 s[62:63], vcc
	s_cbranch_execz .LBB421_184
; %bb.183:                              ;   in Loop: Header=BB421_160 Depth=1
	v_sub_f32_e32 v35, v35, v37
	v_mul_f32_e32 v133, 0x3fb8aa3b, v35
	v_fma_f32 v134, v35, s70, -v133
	v_rndne_f32_e32 v135, v133
	v_fmac_f32_e32 v134, 0x32a5705f, v35
	v_sub_f32_e32 v133, v133, v135
	v_add_f32_e32 v133, v133, v134
	v_cvt_i32_f32_e32 v134, v135
	v_exp_f32_e32 v133, v133
	v_cmp_ngt_f32_e32 vcc, s71, v35
	v_ldexp_f32 v133, v133, v134
	v_cndmask_b32_e32 v133, 0, v133, vcc
	v_cmp_nlt_f32_e32 vcc, s72, v35
	v_cndmask_b32_e32 v133, v132, v133, vcc
	v_add_f32_e32 v35, 1.0, v133
	v_add_f32_e32 v134, -1.0, v35
	v_sub_f32_e32 v135, v134, v35
	v_add_f32_e32 v135, 1.0, v135
	v_sub_f32_e32 v134, v133, v134
	v_add_f32_e32 v144, v134, v135
	v_frexp_mant_f32_e32 v145, v35
	v_cvt_f64_f32_e32 v[134:135], v35
	v_frexp_exp_i32_f64_e32 v134, v[134:135]
	v_cmp_gt_f32_e32 vcc, s74, v145
	v_subbrev_co_u32_e32 v150, vcc, 0, v134, vcc
	v_sub_u32_e32 v134, 0, v150
	v_ldexp_f32 v35, v35, v134
	v_ldexp_f32 v134, v144, v134
	v_add_f32_e32 v144, -1.0, v35
	v_add_f32_e32 v135, 1.0, v144
	v_sub_f32_e32 v135, v35, v135
	v_add_f32_e32 v145, v134, v135
	v_add_f32_e32 v135, 1.0, v35
	v_add_f32_e32 v146, -1.0, v135
	v_sub_f32_e32 v35, v35, v146
	v_add_f32_e32 v35, v134, v35
	v_add_f32_e32 v151, v135, v35
	v_rcp_f32_e32 v160, v151
	v_sub_f32_e32 v134, v135, v151
	v_add_f32_e32 v135, v144, v145
	v_add_f32_e32 v35, v35, v134
	v_mul_f32_e32 v162, v135, v160
	v_sub_f32_e32 v134, v144, v135
	v_mul_f32_e32 v144, v151, v162
	v_fma_f32 v146, v162, v151, -v144
	v_fmac_f32_e32 v146, v162, v35
	v_add_f32_e32 v161, v145, v134
	v_add_f32_e32 v134, v144, v146
	v_sub_f32_e32 v145, v135, v134
	v_pk_add_f32 v[148:149], v[134:135], v[144:145] neg_lo:[0,1] neg_hi:[0,1]
	v_mov_b32_e32 v147, v134
	v_pk_add_f32 v[134:135], v[148:149], v[146:147] neg_lo:[0,1] neg_hi:[0,1]
	v_add_f32_e32 v135, v161, v135
	v_add_f32_e32 v134, v134, v135
	;; [unrolled: 1-line block ×3, first 2 shown]
	v_mul_f32_e32 v161, v160, v135
	v_mul_f32_e32 v144, v151, v161
	v_fma_f32 v146, v161, v151, -v144
	v_fmac_f32_e32 v146, v161, v35
	v_sub_f32_e32 v35, v145, v135
	v_add_f32_e32 v35, v134, v35
	v_add_f32_e32 v134, v144, v146
	v_sub_f32_e32 v145, v135, v134
	v_pk_add_f32 v[148:149], v[134:135], v[144:145] neg_lo:[0,1] neg_hi:[0,1]
	v_mov_b32_e32 v147, v134
	v_pk_add_f32 v[134:135], v[148:149], v[146:147] neg_lo:[0,1] neg_hi:[0,1]
	v_add_f32_e32 v35, v35, v135
	v_add_f32_e32 v35, v134, v35
	;; [unrolled: 1-line block ×4, first 2 shown]
	v_sub_f32_e32 v134, v135, v162
	v_mul_f32_e32 v35, v160, v35
	v_sub_f32_e32 v134, v161, v134
	v_add_f32_e32 v144, v134, v35
	v_add_f32_e32 v146, v135, v144
	v_cvt_f32_i32_e32 v134, v150
	v_mul_f32_e32 v147, v146, v146
	v_mov_b32_e32 v35, 0x3ecc95a3
	v_sub_f32_e32 v135, v146, v135
	v_fmac_f32_e32 v35, 0x3e9b6dac, v147
	v_sub_f32_e32 v135, v144, v135
	v_fma_f32 v35, v147, v35, v130
	v_ldexp_f32 v148, v135, 1
	v_mul_f32_e32 v135, v146, v147
	v_ldexp_f32 v145, v146, 1
	v_pk_mul_f32 v[146:147], v[134:135], v[34:35]
	v_fma_f32 v144, v134, s75, -v146
	v_fmac_f32_e32 v144, 0xb102e308, v134
	v_pk_add_f32 v[134:135], v[146:147], v[144:145]
	v_sub_f32_e32 v35, v135, v145
	v_sub_f32_e32 v35, v147, v35
	v_add_f32_e32 v149, v148, v35
	v_mov_b32_e32 v148, v146
	v_pk_add_f32 v[146:147], v[134:135], v[146:147] neg_lo:[0,1] neg_hi:[0,1]
	v_pk_add_f32 v[150:151], v[134:135], v[148:149]
	v_mov_b32_e32 v147, v151
	v_mov_b32_e32 v145, v134
	v_pk_add_f32 v[160:161], v[144:145], v[146:147] neg_lo:[0,1] neg_hi:[0,1]
	v_pk_add_f32 v[144:145], v[144:145], v[146:147]
	v_mov_b32_e32 v146, v145
	v_pk_add_f32 v[162:163], v[146:147], v[134:135] neg_lo:[0,1] neg_hi:[0,1]
	v_mov_b32_e32 v35, v162
	v_pk_add_f32 v[164:165], v[150:151], v[34:35] neg_lo:[0,1] neg_hi:[0,1]
	v_mov_b32_e32 v144, v151
	v_mov_b32_e32 v150, v135
	;; [unrolled: 1-line block ×4, first 2 shown]
	v_pk_add_f32 v[144:145], v[144:145], v[150:151] neg_lo:[0,1] neg_hi:[0,1]
	v_mov_b32_e32 v148, v149
	v_mov_b32_e32 v149, v134
	v_pk_add_f32 v[134:135], v[148:149], v[144:145] neg_lo:[0,1] neg_hi:[0,1]
	v_mov_b32_e32 v164, v160
	v_pk_add_f32 v[144:145], v[164:165], v[134:135]
	v_mov_b32_e32 v148, v145
	v_pk_add_f32 v[148:149], v[144:145], v[148:149]
	v_pk_add_f32 v[146:147], v[146:147], v[148:149]
	v_mov_b32_e32 v145, v146
	v_pk_add_f32 v[150:151], v[144:145], v[160:161] neg_lo:[0,1] neg_hi:[0,1]
	v_mov_b32_e32 v135, v148
	v_sub_f32_e32 v35, v144, v150
	v_pk_add_f32 v[134:135], v[134:135], v[150:151] neg_lo:[0,1] neg_hi:[0,1]
	v_sub_f32_e32 v35, v160, v35
	v_add_f32_e32 v35, v134, v35
	v_add_f32_e32 v35, v35, v135
	v_cmp_eq_f32_e32 vcc, s73, v133
	v_cmp_lt_f32_e64 s[78:79], |v133|, s76
	v_add_f32_e32 v35, v146, v35
	s_or_b64 vcc, vcc, s[78:79]
	v_cndmask_b32_e32 v35, v35, v133, vcc
	v_add_f32_e32 v35, v37, v35
	v_cvt_f16_f32_e32 v134, v35
.LBB421_184:                            ;   in Loop: Header=BB421_160 Depth=1
	s_or_b64 exec, exec, s[62:63]
	v_and_b32_e32 v35, 0xffff, v134
	v_mov_b32_e32 v133, v134
.LBB421_185:                            ;   in Loop: Header=BB421_160 Depth=1
	s_or_b64 exec, exec, s[66:67]
	ds_bpermute_b32 v35, v119, v35
	v_cmp_le_u32_e32 vcc, v128, v36
	s_and_saveexec_b64 s[66:67], vcc
	s_cbranch_execz .LBB421_189
; %bb.186:                              ;   in Loop: Header=BB421_160 Depth=1
	s_waitcnt lgkmcnt(0)
	v_cvt_f32_f16_e32 v36, v35
	v_cvt_f32_f16_e32 v134, v133
	v_cmp_u_f16_e32 vcc, v35, v35
	v_cmp_u_f16_e64 s[62:63], v133, v133
	v_min_f32_e32 v37, v36, v134
	v_max_f32_e32 v133, v36, v134
	v_cndmask_b32_e32 v37, v37, v36, vcc
	v_cndmask_b32_e32 v36, v133, v36, vcc
	v_cndmask_b32_e64 v37, v37, v134, s[62:63]
	v_cndmask_b32_e64 v36, v36, v134, s[62:63]
	v_cmp_neq_f32_e32 vcc, v37, v36
	v_cmp_class_f32_e64 s[62:63], v37, s69
	s_or_b64 vcc, vcc, s[62:63]
	s_and_saveexec_b64 s[62:63], vcc
	s_cbranch_execz .LBB421_188
; %bb.187:                              ;   in Loop: Header=BB421_160 Depth=1
	v_sub_f32_e32 v35, v37, v36
	v_mul_f32_e32 v37, 0x3fb8aa3b, v35
	v_fma_f32 v133, v35, s70, -v37
	v_rndne_f32_e32 v134, v37
	v_fmac_f32_e32 v133, 0x32a5705f, v35
	v_sub_f32_e32 v37, v37, v134
	v_add_f32_e32 v37, v37, v133
	v_cvt_i32_f32_e32 v133, v134
	v_exp_f32_e32 v37, v37
	v_cmp_ngt_f32_e32 vcc, s71, v35
	v_ldexp_f32 v37, v37, v133
	v_cndmask_b32_e32 v37, 0, v37, vcc
	v_cmp_nlt_f32_e32 vcc, s72, v35
	v_cndmask_b32_e32 v37, v132, v37, vcc
	v_add_f32_e32 v35, 1.0, v37
	v_add_f32_e32 v133, -1.0, v35
	v_sub_f32_e32 v134, v133, v35
	v_add_f32_e32 v134, 1.0, v134
	v_sub_f32_e32 v133, v37, v133
	v_add_f32_e32 v133, v133, v134
	v_frexp_mant_f32_e32 v144, v35
	v_cvt_f64_f32_e32 v[134:135], v35
	v_frexp_exp_i32_f64_e32 v134, v[134:135]
	v_cmp_gt_f32_e32 vcc, s74, v144
	v_subbrev_co_u32_e32 v150, vcc, 0, v134, vcc
	v_sub_u32_e32 v134, 0, v150
	v_ldexp_f32 v35, v35, v134
	v_ldexp_f32 v133, v133, v134
	v_add_f32_e32 v134, -1.0, v35
	v_add_f32_e32 v135, 1.0, v134
	v_sub_f32_e32 v135, v35, v135
	v_add_f32_e32 v144, v133, v135
	v_add_f32_e32 v135, 1.0, v35
	v_add_f32_e32 v145, -1.0, v135
	v_sub_f32_e32 v35, v35, v145
	v_add_f32_e32 v35, v133, v35
	v_add_f32_e32 v133, v135, v35
	v_rcp_f32_e32 v151, v133
	v_sub_f32_e32 v135, v135, v133
	v_add_f32_e32 v35, v35, v135
	v_add_f32_e32 v135, v134, v144
	v_sub_f32_e32 v134, v134, v135
	v_mul_f32_e32 v161, v135, v151
	v_add_f32_e32 v160, v144, v134
	v_mul_f32_e32 v144, v133, v161
	v_fma_f32 v146, v161, v133, -v144
	v_fmac_f32_e32 v146, v161, v35
	v_add_f32_e32 v134, v144, v146
	v_sub_f32_e32 v145, v135, v134
	v_pk_add_f32 v[148:149], v[134:135], v[144:145] neg_lo:[0,1] neg_hi:[0,1]
	v_mov_b32_e32 v147, v134
	v_pk_add_f32 v[134:135], v[148:149], v[146:147] neg_lo:[0,1] neg_hi:[0,1]
	v_add_f32_e32 v135, v160, v135
	v_add_f32_e32 v134, v134, v135
	;; [unrolled: 1-line block ×3, first 2 shown]
	v_mul_f32_e32 v160, v151, v135
	v_mul_f32_e32 v144, v133, v160
	v_fma_f32 v146, v160, v133, -v144
	v_fmac_f32_e32 v146, v160, v35
	v_sub_f32_e32 v35, v145, v135
	v_add_f32_e32 v35, v134, v35
	v_add_f32_e32 v134, v144, v146
	v_sub_f32_e32 v145, v135, v134
	v_pk_add_f32 v[148:149], v[134:135], v[144:145] neg_lo:[0,1] neg_hi:[0,1]
	v_mov_b32_e32 v147, v134
	v_pk_add_f32 v[134:135], v[148:149], v[146:147] neg_lo:[0,1] neg_hi:[0,1]
	v_add_f32_e32 v35, v35, v135
	v_add_f32_e32 v35, v134, v35
	;; [unrolled: 1-line block ×4, first 2 shown]
	v_sub_f32_e32 v134, v133, v161
	v_mul_f32_e32 v35, v151, v35
	v_sub_f32_e32 v134, v160, v134
	v_add_f32_e32 v135, v134, v35
	v_add_f32_e32 v144, v133, v135
	v_cvt_f32_i32_e32 v134, v150
	v_mul_f32_e32 v146, v144, v144
	v_mov_b32_e32 v35, 0x3ecc95a3
	v_fmac_f32_e32 v35, 0x3e9b6dac, v146
	v_sub_f32_e32 v133, v144, v133
	v_fma_f32 v35, v146, v35, v130
	v_sub_f32_e32 v133, v135, v133
	v_mul_f32_e32 v135, v144, v146
	v_pk_mul_f32 v[146:147], v[134:135], v[34:35]
	v_ldexp_f32 v145, v144, 1
	v_fma_f32 v144, v134, s75, -v146
	v_fmac_f32_e32 v144, 0xb102e308, v134
	v_pk_add_f32 v[134:135], v[146:147], v[144:145]
	v_sub_f32_e32 v35, v135, v145
	v_ldexp_f32 v133, v133, 1
	v_sub_f32_e32 v35, v147, v35
	v_add_f32_e32 v149, v133, v35
	v_mov_b32_e32 v148, v146
	v_pk_add_f32 v[146:147], v[134:135], v[146:147] neg_lo:[0,1] neg_hi:[0,1]
	v_pk_add_f32 v[150:151], v[134:135], v[148:149]
	v_mov_b32_e32 v147, v151
	v_mov_b32_e32 v145, v134
	v_pk_add_f32 v[160:161], v[144:145], v[146:147] neg_lo:[0,1] neg_hi:[0,1]
	v_pk_add_f32 v[144:145], v[144:145], v[146:147]
	v_mov_b32_e32 v146, v145
	v_pk_add_f32 v[162:163], v[146:147], v[134:135] neg_lo:[0,1] neg_hi:[0,1]
	v_mov_b32_e32 v35, v162
	v_pk_add_f32 v[164:165], v[150:151], v[34:35] neg_lo:[0,1] neg_hi:[0,1]
	v_mov_b32_e32 v144, v151
	v_mov_b32_e32 v150, v135
	;; [unrolled: 1-line block ×4, first 2 shown]
	v_pk_add_f32 v[144:145], v[144:145], v[150:151] neg_lo:[0,1] neg_hi:[0,1]
	v_mov_b32_e32 v148, v149
	v_mov_b32_e32 v149, v134
	v_pk_add_f32 v[134:135], v[148:149], v[144:145] neg_lo:[0,1] neg_hi:[0,1]
	v_mov_b32_e32 v164, v160
	v_pk_add_f32 v[144:145], v[164:165], v[134:135]
	v_mov_b32_e32 v148, v145
	v_pk_add_f32 v[148:149], v[144:145], v[148:149]
	v_pk_add_f32 v[146:147], v[146:147], v[148:149]
	v_mov_b32_e32 v145, v146
	v_pk_add_f32 v[150:151], v[144:145], v[160:161] neg_lo:[0,1] neg_hi:[0,1]
	v_mov_b32_e32 v135, v148
	v_sub_f32_e32 v35, v144, v150
	v_pk_add_f32 v[134:135], v[134:135], v[150:151] neg_lo:[0,1] neg_hi:[0,1]
	v_sub_f32_e32 v35, v160, v35
	v_add_f32_e32 v35, v134, v35
	v_add_f32_e32 v35, v35, v135
	v_cmp_eq_f32_e32 vcc, s73, v37
	v_cmp_lt_f32_e64 s[78:79], |v37|, s76
	v_add_f32_e32 v35, v146, v35
	s_or_b64 vcc, vcc, s[78:79]
	v_cndmask_b32_e32 v35, v35, v37, vcc
	v_add_f32_e32 v35, v36, v35
	v_cvt_f16_f32_e32 v35, v35
.LBB421_188:                            ;   in Loop: Header=BB421_160 Depth=1
	s_or_b64 exec, exec, s[62:63]
	v_mov_b32_e32 v133, v35
.LBB421_189:                            ;   in Loop: Header=BB421_160 Depth=1
	s_or_b64 exec, exec, s[66:67]
	v_cvt_f32_f16_e32 v36, v133
	v_cvt_f32_f16_e32 v37, v129
	v_cmp_u_f16_e32 vcc, v133, v133
	v_cmp_u_f16_e64 s[62:63], v129, v129
	s_waitcnt lgkmcnt(0)
	v_min_f32_e32 v35, v36, v37
	v_max_f32_e32 v134, v36, v37
	v_cndmask_b32_e32 v35, v35, v36, vcc
	v_cndmask_b32_e32 v36, v134, v36, vcc
	v_cndmask_b32_e64 v35, v35, v37, s[62:63]
	v_cndmask_b32_e64 v36, v36, v37, s[62:63]
	v_cmp_neq_f32_e32 vcc, v35, v36
	v_cmp_class_f32_e64 s[62:63], v35, s69
	s_or_b64 vcc, vcc, s[62:63]
	s_and_saveexec_b64 s[62:63], vcc
	s_xor_b64 s[62:63], exec, s[62:63]
	s_cbranch_execz .LBB421_159
; %bb.190:                              ;   in Loop: Header=BB421_160 Depth=1
	v_sub_f32_e32 v35, v35, v36
	v_mul_f32_e32 v37, 0x3fb8aa3b, v35
	v_fma_f32 v133, v35, s70, -v37
	v_rndne_f32_e32 v134, v37
	v_fmac_f32_e32 v133, 0x32a5705f, v35
	v_sub_f32_e32 v37, v37, v134
	v_add_f32_e32 v37, v37, v133
	v_cvt_i32_f32_e32 v133, v134
	v_exp_f32_e32 v37, v37
	v_cmp_ngt_f32_e32 vcc, s71, v35
	v_ldexp_f32 v37, v37, v133
	v_cndmask_b32_e32 v37, 0, v37, vcc
	v_cmp_nlt_f32_e32 vcc, s72, v35
	v_cndmask_b32_e32 v37, v132, v37, vcc
	v_add_f32_e32 v35, 1.0, v37
	v_add_f32_e32 v133, -1.0, v35
	v_sub_f32_e32 v134, v133, v35
	v_add_f32_e32 v134, 1.0, v134
	v_sub_f32_e32 v133, v37, v133
	v_add_f32_e32 v133, v133, v134
	v_frexp_mant_f32_e32 v144, v35
	v_cvt_f64_f32_e32 v[134:135], v35
	v_frexp_exp_i32_f64_e32 v134, v[134:135]
	v_cmp_gt_f32_e32 vcc, s74, v144
	v_subbrev_co_u32_e32 v134, vcc, 0, v134, vcc
	v_sub_u32_e32 v135, 0, v134
	v_ldexp_f32 v35, v35, v135
	v_ldexp_f32 v133, v133, v135
	v_add_f32_e32 v135, -1.0, v35
	v_add_f32_e32 v146, 1.0, v35
	v_add_f32_e32 v144, 1.0, v135
	v_add_f32_e32 v147, -1.0, v146
	v_sub_f32_e32 v144, v35, v144
	v_sub_f32_e32 v35, v35, v147
	v_add_f32_e32 v35, v133, v35
	v_add_f32_e32 v144, v133, v144
	;; [unrolled: 1-line block ×3, first 2 shown]
	v_rcp_f32_e32 v147, v133
	v_add_f32_e32 v145, v135, v144
	v_sub_f32_e32 v135, v135, v145
	v_add_f32_e32 v135, v144, v135
	v_sub_f32_e32 v144, v146, v133
	v_add_f32_e32 v35, v35, v144
	v_mul_f32_e32 v144, v145, v147
	v_mul_f32_e32 v146, v133, v144
	v_fma_f32 v148, v144, v133, -v146
	v_fmac_f32_e32 v148, v144, v35
	v_add_f32_e32 v149, v146, v148
	v_sub_f32_e32 v150, v145, v149
	v_sub_f32_e32 v145, v145, v150
	;; [unrolled: 1-line block ×4, first 2 shown]
	v_add_f32_e32 v135, v135, v145
	v_sub_f32_e32 v145, v146, v148
	v_add_f32_e32 v135, v145, v135
	v_add_f32_e32 v145, v150, v135
	v_mul_f32_e32 v146, v147, v145
	v_mul_f32_e32 v148, v133, v146
	v_fma_f32 v133, v146, v133, -v148
	v_fmac_f32_e32 v133, v146, v35
	v_sub_f32_e32 v35, v150, v145
	v_add_f32_e32 v35, v135, v35
	v_add_f32_e32 v135, v148, v133
	v_sub_f32_e32 v149, v145, v135
	v_sub_f32_e32 v145, v145, v149
	;; [unrolled: 1-line block ×4, first 2 shown]
	v_add_f32_e32 v35, v35, v135
	v_sub_f32_e32 v133, v148, v133
	v_add_f32_e32 v35, v133, v35
	v_add_f32_e32 v133, v144, v146
	;; [unrolled: 1-line block ×3, first 2 shown]
	v_sub_f32_e32 v135, v133, v144
	v_mul_f32_e32 v35, v147, v35
	v_sub_f32_e32 v135, v146, v135
	v_add_f32_e32 v135, v135, v35
	v_add_f32_e32 v144, v133, v135
	v_cvt_f32_i32_e32 v134, v134
	v_mul_f32_e32 v146, v144, v144
	v_mov_b32_e32 v35, 0x3ecc95a3
	v_fmac_f32_e32 v35, 0x3e9b6dac, v146
	v_sub_f32_e32 v133, v144, v133
	v_fma_f32 v35, v146, v35, v130
	v_sub_f32_e32 v133, v135, v133
	v_mul_f32_e32 v135, v144, v146
	v_pk_mul_f32 v[146:147], v[134:135], v[34:35]
	v_ldexp_f32 v145, v144, 1
	v_fma_f32 v144, v134, s75, -v146
	v_fmac_f32_e32 v144, 0xb102e308, v134
	v_pk_add_f32 v[134:135], v[146:147], v[144:145]
	v_sub_f32_e32 v35, v135, v145
	v_ldexp_f32 v133, v133, 1
	v_sub_f32_e32 v35, v147, v35
	v_add_f32_e32 v149, v133, v35
	v_mov_b32_e32 v148, v146
	v_pk_add_f32 v[146:147], v[134:135], v[146:147] neg_lo:[0,1] neg_hi:[0,1]
	v_pk_add_f32 v[150:151], v[134:135], v[148:149]
	v_mov_b32_e32 v147, v151
	v_mov_b32_e32 v145, v134
	v_pk_add_f32 v[160:161], v[144:145], v[146:147] neg_lo:[0,1] neg_hi:[0,1]
	v_pk_add_f32 v[144:145], v[144:145], v[146:147]
	v_mov_b32_e32 v146, v145
	v_pk_add_f32 v[162:163], v[146:147], v[134:135] neg_lo:[0,1] neg_hi:[0,1]
	v_mov_b32_e32 v35, v162
	v_pk_add_f32 v[164:165], v[150:151], v[34:35] neg_lo:[0,1] neg_hi:[0,1]
	v_mov_b32_e32 v144, v151
	v_mov_b32_e32 v150, v135
	;; [unrolled: 1-line block ×4, first 2 shown]
	v_pk_add_f32 v[144:145], v[144:145], v[150:151] neg_lo:[0,1] neg_hi:[0,1]
	v_mov_b32_e32 v148, v149
	v_mov_b32_e32 v149, v134
	v_pk_add_f32 v[134:135], v[148:149], v[144:145] neg_lo:[0,1] neg_hi:[0,1]
	v_mov_b32_e32 v164, v160
	v_pk_add_f32 v[144:145], v[164:165], v[134:135]
	v_mov_b32_e32 v148, v145
	v_pk_add_f32 v[148:149], v[144:145], v[148:149]
	v_pk_add_f32 v[146:147], v[146:147], v[148:149]
	v_mov_b32_e32 v145, v146
	v_pk_add_f32 v[150:151], v[144:145], v[160:161] neg_lo:[0,1] neg_hi:[0,1]
	v_mov_b32_e32 v135, v148
	v_sub_f32_e32 v35, v144, v150
	v_pk_add_f32 v[134:135], v[134:135], v[150:151] neg_lo:[0,1] neg_hi:[0,1]
	v_sub_f32_e32 v35, v160, v35
	v_add_f32_e32 v35, v134, v35
	v_add_f32_e32 v35, v35, v135
	v_cmp_eq_f32_e32 vcc, s73, v37
	v_cmp_lt_f32_e64 s[66:67], |v37|, s76
	v_add_f32_e32 v35, v146, v35
	s_or_b64 vcc, vcc, s[66:67]
	v_cndmask_b32_e32 v35, v35, v37, vcc
	v_add_f32_e32 v35, v36, v35
	v_cvt_f16_f32_e32 v133, v35
	s_branch .LBB421_159
.LBB421_191:                            ;   in Loop: Header=BB421_160 Depth=1
                                        ; implicit-def: $vgpr133
                                        ; implicit-def: $vgpr100
	s_cbranch_execz .LBB421_160
; %bb.192:
	s_and_saveexec_b64 s[62:63], s[60:61]
	s_cbranch_execz .LBB421_196
; %bb.193:
	v_cvt_f32_f16_e32 v30, v129
	v_cvt_f32_f16_e32 v31, v99
	v_cmp_u_f16_e32 vcc, v129, v129
	v_cmp_u_f16_e64 s[60:61], v99, v99
	v_min_f32_e32 v32, v30, v31
	v_max_f32_e32 v33, v30, v31
	v_cndmask_b32_e32 v32, v32, v30, vcc
	v_cndmask_b32_e32 v30, v33, v30, vcc
	v_cndmask_b32_e64 v32, v32, v31, s[60:61]
	v_cndmask_b32_e64 v30, v30, v31, s[60:61]
	s_movk_i32 s60, 0x1f8
	v_cmp_neq_f32_e32 vcc, v32, v30
	v_cmp_class_f32_e64 s[60:61], v32, s60
	s_or_b64 vcc, vcc, s[60:61]
	v_mov_b32_e32 v31, v129
	s_and_saveexec_b64 s[60:61], vcc
	s_cbranch_execz .LBB421_195
; %bb.194:
	v_sub_f32_e32 v31, v32, v30
	s_mov_b32 s66, 0x3fb8aa3b
	v_mul_f32_e32 v32, 0x3fb8aa3b, v31
	v_fma_f32 v33, v31, s66, -v32
	v_rndne_f32_e32 v34, v32
	v_fmac_f32_e32 v33, 0x32a5705f, v31
	v_sub_f32_e32 v32, v32, v34
	v_add_f32_e32 v32, v32, v33
	v_exp_f32_e32 v32, v32
	v_cvt_i32_f32_e32 v33, v34
	s_mov_b32 s66, 0xc2ce8ed0
	v_cmp_ngt_f32_e32 vcc, s66, v31
	s_mov_b32 s66, 0x42b17218
	v_ldexp_f32 v32, v32, v33
	v_cndmask_b32_e32 v32, 0, v32, vcc
	v_mov_b32_e32 v33, 0x7f800000
	v_cmp_nlt_f32_e32 vcc, s66, v31
	v_cndmask_b32_e32 v99, v33, v32, vcc
	v_add_f32_e32 v31, 1.0, v99
	v_add_f32_e32 v32, -1.0, v31
	v_sub_f32_e32 v33, v32, v31
	v_add_f32_e32 v33, 1.0, v33
	v_sub_f32_e32 v32, v99, v32
	v_add_f32_e32 v34, v32, v33
	v_frexp_mant_f32_e32 v35, v31
	s_mov_b32 s66, 0x3f2aaaab
	v_cvt_f64_f32_e32 v[32:33], v31
	v_frexp_exp_i32_f64_e32 v32, v[32:33]
	v_cmp_gt_f32_e32 vcc, s66, v35
	v_subbrev_co_u32_e32 v102, vcc, 0, v32, vcc
	v_sub_u32_e32 v32, 0, v102
	v_ldexp_f32 v31, v31, v32
	v_ldexp_f32 v32, v34, v32
	v_add_f32_e32 v34, -1.0, v31
	v_add_f32_e32 v33, 1.0, v34
	v_sub_f32_e32 v33, v31, v33
	v_add_f32_e32 v35, v32, v33
	v_add_f32_e32 v33, 1.0, v31
	v_add_f32_e32 v36, -1.0, v33
	v_sub_f32_e32 v31, v31, v36
	v_add_f32_e32 v31, v32, v31
	v_add_f32_e32 v103, v33, v31
	v_rcp_f32_e32 v112, v103
	v_sub_f32_e32 v32, v33, v103
	v_add_f32_e32 v33, v34, v35
	v_add_f32_e32 v31, v31, v32
	v_mul_f32_e32 v114, v33, v112
	v_sub_f32_e32 v32, v34, v33
	v_mul_f32_e32 v34, v103, v114
	v_fma_f32 v36, v114, v103, -v34
	v_fmac_f32_e32 v36, v114, v31
	v_add_f32_e32 v113, v35, v32
	v_add_f32_e32 v32, v34, v36
	v_sub_f32_e32 v35, v33, v32
	v_pk_add_f32 v[100:101], v[32:33], v[34:35] neg_lo:[0,1] neg_hi:[0,1]
	v_mov_b32_e32 v37, v32
	v_pk_add_f32 v[32:33], v[100:101], v[36:37] neg_lo:[0,1] neg_hi:[0,1]
	v_add_f32_e32 v33, v113, v33
	v_add_f32_e32 v32, v32, v33
	v_add_f32_e32 v33, v35, v32
	v_mul_f32_e32 v113, v112, v33
	v_mul_f32_e32 v34, v103, v113
	v_fma_f32 v36, v113, v103, -v34
	v_fmac_f32_e32 v36, v113, v31
	v_sub_f32_e32 v31, v35, v33
	v_add_f32_e32 v31, v32, v31
	v_add_f32_e32 v32, v34, v36
	v_sub_f32_e32 v35, v33, v32
	v_pk_add_f32 v[100:101], v[32:33], v[34:35] neg_lo:[0,1] neg_hi:[0,1]
	v_mov_b32_e32 v37, v32
	v_pk_add_f32 v[32:33], v[100:101], v[36:37] neg_lo:[0,1] neg_hi:[0,1]
	v_add_f32_e32 v31, v31, v33
	v_add_f32_e32 v31, v32, v31
	;; [unrolled: 1-line block ×4, first 2 shown]
	v_sub_f32_e32 v33, v32, v114
	v_mul_f32_e32 v31, v112, v31
	v_sub_f32_e32 v33, v113, v33
	v_add_f32_e32 v31, v33, v31
	v_add_f32_e32 v35, v32, v31
	v_mul_f32_e32 v36, v35, v35
	v_mov_b32_e32 v34, 0x3ecc95a3
	v_fmac_f32_e32 v34, 0x3e9b6dac, v36
	v_mov_b32_e32 v33, 0x3f2aaada
	v_fmac_f32_e32 v33, v36, v34
	v_cvt_f32_i32_e32 v34, v102
	v_sub_f32_e32 v32, v35, v32
	v_sub_f32_e32 v31, v31, v32
	v_ldexp_f32 v37, v35, 1
	v_mul_f32_e32 v35, v35, v36
	v_mov_b32_e32 v32, 0x3f317218
	s_mov_b32 s66, 0x3f317218
	v_pk_mul_f32 v[32:33], v[34:35], v[32:33]
	v_fma_f32 v36, v34, s66, -v32
	v_fmac_f32_e32 v36, 0xb102e308, v34
	v_pk_add_f32 v[34:35], v[32:33], v[36:37]
	v_sub_f32_e32 v37, v35, v37
	v_ldexp_f32 v31, v31, 1
	v_sub_f32_e32 v37, v33, v37
	v_add_f32_e32 v101, v31, v37
	v_mov_b32_e32 v100, v32
	v_pk_add_f32 v[32:33], v[34:35], v[32:33] neg_lo:[0,1] neg_hi:[0,1]
	v_pk_add_f32 v[102:103], v[34:35], v[100:101]
	v_mov_b32_e32 v33, v103
	v_mov_b32_e32 v37, v34
	v_pk_add_f32 v[112:113], v[36:37], v[32:33] neg_lo:[0,1] neg_hi:[0,1]
	v_pk_add_f32 v[32:33], v[36:37], v[32:33]
	v_mov_b32_e32 v36, v33
	v_pk_add_f32 v[114:115], v[36:37], v[34:35] neg_lo:[0,1] neg_hi:[0,1]
	v_mov_b32_e32 v31, v114
	v_pk_add_f32 v[116:117], v[102:103], v[30:31] neg_lo:[0,1] neg_hi:[0,1]
	v_mov_b32_e32 v32, v103
	v_mov_b32_e32 v102, v35
	;; [unrolled: 1-line block ×4, first 2 shown]
	v_pk_add_f32 v[32:33], v[32:33], v[102:103] neg_lo:[0,1] neg_hi:[0,1]
	v_mov_b32_e32 v100, v101
	v_mov_b32_e32 v101, v34
	v_pk_add_f32 v[32:33], v[100:101], v[32:33] neg_lo:[0,1] neg_hi:[0,1]
	v_mov_b32_e32 v116, v112
	v_pk_add_f32 v[34:35], v[116:117], v[32:33]
	v_mov_b32_e32 v100, v35
	v_pk_add_f32 v[100:101], v[34:35], v[100:101]
	v_pk_add_f32 v[36:37], v[36:37], v[100:101]
	v_mov_b32_e32 v35, v36
	v_pk_add_f32 v[102:103], v[34:35], v[112:113] neg_lo:[0,1] neg_hi:[0,1]
	v_mov_b32_e32 v33, v100
	v_sub_f32_e32 v31, v34, v102
	v_pk_add_f32 v[32:33], v[32:33], v[102:103] neg_lo:[0,1] neg_hi:[0,1]
	v_sub_f32_e32 v31, v112, v31
	s_mov_b32 s67, 0x7f800000
	v_add_f32_e32 v31, v32, v31
	s_mov_b32 s66, 0x33800000
	v_add_f32_e32 v31, v31, v33
	v_cmp_eq_f32_e32 vcc, s67, v99
	v_cmp_lt_f32_e64 s[66:67], |v99|, s66
	v_add_f32_e32 v31, v36, v31
	s_or_b64 vcc, vcc, s[66:67]
	v_cndmask_b32_e32 v31, v31, v99, vcc
	v_add_f32_e32 v30, v30, v31
	v_cvt_f16_f32_e32 v31, v30
.LBB421_195:
	s_or_b64 exec, exec, s[60:61]
	s_add_i32 vcc_lo, s68, 64
	s_mov_b32 vcc_hi, 0
	s_lshl_b64 vcc, vcc, 2
	v_mov_b32_e32 v30, vcc_hi
	v_add_co_u32_e32 v32, vcc, vcc_lo, v24
	v_addc_co_u32_e32 v33, vcc, v25, v30, vcc
	s_mov_b32 vcc_lo, 0x20000
	v_or_b32_sdwa v30, v31, vcc_lo dst_sel:DWORD dst_unused:UNUSED_PAD src0_sel:WORD_0 src1_sel:DWORD
	flat_store_dword v[32:33], v30
.LBB421_196:
	s_or_b64 exec, exec, s[62:63]
	s_and_b64 exec, exec, s[8:9]
	s_cbranch_execz .LBB421_198
; %bb.197:
	v_mov_b32_e32 v30, 0
	ds_write_b16 v30, v129
.LBB421_198:
	s_or_b64 exec, exec, s[64:65]
	v_mov_b32_e32 v30, 0
	s_waitcnt lgkmcnt(0)
	; wave barrier
	s_waitcnt lgkmcnt(0)
	ds_read_u16 v30, v30
	v_mov_b32_e32 v31, v20
	s_and_saveexec_b64 s[60:61], s[6:7]
	s_cbranch_execz .LBB421_202
; %bb.199:
	v_cvt_f32_f16_e32 v32, v98
	v_max_f32_e32 v31, v97, v97
	v_cmp_u_f16_e32 vcc, v98, v98
	v_min_f32_e32 v33, v32, v31
	v_max_f32_e32 v31, v32, v31
	v_cndmask_b32_e32 v33, v33, v32, vcc
	v_cndmask_b32_e32 v31, v31, v32, vcc
	v_cndmask_b32_e64 v33, v33, v97, s[58:59]
	v_cndmask_b32_e64 v31, v31, v97, s[58:59]
	s_movk_i32 s58, 0x1f8
	v_cmp_neq_f32_e32 vcc, v33, v31
	v_cmp_class_f32_e64 s[58:59], v33, s58
	s_or_b64 vcc, vcc, s[58:59]
	s_and_saveexec_b64 s[58:59], vcc
	s_cbranch_execz .LBB421_201
; %bb.200:
	v_sub_f32_e32 v32, v33, v31
	s_mov_b32 s62, 0x3fb8aa3b
	v_mul_f32_e32 v33, 0x3fb8aa3b, v32
	v_fma_f32 v34, v32, s62, -v33
	v_rndne_f32_e32 v35, v33
	v_fmac_f32_e32 v34, 0x32a5705f, v32
	v_sub_f32_e32 v33, v33, v35
	v_add_f32_e32 v33, v33, v34
	v_exp_f32_e32 v33, v33
	v_cvt_i32_f32_e32 v34, v35
	s_mov_b32 s62, 0xc2ce8ed0
	v_cmp_ngt_f32_e32 vcc, s62, v32
	s_mov_b32 s62, 0x42b17218
	v_ldexp_f32 v33, v33, v34
	v_cndmask_b32_e32 v33, 0, v33, vcc
	v_mov_b32_e32 v34, 0x7f800000
	v_cmp_nlt_f32_e32 vcc, s62, v32
	v_cndmask_b32_e32 v97, v34, v33, vcc
	v_add_f32_e32 v34, 1.0, v97
	v_add_f32_e32 v32, -1.0, v34
	v_sub_f32_e32 v33, v32, v34
	v_add_f32_e32 v33, 1.0, v33
	v_sub_f32_e32 v32, v97, v32
	v_add_f32_e32 v35, v32, v33
	v_frexp_mant_f32_e32 v36, v34
	s_mov_b32 s62, 0x3f2aaaab
	v_cvt_f64_f32_e32 v[32:33], v34
	v_frexp_exp_i32_f64_e32 v32, v[32:33]
	v_cmp_gt_f32_e32 vcc, s62, v36
	v_subbrev_co_u32_e32 v100, vcc, 0, v32, vcc
	v_sub_u32_e32 v32, 0, v100
	v_ldexp_f32 v33, v34, v32
	v_add_f32_e32 v34, -1.0, v33
	v_add_f32_e32 v36, 1.0, v33
	v_ldexp_f32 v32, v35, v32
	v_add_f32_e32 v35, 1.0, v34
	v_add_f32_e32 v37, -1.0, v36
	v_sub_f32_e32 v35, v33, v35
	v_sub_f32_e32 v33, v33, v37
	v_add_f32_e32 v35, v32, v35
	v_add_f32_e32 v32, v32, v33
	;; [unrolled: 1-line block ×3, first 2 shown]
	v_rcp_f32_e32 v103, v101
	v_sub_f32_e32 v33, v36, v101
	v_add_f32_e32 v102, v32, v33
	v_add_f32_e32 v33, v34, v35
	v_mul_f32_e32 v113, v33, v103
	v_sub_f32_e32 v32, v34, v33
	v_mul_f32_e32 v34, v101, v113
	v_fma_f32 v36, v113, v101, -v34
	v_fmac_f32_e32 v36, v113, v102
	v_add_f32_e32 v112, v35, v32
	v_add_f32_e32 v32, v34, v36
	v_sub_f32_e32 v35, v33, v32
	v_pk_add_f32 v[98:99], v[32:33], v[34:35] neg_lo:[0,1] neg_hi:[0,1]
	v_mov_b32_e32 v37, v32
	v_pk_add_f32 v[32:33], v[98:99], v[36:37] neg_lo:[0,1] neg_hi:[0,1]
	v_add_f32_e32 v33, v112, v33
	v_add_f32_e32 v32, v32, v33
	;; [unrolled: 1-line block ×3, first 2 shown]
	v_mul_f32_e32 v112, v103, v33
	v_mul_f32_e32 v34, v101, v112
	v_fma_f32 v36, v112, v101, -v34
	v_fmac_f32_e32 v36, v112, v102
	v_sub_f32_e32 v35, v35, v33
	v_add_f32_e32 v101, v32, v35
	v_add_f32_e32 v32, v34, v36
	v_sub_f32_e32 v35, v33, v32
	v_pk_add_f32 v[98:99], v[32:33], v[34:35] neg_lo:[0,1] neg_hi:[0,1]
	v_mov_b32_e32 v37, v32
	v_pk_add_f32 v[32:33], v[98:99], v[36:37] neg_lo:[0,1] neg_hi:[0,1]
	v_add_f32_e32 v33, v101, v33
	v_add_f32_e32 v32, v32, v33
	;; [unrolled: 1-line block ×4, first 2 shown]
	v_sub_f32_e32 v33, v35, v113
	v_mul_f32_e32 v32, v103, v32
	v_sub_f32_e32 v33, v112, v33
	v_add_f32_e32 v32, v33, v32
	v_add_f32_e32 v36, v35, v32
	v_mul_f32_e32 v98, v36, v36
	v_mov_b32_e32 v34, 0x3ecc95a3
	v_fmac_f32_e32 v34, 0x3e9b6dac, v98
	v_mov_b32_e32 v33, 0x3f2aaada
	v_fmac_f32_e32 v33, v98, v34
	v_cvt_f32_i32_e32 v34, v100
	v_sub_f32_e32 v35, v36, v35
	v_sub_f32_e32 v32, v32, v35
	v_ldexp_f32 v99, v32, 1
	v_mul_f32_e32 v35, v36, v98
	v_mov_b32_e32 v32, 0x3f317218
	s_mov_b32 s62, 0x3f317218
	v_pk_mul_f32 v[32:33], v[34:35], v[32:33]
	v_ldexp_f32 v37, v36, 1
	v_fma_f32 v36, v34, s62, -v32
	v_fmac_f32_e32 v36, 0xb102e308, v34
	v_pk_add_f32 v[34:35], v[32:33], v[36:37]
	v_sub_f32_e32 v37, v35, v37
	v_sub_f32_e32 v37, v33, v37
	v_add_f32_e32 v99, v99, v37
	v_mov_b32_e32 v98, v32
	v_pk_add_f32 v[32:33], v[34:35], v[32:33] neg_lo:[0,1] neg_hi:[0,1]
	v_pk_add_f32 v[100:101], v[34:35], v[98:99]
	v_mov_b32_e32 v33, v101
	v_mov_b32_e32 v37, v34
	v_pk_add_f32 v[102:103], v[36:37], v[32:33] neg_lo:[0,1] neg_hi:[0,1]
	v_pk_add_f32 v[32:33], v[36:37], v[32:33]
	v_mov_b32_e32 v36, v33
	v_pk_add_f32 v[112:113], v[36:37], v[34:35] neg_lo:[0,1] neg_hi:[0,1]
	v_mov_b32_e32 v37, v112
	v_pk_add_f32 v[114:115], v[100:101], v[36:37] neg_lo:[0,1] neg_hi:[0,1]
	v_mov_b32_e32 v32, v101
	v_mov_b32_e32 v100, v35
	;; [unrolled: 1-line block ×4, first 2 shown]
	v_pk_add_f32 v[32:33], v[32:33], v[100:101] neg_lo:[0,1] neg_hi:[0,1]
	v_mov_b32_e32 v98, v99
	v_mov_b32_e32 v99, v34
	v_pk_add_f32 v[32:33], v[98:99], v[32:33] neg_lo:[0,1] neg_hi:[0,1]
	v_mov_b32_e32 v114, v102
	v_pk_add_f32 v[34:35], v[114:115], v[32:33]
	v_mov_b32_e32 v98, v35
	v_pk_add_f32 v[98:99], v[34:35], v[98:99]
	v_pk_add_f32 v[36:37], v[36:37], v[98:99]
	v_mov_b32_e32 v35, v36
	v_pk_add_f32 v[100:101], v[34:35], v[102:103] neg_lo:[0,1] neg_hi:[0,1]
	v_mov_b32_e32 v33, v98
	v_sub_f32_e32 v34, v34, v100
	v_pk_add_f32 v[32:33], v[32:33], v[100:101] neg_lo:[0,1] neg_hi:[0,1]
	v_sub_f32_e32 v34, v102, v34
	s_mov_b32 s63, 0x7f800000
	v_add_f32_e32 v32, v32, v34
	s_mov_b32 s62, 0x33800000
	v_add_f32_e32 v32, v32, v33
	v_cmp_eq_f32_e32 vcc, s63, v97
	v_cmp_lt_f32_e64 s[62:63], |v97|, s62
	v_add_f32_e32 v32, v36, v32
	s_or_b64 vcc, vcc, s[62:63]
	v_cndmask_b32_e32 v32, v32, v97, vcc
	v_add_f32_e32 v31, v31, v32
	v_cvt_f16_f32_e32 v98, v31
	v_cvt_f32_f16_e32 v32, v98
.LBB421_201:
	s_or_b64 exec, exec, s[58:59]
	v_mov_b32_e32 v97, v32
	v_mov_b32_e32 v31, v98
.LBB421_202:
	s_or_b64 exec, exec, s[60:61]
	s_waitcnt lgkmcnt(0)
	v_cvt_f32_f16_e32 v98, v30
	v_max_f32_e32 v33, v97, v97
	v_cmp_u_f16_e32 vcc, v30, v30
	v_cmp_u_f16_e64 s[58:59], v31, v31
	v_min_f32_e32 v32, v98, v33
	v_max_f32_e32 v31, v98, v33
	v_cndmask_b32_e32 v32, v32, v98, vcc
	v_cndmask_b32_e32 v31, v31, v98, vcc
	v_cndmask_b32_e64 v32, v32, v97, s[58:59]
	v_cndmask_b32_e64 v31, v31, v97, s[58:59]
	s_movk_i32 s60, 0x1f8
	v_cmp_neq_f32_e32 vcc, v32, v31
	v_cmp_class_f32_e64 s[58:59], v32, s60
	s_or_b64 vcc, vcc, s[58:59]
	s_and_saveexec_b64 s[58:59], vcc
	s_cbranch_execz .LBB421_204
; %bb.203:
	v_sub_f32_e32 v30, v32, v31
	s_mov_b32 s61, 0x3fb8aa3b
	v_mul_f32_e32 v32, 0x3fb8aa3b, v30
	v_fma_f32 v33, v30, s61, -v32
	v_rndne_f32_e32 v34, v32
	v_fmac_f32_e32 v33, 0x32a5705f, v30
	v_sub_f32_e32 v32, v32, v34
	v_add_f32_e32 v32, v32, v33
	v_exp_f32_e32 v32, v32
	v_cvt_i32_f32_e32 v33, v34
	s_mov_b32 s61, 0xc2ce8ed0
	v_cmp_ngt_f32_e32 vcc, s61, v30
	s_mov_b32 s61, 0x42b17218
	v_ldexp_f32 v32, v32, v33
	v_cndmask_b32_e32 v32, 0, v32, vcc
	v_mov_b32_e32 v33, 0x7f800000
	v_cmp_nlt_f32_e32 vcc, s61, v30
	v_cndmask_b32_e32 v97, v33, v32, vcc
	v_add_f32_e32 v30, 1.0, v97
	v_add_f32_e32 v32, -1.0, v30
	v_sub_f32_e32 v33, v32, v30
	v_add_f32_e32 v33, 1.0, v33
	v_sub_f32_e32 v32, v97, v32
	v_add_f32_e32 v34, v32, v33
	v_frexp_mant_f32_e32 v35, v30
	s_mov_b32 s61, 0x3f2aaaab
	v_cvt_f64_f32_e32 v[32:33], v30
	v_frexp_exp_i32_f64_e32 v32, v[32:33]
	v_cmp_gt_f32_e32 vcc, s61, v35
	v_subbrev_co_u32_e32 v100, vcc, 0, v32, vcc
	v_sub_u32_e32 v32, 0, v100
	v_ldexp_f32 v30, v30, v32
	v_ldexp_f32 v32, v34, v32
	v_add_f32_e32 v34, -1.0, v30
	v_add_f32_e32 v33, 1.0, v34
	v_sub_f32_e32 v33, v30, v33
	v_add_f32_e32 v35, v32, v33
	v_add_f32_e32 v33, 1.0, v30
	v_add_f32_e32 v36, -1.0, v33
	v_sub_f32_e32 v30, v30, v36
	v_add_f32_e32 v30, v32, v30
	v_add_f32_e32 v101, v33, v30
	v_rcp_f32_e32 v102, v101
	v_sub_f32_e32 v32, v33, v101
	v_add_f32_e32 v33, v34, v35
	v_add_f32_e32 v30, v30, v32
	v_mul_f32_e32 v112, v33, v102
	v_sub_f32_e32 v32, v34, v33
	v_mul_f32_e32 v34, v101, v112
	v_fma_f32 v36, v112, v101, -v34
	v_fmac_f32_e32 v36, v112, v30
	v_add_f32_e32 v103, v35, v32
	v_add_f32_e32 v32, v34, v36
	v_sub_f32_e32 v35, v33, v32
	v_pk_add_f32 v[98:99], v[32:33], v[34:35] neg_lo:[0,1] neg_hi:[0,1]
	v_mov_b32_e32 v37, v32
	v_pk_add_f32 v[32:33], v[98:99], v[36:37] neg_lo:[0,1] neg_hi:[0,1]
	v_add_f32_e32 v33, v103, v33
	v_add_f32_e32 v32, v32, v33
	;; [unrolled: 1-line block ×3, first 2 shown]
	v_mul_f32_e32 v103, v102, v33
	v_mul_f32_e32 v34, v101, v103
	v_fma_f32 v36, v103, v101, -v34
	v_fmac_f32_e32 v36, v103, v30
	v_sub_f32_e32 v30, v35, v33
	v_add_f32_e32 v30, v32, v30
	v_add_f32_e32 v32, v34, v36
	v_sub_f32_e32 v35, v33, v32
	v_pk_add_f32 v[98:99], v[32:33], v[34:35] neg_lo:[0,1] neg_hi:[0,1]
	v_mov_b32_e32 v37, v32
	v_pk_add_f32 v[32:33], v[98:99], v[36:37] neg_lo:[0,1] neg_hi:[0,1]
	v_add_f32_e32 v30, v30, v33
	v_add_f32_e32 v30, v32, v30
	;; [unrolled: 1-line block ×4, first 2 shown]
	v_sub_f32_e32 v33, v32, v112
	v_mul_f32_e32 v30, v102, v30
	v_sub_f32_e32 v33, v103, v33
	v_add_f32_e32 v30, v33, v30
	v_add_f32_e32 v35, v32, v30
	v_mul_f32_e32 v36, v35, v35
	v_mov_b32_e32 v34, 0x3ecc95a3
	v_fmac_f32_e32 v34, 0x3e9b6dac, v36
	v_mov_b32_e32 v33, 0x3f2aaada
	v_fmac_f32_e32 v33, v36, v34
	v_cvt_f32_i32_e32 v34, v100
	v_sub_f32_e32 v32, v35, v32
	v_sub_f32_e32 v30, v30, v32
	v_ldexp_f32 v37, v35, 1
	v_mul_f32_e32 v35, v35, v36
	v_mov_b32_e32 v32, 0x3f317218
	s_mov_b32 s61, 0x3f317218
	v_pk_mul_f32 v[32:33], v[34:35], v[32:33]
	v_fma_f32 v36, v34, s61, -v32
	v_fmac_f32_e32 v36, 0xb102e308, v34
	v_pk_add_f32 v[34:35], v[32:33], v[36:37]
	v_sub_f32_e32 v37, v35, v37
	v_ldexp_f32 v30, v30, 1
	v_sub_f32_e32 v37, v33, v37
	v_add_f32_e32 v99, v30, v37
	v_mov_b32_e32 v98, v32
	v_pk_add_f32 v[32:33], v[34:35], v[32:33] neg_lo:[0,1] neg_hi:[0,1]
	v_pk_add_f32 v[100:101], v[34:35], v[98:99]
	v_mov_b32_e32 v33, v101
	v_mov_b32_e32 v37, v34
	v_pk_add_f32 v[102:103], v[36:37], v[32:33] neg_lo:[0,1] neg_hi:[0,1]
	v_pk_add_f32 v[32:33], v[36:37], v[32:33]
	v_mov_b32_e32 v30, v33
	v_pk_add_f32 v[36:37], v[30:31], v[34:35] neg_lo:[0,1] neg_hi:[0,1]
	v_mov_b32_e32 v37, v36
	v_pk_add_f32 v[112:113], v[100:101], v[36:37] neg_lo:[0,1] neg_hi:[0,1]
	v_mov_b32_e32 v32, v101
	v_mov_b32_e32 v100, v35
	;; [unrolled: 1-line block ×4, first 2 shown]
	v_pk_add_f32 v[32:33], v[32:33], v[100:101] neg_lo:[0,1] neg_hi:[0,1]
	v_mov_b32_e32 v36, v99
	v_mov_b32_e32 v37, v34
	v_pk_add_f32 v[32:33], v[36:37], v[32:33] neg_lo:[0,1] neg_hi:[0,1]
	v_mov_b32_e32 v112, v102
	v_pk_add_f32 v[34:35], v[112:113], v[32:33]
	v_mov_b32_e32 v36, v35
	v_pk_add_f32 v[36:37], v[34:35], v[36:37]
	v_pk_add_f32 v[98:99], v[30:31], v[36:37]
	v_mov_b32_e32 v35, v98
	v_pk_add_f32 v[100:101], v[34:35], v[102:103] neg_lo:[0,1] neg_hi:[0,1]
	v_mov_b32_e32 v33, v36
	v_sub_f32_e32 v30, v34, v100
	v_pk_add_f32 v[32:33], v[32:33], v[100:101] neg_lo:[0,1] neg_hi:[0,1]
	v_sub_f32_e32 v30, v102, v30
	s_mov_b32 s62, 0x7f800000
	v_add_f32_e32 v30, v32, v30
	s_mov_b32 s61, 0x33800000
	v_add_f32_e32 v30, v30, v33
	v_cmp_eq_f32_e32 vcc, s62, v97
	v_cmp_lt_f32_e64 s[62:63], |v97|, s61
	v_add_f32_e32 v30, v98, v30
	s_or_b64 vcc, vcc, s[62:63]
	v_cndmask_b32_e32 v30, v30, v97, vcc
	v_add_f32_e32 v30, v31, v30
	v_cvt_f16_f32_e32 v30, v30
	v_cvt_f32_f16_e32 v98, v30
.LBB421_204:
	s_or_b64 exec, exec, s[58:59]
	v_max_f32_e32 v31, v50, v50
	v_max_f32_e32 v32, v98, v98
	v_min_f32_e32 v33, v32, v31
	v_cmp_u_f16_e32 vcc, v30, v30
	v_max_f32_e32 v31, v32, v31
	v_cndmask_b32_e32 v33, v33, v98, vcc
	v_cndmask_b32_e32 v31, v31, v98, vcc
	v_cndmask_b32_e64 v33, v33, v50, s[10:11]
	v_cndmask_b32_e64 v32, v31, v50, s[10:11]
	v_cmp_neq_f32_e32 vcc, v33, v32
	v_cmp_class_f32_e64 s[10:11], v33, s60
	s_or_b64 vcc, vcc, s[10:11]
	v_mov_b32_e32 v99, v30
	v_mov_b32_e32 v31, v30
	s_and_saveexec_b64 s[10:11], vcc
	s_cbranch_execz .LBB421_206
; %bb.205:
	v_sub_f32_e32 v31, v33, v32
	s_mov_b32 s58, 0x3fb8aa3b
	v_mul_f32_e32 v33, 0x3fb8aa3b, v31
	v_fma_f32 v34, v31, s58, -v33
	v_rndne_f32_e32 v35, v33
	v_fmac_f32_e32 v34, 0x32a5705f, v31
	v_sub_f32_e32 v33, v33, v35
	v_add_f32_e32 v33, v33, v34
	v_exp_f32_e32 v33, v33
	v_cvt_i32_f32_e32 v34, v35
	s_mov_b32 s58, 0xc2ce8ed0
	v_cmp_ngt_f32_e32 vcc, s58, v31
	s_mov_b32 s58, 0x42b17218
	v_ldexp_f32 v33, v33, v34
	v_cndmask_b32_e32 v33, 0, v33, vcc
	v_mov_b32_e32 v34, 0x7f800000
	v_cmp_nlt_f32_e32 vcc, s58, v31
	v_cndmask_b32_e32 v33, v34, v33, vcc
	v_add_f32_e32 v31, 1.0, v33
	v_add_f32_e32 v34, -1.0, v31
	v_sub_f32_e32 v35, v34, v31
	v_add_f32_e32 v35, 1.0, v35
	v_sub_f32_e32 v34, v33, v34
	v_add_f32_e32 v36, v34, v35
	v_frexp_mant_f32_e32 v37, v31
	s_mov_b32 s58, 0x3f2aaaab
	v_cvt_f64_f32_e32 v[34:35], v31
	v_frexp_exp_i32_f64_e32 v34, v[34:35]
	v_cmp_gt_f32_e32 vcc, s58, v37
	v_subbrev_co_u32_e32 v97, vcc, 0, v34, vcc
	v_sub_u32_e32 v34, 0, v97
	v_ldexp_f32 v31, v31, v34
	v_ldexp_f32 v34, v36, v34
	v_add_f32_e32 v36, -1.0, v31
	v_add_f32_e32 v35, 1.0, v36
	v_sub_f32_e32 v35, v31, v35
	v_add_f32_e32 v37, v34, v35
	v_add_f32_e32 v35, 1.0, v31
	v_add_f32_e32 v98, -1.0, v35
	v_sub_f32_e32 v31, v31, v98
	v_add_f32_e32 v31, v34, v31
	v_add_f32_e32 v102, v35, v31
	v_rcp_f32_e32 v103, v102
	v_sub_f32_e32 v34, v35, v102
	v_add_f32_e32 v35, v36, v37
	v_add_f32_e32 v31, v31, v34
	v_mul_f32_e32 v113, v35, v103
	v_sub_f32_e32 v34, v36, v35
	v_mul_f32_e32 v36, v102, v113
	v_fma_f32 v98, v113, v102, -v36
	v_fmac_f32_e32 v98, v113, v31
	v_add_f32_e32 v112, v37, v34
	v_add_f32_e32 v34, v36, v98
	v_sub_f32_e32 v37, v35, v34
	v_pk_add_f32 v[100:101], v[34:35], v[36:37] neg_lo:[0,1] neg_hi:[0,1]
	v_mov_b32_e32 v99, v34
	v_pk_add_f32 v[34:35], v[100:101], v[98:99] neg_lo:[0,1] neg_hi:[0,1]
	v_add_f32_e32 v35, v112, v35
	v_add_f32_e32 v34, v34, v35
	;; [unrolled: 1-line block ×3, first 2 shown]
	v_mul_f32_e32 v112, v103, v35
	v_mul_f32_e32 v36, v102, v112
	v_fma_f32 v98, v112, v102, -v36
	v_fmac_f32_e32 v98, v112, v31
	v_sub_f32_e32 v31, v37, v35
	v_add_f32_e32 v31, v34, v31
	v_add_f32_e32 v34, v36, v98
	v_sub_f32_e32 v37, v35, v34
	v_pk_add_f32 v[100:101], v[34:35], v[36:37] neg_lo:[0,1] neg_hi:[0,1]
	v_mov_b32_e32 v99, v34
	v_pk_add_f32 v[34:35], v[100:101], v[98:99] neg_lo:[0,1] neg_hi:[0,1]
	v_add_f32_e32 v31, v31, v35
	v_add_f32_e32 v31, v34, v31
	v_add_f32_e32 v34, v113, v112
	v_add_f32_e32 v31, v37, v31
	v_sub_f32_e32 v35, v34, v113
	v_mul_f32_e32 v31, v103, v31
	v_sub_f32_e32 v35, v112, v35
	v_add_f32_e32 v31, v35, v31
	v_add_f32_e32 v37, v34, v31
	v_mul_f32_e32 v98, v37, v37
	v_mov_b32_e32 v36, 0x3ecc95a3
	v_fmac_f32_e32 v36, 0x3e9b6dac, v98
	v_mov_b32_e32 v35, 0x3f2aaada
	v_fmac_f32_e32 v35, v98, v36
	v_cvt_f32_i32_e32 v36, v97
	v_sub_f32_e32 v34, v37, v34
	v_sub_f32_e32 v31, v31, v34
	v_ldexp_f32 v99, v37, 1
	v_mul_f32_e32 v37, v37, v98
	v_mov_b32_e32 v34, 0x3f317218
	s_mov_b32 s58, 0x3f317218
	v_pk_mul_f32 v[34:35], v[36:37], v[34:35]
	v_fma_f32 v98, v36, s58, -v34
	v_fmac_f32_e32 v98, 0xb102e308, v36
	v_pk_add_f32 v[36:37], v[34:35], v[98:99]
	v_sub_f32_e32 v97, v37, v99
	v_ldexp_f32 v31, v31, 1
	v_sub_f32_e32 v97, v35, v97
	v_add_f32_e32 v101, v31, v97
	v_mov_b32_e32 v100, v34
	v_pk_add_f32 v[34:35], v[36:37], v[34:35] neg_lo:[0,1] neg_hi:[0,1]
	v_pk_add_f32 v[102:103], v[36:37], v[100:101]
	v_mov_b32_e32 v35, v103
	v_mov_b32_e32 v99, v36
	v_pk_add_f32 v[112:113], v[98:99], v[34:35] neg_lo:[0,1] neg_hi:[0,1]
	v_pk_add_f32 v[34:35], v[98:99], v[34:35]
	v_mov_b32_e32 v98, v35
	v_pk_add_f32 v[114:115], v[98:99], v[36:37] neg_lo:[0,1] neg_hi:[0,1]
	v_mov_b32_e32 v31, v114
	v_pk_add_f32 v[116:117], v[102:103], v[30:31] neg_lo:[0,1] neg_hi:[0,1]
	v_mov_b32_e32 v34, v103
	v_mov_b32_e32 v102, v37
	v_mov_b32_e32 v103, v114
	v_mov_b32_e32 v113, v35
	v_pk_add_f32 v[34:35], v[34:35], v[102:103] neg_lo:[0,1] neg_hi:[0,1]
	v_mov_b32_e32 v100, v101
	v_mov_b32_e32 v101, v36
	v_pk_add_f32 v[34:35], v[100:101], v[34:35] neg_lo:[0,1] neg_hi:[0,1]
	v_mov_b32_e32 v116, v112
	v_pk_add_f32 v[36:37], v[116:117], v[34:35]
	v_mov_b32_e32 v100, v37
	v_pk_add_f32 v[100:101], v[36:37], v[100:101]
	v_pk_add_f32 v[98:99], v[98:99], v[100:101]
	v_mov_b32_e32 v37, v98
	v_pk_add_f32 v[102:103], v[36:37], v[112:113] neg_lo:[0,1] neg_hi:[0,1]
	v_mov_b32_e32 v35, v100
	v_sub_f32_e32 v31, v36, v102
	v_pk_add_f32 v[34:35], v[34:35], v[102:103] neg_lo:[0,1] neg_hi:[0,1]
	v_sub_f32_e32 v31, v112, v31
	s_mov_b32 s59, 0x7f800000
	v_add_f32_e32 v31, v34, v31
	s_mov_b32 s58, 0x33800000
	v_add_f32_e32 v31, v31, v35
	v_cmp_eq_f32_e32 vcc, s59, v33
	v_cmp_lt_f32_e64 s[58:59], |v33|, s58
	v_add_f32_e32 v31, v98, v31
	s_or_b64 vcc, vcc, s[58:59]
	v_cndmask_b32_e32 v31, v31, v33, vcc
	v_add_f32_e32 v31, v32, v31
	v_cvt_f16_f32_e32 v99, v31
	v_cvt_f32_f16_e32 v98, v99
	v_mov_b32_e32 v31, v99
.LBB421_206:
	s_or_b64 exec, exec, s[10:11]
	v_max_f32_e32 v32, v51, v51
	v_max_f32_e32 v33, v98, v98
	v_min_f32_e32 v34, v33, v32
	v_cmp_u_f16_e32 vcc, v99, v99
	v_max_f32_e32 v32, v33, v32
	v_cndmask_b32_e32 v34, v34, v98, vcc
	v_cndmask_b32_e32 v32, v32, v98, vcc
	v_cndmask_b32_e64 v34, v34, v51, s[12:13]
	v_cndmask_b32_e64 v33, v32, v51, s[12:13]
	s_movk_i32 s12, 0x1f8
	v_cmp_neq_f32_e32 vcc, v34, v33
	v_cmp_class_f32_e64 s[10:11], v34, s12
	s_or_b64 vcc, vcc, s[10:11]
	v_mov_b32_e32 v32, v31
	s_and_saveexec_b64 s[10:11], vcc
	s_cbranch_execz .LBB421_208
; %bb.207:
	v_sub_f32_e32 v32, v34, v33
	s_mov_b32 s13, 0x3fb8aa3b
	v_mul_f32_e32 v34, 0x3fb8aa3b, v32
	v_fma_f32 v35, v32, s13, -v34
	v_rndne_f32_e32 v36, v34
	v_fmac_f32_e32 v35, 0x32a5705f, v32
	v_sub_f32_e32 v34, v34, v36
	v_add_f32_e32 v34, v34, v35
	v_exp_f32_e32 v34, v34
	v_cvt_i32_f32_e32 v35, v36
	s_mov_b32 s13, 0xc2ce8ed0
	v_cmp_ngt_f32_e32 vcc, s13, v32
	s_mov_b32 s13, 0x42b17218
	v_ldexp_f32 v34, v34, v35
	v_cndmask_b32_e32 v34, 0, v34, vcc
	v_mov_b32_e32 v35, 0x7f800000
	v_cmp_nlt_f32_e32 vcc, s13, v32
	v_cndmask_b32_e32 v97, v35, v34, vcc
	v_add_f32_e32 v32, 1.0, v97
	v_add_f32_e32 v34, -1.0, v32
	v_sub_f32_e32 v35, v34, v32
	v_add_f32_e32 v35, 1.0, v35
	v_sub_f32_e32 v34, v97, v34
	v_add_f32_e32 v36, v34, v35
	v_frexp_mant_f32_e32 v37, v32
	s_mov_b32 s13, 0x3f2aaaab
	v_cvt_f64_f32_e32 v[34:35], v32
	v_frexp_exp_i32_f64_e32 v34, v[34:35]
	v_cmp_gt_f32_e32 vcc, s13, v37
	v_subbrev_co_u32_e32 v51, vcc, 0, v34, vcc
	v_sub_u32_e32 v34, 0, v51
	v_ldexp_f32 v32, v32, v34
	v_ldexp_f32 v34, v36, v34
	v_add_f32_e32 v36, -1.0, v32
	v_add_f32_e32 v35, 1.0, v36
	v_sub_f32_e32 v35, v32, v35
	v_add_f32_e32 v37, v34, v35
	v_add_f32_e32 v35, 1.0, v32
	v_add_f32_e32 v98, -1.0, v35
	v_sub_f32_e32 v32, v32, v98
	v_add_f32_e32 v32, v34, v32
	v_add_f32_e32 v102, v35, v32
	v_rcp_f32_e32 v103, v102
	v_sub_f32_e32 v34, v35, v102
	v_add_f32_e32 v35, v36, v37
	v_add_f32_e32 v32, v32, v34
	v_mul_f32_e32 v113, v35, v103
	v_sub_f32_e32 v34, v36, v35
	v_mul_f32_e32 v36, v102, v113
	v_fma_f32 v98, v113, v102, -v36
	v_fmac_f32_e32 v98, v113, v32
	v_add_f32_e32 v112, v37, v34
	v_add_f32_e32 v34, v36, v98
	v_sub_f32_e32 v37, v35, v34
	v_pk_add_f32 v[100:101], v[34:35], v[36:37] neg_lo:[0,1] neg_hi:[0,1]
	v_mov_b32_e32 v99, v34
	v_pk_add_f32 v[34:35], v[100:101], v[98:99] neg_lo:[0,1] neg_hi:[0,1]
	v_add_f32_e32 v35, v112, v35
	v_add_f32_e32 v34, v34, v35
	;; [unrolled: 1-line block ×3, first 2 shown]
	v_mul_f32_e32 v112, v103, v35
	v_mul_f32_e32 v36, v102, v112
	v_fma_f32 v98, v112, v102, -v36
	v_fmac_f32_e32 v98, v112, v32
	v_sub_f32_e32 v32, v37, v35
	v_add_f32_e32 v32, v34, v32
	v_add_f32_e32 v34, v36, v98
	v_sub_f32_e32 v37, v35, v34
	v_pk_add_f32 v[100:101], v[34:35], v[36:37] neg_lo:[0,1] neg_hi:[0,1]
	v_mov_b32_e32 v99, v34
	v_pk_add_f32 v[34:35], v[100:101], v[98:99] neg_lo:[0,1] neg_hi:[0,1]
	v_add_f32_e32 v32, v32, v35
	v_add_f32_e32 v32, v34, v32
	;; [unrolled: 1-line block ×4, first 2 shown]
	v_sub_f32_e32 v35, v34, v113
	v_mul_f32_e32 v32, v103, v32
	v_sub_f32_e32 v35, v112, v35
	v_add_f32_e32 v32, v35, v32
	v_add_f32_e32 v37, v34, v32
	v_mul_f32_e32 v98, v37, v37
	v_mov_b32_e32 v36, 0x3ecc95a3
	v_fmac_f32_e32 v36, 0x3e9b6dac, v98
	v_mov_b32_e32 v35, 0x3f2aaada
	v_fmac_f32_e32 v35, v98, v36
	v_cvt_f32_i32_e32 v36, v51
	v_sub_f32_e32 v34, v37, v34
	v_sub_f32_e32 v32, v32, v34
	v_ldexp_f32 v99, v37, 1
	v_mul_f32_e32 v37, v37, v98
	v_mov_b32_e32 v34, 0x3f317218
	s_mov_b32 s13, 0x3f317218
	v_pk_mul_f32 v[34:35], v[36:37], v[34:35]
	v_fma_f32 v98, v36, s13, -v34
	v_fmac_f32_e32 v98, 0xb102e308, v36
	v_pk_add_f32 v[36:37], v[34:35], v[98:99]
	v_sub_f32_e32 v51, v37, v99
	v_ldexp_f32 v32, v32, 1
	v_sub_f32_e32 v51, v35, v51
	v_add_f32_e32 v101, v32, v51
	v_mov_b32_e32 v100, v34
	v_pk_add_f32 v[34:35], v[36:37], v[34:35] neg_lo:[0,1] neg_hi:[0,1]
	v_pk_add_f32 v[102:103], v[36:37], v[100:101]
	v_mov_b32_e32 v35, v103
	v_mov_b32_e32 v99, v36
	v_pk_add_f32 v[112:113], v[98:99], v[34:35] neg_lo:[0,1] neg_hi:[0,1]
	v_pk_add_f32 v[34:35], v[98:99], v[34:35]
	v_mov_b32_e32 v32, v35
	v_pk_add_f32 v[98:99], v[32:33], v[36:37] neg_lo:[0,1] neg_hi:[0,1]
	v_mov_b32_e32 v51, v98
	v_pk_add_f32 v[114:115], v[102:103], v[50:51] neg_lo:[0,1] neg_hi:[0,1]
	v_mov_b32_e32 v34, v103
	v_mov_b32_e32 v102, v37
	v_mov_b32_e32 v103, v98
	v_mov_b32_e32 v113, v35
	v_pk_add_f32 v[34:35], v[34:35], v[102:103] neg_lo:[0,1] neg_hi:[0,1]
	v_mov_b32_e32 v98, v101
	v_mov_b32_e32 v99, v36
	v_pk_add_f32 v[34:35], v[98:99], v[34:35] neg_lo:[0,1] neg_hi:[0,1]
	v_mov_b32_e32 v114, v112
	v_pk_add_f32 v[36:37], v[114:115], v[34:35]
	v_mov_b32_e32 v98, v37
	v_pk_add_f32 v[98:99], v[36:37], v[98:99]
	v_pk_add_f32 v[100:101], v[32:33], v[98:99]
	v_mov_b32_e32 v37, v100
	v_pk_add_f32 v[102:103], v[36:37], v[112:113] neg_lo:[0,1] neg_hi:[0,1]
	v_mov_b32_e32 v35, v98
	v_sub_f32_e32 v32, v36, v102
	v_pk_add_f32 v[34:35], v[34:35], v[102:103] neg_lo:[0,1] neg_hi:[0,1]
	v_sub_f32_e32 v32, v112, v32
	s_mov_b32 s58, 0x7f800000
	v_add_f32_e32 v32, v34, v32
	s_mov_b32 s13, 0x33800000
	v_add_f32_e32 v32, v32, v35
	v_cmp_eq_f32_e32 vcc, s58, v97
	v_cmp_lt_f32_e64 s[58:59], |v97|, s13
	v_add_f32_e32 v32, v100, v32
	s_or_b64 vcc, vcc, s[58:59]
	v_cndmask_b32_e32 v32, v32, v97, vcc
	v_add_f32_e32 v32, v33, v32
	v_cvt_f16_f32_e32 v99, v32
	v_cvt_f32_f16_e32 v98, v99
	v_mov_b32_e32 v32, v99
.LBB421_208:
	s_or_b64 exec, exec, s[10:11]
	v_max_f32_e32 v33, v52, v52
	v_max_f32_e32 v34, v98, v98
	v_min_f32_e32 v35, v34, v33
	v_cmp_u_f16_e32 vcc, v99, v99
	v_max_f32_e32 v33, v34, v33
	v_cndmask_b32_e32 v35, v35, v98, vcc
	v_cndmask_b32_e32 v33, v33, v98, vcc
	v_cndmask_b32_e64 v35, v35, v52, s[14:15]
	v_cndmask_b32_e64 v34, v33, v52, s[14:15]
	v_cmp_neq_f32_e32 vcc, v35, v34
	v_cmp_class_f32_e64 s[10:11], v35, s12
	s_or_b64 s[12:13], vcc, s[10:11]
	v_mov_b32_e32 v33, v32
	s_and_saveexec_b64 s[10:11], s[12:13]
	s_cbranch_execz .LBB421_210
; %bb.209:
	v_sub_f32_e32 v33, v35, v34
	s_mov_b32 s12, 0x3fb8aa3b
	v_mul_f32_e32 v35, 0x3fb8aa3b, v33
	v_fma_f32 v36, v33, s12, -v35
	v_rndne_f32_e32 v37, v35
	v_fmac_f32_e32 v36, 0x32a5705f, v33
	v_sub_f32_e32 v35, v35, v37
	v_add_f32_e32 v35, v35, v36
	v_exp_f32_e32 v35, v35
	v_cvt_i32_f32_e32 v36, v37
	s_mov_b32 s12, 0xc2ce8ed0
	v_cmp_ngt_f32_e32 vcc, s12, v33
	s_mov_b32 s12, 0x42b17218
	v_ldexp_f32 v35, v35, v36
	v_cndmask_b32_e32 v35, 0, v35, vcc
	v_mov_b32_e32 v36, 0x7f800000
	v_cmp_nlt_f32_e32 vcc, s12, v33
	v_cndmask_b32_e32 v35, v36, v35, vcc
	v_add_f32_e32 v33, 1.0, v35
	v_add_f32_e32 v36, -1.0, v33
	v_sub_f32_e32 v37, v36, v33
	v_add_f32_e32 v37, 1.0, v37
	v_sub_f32_e32 v36, v35, v36
	v_add_f32_e32 v51, v36, v37
	v_frexp_mant_f32_e32 v52, v33
	s_mov_b32 s12, 0x3f2aaaab
	v_cvt_f64_f32_e32 v[36:37], v33
	v_frexp_exp_i32_f64_e32 v36, v[36:37]
	v_cmp_gt_f32_e32 vcc, s12, v52
	v_subbrev_co_u32_e32 v52, vcc, 0, v36, vcc
	v_sub_u32_e32 v36, 0, v52
	v_ldexp_f32 v33, v33, v36
	v_ldexp_f32 v36, v51, v36
	v_add_f32_e32 v51, -1.0, v33
	v_add_f32_e32 v37, 1.0, v51
	v_sub_f32_e32 v37, v33, v37
	v_add_f32_e32 v97, v36, v37
	v_add_f32_e32 v37, 1.0, v33
	v_add_f32_e32 v98, -1.0, v37
	v_sub_f32_e32 v33, v33, v98
	v_add_f32_e32 v33, v36, v33
	v_add_f32_e32 v112, v37, v33
	v_rcp_f32_e32 v113, v112
	v_sub_f32_e32 v36, v37, v112
	v_add_f32_e32 v37, v51, v97
	v_add_f32_e32 v33, v33, v36
	v_sub_f32_e32 v36, v51, v37
	v_add_f32_e32 v51, v97, v36
	v_mul_f32_e32 v97, v37, v113
	v_mul_f32_e32 v98, v112, v97
	v_fma_f32 v100, v97, v112, -v98
	v_fmac_f32_e32 v100, v97, v33
	v_add_f32_e32 v36, v98, v100
	v_sub_f32_e32 v99, v37, v36
	v_pk_add_f32 v[102:103], v[36:37], v[98:99] neg_lo:[0,1] neg_hi:[0,1]
	v_mov_b32_e32 v101, v36
	v_pk_add_f32 v[36:37], v[102:103], v[100:101] neg_lo:[0,1] neg_hi:[0,1]
	v_add_f32_e32 v37, v51, v37
	v_add_f32_e32 v36, v36, v37
	;; [unrolled: 1-line block ×3, first 2 shown]
	v_mul_f32_e32 v51, v113, v37
	v_mul_f32_e32 v98, v112, v51
	v_fma_f32 v100, v51, v112, -v98
	v_fmac_f32_e32 v100, v51, v33
	v_sub_f32_e32 v33, v99, v37
	v_add_f32_e32 v33, v36, v33
	v_add_f32_e32 v36, v98, v100
	v_sub_f32_e32 v99, v37, v36
	v_pk_add_f32 v[102:103], v[36:37], v[98:99] neg_lo:[0,1] neg_hi:[0,1]
	v_mov_b32_e32 v101, v36
	v_pk_add_f32 v[36:37], v[102:103], v[100:101] neg_lo:[0,1] neg_hi:[0,1]
	v_add_f32_e32 v33, v33, v37
	v_add_f32_e32 v33, v36, v33
	;; [unrolled: 1-line block ×4, first 2 shown]
	v_sub_f32_e32 v37, v36, v97
	v_mul_f32_e32 v33, v113, v33
	v_sub_f32_e32 v37, v51, v37
	v_add_f32_e32 v33, v37, v33
	v_add_f32_e32 v51, v36, v33
	v_mul_f32_e32 v97, v51, v51
	v_mov_b32_e32 v98, 0x3ecc95a3
	v_fmac_f32_e32 v98, 0x3e9b6dac, v97
	v_mov_b32_e32 v37, 0x3f2aaada
	v_fmac_f32_e32 v37, v97, v98
	v_cvt_f32_i32_e32 v98, v52
	v_sub_f32_e32 v36, v51, v36
	v_sub_f32_e32 v33, v33, v36
	v_mul_f32_e32 v99, v51, v97
	v_mov_b32_e32 v36, 0x3f317218
	s_mov_b32 s12, 0x3f317218
	v_pk_mul_f32 v[36:37], v[98:99], v[36:37]
	v_fma_f32 v100, v98, s12, -v36
	v_ldexp_f32 v101, v51, 1
	v_fmac_f32_e32 v100, 0xb102e308, v98
	v_pk_add_f32 v[98:99], v[36:37], v[100:101]
	v_sub_f32_e32 v51, v99, v101
	v_ldexp_f32 v33, v33, 1
	v_sub_f32_e32 v51, v37, v51
	v_add_f32_e32 v103, v33, v51
	v_mov_b32_e32 v102, v36
	v_pk_add_f32 v[36:37], v[98:99], v[36:37] neg_lo:[0,1] neg_hi:[0,1]
	v_pk_add_f32 v[112:113], v[98:99], v[102:103]
	v_mov_b32_e32 v37, v113
	v_mov_b32_e32 v101, v98
	v_pk_add_f32 v[114:115], v[100:101], v[36:37] neg_lo:[0,1] neg_hi:[0,1]
	v_pk_add_f32 v[36:37], v[100:101], v[36:37]
	v_mov_b32_e32 v52, v37
	v_pk_add_f32 v[100:101], v[52:53], v[98:99] neg_lo:[0,1] neg_hi:[0,1]
	v_mov_b32_e32 v33, v100
	v_pk_add_f32 v[116:117], v[112:113], v[32:33] neg_lo:[0,1] neg_hi:[0,1]
	v_mov_b32_e32 v36, v113
	v_mov_b32_e32 v112, v99
	;; [unrolled: 1-line block ×4, first 2 shown]
	v_pk_add_f32 v[36:37], v[36:37], v[112:113] neg_lo:[0,1] neg_hi:[0,1]
	v_mov_b32_e32 v100, v103
	v_mov_b32_e32 v101, v98
	v_pk_add_f32 v[36:37], v[100:101], v[36:37] neg_lo:[0,1] neg_hi:[0,1]
	v_mov_b32_e32 v116, v114
	v_pk_add_f32 v[98:99], v[116:117], v[36:37]
	v_mov_b32_e32 v100, v99
	v_pk_add_f32 v[100:101], v[98:99], v[100:101]
	v_pk_add_f32 v[102:103], v[52:53], v[100:101]
	v_mov_b32_e32 v99, v102
	v_pk_add_f32 v[112:113], v[98:99], v[114:115] neg_lo:[0,1] neg_hi:[0,1]
	v_mov_b32_e32 v37, v100
	v_sub_f32_e32 v33, v98, v112
	v_pk_add_f32 v[36:37], v[36:37], v[112:113] neg_lo:[0,1] neg_hi:[0,1]
	v_sub_f32_e32 v33, v114, v33
	s_mov_b32 s13, 0x7f800000
	v_add_f32_e32 v33, v36, v33
	s_mov_b32 s12, 0x33800000
	v_add_f32_e32 v33, v33, v37
	v_cmp_eq_f32_e32 vcc, s13, v35
	v_cmp_lt_f32_e64 s[12:13], |v35|, s12
	v_add_f32_e32 v33, v102, v33
	s_or_b64 vcc, vcc, s[12:13]
	v_cndmask_b32_e32 v33, v33, v35, vcc
	v_add_f32_e32 v33, v34, v33
	v_cvt_f16_f32_e32 v99, v33
	v_cvt_f32_f16_e32 v98, v99
	v_mov_b32_e32 v33, v99
.LBB421_210:
	s_or_b64 exec, exec, s[10:11]
	v_max_f32_e32 v34, v53, v53
	v_max_f32_e32 v35, v98, v98
	v_min_f32_e32 v36, v35, v34
	v_cmp_u_f16_e32 vcc, v99, v99
	v_max_f32_e32 v34, v35, v34
	v_cndmask_b32_e32 v36, v36, v98, vcc
	v_cndmask_b32_e32 v34, v34, v98, vcc
	v_cndmask_b32_e64 v36, v36, v53, s[16:17]
	v_cndmask_b32_e64 v35, v34, v53, s[16:17]
	s_movk_i32 s12, 0x1f8
	v_cmp_neq_f32_e32 vcc, v36, v35
	v_cmp_class_f32_e64 s[10:11], v36, s12
	s_or_b64 s[14:15], vcc, s[10:11]
	v_mov_b32_e32 v34, v33
	s_and_saveexec_b64 s[10:11], s[14:15]
	s_cbranch_execz .LBB421_212
; %bb.211:
	v_sub_f32_e32 v34, v36, v35
	s_mov_b32 s13, 0x3fb8aa3b
	v_mul_f32_e32 v36, 0x3fb8aa3b, v34
	v_fma_f32 v37, v34, s13, -v36
	v_rndne_f32_e32 v51, v36
	v_fmac_f32_e32 v37, 0x32a5705f, v34
	v_sub_f32_e32 v36, v36, v51
	v_add_f32_e32 v36, v36, v37
	v_exp_f32_e32 v36, v36
	v_cvt_i32_f32_e32 v37, v51
	s_mov_b32 s13, 0xc2ce8ed0
	v_cmp_ngt_f32_e32 vcc, s13, v34
	s_mov_b32 s13, 0x42b17218
	v_ldexp_f32 v36, v36, v37
	v_cndmask_b32_e32 v36, 0, v36, vcc
	v_mov_b32_e32 v37, 0x7f800000
	v_cmp_nlt_f32_e32 vcc, s13, v34
	v_cndmask_b32_e32 v97, v37, v36, vcc
	v_add_f32_e32 v34, 1.0, v97
	v_add_f32_e32 v36, -1.0, v34
	v_sub_f32_e32 v37, v36, v34
	v_add_f32_e32 v37, 1.0, v37
	v_sub_f32_e32 v36, v97, v36
	v_add_f32_e32 v51, v36, v37
	v_frexp_mant_f32_e32 v52, v34
	s_mov_b32 s13, 0x3f2aaaab
	v_cvt_f64_f32_e32 v[36:37], v34
	v_frexp_exp_i32_f64_e32 v36, v[36:37]
	v_cmp_gt_f32_e32 vcc, s13, v52
	v_subbrev_co_u32_e32 v102, vcc, 0, v36, vcc
	v_sub_u32_e32 v36, 0, v102
	v_ldexp_f32 v34, v34, v36
	v_ldexp_f32 v36, v51, v36
	v_add_f32_e32 v51, -1.0, v34
	v_add_f32_e32 v37, 1.0, v51
	v_sub_f32_e32 v37, v34, v37
	v_add_f32_e32 v52, v36, v37
	v_add_f32_e32 v37, 1.0, v34
	v_add_f32_e32 v53, -1.0, v37
	v_sub_f32_e32 v34, v34, v53
	v_add_f32_e32 v34, v36, v34
	v_add_f32_e32 v103, v37, v34
	v_rcp_f32_e32 v112, v103
	v_sub_f32_e32 v36, v37, v103
	v_add_f32_e32 v37, v51, v52
	v_add_f32_e32 v34, v34, v36
	v_sub_f32_e32 v36, v51, v37
	v_mul_f32_e32 v113, v37, v112
	v_add_f32_e32 v51, v52, v36
	v_mul_f32_e32 v52, v103, v113
	v_fma_f32 v98, v113, v103, -v52
	v_fmac_f32_e32 v98, v113, v34
	v_add_f32_e32 v36, v52, v98
	v_sub_f32_e32 v53, v37, v36
	v_pk_add_f32 v[100:101], v[36:37], v[52:53] neg_lo:[0,1] neg_hi:[0,1]
	v_mov_b32_e32 v99, v36
	v_pk_add_f32 v[36:37], v[100:101], v[98:99] neg_lo:[0,1] neg_hi:[0,1]
	v_add_f32_e32 v37, v51, v37
	v_add_f32_e32 v36, v36, v37
	v_add_f32_e32 v37, v53, v36
	v_mul_f32_e32 v51, v112, v37
	v_mul_f32_e32 v52, v103, v51
	v_fma_f32 v98, v51, v103, -v52
	v_fmac_f32_e32 v98, v51, v34
	v_sub_f32_e32 v34, v53, v37
	v_add_f32_e32 v34, v36, v34
	v_add_f32_e32 v36, v52, v98
	v_sub_f32_e32 v53, v37, v36
	v_pk_add_f32 v[100:101], v[36:37], v[52:53] neg_lo:[0,1] neg_hi:[0,1]
	v_mov_b32_e32 v99, v36
	v_pk_add_f32 v[36:37], v[100:101], v[98:99] neg_lo:[0,1] neg_hi:[0,1]
	v_add_f32_e32 v34, v34, v37
	v_add_f32_e32 v34, v36, v34
	;; [unrolled: 1-line block ×4, first 2 shown]
	v_sub_f32_e32 v37, v36, v113
	v_mul_f32_e32 v34, v112, v34
	v_sub_f32_e32 v37, v51, v37
	v_add_f32_e32 v34, v37, v34
	v_add_f32_e32 v51, v36, v34
	v_mul_f32_e32 v53, v51, v51
	v_mov_b32_e32 v52, 0x3ecc95a3
	v_fmac_f32_e32 v52, 0x3e9b6dac, v53
	v_mov_b32_e32 v37, 0x3f2aaada
	v_fmac_f32_e32 v37, v53, v52
	v_cvt_f32_i32_e32 v52, v102
	v_sub_f32_e32 v36, v51, v36
	v_sub_f32_e32 v34, v34, v36
	v_mul_f32_e32 v53, v51, v53
	v_mov_b32_e32 v36, 0x3f317218
	s_mov_b32 s13, 0x3f317218
	v_pk_mul_f32 v[36:37], v[52:53], v[36:37]
	v_fma_f32 v98, v52, s13, -v36
	v_ldexp_f32 v99, v51, 1
	v_fmac_f32_e32 v98, 0xb102e308, v52
	v_pk_add_f32 v[52:53], v[36:37], v[98:99]
	v_sub_f32_e32 v51, v53, v99
	v_ldexp_f32 v34, v34, 1
	v_sub_f32_e32 v51, v37, v51
	v_add_f32_e32 v101, v34, v51
	v_mov_b32_e32 v100, v36
	v_pk_add_f32 v[36:37], v[52:53], v[36:37] neg_lo:[0,1] neg_hi:[0,1]
	v_pk_add_f32 v[102:103], v[52:53], v[100:101]
	v_mov_b32_e32 v37, v103
	v_mov_b32_e32 v99, v52
	v_pk_add_f32 v[112:113], v[98:99], v[36:37] neg_lo:[0,1] neg_hi:[0,1]
	v_pk_add_f32 v[36:37], v[98:99], v[36:37]
	v_mov_b32_e32 v34, v37
	v_pk_add_f32 v[98:99], v[34:35], v[52:53] neg_lo:[0,1] neg_hi:[0,1]
	v_mov_b32_e32 v51, v98
	v_pk_add_f32 v[114:115], v[102:103], v[50:51] neg_lo:[0,1] neg_hi:[0,1]
	v_mov_b32_e32 v36, v103
	v_mov_b32_e32 v102, v53
	;; [unrolled: 1-line block ×4, first 2 shown]
	v_pk_add_f32 v[36:37], v[36:37], v[102:103] neg_lo:[0,1] neg_hi:[0,1]
	v_mov_b32_e32 v98, v101
	v_mov_b32_e32 v99, v52
	v_pk_add_f32 v[36:37], v[98:99], v[36:37] neg_lo:[0,1] neg_hi:[0,1]
	v_mov_b32_e32 v114, v112
	v_pk_add_f32 v[52:53], v[114:115], v[36:37]
	v_mov_b32_e32 v98, v53
	v_pk_add_f32 v[98:99], v[52:53], v[98:99]
	v_pk_add_f32 v[100:101], v[34:35], v[98:99]
	v_mov_b32_e32 v53, v100
	v_pk_add_f32 v[102:103], v[52:53], v[112:113] neg_lo:[0,1] neg_hi:[0,1]
	v_mov_b32_e32 v37, v98
	v_sub_f32_e32 v34, v52, v102
	v_pk_add_f32 v[36:37], v[36:37], v[102:103] neg_lo:[0,1] neg_hi:[0,1]
	v_sub_f32_e32 v34, v112, v34
	s_mov_b32 s14, 0x7f800000
	v_add_f32_e32 v34, v36, v34
	s_mov_b32 s13, 0x33800000
	v_add_f32_e32 v34, v34, v37
	v_cmp_eq_f32_e32 vcc, s14, v97
	v_cmp_lt_f32_e64 s[14:15], |v97|, s13
	v_add_f32_e32 v34, v100, v34
	s_or_b64 vcc, vcc, s[14:15]
	v_cndmask_b32_e32 v34, v34, v97, vcc
	v_add_f32_e32 v34, v35, v34
	v_cvt_f16_f32_e32 v99, v34
	v_cvt_f32_f16_e32 v98, v99
	v_mov_b32_e32 v34, v99
.LBB421_212:
	s_or_b64 exec, exec, s[10:11]
	v_max_f32_e32 v35, v54, v54
	v_max_f32_e32 v36, v98, v98
	v_min_f32_e32 v37, v36, v35
	v_cmp_u_f16_e32 vcc, v99, v99
	v_max_f32_e32 v35, v36, v35
	v_cndmask_b32_e32 v37, v37, v98, vcc
	v_cndmask_b32_e32 v35, v35, v98, vcc
	v_cndmask_b32_e64 v37, v37, v54, s[18:19]
	v_cndmask_b32_e64 v36, v35, v54, s[18:19]
	v_cmp_neq_f32_e32 vcc, v37, v36
	v_cmp_class_f32_e64 s[10:11], v37, s12
	s_or_b64 s[12:13], vcc, s[10:11]
	v_mov_b32_e32 v35, v34
	s_and_saveexec_b64 s[10:11], s[12:13]
	s_cbranch_execz .LBB421_214
; %bb.213:
	v_sub_f32_e32 v35, v37, v36
	s_mov_b32 s12, 0x3fb8aa3b
	v_mul_f32_e32 v37, 0x3fb8aa3b, v35
	v_fma_f32 v51, v35, s12, -v37
	v_rndne_f32_e32 v52, v37
	v_fmac_f32_e32 v51, 0x32a5705f, v35
	v_sub_f32_e32 v37, v37, v52
	v_add_f32_e32 v37, v37, v51
	v_exp_f32_e32 v37, v37
	v_cvt_i32_f32_e32 v51, v52
	s_mov_b32 s12, 0xc2ce8ed0
	v_cmp_ngt_f32_e32 vcc, s12, v35
	s_mov_b32 s12, 0x42b17218
	v_ldexp_f32 v37, v37, v51
	v_cndmask_b32_e32 v37, 0, v37, vcc
	v_mov_b32_e32 v51, 0x7f800000
	v_cmp_nlt_f32_e32 vcc, s12, v35
	v_cndmask_b32_e32 v37, v51, v37, vcc
	v_add_f32_e32 v35, 1.0, v37
	v_add_f32_e32 v51, -1.0, v35
	v_sub_f32_e32 v52, v51, v35
	v_add_f32_e32 v52, 1.0, v52
	v_sub_f32_e32 v51, v37, v51
	v_add_f32_e32 v51, v51, v52
	v_frexp_mant_f32_e32 v54, v35
	s_mov_b32 s12, 0x3f2aaaab
	v_cvt_f64_f32_e32 v[52:53], v35
	v_frexp_exp_i32_f64_e32 v52, v[52:53]
	v_cmp_gt_f32_e32 vcc, s12, v54
	v_subbrev_co_u32_e32 v54, vcc, 0, v52, vcc
	v_sub_u32_e32 v52, 0, v54
	v_ldexp_f32 v35, v35, v52
	v_ldexp_f32 v51, v51, v52
	v_add_f32_e32 v52, -1.0, v35
	v_add_f32_e32 v53, 1.0, v52
	v_sub_f32_e32 v53, v35, v53
	v_add_f32_e32 v97, v51, v53
	v_add_f32_e32 v53, 1.0, v35
	v_add_f32_e32 v98, -1.0, v53
	v_sub_f32_e32 v35, v35, v98
	v_add_f32_e32 v35, v51, v35
	v_add_f32_e32 v51, v53, v35
	v_rcp_f32_e32 v112, v51
	v_sub_f32_e32 v53, v53, v51
	v_add_f32_e32 v35, v35, v53
	v_add_f32_e32 v53, v52, v97
	v_mul_f32_e32 v113, v53, v112
	v_mul_f32_e32 v98, v51, v113
	v_fma_f32 v100, v113, v51, -v98
	v_sub_f32_e32 v52, v52, v53
	v_fmac_f32_e32 v100, v113, v35
	v_add_f32_e32 v97, v97, v52
	v_add_f32_e32 v52, v98, v100
	v_sub_f32_e32 v99, v53, v52
	v_pk_add_f32 v[102:103], v[52:53], v[98:99] neg_lo:[0,1] neg_hi:[0,1]
	v_mov_b32_e32 v101, v52
	v_pk_add_f32 v[52:53], v[102:103], v[100:101] neg_lo:[0,1] neg_hi:[0,1]
	v_add_f32_e32 v53, v97, v53
	v_add_f32_e32 v52, v52, v53
	;; [unrolled: 1-line block ×3, first 2 shown]
	v_mul_f32_e32 v97, v112, v53
	v_mul_f32_e32 v98, v51, v97
	v_fma_f32 v100, v97, v51, -v98
	v_fmac_f32_e32 v100, v97, v35
	v_sub_f32_e32 v35, v99, v53
	v_add_f32_e32 v35, v52, v35
	v_add_f32_e32 v52, v98, v100
	v_sub_f32_e32 v99, v53, v52
	v_pk_add_f32 v[102:103], v[52:53], v[98:99] neg_lo:[0,1] neg_hi:[0,1]
	v_mov_b32_e32 v101, v52
	v_pk_add_f32 v[52:53], v[102:103], v[100:101] neg_lo:[0,1] neg_hi:[0,1]
	v_add_f32_e32 v35, v35, v53
	v_add_f32_e32 v35, v52, v35
	;; [unrolled: 1-line block ×4, first 2 shown]
	v_sub_f32_e32 v52, v51, v113
	v_mul_f32_e32 v35, v112, v35
	v_sub_f32_e32 v52, v97, v52
	v_add_f32_e32 v35, v52, v35
	v_add_f32_e32 v52, v51, v35
	v_mul_f32_e32 v97, v52, v52
	v_mov_b32_e32 v98, 0x3ecc95a3
	v_fmac_f32_e32 v98, 0x3e9b6dac, v97
	v_mov_b32_e32 v53, 0x3f2aaada
	v_fmac_f32_e32 v53, v97, v98
	v_cvt_f32_i32_e32 v98, v54
	v_sub_f32_e32 v51, v52, v51
	v_ldexp_f32 v101, v52, 1
	v_mul_f32_e32 v99, v52, v97
	v_mov_b32_e32 v52, 0x3f317218
	s_mov_b32 s12, 0x3f317218
	v_pk_mul_f32 v[52:53], v[98:99], v[52:53]
	v_fma_f32 v100, v98, s12, -v52
	v_fmac_f32_e32 v100, 0xb102e308, v98
	v_pk_add_f32 v[98:99], v[52:53], v[100:101]
	v_sub_f32_e32 v35, v35, v51
	v_sub_f32_e32 v51, v99, v101
	v_ldexp_f32 v35, v35, 1
	v_sub_f32_e32 v51, v53, v51
	v_add_f32_e32 v103, v35, v51
	v_mov_b32_e32 v102, v52
	v_pk_add_f32 v[52:53], v[98:99], v[52:53] neg_lo:[0,1] neg_hi:[0,1]
	v_pk_add_f32 v[112:113], v[98:99], v[102:103]
	v_mov_b32_e32 v53, v113
	v_mov_b32_e32 v101, v98
	v_pk_add_f32 v[114:115], v[100:101], v[52:53] neg_lo:[0,1] neg_hi:[0,1]
	v_pk_add_f32 v[52:53], v[100:101], v[52:53]
	v_mov_b32_e32 v54, v53
	v_pk_add_f32 v[100:101], v[54:55], v[98:99] neg_lo:[0,1] neg_hi:[0,1]
	v_mov_b32_e32 v35, v100
	v_pk_add_f32 v[116:117], v[112:113], v[34:35] neg_lo:[0,1] neg_hi:[0,1]
	v_mov_b32_e32 v52, v113
	v_mov_b32_e32 v112, v99
	v_mov_b32_e32 v113, v100
	v_mov_b32_e32 v115, v53
	v_pk_add_f32 v[52:53], v[52:53], v[112:113] neg_lo:[0,1] neg_hi:[0,1]
	v_mov_b32_e32 v100, v103
	v_mov_b32_e32 v101, v98
	v_pk_add_f32 v[52:53], v[100:101], v[52:53] neg_lo:[0,1] neg_hi:[0,1]
	v_mov_b32_e32 v116, v114
	v_pk_add_f32 v[98:99], v[116:117], v[52:53]
	v_mov_b32_e32 v100, v99
	v_pk_add_f32 v[100:101], v[98:99], v[100:101]
	v_pk_add_f32 v[102:103], v[54:55], v[100:101]
	v_mov_b32_e32 v99, v102
	v_pk_add_f32 v[112:113], v[98:99], v[114:115] neg_lo:[0,1] neg_hi:[0,1]
	v_mov_b32_e32 v53, v100
	v_sub_f32_e32 v35, v98, v112
	v_pk_add_f32 v[52:53], v[52:53], v[112:113] neg_lo:[0,1] neg_hi:[0,1]
	v_sub_f32_e32 v35, v114, v35
	s_mov_b32 s13, 0x7f800000
	v_add_f32_e32 v35, v52, v35
	s_mov_b32 s12, 0x33800000
	v_add_f32_e32 v35, v35, v53
	v_cmp_eq_f32_e32 vcc, s13, v37
	v_cmp_lt_f32_e64 s[12:13], |v37|, s12
	v_add_f32_e32 v35, v102, v35
	s_or_b64 vcc, vcc, s[12:13]
	v_cndmask_b32_e32 v35, v35, v37, vcc
	v_add_f32_e32 v35, v36, v35
	v_cvt_f16_f32_e32 v99, v35
	v_cvt_f32_f16_e32 v98, v99
	v_mov_b32_e32 v35, v99
.LBB421_214:
	s_or_b64 exec, exec, s[10:11]
	v_max_f32_e32 v36, v55, v55
	v_max_f32_e32 v37, v98, v98
	v_min_f32_e32 v51, v37, v36
	v_cmp_u_f16_e32 vcc, v99, v99
	v_max_f32_e32 v36, v37, v36
	v_cndmask_b32_e32 v51, v51, v98, vcc
	v_cndmask_b32_e32 v36, v36, v98, vcc
	v_cndmask_b32_e64 v51, v51, v55, s[20:21]
	v_cndmask_b32_e64 v37, v36, v55, s[20:21]
	s_movk_i32 s12, 0x1f8
	v_cmp_neq_f32_e32 vcc, v51, v37
	v_cmp_class_f32_e64 s[10:11], v51, s12
	s_or_b64 s[14:15], vcc, s[10:11]
	v_mov_b32_e32 v36, v35
	s_and_saveexec_b64 s[10:11], s[14:15]
	s_cbranch_execz .LBB421_216
; %bb.215:
	v_sub_f32_e32 v36, v51, v37
	s_mov_b32 s13, 0x3fb8aa3b
	v_mul_f32_e32 v51, 0x3fb8aa3b, v36
	v_fma_f32 v52, v36, s13, -v51
	v_rndne_f32_e32 v53, v51
	v_fmac_f32_e32 v52, 0x32a5705f, v36
	v_sub_f32_e32 v51, v51, v53
	v_add_f32_e32 v51, v51, v52
	v_exp_f32_e32 v51, v51
	v_cvt_i32_f32_e32 v52, v53
	s_mov_b32 s13, 0xc2ce8ed0
	v_cmp_ngt_f32_e32 vcc, s13, v36
	s_mov_b32 s13, 0x42b17218
	v_ldexp_f32 v51, v51, v52
	v_cndmask_b32_e32 v51, 0, v51, vcc
	v_mov_b32_e32 v52, 0x7f800000
	v_cmp_nlt_f32_e32 vcc, s13, v36
	v_cndmask_b32_e32 v97, v52, v51, vcc
	v_add_f32_e32 v36, 1.0, v97
	v_add_f32_e32 v51, -1.0, v36
	v_sub_f32_e32 v52, v51, v36
	v_add_f32_e32 v52, 1.0, v52
	v_sub_f32_e32 v51, v97, v51
	v_add_f32_e32 v51, v51, v52
	v_frexp_mant_f32_e32 v54, v36
	s_mov_b32 s13, 0x3f2aaaab
	v_cvt_f64_f32_e32 v[52:53], v36
	v_frexp_exp_i32_f64_e32 v52, v[52:53]
	v_cmp_gt_f32_e32 vcc, s13, v54
	v_subbrev_co_u32_e32 v102, vcc, 0, v52, vcc
	v_sub_u32_e32 v52, 0, v102
	v_ldexp_f32 v36, v36, v52
	v_ldexp_f32 v51, v51, v52
	v_add_f32_e32 v52, -1.0, v36
	v_add_f32_e32 v53, 1.0, v52
	v_sub_f32_e32 v53, v36, v53
	v_add_f32_e32 v54, v51, v53
	v_add_f32_e32 v53, 1.0, v36
	v_add_f32_e32 v55, -1.0, v53
	v_sub_f32_e32 v36, v36, v55
	v_add_f32_e32 v36, v51, v36
	v_add_f32_e32 v51, v53, v36
	v_rcp_f32_e32 v103, v51
	v_sub_f32_e32 v53, v53, v51
	v_add_f32_e32 v36, v36, v53
	v_add_f32_e32 v53, v52, v54
	v_sub_f32_e32 v52, v52, v53
	v_mul_f32_e32 v113, v53, v103
	v_add_f32_e32 v112, v54, v52
	v_mul_f32_e32 v54, v51, v113
	v_fma_f32 v98, v113, v51, -v54
	v_fmac_f32_e32 v98, v113, v36
	v_add_f32_e32 v52, v54, v98
	v_sub_f32_e32 v55, v53, v52
	v_pk_add_f32 v[100:101], v[52:53], v[54:55] neg_lo:[0,1] neg_hi:[0,1]
	v_mov_b32_e32 v99, v52
	v_pk_add_f32 v[52:53], v[100:101], v[98:99] neg_lo:[0,1] neg_hi:[0,1]
	v_add_f32_e32 v53, v112, v53
	v_add_f32_e32 v52, v52, v53
	v_add_f32_e32 v53, v55, v52
	v_mul_f32_e32 v112, v103, v53
	v_mul_f32_e32 v54, v51, v112
	v_fma_f32 v98, v112, v51, -v54
	v_fmac_f32_e32 v98, v112, v36
	v_sub_f32_e32 v36, v55, v53
	v_add_f32_e32 v36, v52, v36
	v_add_f32_e32 v52, v54, v98
	v_sub_f32_e32 v55, v53, v52
	v_pk_add_f32 v[100:101], v[52:53], v[54:55] neg_lo:[0,1] neg_hi:[0,1]
	v_mov_b32_e32 v99, v52
	v_pk_add_f32 v[52:53], v[100:101], v[98:99] neg_lo:[0,1] neg_hi:[0,1]
	v_add_f32_e32 v36, v36, v53
	v_add_f32_e32 v36, v52, v36
	;; [unrolled: 1-line block ×4, first 2 shown]
	v_sub_f32_e32 v52, v51, v113
	v_mul_f32_e32 v36, v103, v36
	v_sub_f32_e32 v52, v112, v52
	v_add_f32_e32 v36, v52, v36
	v_add_f32_e32 v52, v51, v36
	v_mul_f32_e32 v55, v52, v52
	v_mov_b32_e32 v54, 0x3ecc95a3
	v_fmac_f32_e32 v54, 0x3e9b6dac, v55
	v_mov_b32_e32 v53, 0x3f2aaada
	v_fmac_f32_e32 v53, v55, v54
	v_cvt_f32_i32_e32 v54, v102
	v_sub_f32_e32 v51, v52, v51
	v_ldexp_f32 v99, v52, 1
	v_mul_f32_e32 v55, v52, v55
	v_mov_b32_e32 v52, 0x3f317218
	s_mov_b32 s13, 0x3f317218
	v_pk_mul_f32 v[52:53], v[54:55], v[52:53]
	v_fma_f32 v98, v54, s13, -v52
	v_fmac_f32_e32 v98, 0xb102e308, v54
	v_pk_add_f32 v[54:55], v[52:53], v[98:99]
	v_sub_f32_e32 v36, v36, v51
	v_sub_f32_e32 v51, v55, v99
	v_ldexp_f32 v36, v36, 1
	v_sub_f32_e32 v51, v53, v51
	v_add_f32_e32 v101, v36, v51
	v_mov_b32_e32 v100, v52
	v_pk_add_f32 v[52:53], v[54:55], v[52:53] neg_lo:[0,1] neg_hi:[0,1]
	v_pk_add_f32 v[102:103], v[54:55], v[100:101]
	v_mov_b32_e32 v53, v103
	v_mov_b32_e32 v99, v54
	v_pk_add_f32 v[112:113], v[98:99], v[52:53] neg_lo:[0,1] neg_hi:[0,1]
	v_pk_add_f32 v[52:53], v[98:99], v[52:53]
	v_mov_b32_e32 v36, v53
	v_pk_add_f32 v[98:99], v[36:37], v[54:55] neg_lo:[0,1] neg_hi:[0,1]
	v_mov_b32_e32 v51, v98
	v_pk_add_f32 v[114:115], v[102:103], v[50:51] neg_lo:[0,1] neg_hi:[0,1]
	v_mov_b32_e32 v52, v103
	v_mov_b32_e32 v102, v55
	;; [unrolled: 1-line block ×4, first 2 shown]
	v_pk_add_f32 v[52:53], v[52:53], v[102:103] neg_lo:[0,1] neg_hi:[0,1]
	v_mov_b32_e32 v98, v101
	v_mov_b32_e32 v99, v54
	v_pk_add_f32 v[52:53], v[98:99], v[52:53] neg_lo:[0,1] neg_hi:[0,1]
	v_mov_b32_e32 v114, v112
	v_pk_add_f32 v[54:55], v[114:115], v[52:53]
	v_mov_b32_e32 v98, v55
	v_pk_add_f32 v[98:99], v[54:55], v[98:99]
	v_pk_add_f32 v[100:101], v[36:37], v[98:99]
	v_mov_b32_e32 v55, v100
	v_pk_add_f32 v[102:103], v[54:55], v[112:113] neg_lo:[0,1] neg_hi:[0,1]
	v_mov_b32_e32 v53, v98
	v_sub_f32_e32 v36, v54, v102
	v_pk_add_f32 v[52:53], v[52:53], v[102:103] neg_lo:[0,1] neg_hi:[0,1]
	v_sub_f32_e32 v36, v112, v36
	s_mov_b32 s14, 0x7f800000
	v_add_f32_e32 v36, v52, v36
	s_mov_b32 s13, 0x33800000
	v_add_f32_e32 v36, v36, v53
	v_cmp_eq_f32_e32 vcc, s14, v97
	v_cmp_lt_f32_e64 s[14:15], |v97|, s13
	v_add_f32_e32 v36, v100, v36
	s_or_b64 vcc, vcc, s[14:15]
	v_cndmask_b32_e32 v36, v36, v97, vcc
	v_add_f32_e32 v36, v37, v36
	v_cvt_f16_f32_e32 v99, v36
	v_cvt_f32_f16_e32 v98, v99
	v_mov_b32_e32 v36, v99
.LBB421_216:
	s_or_b64 exec, exec, s[10:11]
	v_max_f32_e32 v37, v64, v64
	v_max_f32_e32 v51, v98, v98
	v_min_f32_e32 v52, v51, v37
	v_cmp_u_f16_e32 vcc, v99, v99
	v_max_f32_e32 v37, v51, v37
	v_cndmask_b32_e32 v52, v52, v98, vcc
	v_cndmask_b32_e32 v37, v37, v98, vcc
	v_cndmask_b32_e64 v52, v52, v64, s[22:23]
	v_cndmask_b32_e64 v51, v37, v64, s[22:23]
	v_cmp_neq_f32_e32 vcc, v52, v51
	v_cmp_class_f32_e64 s[10:11], v52, s12
	s_or_b64 s[12:13], vcc, s[10:11]
	v_mov_b32_e32 v37, v36
	s_and_saveexec_b64 s[10:11], s[12:13]
	s_cbranch_execz .LBB421_218
; %bb.217:
	v_sub_f32_e32 v37, v52, v51
	s_mov_b32 s12, 0x3fb8aa3b
	v_mul_f32_e32 v52, 0x3fb8aa3b, v37
	v_fma_f32 v53, v37, s12, -v52
	v_rndne_f32_e32 v54, v52
	v_fmac_f32_e32 v53, 0x32a5705f, v37
	v_sub_f32_e32 v52, v52, v54
	v_add_f32_e32 v52, v52, v53
	v_exp_f32_e32 v52, v52
	v_cvt_i32_f32_e32 v53, v54
	s_mov_b32 s12, 0xc2ce8ed0
	v_cmp_ngt_f32_e32 vcc, s12, v37
	s_mov_b32 s12, 0x42b17218
	v_ldexp_f32 v52, v52, v53
	v_cndmask_b32_e32 v52, 0, v52, vcc
	v_mov_b32_e32 v53, 0x7f800000
	v_cmp_nlt_f32_e32 vcc, s12, v37
	v_cndmask_b32_e32 v97, v53, v52, vcc
	v_add_f32_e32 v37, 1.0, v97
	v_add_f32_e32 v52, -1.0, v37
	v_sub_f32_e32 v53, v52, v37
	v_add_f32_e32 v53, 1.0, v53
	v_sub_f32_e32 v52, v97, v52
	v_add_f32_e32 v54, v52, v53
	v_frexp_mant_f32_e32 v55, v37
	s_mov_b32 s12, 0x3f2aaaab
	v_cvt_f64_f32_e32 v[52:53], v37
	v_frexp_exp_i32_f64_e32 v52, v[52:53]
	v_cmp_gt_f32_e32 vcc, s12, v55
	v_subbrev_co_u32_e32 v64, vcc, 0, v52, vcc
	v_sub_u32_e32 v52, 0, v64
	v_ldexp_f32 v37, v37, v52
	v_ldexp_f32 v52, v54, v52
	v_add_f32_e32 v54, -1.0, v37
	v_add_f32_e32 v53, 1.0, v54
	v_sub_f32_e32 v53, v37, v53
	v_add_f32_e32 v55, v52, v53
	v_add_f32_e32 v53, 1.0, v37
	v_add_f32_e32 v98, -1.0, v53
	v_sub_f32_e32 v37, v37, v98
	v_add_f32_e32 v37, v52, v37
	v_add_f32_e32 v102, v53, v37
	v_rcp_f32_e32 v103, v102
	v_sub_f32_e32 v52, v53, v102
	v_add_f32_e32 v53, v54, v55
	v_add_f32_e32 v37, v37, v52
	v_mul_f32_e32 v113, v53, v103
	v_sub_f32_e32 v52, v54, v53
	v_mul_f32_e32 v54, v102, v113
	v_fma_f32 v98, v113, v102, -v54
	v_fmac_f32_e32 v98, v113, v37
	v_add_f32_e32 v112, v55, v52
	v_add_f32_e32 v52, v54, v98
	v_sub_f32_e32 v55, v53, v52
	v_pk_add_f32 v[100:101], v[52:53], v[54:55] neg_lo:[0,1] neg_hi:[0,1]
	v_mov_b32_e32 v99, v52
	v_pk_add_f32 v[52:53], v[100:101], v[98:99] neg_lo:[0,1] neg_hi:[0,1]
	v_add_f32_e32 v53, v112, v53
	v_add_f32_e32 v52, v52, v53
	v_add_f32_e32 v53, v55, v52
	v_mul_f32_e32 v112, v103, v53
	v_mul_f32_e32 v54, v102, v112
	v_fma_f32 v98, v112, v102, -v54
	v_fmac_f32_e32 v98, v112, v37
	v_sub_f32_e32 v37, v55, v53
	v_add_f32_e32 v37, v52, v37
	v_add_f32_e32 v52, v54, v98
	v_sub_f32_e32 v55, v53, v52
	v_pk_add_f32 v[100:101], v[52:53], v[54:55] neg_lo:[0,1] neg_hi:[0,1]
	v_mov_b32_e32 v99, v52
	v_pk_add_f32 v[52:53], v[100:101], v[98:99] neg_lo:[0,1] neg_hi:[0,1]
	v_add_f32_e32 v37, v37, v53
	v_add_f32_e32 v37, v52, v37
	;; [unrolled: 1-line block ×4, first 2 shown]
	v_sub_f32_e32 v53, v52, v113
	v_mul_f32_e32 v37, v103, v37
	v_sub_f32_e32 v53, v112, v53
	v_add_f32_e32 v37, v53, v37
	v_add_f32_e32 v55, v52, v37
	v_mul_f32_e32 v98, v55, v55
	v_mov_b32_e32 v54, 0x3ecc95a3
	v_fmac_f32_e32 v54, 0x3e9b6dac, v98
	v_mov_b32_e32 v53, 0x3f2aaada
	v_fmac_f32_e32 v53, v98, v54
	v_cvt_f32_i32_e32 v54, v64
	v_sub_f32_e32 v52, v55, v52
	v_sub_f32_e32 v37, v37, v52
	v_ldexp_f32 v99, v55, 1
	v_mul_f32_e32 v55, v55, v98
	v_mov_b32_e32 v52, 0x3f317218
	s_mov_b32 s12, 0x3f317218
	v_pk_mul_f32 v[52:53], v[54:55], v[52:53]
	v_fma_f32 v98, v54, s12, -v52
	v_fmac_f32_e32 v98, 0xb102e308, v54
	v_pk_add_f32 v[54:55], v[52:53], v[98:99]
	v_sub_f32_e32 v64, v55, v99
	v_ldexp_f32 v37, v37, 1
	v_sub_f32_e32 v64, v53, v64
	v_add_f32_e32 v101, v37, v64
	v_mov_b32_e32 v100, v52
	v_pk_add_f32 v[52:53], v[54:55], v[52:53] neg_lo:[0,1] neg_hi:[0,1]
	v_pk_add_f32 v[102:103], v[54:55], v[100:101]
	v_mov_b32_e32 v53, v103
	v_mov_b32_e32 v99, v54
	v_pk_add_f32 v[112:113], v[98:99], v[52:53] neg_lo:[0,1] neg_hi:[0,1]
	v_pk_add_f32 v[52:53], v[98:99], v[52:53]
	v_mov_b32_e32 v64, v53
	v_pk_add_f32 v[98:99], v[64:65], v[54:55] neg_lo:[0,1] neg_hi:[0,1]
	v_mov_b32_e32 v37, v98
	v_pk_add_f32 v[114:115], v[102:103], v[36:37] neg_lo:[0,1] neg_hi:[0,1]
	v_mov_b32_e32 v52, v103
	v_mov_b32_e32 v102, v55
	;; [unrolled: 1-line block ×4, first 2 shown]
	v_pk_add_f32 v[52:53], v[52:53], v[102:103] neg_lo:[0,1] neg_hi:[0,1]
	v_mov_b32_e32 v98, v101
	v_mov_b32_e32 v99, v54
	v_pk_add_f32 v[52:53], v[98:99], v[52:53] neg_lo:[0,1] neg_hi:[0,1]
	v_mov_b32_e32 v114, v112
	v_pk_add_f32 v[54:55], v[114:115], v[52:53]
	v_mov_b32_e32 v98, v55
	v_pk_add_f32 v[98:99], v[54:55], v[98:99]
	v_pk_add_f32 v[100:101], v[64:65], v[98:99]
	v_mov_b32_e32 v55, v100
	v_pk_add_f32 v[102:103], v[54:55], v[112:113] neg_lo:[0,1] neg_hi:[0,1]
	v_mov_b32_e32 v53, v98
	v_sub_f32_e32 v37, v54, v102
	v_pk_add_f32 v[52:53], v[52:53], v[102:103] neg_lo:[0,1] neg_hi:[0,1]
	v_sub_f32_e32 v37, v112, v37
	s_mov_b32 s13, 0x7f800000
	v_add_f32_e32 v37, v52, v37
	s_mov_b32 s12, 0x33800000
	v_add_f32_e32 v37, v37, v53
	v_cmp_eq_f32_e32 vcc, s13, v97
	v_cmp_lt_f32_e64 s[12:13], |v97|, s12
	v_add_f32_e32 v37, v100, v37
	s_or_b64 vcc, vcc, s[12:13]
	v_cndmask_b32_e32 v37, v37, v97, vcc
	v_add_f32_e32 v37, v51, v37
	v_cvt_f16_f32_e32 v99, v37
	v_cvt_f32_f16_e32 v98, v99
	v_mov_b32_e32 v37, v99
.LBB421_218:
	s_or_b64 exec, exec, s[10:11]
	v_max_f32_e32 v51, v65, v65
	v_max_f32_e32 v52, v98, v98
	v_min_f32_e32 v53, v52, v51
	v_cmp_u_f16_e32 vcc, v99, v99
	v_max_f32_e32 v51, v52, v51
	v_cndmask_b32_e32 v53, v53, v98, vcc
	v_cndmask_b32_e32 v51, v51, v98, vcc
	v_cndmask_b32_e64 v53, v53, v65, s[24:25]
	v_cndmask_b32_e64 v52, v51, v65, s[24:25]
	s_movk_i32 s12, 0x1f8
	v_cmp_neq_f32_e32 vcc, v53, v52
	v_cmp_class_f32_e64 s[10:11], v53, s12
	s_or_b64 s[14:15], vcc, s[10:11]
	v_mov_b32_e32 v51, v37
	s_and_saveexec_b64 s[10:11], s[14:15]
	s_cbranch_execz .LBB421_220
; %bb.219:
	v_sub_f32_e32 v51, v53, v52
	s_mov_b32 s13, 0x3fb8aa3b
	v_mul_f32_e32 v53, 0x3fb8aa3b, v51
	v_fma_f32 v54, v51, s13, -v53
	v_rndne_f32_e32 v55, v53
	v_fmac_f32_e32 v54, 0x32a5705f, v51
	v_sub_f32_e32 v53, v53, v55
	v_add_f32_e32 v53, v53, v54
	v_exp_f32_e32 v53, v53
	v_cvt_i32_f32_e32 v54, v55
	s_mov_b32 s13, 0xc2ce8ed0
	v_cmp_ngt_f32_e32 vcc, s13, v51
	s_mov_b32 s13, 0x42b17218
	v_ldexp_f32 v53, v53, v54
	v_cndmask_b32_e32 v53, 0, v53, vcc
	v_mov_b32_e32 v54, 0x7f800000
	v_cmp_nlt_f32_e32 vcc, s13, v51
	v_cndmask_b32_e32 v53, v54, v53, vcc
	v_add_f32_e32 v51, 1.0, v53
	v_add_f32_e32 v54, -1.0, v51
	v_sub_f32_e32 v55, v54, v51
	v_add_f32_e32 v55, 1.0, v55
	v_sub_f32_e32 v54, v53, v54
	v_add_f32_e32 v64, v54, v55
	v_frexp_mant_f32_e32 v65, v51
	s_mov_b32 s13, 0x3f2aaaab
	v_cvt_f64_f32_e32 v[54:55], v51
	v_frexp_exp_i32_f64_e32 v54, v[54:55]
	v_cmp_gt_f32_e32 vcc, s13, v65
	v_subbrev_co_u32_e32 v97, vcc, 0, v54, vcc
	v_sub_u32_e32 v54, 0, v97
	v_ldexp_f32 v51, v51, v54
	v_ldexp_f32 v54, v64, v54
	v_add_f32_e32 v64, -1.0, v51
	v_add_f32_e32 v55, 1.0, v64
	v_sub_f32_e32 v55, v51, v55
	v_add_f32_e32 v65, v54, v55
	v_add_f32_e32 v55, 1.0, v51
	v_add_f32_e32 v98, -1.0, v55
	v_sub_f32_e32 v51, v51, v98
	v_add_f32_e32 v51, v54, v51
	v_add_f32_e32 v102, v55, v51
	v_rcp_f32_e32 v103, v102
	v_sub_f32_e32 v54, v55, v102
	v_add_f32_e32 v55, v64, v65
	v_add_f32_e32 v51, v51, v54
	v_mul_f32_e32 v113, v55, v103
	v_sub_f32_e32 v54, v64, v55
	v_mul_f32_e32 v64, v102, v113
	v_fma_f32 v98, v113, v102, -v64
	v_fmac_f32_e32 v98, v113, v51
	v_add_f32_e32 v112, v65, v54
	v_add_f32_e32 v54, v64, v98
	v_sub_f32_e32 v65, v55, v54
	v_pk_add_f32 v[100:101], v[54:55], v[64:65] neg_lo:[0,1] neg_hi:[0,1]
	v_mov_b32_e32 v99, v54
	v_pk_add_f32 v[54:55], v[100:101], v[98:99] neg_lo:[0,1] neg_hi:[0,1]
	v_add_f32_e32 v55, v112, v55
	v_add_f32_e32 v54, v54, v55
	;; [unrolled: 1-line block ×3, first 2 shown]
	v_mul_f32_e32 v112, v103, v55
	v_mul_f32_e32 v64, v102, v112
	v_fma_f32 v98, v112, v102, -v64
	v_fmac_f32_e32 v98, v112, v51
	v_sub_f32_e32 v51, v65, v55
	v_add_f32_e32 v51, v54, v51
	v_add_f32_e32 v54, v64, v98
	v_sub_f32_e32 v65, v55, v54
	v_pk_add_f32 v[100:101], v[54:55], v[64:65] neg_lo:[0,1] neg_hi:[0,1]
	v_mov_b32_e32 v99, v54
	v_pk_add_f32 v[54:55], v[100:101], v[98:99] neg_lo:[0,1] neg_hi:[0,1]
	v_add_f32_e32 v51, v51, v55
	v_add_f32_e32 v51, v54, v51
	;; [unrolled: 1-line block ×4, first 2 shown]
	v_sub_f32_e32 v55, v54, v113
	v_mul_f32_e32 v51, v103, v51
	v_sub_f32_e32 v55, v112, v55
	v_add_f32_e32 v51, v55, v51
	v_add_f32_e32 v65, v54, v51
	v_mul_f32_e32 v98, v65, v65
	v_mov_b32_e32 v64, 0x3ecc95a3
	v_fmac_f32_e32 v64, 0x3e9b6dac, v98
	v_mov_b32_e32 v55, 0x3f2aaada
	v_fmac_f32_e32 v55, v98, v64
	v_cvt_f32_i32_e32 v64, v97
	v_sub_f32_e32 v54, v65, v54
	v_sub_f32_e32 v51, v51, v54
	v_ldexp_f32 v99, v65, 1
	v_mul_f32_e32 v65, v65, v98
	v_mov_b32_e32 v54, 0x3f317218
	s_mov_b32 s13, 0x3f317218
	v_pk_mul_f32 v[54:55], v[64:65], v[54:55]
	v_fma_f32 v98, v64, s13, -v54
	v_fmac_f32_e32 v98, 0xb102e308, v64
	v_pk_add_f32 v[64:65], v[54:55], v[98:99]
	v_sub_f32_e32 v97, v65, v99
	v_ldexp_f32 v51, v51, 1
	v_sub_f32_e32 v97, v55, v97
	v_add_f32_e32 v101, v51, v97
	v_mov_b32_e32 v100, v54
	v_pk_add_f32 v[54:55], v[64:65], v[54:55] neg_lo:[0,1] neg_hi:[0,1]
	v_pk_add_f32 v[102:103], v[64:65], v[100:101]
	v_mov_b32_e32 v55, v103
	v_mov_b32_e32 v99, v64
	v_pk_add_f32 v[112:113], v[98:99], v[54:55] neg_lo:[0,1] neg_hi:[0,1]
	v_pk_add_f32 v[54:55], v[98:99], v[54:55]
	v_mov_b32_e32 v98, v55
	v_pk_add_f32 v[114:115], v[98:99], v[64:65] neg_lo:[0,1] neg_hi:[0,1]
	v_mov_b32_e32 v51, v114
	v_pk_add_f32 v[116:117], v[102:103], v[50:51] neg_lo:[0,1] neg_hi:[0,1]
	v_mov_b32_e32 v54, v103
	v_mov_b32_e32 v102, v65
	;; [unrolled: 1-line block ×4, first 2 shown]
	v_pk_add_f32 v[54:55], v[54:55], v[102:103] neg_lo:[0,1] neg_hi:[0,1]
	v_mov_b32_e32 v100, v101
	v_mov_b32_e32 v101, v64
	v_pk_add_f32 v[54:55], v[100:101], v[54:55] neg_lo:[0,1] neg_hi:[0,1]
	v_mov_b32_e32 v116, v112
	v_pk_add_f32 v[64:65], v[116:117], v[54:55]
	v_mov_b32_e32 v100, v65
	v_pk_add_f32 v[100:101], v[64:65], v[100:101]
	v_pk_add_f32 v[98:99], v[98:99], v[100:101]
	v_mov_b32_e32 v65, v98
	v_pk_add_f32 v[102:103], v[64:65], v[112:113] neg_lo:[0,1] neg_hi:[0,1]
	v_mov_b32_e32 v55, v100
	v_sub_f32_e32 v51, v64, v102
	v_pk_add_f32 v[54:55], v[54:55], v[102:103] neg_lo:[0,1] neg_hi:[0,1]
	v_sub_f32_e32 v51, v112, v51
	s_mov_b32 s14, 0x7f800000
	v_add_f32_e32 v51, v54, v51
	s_mov_b32 s13, 0x33800000
	v_add_f32_e32 v51, v51, v55
	v_cmp_eq_f32_e32 vcc, s14, v53
	v_cmp_lt_f32_e64 s[14:15], |v53|, s13
	v_add_f32_e32 v51, v98, v51
	s_or_b64 vcc, vcc, s[14:15]
	v_cndmask_b32_e32 v51, v51, v53, vcc
	v_add_f32_e32 v51, v52, v51
	v_cvt_f16_f32_e32 v99, v51
	v_cvt_f32_f16_e32 v98, v99
	v_mov_b32_e32 v51, v99
.LBB421_220:
	s_or_b64 exec, exec, s[10:11]
	v_max_f32_e32 v52, v66, v66
	v_max_f32_e32 v53, v98, v98
	v_min_f32_e32 v54, v53, v52
	v_cmp_u_f16_e32 vcc, v99, v99
	v_max_f32_e32 v52, v53, v52
	v_cndmask_b32_e32 v54, v54, v98, vcc
	v_cndmask_b32_e32 v52, v52, v98, vcc
	v_cndmask_b32_e64 v54, v54, v66, s[26:27]
	v_cndmask_b32_e64 v53, v52, v66, s[26:27]
	v_cmp_neq_f32_e32 vcc, v54, v53
	v_cmp_class_f32_e64 s[10:11], v54, s12
	s_or_b64 s[12:13], vcc, s[10:11]
	v_mov_b32_e32 v52, v51
	s_and_saveexec_b64 s[10:11], s[12:13]
	s_cbranch_execz .LBB421_222
; %bb.221:
	v_sub_f32_e32 v52, v54, v53
	s_mov_b32 s12, 0x3fb8aa3b
	v_mul_f32_e32 v54, 0x3fb8aa3b, v52
	v_fma_f32 v55, v52, s12, -v54
	v_rndne_f32_e32 v64, v54
	v_fmac_f32_e32 v55, 0x32a5705f, v52
	v_sub_f32_e32 v54, v54, v64
	v_add_f32_e32 v54, v54, v55
	v_exp_f32_e32 v54, v54
	v_cvt_i32_f32_e32 v55, v64
	s_mov_b32 s12, 0xc2ce8ed0
	v_cmp_ngt_f32_e32 vcc, s12, v52
	s_mov_b32 s12, 0x42b17218
	v_ldexp_f32 v54, v54, v55
	v_cndmask_b32_e32 v54, 0, v54, vcc
	v_mov_b32_e32 v55, 0x7f800000
	v_cmp_nlt_f32_e32 vcc, s12, v52
	v_cndmask_b32_e32 v116, v55, v54, vcc
	v_add_f32_e32 v52, 1.0, v116
	v_add_f32_e32 v54, -1.0, v52
	v_sub_f32_e32 v55, v54, v52
	v_add_f32_e32 v55, 1.0, v55
	v_sub_f32_e32 v54, v116, v54
	v_add_f32_e32 v64, v54, v55
	v_frexp_mant_f32_e32 v65, v52
	s_mov_b32 s12, 0x3f2aaaab
	v_cvt_f64_f32_e32 v[54:55], v52
	v_frexp_exp_i32_f64_e32 v54, v[54:55]
	v_cmp_gt_f32_e32 vcc, s12, v65
	v_subbrev_co_u32_e32 v66, vcc, 0, v54, vcc
	v_sub_u32_e32 v54, 0, v66
	v_ldexp_f32 v52, v52, v54
	v_ldexp_f32 v54, v64, v54
	v_add_f32_e32 v64, -1.0, v52
	v_add_f32_e32 v55, 1.0, v64
	v_sub_f32_e32 v55, v52, v55
	v_add_f32_e32 v65, v54, v55
	v_add_f32_e32 v55, 1.0, v52
	v_add_f32_e32 v97, -1.0, v55
	v_sub_f32_e32 v52, v52, v97
	v_add_f32_e32 v52, v54, v52
	v_add_f32_e32 v97, v55, v52
	v_rcp_f32_e32 v102, v97
	v_sub_f32_e32 v54, v55, v97
	v_add_f32_e32 v55, v64, v65
	v_add_f32_e32 v52, v52, v54
	v_mul_f32_e32 v112, v55, v102
	v_sub_f32_e32 v54, v64, v55
	v_mul_f32_e32 v64, v97, v112
	v_fma_f32 v98, v112, v97, -v64
	v_fmac_f32_e32 v98, v112, v52
	v_add_f32_e32 v103, v65, v54
	v_add_f32_e32 v54, v64, v98
	v_sub_f32_e32 v65, v55, v54
	v_pk_add_f32 v[100:101], v[54:55], v[64:65] neg_lo:[0,1] neg_hi:[0,1]
	v_mov_b32_e32 v99, v54
	v_pk_add_f32 v[54:55], v[100:101], v[98:99] neg_lo:[0,1] neg_hi:[0,1]
	v_add_f32_e32 v55, v103, v55
	v_add_f32_e32 v54, v54, v55
	;; [unrolled: 1-line block ×3, first 2 shown]
	v_mul_f32_e32 v103, v102, v55
	v_mul_f32_e32 v64, v97, v103
	v_fma_f32 v98, v103, v97, -v64
	v_fmac_f32_e32 v98, v103, v52
	v_sub_f32_e32 v52, v65, v55
	v_add_f32_e32 v52, v54, v52
	v_add_f32_e32 v54, v64, v98
	v_sub_f32_e32 v65, v55, v54
	v_pk_add_f32 v[100:101], v[54:55], v[64:65] neg_lo:[0,1] neg_hi:[0,1]
	v_mov_b32_e32 v99, v54
	v_pk_add_f32 v[54:55], v[100:101], v[98:99] neg_lo:[0,1] neg_hi:[0,1]
	v_add_f32_e32 v52, v52, v55
	v_add_f32_e32 v52, v54, v52
	;; [unrolled: 1-line block ×4, first 2 shown]
	v_sub_f32_e32 v55, v54, v112
	v_mul_f32_e32 v52, v102, v52
	v_sub_f32_e32 v55, v103, v55
	v_add_f32_e32 v52, v55, v52
	v_add_f32_e32 v65, v54, v52
	v_mul_f32_e32 v97, v65, v65
	v_mov_b32_e32 v64, 0x3ecc95a3
	v_fmac_f32_e32 v64, 0x3e9b6dac, v97
	v_mov_b32_e32 v55, 0x3f2aaada
	v_fmac_f32_e32 v55, v97, v64
	v_cvt_f32_i32_e32 v64, v66
	v_sub_f32_e32 v54, v65, v54
	v_sub_f32_e32 v52, v52, v54
	v_ldexp_f32 v99, v65, 1
	v_mul_f32_e32 v65, v65, v97
	v_mov_b32_e32 v54, 0x3f317218
	s_mov_b32 s12, 0x3f317218
	v_pk_mul_f32 v[54:55], v[64:65], v[54:55]
	v_fma_f32 v98, v64, s12, -v54
	v_fmac_f32_e32 v98, 0xb102e308, v64
	v_pk_add_f32 v[64:65], v[54:55], v[98:99]
	v_sub_f32_e32 v66, v65, v99
	v_ldexp_f32 v52, v52, 1
	v_sub_f32_e32 v66, v55, v66
	v_add_f32_e32 v101, v52, v66
	v_mov_b32_e32 v100, v54
	v_pk_add_f32 v[54:55], v[64:65], v[54:55] neg_lo:[0,1] neg_hi:[0,1]
	v_pk_add_f32 v[102:103], v[64:65], v[100:101]
	v_mov_b32_e32 v55, v103
	v_mov_b32_e32 v99, v64
	v_pk_add_f32 v[112:113], v[98:99], v[54:55] neg_lo:[0,1] neg_hi:[0,1]
	v_pk_add_f32 v[54:55], v[98:99], v[54:55]
	v_mov_b32_e32 v52, v55
	v_pk_add_f32 v[98:99], v[52:53], v[64:65] neg_lo:[0,1] neg_hi:[0,1]
	v_mov_b32_e32 v97, v98
	v_pk_add_f32 v[114:115], v[102:103], v[96:97] neg_lo:[0,1] neg_hi:[0,1]
	v_mov_b32_e32 v54, v103
	v_mov_b32_e32 v102, v65
	v_mov_b32_e32 v103, v98
	v_mov_b32_e32 v113, v55
	v_pk_add_f32 v[54:55], v[54:55], v[102:103] neg_lo:[0,1] neg_hi:[0,1]
	v_mov_b32_e32 v98, v101
	v_mov_b32_e32 v99, v64
	v_pk_add_f32 v[54:55], v[98:99], v[54:55] neg_lo:[0,1] neg_hi:[0,1]
	v_mov_b32_e32 v114, v112
	v_pk_add_f32 v[64:65], v[114:115], v[54:55]
	v_mov_b32_e32 v66, v65
	v_pk_add_f32 v[98:99], v[64:65], v[66:67]
	v_pk_add_f32 v[100:101], v[52:53], v[98:99]
	v_mov_b32_e32 v65, v100
	v_pk_add_f32 v[102:103], v[64:65], v[112:113] neg_lo:[0,1] neg_hi:[0,1]
	v_mov_b32_e32 v55, v98
	v_sub_f32_e32 v52, v64, v102
	v_pk_add_f32 v[54:55], v[54:55], v[102:103] neg_lo:[0,1] neg_hi:[0,1]
	v_sub_f32_e32 v52, v112, v52
	s_mov_b32 s13, 0x7f800000
	v_add_f32_e32 v52, v54, v52
	s_mov_b32 s12, 0x33800000
	v_add_f32_e32 v52, v52, v55
	v_cmp_eq_f32_e32 vcc, s13, v116
	v_cmp_lt_f32_e64 s[12:13], |v116|, s12
	v_add_f32_e32 v52, v100, v52
	s_or_b64 vcc, vcc, s[12:13]
	v_cndmask_b32_e32 v52, v52, v116, vcc
	v_add_f32_e32 v52, v53, v52
	v_cvt_f16_f32_e32 v99, v52
	v_cvt_f32_f16_e32 v98, v99
	v_mov_b32_e32 v52, v99
.LBB421_222:
	s_or_b64 exec, exec, s[10:11]
	v_max_f32_e32 v53, v67, v67
	v_max_f32_e32 v55, v98, v98
	v_min_f32_e32 v54, v55, v53
	v_cmp_u_f16_e32 vcc, v99, v99
	v_max_f32_e32 v53, v55, v53
	v_cndmask_b32_e32 v54, v54, v98, vcc
	v_cndmask_b32_e32 v53, v53, v98, vcc
	v_cndmask_b32_e64 v54, v54, v67, s[28:29]
	v_cndmask_b32_e64 v53, v53, v67, s[28:29]
	s_movk_i32 s12, 0x1f8
	v_cmp_neq_f32_e32 vcc, v54, v53
	v_cmp_class_f32_e64 s[10:11], v54, s12
	s_or_b64 s[14:15], vcc, s[10:11]
	v_mov_b32_e32 v97, v52
	s_and_saveexec_b64 s[10:11], s[14:15]
	s_cbranch_execz .LBB421_224
; %bb.223:
	v_sub_f32_e32 v54, v54, v53
	s_mov_b32 s13, 0x3fb8aa3b
	v_mul_f32_e32 v55, 0x3fb8aa3b, v54
	v_fma_f32 v64, v54, s13, -v55
	v_rndne_f32_e32 v65, v55
	v_fmac_f32_e32 v64, 0x32a5705f, v54
	v_sub_f32_e32 v55, v55, v65
	v_add_f32_e32 v55, v55, v64
	v_exp_f32_e32 v55, v55
	v_cvt_i32_f32_e32 v64, v65
	s_mov_b32 s13, 0xc2ce8ed0
	v_cmp_ngt_f32_e32 vcc, s13, v54
	s_mov_b32 s13, 0x42b17218
	v_ldexp_f32 v55, v55, v64
	v_cndmask_b32_e32 v55, 0, v55, vcc
	v_mov_b32_e32 v64, 0x7f800000
	v_cmp_nlt_f32_e32 vcc, s13, v54
	v_cndmask_b32_e32 v97, v64, v55, vcc
	v_add_f32_e32 v64, 1.0, v97
	v_add_f32_e32 v54, -1.0, v64
	v_sub_f32_e32 v55, v54, v64
	v_add_f32_e32 v55, 1.0, v55
	v_sub_f32_e32 v54, v97, v54
	v_add_f32_e32 v65, v54, v55
	v_frexp_mant_f32_e32 v66, v64
	s_mov_b32 s13, 0x3f2aaaab
	v_cvt_f64_f32_e32 v[54:55], v64
	v_frexp_exp_i32_f64_e32 v54, v[54:55]
	v_cmp_gt_f32_e32 vcc, s13, v66
	v_subbrev_co_u32_e32 v100, vcc, 0, v54, vcc
	v_sub_u32_e32 v54, 0, v100
	v_ldexp_f32 v55, v64, v54
	v_add_f32_e32 v64, -1.0, v55
	v_add_f32_e32 v66, 1.0, v55
	v_ldexp_f32 v54, v65, v54
	v_add_f32_e32 v65, 1.0, v64
	v_add_f32_e32 v67, -1.0, v66
	v_sub_f32_e32 v65, v55, v65
	v_sub_f32_e32 v55, v55, v67
	v_add_f32_e32 v65, v54, v65
	v_add_f32_e32 v54, v54, v55
	;; [unrolled: 1-line block ×3, first 2 shown]
	v_rcp_f32_e32 v103, v101
	v_sub_f32_e32 v55, v66, v101
	v_add_f32_e32 v102, v54, v55
	v_add_f32_e32 v55, v64, v65
	v_mul_f32_e32 v113, v55, v103
	v_sub_f32_e32 v54, v64, v55
	v_mul_f32_e32 v64, v101, v113
	v_fma_f32 v66, v113, v101, -v64
	v_fmac_f32_e32 v66, v113, v102
	v_add_f32_e32 v112, v65, v54
	v_add_f32_e32 v54, v64, v66
	v_sub_f32_e32 v65, v55, v54
	v_pk_add_f32 v[98:99], v[54:55], v[64:65] neg_lo:[0,1] neg_hi:[0,1]
	v_mov_b32_e32 v67, v54
	v_pk_add_f32 v[54:55], v[98:99], v[66:67] neg_lo:[0,1] neg_hi:[0,1]
	v_add_f32_e32 v55, v112, v55
	v_add_f32_e32 v54, v54, v55
	;; [unrolled: 1-line block ×3, first 2 shown]
	v_mul_f32_e32 v112, v103, v55
	v_mul_f32_e32 v64, v101, v112
	v_fma_f32 v66, v112, v101, -v64
	v_fmac_f32_e32 v66, v112, v102
	v_sub_f32_e32 v65, v65, v55
	v_add_f32_e32 v101, v54, v65
	v_add_f32_e32 v54, v64, v66
	v_sub_f32_e32 v65, v55, v54
	v_pk_add_f32 v[98:99], v[54:55], v[64:65] neg_lo:[0,1] neg_hi:[0,1]
	v_mov_b32_e32 v67, v54
	v_pk_add_f32 v[54:55], v[98:99], v[66:67] neg_lo:[0,1] neg_hi:[0,1]
	v_add_f32_e32 v55, v101, v55
	v_add_f32_e32 v54, v54, v55
	v_add_f32_e32 v54, v65, v54
	v_add_f32_e32 v65, v113, v112
	v_sub_f32_e32 v55, v65, v113
	v_mul_f32_e32 v54, v103, v54
	v_sub_f32_e32 v55, v112, v55
	v_add_f32_e32 v54, v55, v54
	v_add_f32_e32 v66, v65, v54
	v_mul_f32_e32 v98, v66, v66
	v_mov_b32_e32 v64, 0x3ecc95a3
	v_fmac_f32_e32 v64, 0x3e9b6dac, v98
	v_mov_b32_e32 v55, 0x3f2aaada
	v_fmac_f32_e32 v55, v98, v64
	v_cvt_f32_i32_e32 v64, v100
	v_sub_f32_e32 v65, v66, v65
	v_sub_f32_e32 v54, v54, v65
	v_ldexp_f32 v99, v54, 1
	v_mul_f32_e32 v65, v66, v98
	v_mov_b32_e32 v54, 0x3f317218
	s_mov_b32 s13, 0x3f317218
	v_pk_mul_f32 v[54:55], v[64:65], v[54:55]
	v_ldexp_f32 v67, v66, 1
	v_fma_f32 v66, v64, s13, -v54
	v_fmac_f32_e32 v66, 0xb102e308, v64
	v_pk_add_f32 v[64:65], v[54:55], v[66:67]
	v_sub_f32_e32 v67, v65, v67
	v_sub_f32_e32 v67, v55, v67
	v_add_f32_e32 v99, v99, v67
	v_mov_b32_e32 v98, v54
	v_pk_add_f32 v[54:55], v[64:65], v[54:55] neg_lo:[0,1] neg_hi:[0,1]
	v_pk_add_f32 v[100:101], v[64:65], v[98:99]
	v_mov_b32_e32 v55, v101
	v_mov_b32_e32 v67, v64
	v_pk_add_f32 v[102:103], v[66:67], v[54:55] neg_lo:[0,1] neg_hi:[0,1]
	v_pk_add_f32 v[54:55], v[66:67], v[54:55]
	v_mov_b32_e32 v66, v55
	v_pk_add_f32 v[112:113], v[66:67], v[64:65] neg_lo:[0,1] neg_hi:[0,1]
	v_mov_b32_e32 v67, v112
	v_pk_add_f32 v[114:115], v[100:101], v[66:67] neg_lo:[0,1] neg_hi:[0,1]
	v_mov_b32_e32 v54, v101
	v_mov_b32_e32 v100, v65
	;; [unrolled: 1-line block ×4, first 2 shown]
	v_pk_add_f32 v[54:55], v[54:55], v[100:101] neg_lo:[0,1] neg_hi:[0,1]
	v_mov_b32_e32 v98, v99
	v_mov_b32_e32 v99, v64
	v_pk_add_f32 v[54:55], v[98:99], v[54:55] neg_lo:[0,1] neg_hi:[0,1]
	v_mov_b32_e32 v114, v102
	v_pk_add_f32 v[64:65], v[114:115], v[54:55]
	v_mov_b32_e32 v98, v65
	v_pk_add_f32 v[98:99], v[64:65], v[98:99]
	v_pk_add_f32 v[66:67], v[66:67], v[98:99]
	v_mov_b32_e32 v65, v66
	v_pk_add_f32 v[100:101], v[64:65], v[102:103] neg_lo:[0,1] neg_hi:[0,1]
	v_mov_b32_e32 v55, v98
	v_sub_f32_e32 v64, v64, v100
	v_pk_add_f32 v[54:55], v[54:55], v[100:101] neg_lo:[0,1] neg_hi:[0,1]
	v_sub_f32_e32 v64, v102, v64
	s_mov_b32 s14, 0x7f800000
	v_add_f32_e32 v54, v54, v64
	s_mov_b32 s13, 0x33800000
	v_add_f32_e32 v54, v54, v55
	v_cmp_eq_f32_e32 vcc, s14, v97
	v_cmp_lt_f32_e64 s[14:15], |v97|, s13
	v_add_f32_e32 v54, v66, v54
	s_or_b64 vcc, vcc, s[14:15]
	v_cndmask_b32_e32 v54, v54, v97, vcc
	v_add_f32_e32 v53, v53, v54
	v_cvt_f16_f32_e32 v99, v53
	v_cvt_f32_f16_e32 v98, v99
	v_mov_b32_e32 v97, v99
.LBB421_224:
	s_or_b64 exec, exec, s[10:11]
	v_max_f32_e32 v53, v68, v68
	v_max_f32_e32 v54, v98, v98
	v_min_f32_e32 v55, v54, v53
	v_cmp_u_f16_e32 vcc, v99, v99
	v_max_f32_e32 v53, v54, v53
	v_cndmask_b32_e32 v55, v55, v98, vcc
	v_cndmask_b32_e32 v53, v53, v98, vcc
	v_cndmask_b32_e64 v55, v55, v68, s[30:31]
	v_cndmask_b32_e64 v54, v53, v68, s[30:31]
	v_cmp_neq_f32_e32 vcc, v55, v54
	v_cmp_class_f32_e64 s[10:11], v55, s12
	s_or_b64 s[12:13], vcc, s[10:11]
	v_mov_b32_e32 v53, v97
	s_and_saveexec_b64 s[10:11], s[12:13]
	s_cbranch_execz .LBB421_226
; %bb.225:
	v_sub_f32_e32 v53, v55, v54
	s_mov_b32 s12, 0x3fb8aa3b
	v_mul_f32_e32 v55, 0x3fb8aa3b, v53
	v_fma_f32 v64, v53, s12, -v55
	v_rndne_f32_e32 v65, v55
	v_fmac_f32_e32 v64, 0x32a5705f, v53
	v_sub_f32_e32 v55, v55, v65
	v_add_f32_e32 v55, v55, v64
	v_exp_f32_e32 v55, v55
	v_cvt_i32_f32_e32 v64, v65
	s_mov_b32 s12, 0xc2ce8ed0
	v_cmp_ngt_f32_e32 vcc, s12, v53
	s_mov_b32 s12, 0x42b17218
	v_ldexp_f32 v55, v55, v64
	v_cndmask_b32_e32 v55, 0, v55, vcc
	v_mov_b32_e32 v64, 0x7f800000
	v_cmp_nlt_f32_e32 vcc, s12, v53
	v_cndmask_b32_e32 v55, v64, v55, vcc
	v_add_f32_e32 v53, 1.0, v55
	v_add_f32_e32 v64, -1.0, v53
	v_sub_f32_e32 v65, v64, v53
	v_add_f32_e32 v65, 1.0, v65
	v_sub_f32_e32 v64, v55, v64
	v_add_f32_e32 v66, v64, v65
	v_frexp_mant_f32_e32 v67, v53
	s_mov_b32 s12, 0x3f2aaaab
	v_cvt_f64_f32_e32 v[64:65], v53
	v_frexp_exp_i32_f64_e32 v64, v[64:65]
	v_cmp_gt_f32_e32 vcc, s12, v67
	v_subbrev_co_u32_e32 v68, vcc, 0, v64, vcc
	v_sub_u32_e32 v64, 0, v68
	v_ldexp_f32 v53, v53, v64
	v_ldexp_f32 v64, v66, v64
	v_add_f32_e32 v66, -1.0, v53
	v_add_f32_e32 v65, 1.0, v66
	v_sub_f32_e32 v65, v53, v65
	v_add_f32_e32 v67, v64, v65
	v_add_f32_e32 v65, 1.0, v53
	v_add_f32_e32 v98, -1.0, v65
	v_sub_f32_e32 v53, v53, v98
	v_add_f32_e32 v53, v64, v53
	v_add_f32_e32 v102, v65, v53
	v_rcp_f32_e32 v103, v102
	v_sub_f32_e32 v64, v65, v102
	v_add_f32_e32 v65, v66, v67
	v_add_f32_e32 v53, v53, v64
	v_mul_f32_e32 v113, v65, v103
	v_sub_f32_e32 v64, v66, v65
	v_mul_f32_e32 v66, v102, v113
	v_fma_f32 v98, v113, v102, -v66
	v_fmac_f32_e32 v98, v113, v53
	v_add_f32_e32 v112, v67, v64
	v_add_f32_e32 v64, v66, v98
	v_sub_f32_e32 v67, v65, v64
	v_pk_add_f32 v[100:101], v[64:65], v[66:67] neg_lo:[0,1] neg_hi:[0,1]
	v_mov_b32_e32 v99, v64
	v_pk_add_f32 v[64:65], v[100:101], v[98:99] neg_lo:[0,1] neg_hi:[0,1]
	v_add_f32_e32 v65, v112, v65
	v_add_f32_e32 v64, v64, v65
	;; [unrolled: 1-line block ×3, first 2 shown]
	v_mul_f32_e32 v112, v103, v65
	v_mul_f32_e32 v66, v102, v112
	v_fma_f32 v98, v112, v102, -v66
	v_fmac_f32_e32 v98, v112, v53
	v_sub_f32_e32 v53, v67, v65
	v_add_f32_e32 v53, v64, v53
	v_add_f32_e32 v64, v66, v98
	v_sub_f32_e32 v67, v65, v64
	v_pk_add_f32 v[100:101], v[64:65], v[66:67] neg_lo:[0,1] neg_hi:[0,1]
	v_mov_b32_e32 v99, v64
	v_pk_add_f32 v[64:65], v[100:101], v[98:99] neg_lo:[0,1] neg_hi:[0,1]
	v_add_f32_e32 v53, v53, v65
	v_add_f32_e32 v53, v64, v53
	v_add_f32_e32 v64, v113, v112
	v_add_f32_e32 v53, v67, v53
	v_sub_f32_e32 v65, v64, v113
	v_mul_f32_e32 v53, v103, v53
	v_sub_f32_e32 v65, v112, v65
	v_add_f32_e32 v53, v65, v53
	v_add_f32_e32 v67, v64, v53
	v_mul_f32_e32 v98, v67, v67
	v_mov_b32_e32 v66, 0x3ecc95a3
	v_fmac_f32_e32 v66, 0x3e9b6dac, v98
	v_mov_b32_e32 v65, 0x3f2aaada
	v_fmac_f32_e32 v65, v98, v66
	v_cvt_f32_i32_e32 v66, v68
	v_sub_f32_e32 v64, v67, v64
	v_sub_f32_e32 v53, v53, v64
	v_ldexp_f32 v99, v67, 1
	v_mul_f32_e32 v67, v67, v98
	v_mov_b32_e32 v64, 0x3f317218
	s_mov_b32 s12, 0x3f317218
	v_pk_mul_f32 v[64:65], v[66:67], v[64:65]
	v_fma_f32 v98, v66, s12, -v64
	v_fmac_f32_e32 v98, 0xb102e308, v66
	v_pk_add_f32 v[66:67], v[64:65], v[98:99]
	v_sub_f32_e32 v68, v67, v99
	v_ldexp_f32 v53, v53, 1
	v_sub_f32_e32 v68, v65, v68
	v_add_f32_e32 v101, v53, v68
	v_mov_b32_e32 v100, v64
	v_pk_add_f32 v[64:65], v[66:67], v[64:65] neg_lo:[0,1] neg_hi:[0,1]
	v_pk_add_f32 v[102:103], v[66:67], v[100:101]
	v_mov_b32_e32 v65, v103
	v_mov_b32_e32 v99, v66
	v_pk_add_f32 v[112:113], v[98:99], v[64:65] neg_lo:[0,1] neg_hi:[0,1]
	v_pk_add_f32 v[64:65], v[98:99], v[64:65]
	v_mov_b32_e32 v68, v65
	v_pk_add_f32 v[98:99], v[68:69], v[66:67] neg_lo:[0,1] neg_hi:[0,1]
	v_mov_b32_e32 v53, v98
	v_pk_add_f32 v[114:115], v[102:103], v[52:53] neg_lo:[0,1] neg_hi:[0,1]
	v_mov_b32_e32 v64, v103
	v_mov_b32_e32 v102, v67
	;; [unrolled: 1-line block ×4, first 2 shown]
	v_pk_add_f32 v[64:65], v[64:65], v[102:103] neg_lo:[0,1] neg_hi:[0,1]
	v_mov_b32_e32 v98, v101
	v_mov_b32_e32 v99, v66
	v_pk_add_f32 v[64:65], v[98:99], v[64:65] neg_lo:[0,1] neg_hi:[0,1]
	v_mov_b32_e32 v114, v112
	v_pk_add_f32 v[66:67], v[114:115], v[64:65]
	v_mov_b32_e32 v98, v67
	v_pk_add_f32 v[98:99], v[66:67], v[98:99]
	v_pk_add_f32 v[100:101], v[68:69], v[98:99]
	v_mov_b32_e32 v67, v100
	v_pk_add_f32 v[102:103], v[66:67], v[112:113] neg_lo:[0,1] neg_hi:[0,1]
	v_mov_b32_e32 v65, v98
	v_sub_f32_e32 v53, v66, v102
	v_pk_add_f32 v[64:65], v[64:65], v[102:103] neg_lo:[0,1] neg_hi:[0,1]
	v_sub_f32_e32 v53, v112, v53
	s_mov_b32 s13, 0x7f800000
	v_add_f32_e32 v53, v64, v53
	s_mov_b32 s12, 0x33800000
	v_add_f32_e32 v53, v53, v65
	v_cmp_eq_f32_e32 vcc, s13, v55
	v_cmp_lt_f32_e64 s[12:13], |v55|, s12
	v_add_f32_e32 v53, v100, v53
	s_or_b64 vcc, vcc, s[12:13]
	v_cndmask_b32_e32 v53, v53, v55, vcc
	v_add_f32_e32 v53, v54, v53
	v_cvt_f16_f32_e32 v99, v53
	v_cvt_f32_f16_e32 v98, v99
	v_mov_b32_e32 v53, v99
.LBB421_226:
	s_or_b64 exec, exec, s[10:11]
	v_max_f32_e32 v54, v69, v69
	v_max_f32_e32 v64, v98, v98
	v_min_f32_e32 v55, v64, v54
	v_cmp_u_f16_e32 vcc, v99, v99
	v_max_f32_e32 v54, v64, v54
	v_cndmask_b32_e32 v55, v55, v98, vcc
	v_cndmask_b32_e32 v54, v54, v98, vcc
	v_cndmask_b32_e64 v55, v55, v69, s[34:35]
	v_cndmask_b32_e64 v54, v54, v69, s[34:35]
	s_movk_i32 s12, 0x1f8
	v_cmp_neq_f32_e32 vcc, v55, v54
	v_cmp_class_f32_e64 s[10:11], v55, s12
	s_or_b64 s[14:15], vcc, s[10:11]
	v_mov_b32_e32 v68, v53
	s_and_saveexec_b64 s[10:11], s[14:15]
	s_cbranch_execz .LBB421_228
; %bb.227:
	v_sub_f32_e32 v55, v55, v54
	s_mov_b32 s13, 0x3fb8aa3b
	v_mul_f32_e32 v64, 0x3fb8aa3b, v55
	v_fma_f32 v65, v55, s13, -v64
	v_rndne_f32_e32 v66, v64
	v_fmac_f32_e32 v65, 0x32a5705f, v55
	v_sub_f32_e32 v64, v64, v66
	v_add_f32_e32 v64, v64, v65
	v_exp_f32_e32 v64, v64
	v_cvt_i32_f32_e32 v65, v66
	s_mov_b32 s13, 0xc2ce8ed0
	v_cmp_ngt_f32_e32 vcc, s13, v55
	s_mov_b32 s13, 0x42b17218
	v_ldexp_f32 v64, v64, v65
	v_cndmask_b32_e32 v64, 0, v64, vcc
	v_mov_b32_e32 v65, 0x7f800000
	v_cmp_nlt_f32_e32 vcc, s13, v55
	v_cndmask_b32_e32 v116, v65, v64, vcc
	v_add_f32_e32 v55, 1.0, v116
	v_add_f32_e32 v64, -1.0, v55
	v_sub_f32_e32 v65, v64, v55
	v_add_f32_e32 v65, 1.0, v65
	v_sub_f32_e32 v64, v116, v64
	v_add_f32_e32 v66, v64, v65
	v_frexp_mant_f32_e32 v67, v55
	s_mov_b32 s13, 0x3f2aaaab
	v_cvt_f64_f32_e32 v[64:65], v55
	v_frexp_exp_i32_f64_e32 v64, v[64:65]
	v_cmp_gt_f32_e32 vcc, s13, v67
	v_subbrev_co_u32_e32 v100, vcc, 0, v64, vcc
	v_sub_u32_e32 v64, 0, v100
	v_ldexp_f32 v55, v55, v64
	v_ldexp_f32 v64, v66, v64
	v_add_f32_e32 v66, -1.0, v55
	v_add_f32_e32 v65, 1.0, v66
	v_sub_f32_e32 v65, v55, v65
	v_add_f32_e32 v67, v64, v65
	v_add_f32_e32 v65, 1.0, v55
	v_add_f32_e32 v68, -1.0, v65
	v_sub_f32_e32 v55, v55, v68
	v_add_f32_e32 v55, v64, v55
	v_add_f32_e32 v101, v65, v55
	v_rcp_f32_e32 v102, v101
	v_sub_f32_e32 v64, v65, v101
	v_add_f32_e32 v65, v66, v67
	v_add_f32_e32 v55, v55, v64
	v_mul_f32_e32 v112, v65, v102
	v_sub_f32_e32 v64, v66, v65
	v_mul_f32_e32 v66, v101, v112
	v_fma_f32 v68, v112, v101, -v66
	v_fmac_f32_e32 v68, v112, v55
	v_add_f32_e32 v103, v67, v64
	v_add_f32_e32 v64, v66, v68
	v_sub_f32_e32 v67, v65, v64
	v_pk_add_f32 v[98:99], v[64:65], v[66:67] neg_lo:[0,1] neg_hi:[0,1]
	v_mov_b32_e32 v69, v64
	v_pk_add_f32 v[64:65], v[98:99], v[68:69] neg_lo:[0,1] neg_hi:[0,1]
	v_add_f32_e32 v65, v103, v65
	v_add_f32_e32 v64, v64, v65
	;; [unrolled: 1-line block ×3, first 2 shown]
	v_mul_f32_e32 v103, v102, v65
	v_mul_f32_e32 v66, v101, v103
	v_fma_f32 v68, v103, v101, -v66
	v_fmac_f32_e32 v68, v103, v55
	v_sub_f32_e32 v55, v67, v65
	v_add_f32_e32 v55, v64, v55
	v_add_f32_e32 v64, v66, v68
	v_sub_f32_e32 v67, v65, v64
	v_pk_add_f32 v[98:99], v[64:65], v[66:67] neg_lo:[0,1] neg_hi:[0,1]
	v_mov_b32_e32 v69, v64
	v_pk_add_f32 v[64:65], v[98:99], v[68:69] neg_lo:[0,1] neg_hi:[0,1]
	v_add_f32_e32 v55, v55, v65
	v_add_f32_e32 v55, v64, v55
	;; [unrolled: 1-line block ×4, first 2 shown]
	v_sub_f32_e32 v65, v64, v112
	v_mul_f32_e32 v55, v102, v55
	v_sub_f32_e32 v65, v103, v65
	v_add_f32_e32 v55, v65, v55
	v_add_f32_e32 v67, v64, v55
	v_mul_f32_e32 v68, v67, v67
	v_mov_b32_e32 v66, 0x3ecc95a3
	v_fmac_f32_e32 v66, 0x3e9b6dac, v68
	v_mov_b32_e32 v65, 0x3f2aaada
	v_fmac_f32_e32 v65, v68, v66
	v_cvt_f32_i32_e32 v66, v100
	v_sub_f32_e32 v64, v67, v64
	v_sub_f32_e32 v55, v55, v64
	v_ldexp_f32 v69, v67, 1
	v_mul_f32_e32 v67, v67, v68
	v_mov_b32_e32 v64, 0x3f317218
	s_mov_b32 s13, 0x3f317218
	v_pk_mul_f32 v[64:65], v[66:67], v[64:65]
	v_fma_f32 v68, v66, s13, -v64
	v_fmac_f32_e32 v68, 0xb102e308, v66
	v_pk_add_f32 v[66:67], v[64:65], v[68:69]
	v_sub_f32_e32 v69, v67, v69
	v_ldexp_f32 v55, v55, 1
	v_sub_f32_e32 v69, v65, v69
	v_add_f32_e32 v99, v55, v69
	v_mov_b32_e32 v98, v64
	v_pk_add_f32 v[64:65], v[66:67], v[64:65] neg_lo:[0,1] neg_hi:[0,1]
	v_pk_add_f32 v[100:101], v[66:67], v[98:99]
	v_mov_b32_e32 v65, v101
	v_mov_b32_e32 v69, v66
	v_pk_add_f32 v[102:103], v[68:69], v[64:65] neg_lo:[0,1] neg_hi:[0,1]
	v_pk_add_f32 v[64:65], v[68:69], v[64:65]
	v_mov_b32_e32 v68, v65
	v_pk_add_f32 v[112:113], v[68:69], v[66:67] neg_lo:[0,1] neg_hi:[0,1]
	v_mov_b32_e32 v55, v112
	v_pk_add_f32 v[114:115], v[100:101], v[54:55] neg_lo:[0,1] neg_hi:[0,1]
	v_mov_b32_e32 v64, v101
	v_mov_b32_e32 v100, v67
	;; [unrolled: 1-line block ×4, first 2 shown]
	v_pk_add_f32 v[64:65], v[64:65], v[100:101] neg_lo:[0,1] neg_hi:[0,1]
	v_mov_b32_e32 v98, v99
	v_mov_b32_e32 v99, v66
	v_pk_add_f32 v[64:65], v[98:99], v[64:65] neg_lo:[0,1] neg_hi:[0,1]
	v_mov_b32_e32 v114, v102
	v_pk_add_f32 v[66:67], v[114:115], v[64:65]
	v_mov_b32_e32 v98, v67
	v_pk_add_f32 v[98:99], v[66:67], v[98:99]
	v_pk_add_f32 v[68:69], v[68:69], v[98:99]
	v_mov_b32_e32 v67, v68
	v_pk_add_f32 v[100:101], v[66:67], v[102:103] neg_lo:[0,1] neg_hi:[0,1]
	v_mov_b32_e32 v65, v98
	v_sub_f32_e32 v55, v66, v100
	v_pk_add_f32 v[64:65], v[64:65], v[100:101] neg_lo:[0,1] neg_hi:[0,1]
	v_sub_f32_e32 v55, v102, v55
	s_mov_b32 s14, 0x7f800000
	v_add_f32_e32 v55, v64, v55
	s_mov_b32 s13, 0x33800000
	v_add_f32_e32 v55, v55, v65
	v_cmp_eq_f32_e32 vcc, s14, v116
	v_cmp_lt_f32_e64 s[14:15], |v116|, s13
	v_add_f32_e32 v55, v68, v55
	s_or_b64 vcc, vcc, s[14:15]
	v_cndmask_b32_e32 v55, v55, v116, vcc
	v_add_f32_e32 v54, v54, v55
	v_cvt_f16_f32_e32 v99, v54
	v_cvt_f32_f16_e32 v98, v99
	v_mov_b32_e32 v68, v99
.LBB421_228:
	s_or_b64 exec, exec, s[10:11]
	v_max_f32_e32 v54, v70, v70
	v_max_f32_e32 v55, v98, v98
	v_min_f32_e32 v64, v55, v54
	v_cmp_u_f16_e32 vcc, v99, v99
	v_max_f32_e32 v54, v55, v54
	v_cndmask_b32_e32 v64, v64, v98, vcc
	v_cndmask_b32_e32 v54, v54, v98, vcc
	v_cndmask_b32_e64 v64, v64, v70, s[36:37]
	v_cndmask_b32_e64 v55, v54, v70, s[36:37]
	v_cmp_neq_f32_e32 vcc, v64, v55
	v_cmp_class_f32_e64 s[10:11], v64, s12
	s_or_b64 s[12:13], vcc, s[10:11]
	v_mov_b32_e32 v54, v68
	s_and_saveexec_b64 s[10:11], s[12:13]
	s_cbranch_execz .LBB421_230
; %bb.229:
	v_sub_f32_e32 v54, v64, v55
	s_mov_b32 s12, 0x3fb8aa3b
	v_mul_f32_e32 v64, 0x3fb8aa3b, v54
	v_fma_f32 v65, v54, s12, -v64
	v_rndne_f32_e32 v66, v64
	v_fmac_f32_e32 v65, 0x32a5705f, v54
	v_sub_f32_e32 v64, v64, v66
	v_add_f32_e32 v64, v64, v65
	v_exp_f32_e32 v64, v64
	v_cvt_i32_f32_e32 v65, v66
	s_mov_b32 s12, 0xc2ce8ed0
	v_cmp_ngt_f32_e32 vcc, s12, v54
	s_mov_b32 s12, 0x42b17218
	v_ldexp_f32 v64, v64, v65
	v_cndmask_b32_e32 v64, 0, v64, vcc
	v_mov_b32_e32 v65, 0x7f800000
	v_cmp_nlt_f32_e32 vcc, s12, v54
	v_cndmask_b32_e32 v116, v65, v64, vcc
	v_add_f32_e32 v54, 1.0, v116
	v_add_f32_e32 v64, -1.0, v54
	v_sub_f32_e32 v65, v64, v54
	v_add_f32_e32 v65, 1.0, v65
	v_sub_f32_e32 v64, v116, v64
	v_add_f32_e32 v66, v64, v65
	v_frexp_mant_f32_e32 v67, v54
	s_mov_b32 s12, 0x3f2aaaab
	v_cvt_f64_f32_e32 v[64:65], v54
	v_frexp_exp_i32_f64_e32 v64, v[64:65]
	v_cmp_gt_f32_e32 vcc, s12, v67
	v_subbrev_co_u32_e32 v69, vcc, 0, v64, vcc
	v_sub_u32_e32 v64, 0, v69
	v_ldexp_f32 v54, v54, v64
	v_ldexp_f32 v64, v66, v64
	v_add_f32_e32 v66, -1.0, v54
	v_add_f32_e32 v65, 1.0, v66
	v_sub_f32_e32 v65, v54, v65
	v_add_f32_e32 v67, v64, v65
	v_add_f32_e32 v65, 1.0, v54
	v_add_f32_e32 v70, -1.0, v65
	v_sub_f32_e32 v54, v54, v70
	v_add_f32_e32 v54, v64, v54
	v_add_f32_e32 v70, v65, v54
	v_rcp_f32_e32 v102, v70
	v_sub_f32_e32 v64, v65, v70
	v_add_f32_e32 v65, v66, v67
	v_add_f32_e32 v54, v54, v64
	v_mul_f32_e32 v112, v65, v102
	v_sub_f32_e32 v64, v66, v65
	v_mul_f32_e32 v66, v70, v112
	v_fma_f32 v98, v112, v70, -v66
	v_fmac_f32_e32 v98, v112, v54
	v_add_f32_e32 v103, v67, v64
	v_add_f32_e32 v64, v66, v98
	v_sub_f32_e32 v67, v65, v64
	v_pk_add_f32 v[100:101], v[64:65], v[66:67] neg_lo:[0,1] neg_hi:[0,1]
	v_mov_b32_e32 v99, v64
	v_pk_add_f32 v[64:65], v[100:101], v[98:99] neg_lo:[0,1] neg_hi:[0,1]
	v_add_f32_e32 v65, v103, v65
	v_add_f32_e32 v64, v64, v65
	;; [unrolled: 1-line block ×3, first 2 shown]
	v_mul_f32_e32 v103, v102, v65
	v_mul_f32_e32 v66, v70, v103
	v_fma_f32 v98, v103, v70, -v66
	v_fmac_f32_e32 v98, v103, v54
	v_sub_f32_e32 v54, v67, v65
	v_add_f32_e32 v54, v64, v54
	v_add_f32_e32 v64, v66, v98
	v_sub_f32_e32 v67, v65, v64
	v_pk_add_f32 v[100:101], v[64:65], v[66:67] neg_lo:[0,1] neg_hi:[0,1]
	v_mov_b32_e32 v99, v64
	v_pk_add_f32 v[64:65], v[100:101], v[98:99] neg_lo:[0,1] neg_hi:[0,1]
	v_add_f32_e32 v54, v54, v65
	v_add_f32_e32 v54, v64, v54
	;; [unrolled: 1-line block ×4, first 2 shown]
	v_sub_f32_e32 v65, v64, v112
	v_mul_f32_e32 v54, v102, v54
	v_sub_f32_e32 v65, v103, v65
	v_add_f32_e32 v54, v65, v54
	v_add_f32_e32 v67, v64, v54
	v_mul_f32_e32 v70, v67, v67
	v_mov_b32_e32 v66, 0x3ecc95a3
	v_fmac_f32_e32 v66, 0x3e9b6dac, v70
	v_mov_b32_e32 v65, 0x3f2aaada
	v_fmac_f32_e32 v65, v70, v66
	v_cvt_f32_i32_e32 v66, v69
	v_sub_f32_e32 v64, v67, v64
	v_sub_f32_e32 v54, v54, v64
	v_ldexp_f32 v99, v67, 1
	v_mul_f32_e32 v67, v67, v70
	v_mov_b32_e32 v64, 0x3f317218
	s_mov_b32 s12, 0x3f317218
	v_pk_mul_f32 v[64:65], v[66:67], v[64:65]
	v_fma_f32 v98, v66, s12, -v64
	v_fmac_f32_e32 v98, 0xb102e308, v66
	v_pk_add_f32 v[66:67], v[64:65], v[98:99]
	v_sub_f32_e32 v69, v67, v99
	v_ldexp_f32 v54, v54, 1
	v_sub_f32_e32 v69, v65, v69
	v_add_f32_e32 v101, v54, v69
	v_mov_b32_e32 v100, v64
	v_pk_add_f32 v[64:65], v[66:67], v[64:65] neg_lo:[0,1] neg_hi:[0,1]
	v_pk_add_f32 v[102:103], v[66:67], v[100:101]
	v_mov_b32_e32 v65, v103
	v_mov_b32_e32 v99, v66
	v_pk_add_f32 v[112:113], v[98:99], v[64:65] neg_lo:[0,1] neg_hi:[0,1]
	v_pk_add_f32 v[64:65], v[98:99], v[64:65]
	v_mov_b32_e32 v54, v65
	v_pk_add_f32 v[98:99], v[54:55], v[66:67] neg_lo:[0,1] neg_hi:[0,1]
	v_mov_b32_e32 v69, v98
	v_pk_add_f32 v[114:115], v[102:103], v[68:69] neg_lo:[0,1] neg_hi:[0,1]
	v_mov_b32_e32 v64, v103
	v_mov_b32_e32 v102, v67
	;; [unrolled: 1-line block ×4, first 2 shown]
	v_pk_add_f32 v[64:65], v[64:65], v[102:103] neg_lo:[0,1] neg_hi:[0,1]
	v_mov_b32_e32 v98, v101
	v_mov_b32_e32 v99, v66
	v_pk_add_f32 v[64:65], v[98:99], v[64:65] neg_lo:[0,1] neg_hi:[0,1]
	v_mov_b32_e32 v114, v112
	v_pk_add_f32 v[66:67], v[114:115], v[64:65]
	v_mov_b32_e32 v70, v67
	v_pk_add_f32 v[98:99], v[66:67], v[70:71]
	v_pk_add_f32 v[100:101], v[54:55], v[98:99]
	v_mov_b32_e32 v67, v100
	v_pk_add_f32 v[102:103], v[66:67], v[112:113] neg_lo:[0,1] neg_hi:[0,1]
	v_mov_b32_e32 v65, v98
	v_sub_f32_e32 v54, v66, v102
	v_pk_add_f32 v[64:65], v[64:65], v[102:103] neg_lo:[0,1] neg_hi:[0,1]
	v_sub_f32_e32 v54, v112, v54
	s_mov_b32 s13, 0x7f800000
	v_add_f32_e32 v54, v64, v54
	s_mov_b32 s12, 0x33800000
	v_add_f32_e32 v54, v54, v65
	v_cmp_eq_f32_e32 vcc, s13, v116
	v_cmp_lt_f32_e64 s[12:13], |v116|, s12
	v_add_f32_e32 v54, v100, v54
	s_or_b64 vcc, vcc, s[12:13]
	v_cndmask_b32_e32 v54, v54, v116, vcc
	v_add_f32_e32 v54, v55, v54
	v_cvt_f16_f32_e32 v99, v54
	v_cvt_f32_f16_e32 v98, v99
	v_mov_b32_e32 v54, v99
.LBB421_230:
	s_or_b64 exec, exec, s[10:11]
	v_max_f32_e32 v55, v71, v71
	v_max_f32_e32 v65, v98, v98
	v_min_f32_e32 v64, v65, v55
	v_cmp_u_f16_e32 vcc, v99, v99
	v_max_f32_e32 v55, v65, v55
	v_cndmask_b32_e32 v64, v64, v98, vcc
	v_cndmask_b32_e32 v55, v55, v98, vcc
	v_cndmask_b32_e64 v64, v64, v71, s[38:39]
	v_cndmask_b32_e64 v55, v55, v71, s[38:39]
	s_movk_i32 s12, 0x1f8
	v_cmp_neq_f32_e32 vcc, v64, v55
	v_cmp_class_f32_e64 s[10:11], v64, s12
	s_or_b64 s[14:15], vcc, s[10:11]
	v_mov_b32_e32 v69, v54
	s_and_saveexec_b64 s[10:11], s[14:15]
	s_cbranch_execz .LBB421_232
; %bb.231:
	v_sub_f32_e32 v64, v64, v55
	s_mov_b32 s13, 0x3fb8aa3b
	v_mul_f32_e32 v65, 0x3fb8aa3b, v64
	v_fma_f32 v66, v64, s13, -v65
	v_rndne_f32_e32 v67, v65
	v_fmac_f32_e32 v66, 0x32a5705f, v64
	v_sub_f32_e32 v65, v65, v67
	v_add_f32_e32 v65, v65, v66
	v_exp_f32_e32 v65, v65
	v_cvt_i32_f32_e32 v66, v67
	s_mov_b32 s13, 0xc2ce8ed0
	v_cmp_ngt_f32_e32 vcc, s13, v64
	s_mov_b32 s13, 0x42b17218
	v_ldexp_f32 v65, v65, v66
	v_cndmask_b32_e32 v65, 0, v65, vcc
	v_mov_b32_e32 v66, 0x7f800000
	v_cmp_nlt_f32_e32 vcc, s13, v64
	v_cndmask_b32_e32 v116, v66, v65, vcc
	v_add_f32_e32 v66, 1.0, v116
	v_add_f32_e32 v64, -1.0, v66
	v_sub_f32_e32 v65, v64, v66
	v_add_f32_e32 v65, 1.0, v65
	v_sub_f32_e32 v64, v116, v64
	v_add_f32_e32 v67, v64, v65
	v_frexp_mant_f32_e32 v69, v66
	s_mov_b32 s13, 0x3f2aaaab
	v_cvt_f64_f32_e32 v[64:65], v66
	v_frexp_exp_i32_f64_e32 v64, v[64:65]
	v_cmp_gt_f32_e32 vcc, s13, v69
	v_subbrev_co_u32_e32 v69, vcc, 0, v64, vcc
	v_sub_u32_e32 v64, 0, v69
	v_ldexp_f32 v65, v66, v64
	v_add_f32_e32 v66, -1.0, v65
	v_add_f32_e32 v70, 1.0, v65
	v_ldexp_f32 v64, v67, v64
	v_add_f32_e32 v67, 1.0, v66
	v_add_f32_e32 v71, -1.0, v70
	v_sub_f32_e32 v67, v65, v67
	v_sub_f32_e32 v65, v65, v71
	v_add_f32_e32 v67, v64, v67
	v_add_f32_e32 v64, v64, v65
	;; [unrolled: 1-line block ×3, first 2 shown]
	v_rcp_f32_e32 v102, v100
	v_sub_f32_e32 v65, v70, v100
	v_add_f32_e32 v101, v64, v65
	v_add_f32_e32 v65, v66, v67
	v_mul_f32_e32 v112, v65, v102
	v_sub_f32_e32 v64, v66, v65
	v_mul_f32_e32 v66, v100, v112
	v_fma_f32 v70, v112, v100, -v66
	v_fmac_f32_e32 v70, v112, v101
	v_add_f32_e32 v103, v67, v64
	v_add_f32_e32 v64, v66, v70
	v_sub_f32_e32 v67, v65, v64
	v_pk_add_f32 v[98:99], v[64:65], v[66:67] neg_lo:[0,1] neg_hi:[0,1]
	v_mov_b32_e32 v71, v64
	v_pk_add_f32 v[64:65], v[98:99], v[70:71] neg_lo:[0,1] neg_hi:[0,1]
	v_add_f32_e32 v65, v103, v65
	v_add_f32_e32 v64, v64, v65
	;; [unrolled: 1-line block ×3, first 2 shown]
	v_mul_f32_e32 v103, v102, v65
	v_mul_f32_e32 v66, v100, v103
	v_fma_f32 v70, v103, v100, -v66
	v_fmac_f32_e32 v70, v103, v101
	v_sub_f32_e32 v67, v67, v65
	v_add_f32_e32 v100, v64, v67
	v_add_f32_e32 v64, v66, v70
	v_sub_f32_e32 v67, v65, v64
	v_pk_add_f32 v[98:99], v[64:65], v[66:67] neg_lo:[0,1] neg_hi:[0,1]
	v_mov_b32_e32 v71, v64
	v_pk_add_f32 v[64:65], v[98:99], v[70:71] neg_lo:[0,1] neg_hi:[0,1]
	v_add_f32_e32 v65, v100, v65
	v_add_f32_e32 v64, v64, v65
	;; [unrolled: 1-line block ×4, first 2 shown]
	v_sub_f32_e32 v65, v67, v112
	v_mul_f32_e32 v64, v102, v64
	v_sub_f32_e32 v65, v103, v65
	v_add_f32_e32 v64, v65, v64
	v_add_f32_e32 v70, v67, v64
	v_mul_f32_e32 v98, v70, v70
	v_mov_b32_e32 v66, 0x3ecc95a3
	v_fmac_f32_e32 v66, 0x3e9b6dac, v98
	v_mov_b32_e32 v65, 0x3f2aaada
	v_fmac_f32_e32 v65, v98, v66
	v_cvt_f32_i32_e32 v66, v69
	v_sub_f32_e32 v67, v70, v67
	v_sub_f32_e32 v64, v64, v67
	v_ldexp_f32 v69, v64, 1
	v_mul_f32_e32 v67, v70, v98
	v_mov_b32_e32 v64, 0x3f317218
	s_mov_b32 s13, 0x3f317218
	v_pk_mul_f32 v[64:65], v[66:67], v[64:65]
	v_ldexp_f32 v71, v70, 1
	v_fma_f32 v70, v66, s13, -v64
	v_fmac_f32_e32 v70, 0xb102e308, v66
	v_pk_add_f32 v[66:67], v[64:65], v[70:71]
	v_sub_f32_e32 v71, v67, v71
	v_sub_f32_e32 v71, v65, v71
	v_add_f32_e32 v99, v69, v71
	v_mov_b32_e32 v98, v64
	v_pk_add_f32 v[64:65], v[66:67], v[64:65] neg_lo:[0,1] neg_hi:[0,1]
	v_pk_add_f32 v[100:101], v[66:67], v[98:99]
	v_mov_b32_e32 v65, v101
	v_mov_b32_e32 v71, v66
	v_pk_add_f32 v[102:103], v[70:71], v[64:65] neg_lo:[0,1] neg_hi:[0,1]
	v_pk_add_f32 v[64:65], v[70:71], v[64:65]
	v_mov_b32_e32 v70, v65
	v_pk_add_f32 v[112:113], v[70:71], v[66:67] neg_lo:[0,1] neg_hi:[0,1]
	v_mov_b32_e32 v69, v112
	v_pk_add_f32 v[114:115], v[100:101], v[68:69] neg_lo:[0,1] neg_hi:[0,1]
	v_mov_b32_e32 v64, v101
	v_mov_b32_e32 v100, v67
	;; [unrolled: 1-line block ×4, first 2 shown]
	v_pk_add_f32 v[64:65], v[64:65], v[100:101] neg_lo:[0,1] neg_hi:[0,1]
	v_mov_b32_e32 v98, v99
	v_mov_b32_e32 v99, v66
	v_pk_add_f32 v[64:65], v[98:99], v[64:65] neg_lo:[0,1] neg_hi:[0,1]
	v_mov_b32_e32 v114, v102
	v_pk_add_f32 v[66:67], v[114:115], v[64:65]
	v_mov_b32_e32 v98, v67
	v_pk_add_f32 v[98:99], v[66:67], v[98:99]
	v_pk_add_f32 v[70:71], v[70:71], v[98:99]
	v_mov_b32_e32 v67, v70
	v_pk_add_f32 v[100:101], v[66:67], v[102:103] neg_lo:[0,1] neg_hi:[0,1]
	v_mov_b32_e32 v65, v98
	v_sub_f32_e32 v66, v66, v100
	v_pk_add_f32 v[64:65], v[64:65], v[100:101] neg_lo:[0,1] neg_hi:[0,1]
	v_sub_f32_e32 v66, v102, v66
	s_mov_b32 s14, 0x7f800000
	v_add_f32_e32 v64, v64, v66
	s_mov_b32 s13, 0x33800000
	v_add_f32_e32 v64, v64, v65
	v_cmp_eq_f32_e32 vcc, s14, v116
	v_cmp_lt_f32_e64 s[14:15], |v116|, s13
	v_add_f32_e32 v64, v70, v64
	s_or_b64 vcc, vcc, s[14:15]
	v_cndmask_b32_e32 v64, v64, v116, vcc
	v_add_f32_e32 v55, v55, v64
	v_cvt_f16_f32_e32 v99, v55
	v_cvt_f32_f16_e32 v98, v99
	v_mov_b32_e32 v69, v99
.LBB421_232:
	s_or_b64 exec, exec, s[10:11]
	v_max_f32_e32 v55, v80, v80
	v_max_f32_e32 v64, v98, v98
	v_min_f32_e32 v65, v64, v55
	v_cmp_u_f16_e32 vcc, v99, v99
	v_max_f32_e32 v55, v64, v55
	v_cndmask_b32_e32 v65, v65, v98, vcc
	v_cndmask_b32_e32 v55, v55, v98, vcc
	v_cndmask_b32_e64 v65, v65, v80, s[40:41]
	v_cndmask_b32_e64 v64, v55, v80, s[40:41]
	v_cmp_neq_f32_e32 vcc, v65, v64
	v_cmp_class_f32_e64 s[10:11], v65, s12
	s_or_b64 s[12:13], vcc, s[10:11]
	v_mov_b32_e32 v55, v69
	s_and_saveexec_b64 s[10:11], s[12:13]
	s_cbranch_execz .LBB421_234
; %bb.233:
	v_sub_f32_e32 v55, v65, v64
	s_mov_b32 s12, 0x3fb8aa3b
	v_mul_f32_e32 v65, 0x3fb8aa3b, v55
	v_fma_f32 v66, v55, s12, -v65
	v_rndne_f32_e32 v67, v65
	v_fmac_f32_e32 v66, 0x32a5705f, v55
	v_sub_f32_e32 v65, v65, v67
	v_add_f32_e32 v65, v65, v66
	v_exp_f32_e32 v65, v65
	v_cvt_i32_f32_e32 v66, v67
	s_mov_b32 s12, 0xc2ce8ed0
	v_cmp_ngt_f32_e32 vcc, s12, v55
	s_mov_b32 s12, 0x42b17218
	v_ldexp_f32 v65, v65, v66
	v_cndmask_b32_e32 v65, 0, v65, vcc
	v_mov_b32_e32 v66, 0x7f800000
	v_cmp_nlt_f32_e32 vcc, s12, v55
	v_cndmask_b32_e32 v65, v66, v65, vcc
	v_add_f32_e32 v55, 1.0, v65
	v_add_f32_e32 v66, -1.0, v55
	v_sub_f32_e32 v67, v66, v55
	v_add_f32_e32 v67, 1.0, v67
	v_sub_f32_e32 v66, v65, v66
	v_add_f32_e32 v70, v66, v67
	v_frexp_mant_f32_e32 v71, v55
	s_mov_b32 s12, 0x3f2aaaab
	v_cvt_f64_f32_e32 v[66:67], v55
	v_frexp_exp_i32_f64_e32 v66, v[66:67]
	v_cmp_gt_f32_e32 vcc, s12, v71
	v_subbrev_co_u32_e32 v80, vcc, 0, v66, vcc
	v_sub_u32_e32 v66, 0, v80
	v_ldexp_f32 v55, v55, v66
	v_ldexp_f32 v66, v70, v66
	v_add_f32_e32 v70, -1.0, v55
	v_add_f32_e32 v67, 1.0, v70
	v_sub_f32_e32 v67, v55, v67
	v_add_f32_e32 v71, v66, v67
	v_add_f32_e32 v67, 1.0, v55
	v_add_f32_e32 v98, -1.0, v67
	v_sub_f32_e32 v55, v55, v98
	v_add_f32_e32 v55, v66, v55
	v_add_f32_e32 v102, v67, v55
	v_rcp_f32_e32 v103, v102
	v_sub_f32_e32 v66, v67, v102
	v_add_f32_e32 v67, v70, v71
	v_add_f32_e32 v55, v55, v66
	v_mul_f32_e32 v113, v67, v103
	v_sub_f32_e32 v66, v70, v67
	v_mul_f32_e32 v70, v102, v113
	v_fma_f32 v98, v113, v102, -v70
	v_fmac_f32_e32 v98, v113, v55
	v_add_f32_e32 v112, v71, v66
	v_add_f32_e32 v66, v70, v98
	v_sub_f32_e32 v71, v67, v66
	v_pk_add_f32 v[100:101], v[66:67], v[70:71] neg_lo:[0,1] neg_hi:[0,1]
	v_mov_b32_e32 v99, v66
	v_pk_add_f32 v[66:67], v[100:101], v[98:99] neg_lo:[0,1] neg_hi:[0,1]
	v_add_f32_e32 v67, v112, v67
	v_add_f32_e32 v66, v66, v67
	;; [unrolled: 1-line block ×3, first 2 shown]
	v_mul_f32_e32 v112, v103, v67
	v_mul_f32_e32 v70, v102, v112
	v_fma_f32 v98, v112, v102, -v70
	v_fmac_f32_e32 v98, v112, v55
	v_sub_f32_e32 v55, v71, v67
	v_add_f32_e32 v55, v66, v55
	v_add_f32_e32 v66, v70, v98
	v_sub_f32_e32 v71, v67, v66
	v_pk_add_f32 v[100:101], v[66:67], v[70:71] neg_lo:[0,1] neg_hi:[0,1]
	v_mov_b32_e32 v99, v66
	v_pk_add_f32 v[66:67], v[100:101], v[98:99] neg_lo:[0,1] neg_hi:[0,1]
	v_add_f32_e32 v55, v55, v67
	v_add_f32_e32 v55, v66, v55
	;; [unrolled: 1-line block ×4, first 2 shown]
	v_sub_f32_e32 v67, v66, v113
	v_mul_f32_e32 v55, v103, v55
	v_sub_f32_e32 v67, v112, v67
	v_add_f32_e32 v55, v67, v55
	v_add_f32_e32 v71, v66, v55
	v_mul_f32_e32 v98, v71, v71
	v_mov_b32_e32 v70, 0x3ecc95a3
	v_fmac_f32_e32 v70, 0x3e9b6dac, v98
	v_mov_b32_e32 v67, 0x3f2aaada
	v_fmac_f32_e32 v67, v98, v70
	v_cvt_f32_i32_e32 v70, v80
	v_sub_f32_e32 v66, v71, v66
	v_sub_f32_e32 v55, v55, v66
	v_ldexp_f32 v99, v71, 1
	v_mul_f32_e32 v71, v71, v98
	v_mov_b32_e32 v66, 0x3f317218
	s_mov_b32 s12, 0x3f317218
	v_pk_mul_f32 v[66:67], v[70:71], v[66:67]
	v_fma_f32 v98, v70, s12, -v66
	v_fmac_f32_e32 v98, 0xb102e308, v70
	v_pk_add_f32 v[70:71], v[66:67], v[98:99]
	v_sub_f32_e32 v80, v71, v99
	v_ldexp_f32 v55, v55, 1
	v_sub_f32_e32 v80, v67, v80
	v_add_f32_e32 v101, v55, v80
	v_mov_b32_e32 v100, v66
	v_pk_add_f32 v[66:67], v[70:71], v[66:67] neg_lo:[0,1] neg_hi:[0,1]
	v_pk_add_f32 v[102:103], v[70:71], v[100:101]
	v_mov_b32_e32 v67, v103
	v_mov_b32_e32 v99, v70
	v_pk_add_f32 v[112:113], v[98:99], v[66:67] neg_lo:[0,1] neg_hi:[0,1]
	v_pk_add_f32 v[66:67], v[98:99], v[66:67]
	v_mov_b32_e32 v80, v67
	v_pk_add_f32 v[98:99], v[80:81], v[70:71] neg_lo:[0,1] neg_hi:[0,1]
	v_mov_b32_e32 v55, v98
	v_pk_add_f32 v[114:115], v[102:103], v[54:55] neg_lo:[0,1] neg_hi:[0,1]
	v_mov_b32_e32 v66, v103
	v_mov_b32_e32 v102, v71
	;; [unrolled: 1-line block ×4, first 2 shown]
	v_pk_add_f32 v[66:67], v[66:67], v[102:103] neg_lo:[0,1] neg_hi:[0,1]
	v_mov_b32_e32 v98, v101
	v_mov_b32_e32 v99, v70
	v_pk_add_f32 v[66:67], v[98:99], v[66:67] neg_lo:[0,1] neg_hi:[0,1]
	v_mov_b32_e32 v114, v112
	v_pk_add_f32 v[70:71], v[114:115], v[66:67]
	v_mov_b32_e32 v98, v71
	v_pk_add_f32 v[98:99], v[70:71], v[98:99]
	v_pk_add_f32 v[100:101], v[80:81], v[98:99]
	v_mov_b32_e32 v71, v100
	v_pk_add_f32 v[102:103], v[70:71], v[112:113] neg_lo:[0,1] neg_hi:[0,1]
	v_mov_b32_e32 v67, v98
	v_sub_f32_e32 v55, v70, v102
	v_pk_add_f32 v[66:67], v[66:67], v[102:103] neg_lo:[0,1] neg_hi:[0,1]
	v_sub_f32_e32 v55, v112, v55
	s_mov_b32 s13, 0x7f800000
	v_add_f32_e32 v55, v66, v55
	s_mov_b32 s12, 0x33800000
	v_add_f32_e32 v55, v55, v67
	v_cmp_eq_f32_e32 vcc, s13, v65
	v_cmp_lt_f32_e64 s[12:13], |v65|, s12
	v_add_f32_e32 v55, v100, v55
	s_or_b64 vcc, vcc, s[12:13]
	v_cndmask_b32_e32 v55, v55, v65, vcc
	v_add_f32_e32 v55, v64, v55
	v_cvt_f16_f32_e32 v99, v55
	v_cvt_f32_f16_e32 v98, v99
	v_mov_b32_e32 v55, v99
.LBB421_234:
	s_or_b64 exec, exec, s[10:11]
	v_max_f32_e32 v64, v81, v81
	v_max_f32_e32 v66, v98, v98
	v_min_f32_e32 v65, v66, v64
	v_cmp_u_f16_e32 vcc, v99, v99
	v_max_f32_e32 v64, v66, v64
	v_cndmask_b32_e32 v65, v65, v98, vcc
	v_cndmask_b32_e32 v64, v64, v98, vcc
	v_cndmask_b32_e64 v65, v65, v81, s[42:43]
	v_cndmask_b32_e64 v64, v64, v81, s[42:43]
	s_movk_i32 s12, 0x1f8
	v_cmp_neq_f32_e32 vcc, v65, v64
	v_cmp_class_f32_e64 s[10:11], v65, s12
	s_or_b64 s[14:15], vcc, s[10:11]
	v_mov_b32_e32 v70, v55
	s_and_saveexec_b64 s[10:11], s[14:15]
	s_cbranch_execz .LBB421_236
; %bb.235:
	v_sub_f32_e32 v65, v65, v64
	s_mov_b32 s13, 0x3fb8aa3b
	v_mul_f32_e32 v66, 0x3fb8aa3b, v65
	v_fma_f32 v67, v65, s13, -v66
	v_rndne_f32_e32 v70, v66
	v_fmac_f32_e32 v67, 0x32a5705f, v65
	v_sub_f32_e32 v66, v66, v70
	v_add_f32_e32 v66, v66, v67
	v_exp_f32_e32 v66, v66
	v_cvt_i32_f32_e32 v67, v70
	s_mov_b32 s13, 0xc2ce8ed0
	v_cmp_ngt_f32_e32 vcc, s13, v65
	s_mov_b32 s13, 0x42b17218
	v_ldexp_f32 v66, v66, v67
	v_cndmask_b32_e32 v66, 0, v66, vcc
	v_mov_b32_e32 v67, 0x7f800000
	v_cmp_nlt_f32_e32 vcc, s13, v65
	v_cndmask_b32_e32 v116, v67, v66, vcc
	v_add_f32_e32 v65, 1.0, v116
	v_add_f32_e32 v66, -1.0, v65
	v_sub_f32_e32 v67, v66, v65
	v_add_f32_e32 v67, 1.0, v67
	v_sub_f32_e32 v66, v116, v66
	v_add_f32_e32 v70, v66, v67
	v_frexp_mant_f32_e32 v71, v65
	s_mov_b32 s13, 0x3f2aaaab
	v_cvt_f64_f32_e32 v[66:67], v65
	v_frexp_exp_i32_f64_e32 v66, v[66:67]
	v_cmp_gt_f32_e32 vcc, s13, v71
	v_subbrev_co_u32_e32 v100, vcc, 0, v66, vcc
	v_sub_u32_e32 v66, 0, v100
	v_ldexp_f32 v65, v65, v66
	v_ldexp_f32 v66, v70, v66
	v_add_f32_e32 v70, -1.0, v65
	v_add_f32_e32 v67, 1.0, v70
	v_sub_f32_e32 v67, v65, v67
	v_add_f32_e32 v71, v66, v67
	v_add_f32_e32 v67, 1.0, v65
	v_add_f32_e32 v80, -1.0, v67
	v_sub_f32_e32 v65, v65, v80
	v_add_f32_e32 v65, v66, v65
	v_add_f32_e32 v101, v67, v65
	v_rcp_f32_e32 v102, v101
	v_sub_f32_e32 v66, v67, v101
	v_add_f32_e32 v67, v70, v71
	v_add_f32_e32 v65, v65, v66
	v_mul_f32_e32 v112, v67, v102
	v_sub_f32_e32 v66, v70, v67
	v_mul_f32_e32 v70, v101, v112
	v_fma_f32 v80, v112, v101, -v70
	v_fmac_f32_e32 v80, v112, v65
	v_add_f32_e32 v103, v71, v66
	v_add_f32_e32 v66, v70, v80
	v_sub_f32_e32 v71, v67, v66
	v_pk_add_f32 v[98:99], v[66:67], v[70:71] neg_lo:[0,1] neg_hi:[0,1]
	v_mov_b32_e32 v81, v66
	v_pk_add_f32 v[66:67], v[98:99], v[80:81] neg_lo:[0,1] neg_hi:[0,1]
	v_add_f32_e32 v67, v103, v67
	v_add_f32_e32 v66, v66, v67
	;; [unrolled: 1-line block ×3, first 2 shown]
	v_mul_f32_e32 v103, v102, v67
	v_mul_f32_e32 v70, v101, v103
	v_fma_f32 v80, v103, v101, -v70
	v_fmac_f32_e32 v80, v103, v65
	v_sub_f32_e32 v65, v71, v67
	v_add_f32_e32 v65, v66, v65
	v_add_f32_e32 v66, v70, v80
	v_sub_f32_e32 v71, v67, v66
	v_pk_add_f32 v[98:99], v[66:67], v[70:71] neg_lo:[0,1] neg_hi:[0,1]
	v_mov_b32_e32 v81, v66
	v_pk_add_f32 v[66:67], v[98:99], v[80:81] neg_lo:[0,1] neg_hi:[0,1]
	v_add_f32_e32 v65, v65, v67
	v_add_f32_e32 v65, v66, v65
	;; [unrolled: 1-line block ×4, first 2 shown]
	v_sub_f32_e32 v67, v66, v112
	v_mul_f32_e32 v65, v102, v65
	v_sub_f32_e32 v67, v103, v67
	v_add_f32_e32 v65, v67, v65
	v_add_f32_e32 v71, v66, v65
	v_mul_f32_e32 v80, v71, v71
	v_mov_b32_e32 v70, 0x3ecc95a3
	v_fmac_f32_e32 v70, 0x3e9b6dac, v80
	v_mov_b32_e32 v67, 0x3f2aaada
	v_fmac_f32_e32 v67, v80, v70
	v_cvt_f32_i32_e32 v70, v100
	v_sub_f32_e32 v66, v71, v66
	v_sub_f32_e32 v65, v65, v66
	v_ldexp_f32 v81, v71, 1
	v_mul_f32_e32 v71, v71, v80
	v_mov_b32_e32 v66, 0x3f317218
	s_mov_b32 s13, 0x3f317218
	v_pk_mul_f32 v[66:67], v[70:71], v[66:67]
	v_fma_f32 v80, v70, s13, -v66
	v_fmac_f32_e32 v80, 0xb102e308, v70
	v_pk_add_f32 v[70:71], v[66:67], v[80:81]
	v_sub_f32_e32 v81, v71, v81
	v_ldexp_f32 v65, v65, 1
	v_sub_f32_e32 v81, v67, v81
	v_add_f32_e32 v99, v65, v81
	v_mov_b32_e32 v98, v66
	v_pk_add_f32 v[66:67], v[70:71], v[66:67] neg_lo:[0,1] neg_hi:[0,1]
	v_pk_add_f32 v[100:101], v[70:71], v[98:99]
	v_mov_b32_e32 v67, v101
	v_mov_b32_e32 v81, v70
	v_pk_add_f32 v[102:103], v[80:81], v[66:67] neg_lo:[0,1] neg_hi:[0,1]
	v_pk_add_f32 v[66:67], v[80:81], v[66:67]
	v_mov_b32_e32 v80, v67
	v_pk_add_f32 v[112:113], v[80:81], v[70:71] neg_lo:[0,1] neg_hi:[0,1]
	v_mov_b32_e32 v65, v112
	v_pk_add_f32 v[114:115], v[100:101], v[64:65] neg_lo:[0,1] neg_hi:[0,1]
	v_mov_b32_e32 v66, v101
	v_mov_b32_e32 v100, v71
	;; [unrolled: 1-line block ×4, first 2 shown]
	v_pk_add_f32 v[66:67], v[66:67], v[100:101] neg_lo:[0,1] neg_hi:[0,1]
	v_mov_b32_e32 v98, v99
	v_mov_b32_e32 v99, v70
	v_pk_add_f32 v[66:67], v[98:99], v[66:67] neg_lo:[0,1] neg_hi:[0,1]
	v_mov_b32_e32 v114, v102
	v_pk_add_f32 v[70:71], v[114:115], v[66:67]
	v_mov_b32_e32 v98, v71
	v_pk_add_f32 v[98:99], v[70:71], v[98:99]
	v_pk_add_f32 v[80:81], v[80:81], v[98:99]
	v_mov_b32_e32 v71, v80
	v_pk_add_f32 v[100:101], v[70:71], v[102:103] neg_lo:[0,1] neg_hi:[0,1]
	v_mov_b32_e32 v67, v98
	v_sub_f32_e32 v65, v70, v100
	v_pk_add_f32 v[66:67], v[66:67], v[100:101] neg_lo:[0,1] neg_hi:[0,1]
	v_sub_f32_e32 v65, v102, v65
	s_mov_b32 s14, 0x7f800000
	v_add_f32_e32 v65, v66, v65
	s_mov_b32 s13, 0x33800000
	v_add_f32_e32 v65, v65, v67
	v_cmp_eq_f32_e32 vcc, s14, v116
	v_cmp_lt_f32_e64 s[14:15], |v116|, s13
	v_add_f32_e32 v65, v80, v65
	s_or_b64 vcc, vcc, s[14:15]
	v_cndmask_b32_e32 v65, v65, v116, vcc
	v_add_f32_e32 v64, v64, v65
	v_cvt_f16_f32_e32 v99, v64
	v_cvt_f32_f16_e32 v98, v99
	v_mov_b32_e32 v70, v99
.LBB421_236:
	s_or_b64 exec, exec, s[10:11]
	v_max_f32_e32 v64, v82, v82
	v_max_f32_e32 v65, v98, v98
	v_min_f32_e32 v66, v65, v64
	v_cmp_u_f16_e32 vcc, v99, v99
	v_max_f32_e32 v64, v65, v64
	v_cndmask_b32_e32 v66, v66, v98, vcc
	v_cndmask_b32_e32 v64, v64, v98, vcc
	v_cndmask_b32_e64 v66, v66, v82, s[44:45]
	v_cndmask_b32_e64 v65, v64, v82, s[44:45]
	v_cmp_neq_f32_e32 vcc, v66, v65
	v_cmp_class_f32_e64 s[10:11], v66, s12
	s_or_b64 s[12:13], vcc, s[10:11]
	v_mov_b32_e32 v64, v70
	s_and_saveexec_b64 s[10:11], s[12:13]
	s_cbranch_execz .LBB421_238
; %bb.237:
	v_sub_f32_e32 v64, v66, v65
	s_mov_b32 s12, 0x3fb8aa3b
	v_mul_f32_e32 v66, 0x3fb8aa3b, v64
	v_fma_f32 v67, v64, s12, -v66
	v_rndne_f32_e32 v71, v66
	v_fmac_f32_e32 v67, 0x32a5705f, v64
	v_sub_f32_e32 v66, v66, v71
	v_add_f32_e32 v66, v66, v67
	v_exp_f32_e32 v66, v66
	v_cvt_i32_f32_e32 v67, v71
	s_mov_b32 s12, 0xc2ce8ed0
	v_cmp_ngt_f32_e32 vcc, s12, v64
	s_mov_b32 s12, 0x42b17218
	v_ldexp_f32 v66, v66, v67
	v_cndmask_b32_e32 v66, 0, v66, vcc
	v_mov_b32_e32 v67, 0x7f800000
	v_cmp_nlt_f32_e32 vcc, s12, v64
	v_cndmask_b32_e32 v116, v67, v66, vcc
	v_add_f32_e32 v64, 1.0, v116
	v_add_f32_e32 v66, -1.0, v64
	v_sub_f32_e32 v67, v66, v64
	v_add_f32_e32 v67, 1.0, v67
	v_sub_f32_e32 v66, v116, v66
	v_add_f32_e32 v71, v66, v67
	v_frexp_mant_f32_e32 v80, v64
	s_mov_b32 s12, 0x3f2aaaab
	v_cvt_f64_f32_e32 v[66:67], v64
	v_frexp_exp_i32_f64_e32 v66, v[66:67]
	v_cmp_gt_f32_e32 vcc, s12, v80
	v_subbrev_co_u32_e32 v82, vcc, 0, v66, vcc
	v_sub_u32_e32 v66, 0, v82
	v_ldexp_f32 v64, v64, v66
	v_ldexp_f32 v66, v71, v66
	v_add_f32_e32 v71, -1.0, v64
	v_add_f32_e32 v67, 1.0, v71
	v_sub_f32_e32 v67, v64, v67
	v_add_f32_e32 v80, v66, v67
	v_add_f32_e32 v67, 1.0, v64
	v_add_f32_e32 v81, -1.0, v67
	v_sub_f32_e32 v64, v64, v81
	v_add_f32_e32 v64, v66, v64
	v_add_f32_e32 v102, v67, v64
	v_rcp_f32_e32 v103, v102
	v_sub_f32_e32 v66, v67, v102
	v_add_f32_e32 v67, v71, v80
	v_add_f32_e32 v64, v64, v66
	v_sub_f32_e32 v66, v71, v67
	v_mul_f32_e32 v112, v67, v103
	v_add_f32_e32 v71, v80, v66
	v_mul_f32_e32 v80, v102, v112
	v_fma_f32 v98, v112, v102, -v80
	v_fmac_f32_e32 v98, v112, v64
	v_add_f32_e32 v66, v80, v98
	v_sub_f32_e32 v81, v67, v66
	v_pk_add_f32 v[100:101], v[66:67], v[80:81] neg_lo:[0,1] neg_hi:[0,1]
	v_mov_b32_e32 v99, v66
	v_pk_add_f32 v[66:67], v[100:101], v[98:99] neg_lo:[0,1] neg_hi:[0,1]
	v_add_f32_e32 v67, v71, v67
	v_add_f32_e32 v66, v66, v67
	;; [unrolled: 1-line block ×3, first 2 shown]
	v_mul_f32_e32 v71, v103, v67
	v_mul_f32_e32 v80, v102, v71
	v_fma_f32 v98, v71, v102, -v80
	v_fmac_f32_e32 v98, v71, v64
	v_sub_f32_e32 v64, v81, v67
	v_add_f32_e32 v64, v66, v64
	v_add_f32_e32 v66, v80, v98
	v_sub_f32_e32 v81, v67, v66
	v_pk_add_f32 v[100:101], v[66:67], v[80:81] neg_lo:[0,1] neg_hi:[0,1]
	v_mov_b32_e32 v99, v66
	v_pk_add_f32 v[66:67], v[100:101], v[98:99] neg_lo:[0,1] neg_hi:[0,1]
	v_add_f32_e32 v64, v64, v67
	v_add_f32_e32 v64, v66, v64
	;; [unrolled: 1-line block ×4, first 2 shown]
	v_sub_f32_e32 v67, v66, v112
	v_mul_f32_e32 v64, v103, v64
	v_sub_f32_e32 v67, v71, v67
	v_add_f32_e32 v64, v67, v64
	v_add_f32_e32 v71, v66, v64
	v_mul_f32_e32 v81, v71, v71
	v_mov_b32_e32 v80, 0x3ecc95a3
	v_fmac_f32_e32 v80, 0x3e9b6dac, v81
	v_mov_b32_e32 v67, 0x3f2aaada
	v_fmac_f32_e32 v67, v81, v80
	v_cvt_f32_i32_e32 v80, v82
	v_sub_f32_e32 v66, v71, v66
	v_sub_f32_e32 v64, v64, v66
	v_mul_f32_e32 v81, v71, v81
	v_mov_b32_e32 v66, 0x3f317218
	s_mov_b32 s12, 0x3f317218
	v_pk_mul_f32 v[66:67], v[80:81], v[66:67]
	v_fma_f32 v98, v80, s12, -v66
	v_ldexp_f32 v99, v71, 1
	v_fmac_f32_e32 v98, 0xb102e308, v80
	v_pk_add_f32 v[80:81], v[66:67], v[98:99]
	v_sub_f32_e32 v71, v81, v99
	v_ldexp_f32 v64, v64, 1
	v_sub_f32_e32 v71, v67, v71
	v_add_f32_e32 v101, v64, v71
	v_mov_b32_e32 v100, v66
	v_pk_add_f32 v[66:67], v[80:81], v[66:67] neg_lo:[0,1] neg_hi:[0,1]
	v_pk_add_f32 v[102:103], v[80:81], v[100:101]
	v_mov_b32_e32 v67, v103
	v_mov_b32_e32 v99, v80
	v_pk_add_f32 v[112:113], v[98:99], v[66:67] neg_lo:[0,1] neg_hi:[0,1]
	v_pk_add_f32 v[66:67], v[98:99], v[66:67]
	v_mov_b32_e32 v64, v67
	v_pk_add_f32 v[98:99], v[64:65], v[80:81] neg_lo:[0,1] neg_hi:[0,1]
	v_mov_b32_e32 v71, v98
	v_pk_add_f32 v[114:115], v[102:103], v[70:71] neg_lo:[0,1] neg_hi:[0,1]
	v_mov_b32_e32 v66, v103
	v_mov_b32_e32 v102, v81
	v_mov_b32_e32 v103, v98
	v_mov_b32_e32 v113, v67
	v_pk_add_f32 v[66:67], v[66:67], v[102:103] neg_lo:[0,1] neg_hi:[0,1]
	v_mov_b32_e32 v98, v101
	v_mov_b32_e32 v99, v80
	v_pk_add_f32 v[66:67], v[98:99], v[66:67] neg_lo:[0,1] neg_hi:[0,1]
	v_mov_b32_e32 v114, v112
	v_pk_add_f32 v[80:81], v[114:115], v[66:67]
	v_mov_b32_e32 v82, v81
	v_pk_add_f32 v[98:99], v[80:81], v[82:83]
	v_pk_add_f32 v[100:101], v[64:65], v[98:99]
	v_mov_b32_e32 v81, v100
	v_pk_add_f32 v[102:103], v[80:81], v[112:113] neg_lo:[0,1] neg_hi:[0,1]
	v_mov_b32_e32 v67, v98
	v_sub_f32_e32 v64, v80, v102
	v_pk_add_f32 v[66:67], v[66:67], v[102:103] neg_lo:[0,1] neg_hi:[0,1]
	v_sub_f32_e32 v64, v112, v64
	s_mov_b32 s13, 0x7f800000
	v_add_f32_e32 v64, v66, v64
	s_mov_b32 s12, 0x33800000
	v_add_f32_e32 v64, v64, v67
	v_cmp_eq_f32_e32 vcc, s13, v116
	v_cmp_lt_f32_e64 s[12:13], |v116|, s12
	v_add_f32_e32 v64, v100, v64
	s_or_b64 vcc, vcc, s[12:13]
	v_cndmask_b32_e32 v64, v64, v116, vcc
	v_add_f32_e32 v64, v65, v64
	v_cvt_f16_f32_e32 v99, v64
	v_cvt_f32_f16_e32 v98, v99
	v_mov_b32_e32 v64, v99
.LBB421_238:
	s_or_b64 exec, exec, s[10:11]
	v_max_f32_e32 v65, v83, v83
	v_max_f32_e32 v67, v98, v98
	v_min_f32_e32 v66, v67, v65
	v_cmp_u_f16_e32 vcc, v99, v99
	v_max_f32_e32 v65, v67, v65
	v_cndmask_b32_e32 v66, v66, v98, vcc
	v_cndmask_b32_e32 v65, v65, v98, vcc
	v_cndmask_b32_e64 v66, v66, v83, s[46:47]
	v_cndmask_b32_e64 v65, v65, v83, s[46:47]
	s_movk_i32 s12, 0x1f8
	v_cmp_neq_f32_e32 vcc, v66, v65
	v_cmp_class_f32_e64 s[10:11], v66, s12
	s_or_b64 s[14:15], vcc, s[10:11]
	v_mov_b32_e32 v71, v64
	s_and_saveexec_b64 s[10:11], s[14:15]
	s_cbranch_execz .LBB421_240
; %bb.239:
	v_sub_f32_e32 v66, v66, v65
	s_mov_b32 s13, 0x3fb8aa3b
	v_mul_f32_e32 v67, 0x3fb8aa3b, v66
	v_fma_f32 v71, v66, s13, -v67
	v_rndne_f32_e32 v80, v67
	v_fmac_f32_e32 v71, 0x32a5705f, v66
	v_sub_f32_e32 v67, v67, v80
	v_add_f32_e32 v67, v67, v71
	v_exp_f32_e32 v67, v67
	v_cvt_i32_f32_e32 v71, v80
	s_mov_b32 s13, 0xc2ce8ed0
	v_cmp_ngt_f32_e32 vcc, s13, v66
	s_mov_b32 s13, 0x42b17218
	v_ldexp_f32 v67, v67, v71
	v_cndmask_b32_e32 v67, 0, v67, vcc
	v_mov_b32_e32 v71, 0x7f800000
	v_cmp_nlt_f32_e32 vcc, s13, v66
	v_cndmask_b32_e32 v116, v71, v67, vcc
	v_add_f32_e32 v71, 1.0, v116
	v_add_f32_e32 v66, -1.0, v71
	v_sub_f32_e32 v67, v66, v71
	v_add_f32_e32 v67, 1.0, v67
	v_sub_f32_e32 v66, v116, v66
	v_add_f32_e32 v80, v66, v67
	v_frexp_mant_f32_e32 v81, v71
	s_mov_b32 s13, 0x3f2aaaab
	v_cvt_f64_f32_e32 v[66:67], v71
	v_frexp_exp_i32_f64_e32 v66, v[66:67]
	v_cmp_gt_f32_e32 vcc, s13, v81
	v_subbrev_co_u32_e32 v100, vcc, 0, v66, vcc
	v_sub_u32_e32 v66, 0, v100
	v_ldexp_f32 v67, v71, v66
	v_add_f32_e32 v71, -1.0, v67
	v_add_f32_e32 v81, 1.0, v67
	v_ldexp_f32 v66, v80, v66
	v_add_f32_e32 v80, 1.0, v71
	v_add_f32_e32 v82, -1.0, v81
	v_sub_f32_e32 v80, v67, v80
	v_sub_f32_e32 v67, v67, v82
	v_add_f32_e32 v80, v66, v80
	v_add_f32_e32 v66, v66, v67
	;; [unrolled: 1-line block ×3, first 2 shown]
	v_rcp_f32_e32 v103, v101
	v_sub_f32_e32 v67, v81, v101
	v_add_f32_e32 v102, v66, v67
	v_add_f32_e32 v67, v71, v80
	v_sub_f32_e32 v66, v71, v67
	v_mul_f32_e32 v112, v67, v103
	v_add_f32_e32 v71, v80, v66
	v_mul_f32_e32 v80, v101, v112
	v_fma_f32 v82, v112, v101, -v80
	v_fmac_f32_e32 v82, v112, v102
	v_add_f32_e32 v66, v80, v82
	v_sub_f32_e32 v81, v67, v66
	v_pk_add_f32 v[98:99], v[66:67], v[80:81] neg_lo:[0,1] neg_hi:[0,1]
	v_mov_b32_e32 v83, v66
	v_pk_add_f32 v[66:67], v[98:99], v[82:83] neg_lo:[0,1] neg_hi:[0,1]
	v_add_f32_e32 v67, v71, v67
	v_add_f32_e32 v66, v66, v67
	;; [unrolled: 1-line block ×3, first 2 shown]
	v_mul_f32_e32 v71, v103, v67
	v_mul_f32_e32 v80, v101, v71
	v_fma_f32 v82, v71, v101, -v80
	v_fmac_f32_e32 v82, v71, v102
	v_sub_f32_e32 v81, v81, v67
	v_add_f32_e32 v101, v66, v81
	v_add_f32_e32 v66, v80, v82
	v_sub_f32_e32 v81, v67, v66
	v_pk_add_f32 v[98:99], v[66:67], v[80:81] neg_lo:[0,1] neg_hi:[0,1]
	v_mov_b32_e32 v83, v66
	v_pk_add_f32 v[66:67], v[98:99], v[82:83] neg_lo:[0,1] neg_hi:[0,1]
	v_add_f32_e32 v67, v101, v67
	v_add_f32_e32 v66, v66, v67
	;; [unrolled: 1-line block ×4, first 2 shown]
	v_sub_f32_e32 v67, v81, v112
	v_mul_f32_e32 v66, v103, v66
	v_sub_f32_e32 v67, v71, v67
	v_add_f32_e32 v66, v67, v66
	v_add_f32_e32 v71, v81, v66
	v_mul_f32_e32 v82, v71, v71
	v_mov_b32_e32 v80, 0x3ecc95a3
	v_fmac_f32_e32 v80, 0x3e9b6dac, v82
	v_mov_b32_e32 v67, 0x3f2aaada
	v_fmac_f32_e32 v67, v82, v80
	v_cvt_f32_i32_e32 v80, v100
	v_sub_f32_e32 v81, v71, v81
	v_sub_f32_e32 v66, v66, v81
	v_ldexp_f32 v98, v66, 1
	v_mul_f32_e32 v81, v71, v82
	v_mov_b32_e32 v66, 0x3f317218
	s_mov_b32 s13, 0x3f317218
	v_pk_mul_f32 v[66:67], v[80:81], v[66:67]
	v_fma_f32 v82, v80, s13, -v66
	v_ldexp_f32 v83, v71, 1
	v_fmac_f32_e32 v82, 0xb102e308, v80
	v_pk_add_f32 v[80:81], v[66:67], v[82:83]
	v_sub_f32_e32 v71, v81, v83
	v_sub_f32_e32 v71, v67, v71
	v_add_f32_e32 v99, v98, v71
	v_mov_b32_e32 v98, v66
	v_pk_add_f32 v[66:67], v[80:81], v[66:67] neg_lo:[0,1] neg_hi:[0,1]
	v_pk_add_f32 v[100:101], v[80:81], v[98:99]
	v_mov_b32_e32 v67, v101
	v_mov_b32_e32 v83, v80
	v_pk_add_f32 v[102:103], v[82:83], v[66:67] neg_lo:[0,1] neg_hi:[0,1]
	v_pk_add_f32 v[66:67], v[82:83], v[66:67]
	v_mov_b32_e32 v82, v67
	v_pk_add_f32 v[112:113], v[82:83], v[80:81] neg_lo:[0,1] neg_hi:[0,1]
	v_mov_b32_e32 v71, v112
	v_pk_add_f32 v[114:115], v[100:101], v[70:71] neg_lo:[0,1] neg_hi:[0,1]
	v_mov_b32_e32 v66, v101
	v_mov_b32_e32 v100, v81
	v_mov_b32_e32 v101, v112
	v_mov_b32_e32 v103, v67
	v_pk_add_f32 v[66:67], v[66:67], v[100:101] neg_lo:[0,1] neg_hi:[0,1]
	v_mov_b32_e32 v98, v99
	v_mov_b32_e32 v99, v80
	v_pk_add_f32 v[66:67], v[98:99], v[66:67] neg_lo:[0,1] neg_hi:[0,1]
	v_mov_b32_e32 v114, v102
	v_pk_add_f32 v[80:81], v[114:115], v[66:67]
	v_mov_b32_e32 v98, v81
	v_pk_add_f32 v[98:99], v[80:81], v[98:99]
	v_pk_add_f32 v[82:83], v[82:83], v[98:99]
	v_mov_b32_e32 v81, v82
	v_pk_add_f32 v[100:101], v[80:81], v[102:103] neg_lo:[0,1] neg_hi:[0,1]
	v_mov_b32_e32 v67, v98
	v_sub_f32_e32 v71, v80, v100
	v_pk_add_f32 v[66:67], v[66:67], v[100:101] neg_lo:[0,1] neg_hi:[0,1]
	v_sub_f32_e32 v71, v102, v71
	s_mov_b32 s14, 0x7f800000
	v_add_f32_e32 v66, v66, v71
	s_mov_b32 s13, 0x33800000
	v_add_f32_e32 v66, v66, v67
	v_cmp_eq_f32_e32 vcc, s14, v116
	v_cmp_lt_f32_e64 s[14:15], |v116|, s13
	v_add_f32_e32 v66, v82, v66
	s_or_b64 vcc, vcc, s[14:15]
	v_cndmask_b32_e32 v66, v66, v116, vcc
	v_add_f32_e32 v65, v65, v66
	v_cvt_f16_f32_e32 v99, v65
	v_cvt_f32_f16_e32 v98, v99
	v_mov_b32_e32 v71, v99
.LBB421_240:
	s_or_b64 exec, exec, s[10:11]
	v_max_f32_e32 v65, v84, v84
	v_max_f32_e32 v66, v98, v98
	v_min_f32_e32 v67, v66, v65
	v_cmp_u_f16_e32 vcc, v99, v99
	v_max_f32_e32 v65, v66, v65
	v_cndmask_b32_e32 v67, v67, v98, vcc
	v_cndmask_b32_e32 v65, v65, v98, vcc
	v_cndmask_b32_e64 v67, v67, v84, s[48:49]
	v_cndmask_b32_e64 v66, v65, v84, s[48:49]
	v_cmp_neq_f32_e32 vcc, v67, v66
	v_cmp_class_f32_e64 s[10:11], v67, s12
	s_or_b64 s[12:13], vcc, s[10:11]
	v_mov_b32_e32 v65, v71
	s_and_saveexec_b64 s[10:11], s[12:13]
	s_cbranch_execz .LBB421_242
; %bb.241:
	v_sub_f32_e32 v65, v67, v66
	s_mov_b32 s12, 0x3fb8aa3b
	v_mul_f32_e32 v67, 0x3fb8aa3b, v65
	v_fma_f32 v80, v65, s12, -v67
	v_rndne_f32_e32 v81, v67
	v_fmac_f32_e32 v80, 0x32a5705f, v65
	v_sub_f32_e32 v67, v67, v81
	v_add_f32_e32 v67, v67, v80
	v_exp_f32_e32 v67, v67
	v_cvt_i32_f32_e32 v80, v81
	s_mov_b32 s12, 0xc2ce8ed0
	v_cmp_ngt_f32_e32 vcc, s12, v65
	s_mov_b32 s12, 0x42b17218
	v_ldexp_f32 v67, v67, v80
	v_cndmask_b32_e32 v67, 0, v67, vcc
	v_mov_b32_e32 v80, 0x7f800000
	v_cmp_nlt_f32_e32 vcc, s12, v65
	v_cndmask_b32_e32 v67, v80, v67, vcc
	v_add_f32_e32 v65, 1.0, v67
	v_add_f32_e32 v80, -1.0, v65
	v_sub_f32_e32 v81, v80, v65
	v_add_f32_e32 v81, 1.0, v81
	v_sub_f32_e32 v80, v67, v80
	v_add_f32_e32 v82, v80, v81
	v_frexp_mant_f32_e32 v83, v65
	s_mov_b32 s12, 0x3f2aaaab
	v_cvt_f64_f32_e32 v[80:81], v65
	v_frexp_exp_i32_f64_e32 v80, v[80:81]
	v_cmp_gt_f32_e32 vcc, s12, v83
	v_subbrev_co_u32_e32 v84, vcc, 0, v80, vcc
	v_sub_u32_e32 v80, 0, v84
	v_ldexp_f32 v65, v65, v80
	v_ldexp_f32 v80, v82, v80
	v_add_f32_e32 v82, -1.0, v65
	v_add_f32_e32 v81, 1.0, v82
	v_sub_f32_e32 v81, v65, v81
	v_add_f32_e32 v83, v80, v81
	v_add_f32_e32 v81, 1.0, v65
	v_add_f32_e32 v98, -1.0, v81
	v_sub_f32_e32 v65, v65, v98
	v_add_f32_e32 v65, v80, v65
	v_add_f32_e32 v102, v81, v65
	v_rcp_f32_e32 v103, v102
	v_sub_f32_e32 v80, v81, v102
	v_add_f32_e32 v81, v82, v83
	v_add_f32_e32 v65, v65, v80
	v_mul_f32_e32 v113, v81, v103
	v_sub_f32_e32 v80, v82, v81
	v_mul_f32_e32 v82, v102, v113
	v_fma_f32 v98, v113, v102, -v82
	v_fmac_f32_e32 v98, v113, v65
	v_add_f32_e32 v112, v83, v80
	v_add_f32_e32 v80, v82, v98
	v_sub_f32_e32 v83, v81, v80
	v_pk_add_f32 v[100:101], v[80:81], v[82:83] neg_lo:[0,1] neg_hi:[0,1]
	v_mov_b32_e32 v99, v80
	v_pk_add_f32 v[80:81], v[100:101], v[98:99] neg_lo:[0,1] neg_hi:[0,1]
	v_add_f32_e32 v81, v112, v81
	v_add_f32_e32 v80, v80, v81
	;; [unrolled: 1-line block ×3, first 2 shown]
	v_mul_f32_e32 v112, v103, v81
	v_mul_f32_e32 v82, v102, v112
	v_fma_f32 v98, v112, v102, -v82
	v_fmac_f32_e32 v98, v112, v65
	v_sub_f32_e32 v65, v83, v81
	v_add_f32_e32 v65, v80, v65
	v_add_f32_e32 v80, v82, v98
	v_sub_f32_e32 v83, v81, v80
	v_pk_add_f32 v[100:101], v[80:81], v[82:83] neg_lo:[0,1] neg_hi:[0,1]
	v_mov_b32_e32 v99, v80
	v_pk_add_f32 v[80:81], v[100:101], v[98:99] neg_lo:[0,1] neg_hi:[0,1]
	v_add_f32_e32 v65, v65, v81
	v_add_f32_e32 v65, v80, v65
	;; [unrolled: 1-line block ×4, first 2 shown]
	v_sub_f32_e32 v81, v80, v113
	v_mul_f32_e32 v65, v103, v65
	v_sub_f32_e32 v81, v112, v81
	v_add_f32_e32 v65, v81, v65
	v_add_f32_e32 v83, v80, v65
	v_mul_f32_e32 v98, v83, v83
	v_mov_b32_e32 v82, 0x3ecc95a3
	v_fmac_f32_e32 v82, 0x3e9b6dac, v98
	v_mov_b32_e32 v81, 0x3f2aaada
	v_fmac_f32_e32 v81, v98, v82
	v_cvt_f32_i32_e32 v82, v84
	v_sub_f32_e32 v80, v83, v80
	v_sub_f32_e32 v65, v65, v80
	v_ldexp_f32 v99, v83, 1
	v_mul_f32_e32 v83, v83, v98
	v_mov_b32_e32 v80, 0x3f317218
	s_mov_b32 s12, 0x3f317218
	v_pk_mul_f32 v[80:81], v[82:83], v[80:81]
	v_fma_f32 v98, v82, s12, -v80
	v_fmac_f32_e32 v98, 0xb102e308, v82
	v_pk_add_f32 v[82:83], v[80:81], v[98:99]
	v_sub_f32_e32 v84, v83, v99
	v_ldexp_f32 v65, v65, 1
	v_sub_f32_e32 v84, v81, v84
	v_add_f32_e32 v101, v65, v84
	v_mov_b32_e32 v100, v80
	v_pk_add_f32 v[80:81], v[82:83], v[80:81] neg_lo:[0,1] neg_hi:[0,1]
	v_pk_add_f32 v[102:103], v[82:83], v[100:101]
	v_mov_b32_e32 v81, v103
	v_mov_b32_e32 v99, v82
	v_pk_add_f32 v[112:113], v[98:99], v[80:81] neg_lo:[0,1] neg_hi:[0,1]
	v_pk_add_f32 v[80:81], v[98:99], v[80:81]
	v_mov_b32_e32 v84, v81
	v_pk_add_f32 v[98:99], v[84:85], v[82:83] neg_lo:[0,1] neg_hi:[0,1]
	v_mov_b32_e32 v65, v98
	v_pk_add_f32 v[114:115], v[102:103], v[64:65] neg_lo:[0,1] neg_hi:[0,1]
	v_mov_b32_e32 v80, v103
	v_mov_b32_e32 v102, v83
	;; [unrolled: 1-line block ×4, first 2 shown]
	v_pk_add_f32 v[80:81], v[80:81], v[102:103] neg_lo:[0,1] neg_hi:[0,1]
	v_mov_b32_e32 v98, v101
	v_mov_b32_e32 v99, v82
	v_pk_add_f32 v[80:81], v[98:99], v[80:81] neg_lo:[0,1] neg_hi:[0,1]
	v_mov_b32_e32 v114, v112
	v_pk_add_f32 v[82:83], v[114:115], v[80:81]
	v_mov_b32_e32 v98, v83
	v_pk_add_f32 v[98:99], v[82:83], v[98:99]
	v_pk_add_f32 v[100:101], v[84:85], v[98:99]
	v_mov_b32_e32 v83, v100
	v_pk_add_f32 v[102:103], v[82:83], v[112:113] neg_lo:[0,1] neg_hi:[0,1]
	v_mov_b32_e32 v81, v98
	v_sub_f32_e32 v65, v82, v102
	v_pk_add_f32 v[80:81], v[80:81], v[102:103] neg_lo:[0,1] neg_hi:[0,1]
	v_sub_f32_e32 v65, v112, v65
	s_mov_b32 s13, 0x7f800000
	v_add_f32_e32 v65, v80, v65
	s_mov_b32 s12, 0x33800000
	v_add_f32_e32 v65, v65, v81
	v_cmp_eq_f32_e32 vcc, s13, v67
	v_cmp_lt_f32_e64 s[12:13], |v67|, s12
	v_add_f32_e32 v65, v100, v65
	s_or_b64 vcc, vcc, s[12:13]
	v_cndmask_b32_e32 v65, v65, v67, vcc
	v_add_f32_e32 v65, v66, v65
	v_cvt_f16_f32_e32 v99, v65
	v_cvt_f32_f16_e32 v98, v99
	v_mov_b32_e32 v65, v99
.LBB421_242:
	s_or_b64 exec, exec, s[10:11]
	v_max_f32_e32 v66, v85, v85
	v_max_f32_e32 v80, v98, v98
	v_min_f32_e32 v67, v80, v66
	v_cmp_u_f16_e32 vcc, v99, v99
	v_max_f32_e32 v66, v80, v66
	v_cndmask_b32_e32 v67, v67, v98, vcc
	v_cndmask_b32_e32 v66, v66, v98, vcc
	v_cndmask_b32_e64 v67, v67, v85, s[50:51]
	v_cndmask_b32_e64 v66, v66, v85, s[50:51]
	s_movk_i32 s12, 0x1f8
	v_cmp_neq_f32_e32 vcc, v67, v66
	v_cmp_class_f32_e64 s[10:11], v67, s12
	s_or_b64 s[14:15], vcc, s[10:11]
	v_mov_b32_e32 v80, v65
	s_and_saveexec_b64 s[10:11], s[14:15]
	s_cbranch_execz .LBB421_244
; %bb.243:
	v_sub_f32_e32 v67, v67, v66
	s_mov_b32 s13, 0x3fb8aa3b
	v_mul_f32_e32 v80, 0x3fb8aa3b, v67
	v_fma_f32 v81, v67, s13, -v80
	v_rndne_f32_e32 v82, v80
	v_fmac_f32_e32 v81, 0x32a5705f, v67
	v_sub_f32_e32 v80, v80, v82
	v_add_f32_e32 v80, v80, v81
	v_exp_f32_e32 v80, v80
	v_cvt_i32_f32_e32 v81, v82
	s_mov_b32 s13, 0xc2ce8ed0
	v_cmp_ngt_f32_e32 vcc, s13, v67
	s_mov_b32 s13, 0x42b17218
	v_ldexp_f32 v80, v80, v81
	v_cndmask_b32_e32 v80, 0, v80, vcc
	v_mov_b32_e32 v81, 0x7f800000
	v_cmp_nlt_f32_e32 vcc, s13, v67
	v_cndmask_b32_e32 v116, v81, v80, vcc
	v_add_f32_e32 v67, 1.0, v116
	v_add_f32_e32 v80, -1.0, v67
	v_sub_f32_e32 v81, v80, v67
	v_add_f32_e32 v81, 1.0, v81
	v_sub_f32_e32 v80, v116, v80
	v_add_f32_e32 v82, v80, v81
	v_frexp_mant_f32_e32 v83, v67
	s_mov_b32 s13, 0x3f2aaaab
	v_cvt_f64_f32_e32 v[80:81], v67
	v_frexp_exp_i32_f64_e32 v80, v[80:81]
	v_cmp_gt_f32_e32 vcc, s13, v83
	v_subbrev_co_u32_e32 v100, vcc, 0, v80, vcc
	v_sub_u32_e32 v80, 0, v100
	v_ldexp_f32 v67, v67, v80
	v_ldexp_f32 v80, v82, v80
	v_add_f32_e32 v82, -1.0, v67
	v_add_f32_e32 v81, 1.0, v82
	v_sub_f32_e32 v81, v67, v81
	v_add_f32_e32 v83, v80, v81
	v_add_f32_e32 v81, 1.0, v67
	v_add_f32_e32 v84, -1.0, v81
	v_sub_f32_e32 v67, v67, v84
	v_add_f32_e32 v67, v80, v67
	v_add_f32_e32 v101, v81, v67
	v_rcp_f32_e32 v102, v101
	v_sub_f32_e32 v80, v81, v101
	v_add_f32_e32 v81, v82, v83
	v_add_f32_e32 v67, v67, v80
	v_mul_f32_e32 v112, v81, v102
	v_sub_f32_e32 v80, v82, v81
	v_mul_f32_e32 v82, v101, v112
	v_fma_f32 v84, v112, v101, -v82
	v_fmac_f32_e32 v84, v112, v67
	v_add_f32_e32 v103, v83, v80
	v_add_f32_e32 v80, v82, v84
	v_sub_f32_e32 v83, v81, v80
	v_pk_add_f32 v[98:99], v[80:81], v[82:83] neg_lo:[0,1] neg_hi:[0,1]
	v_mov_b32_e32 v85, v80
	v_pk_add_f32 v[80:81], v[98:99], v[84:85] neg_lo:[0,1] neg_hi:[0,1]
	v_add_f32_e32 v81, v103, v81
	v_add_f32_e32 v80, v80, v81
	;; [unrolled: 1-line block ×3, first 2 shown]
	v_mul_f32_e32 v103, v102, v81
	v_mul_f32_e32 v82, v101, v103
	v_fma_f32 v84, v103, v101, -v82
	v_fmac_f32_e32 v84, v103, v67
	v_sub_f32_e32 v67, v83, v81
	v_add_f32_e32 v67, v80, v67
	v_add_f32_e32 v80, v82, v84
	v_sub_f32_e32 v83, v81, v80
	v_pk_add_f32 v[98:99], v[80:81], v[82:83] neg_lo:[0,1] neg_hi:[0,1]
	v_mov_b32_e32 v85, v80
	v_pk_add_f32 v[80:81], v[98:99], v[84:85] neg_lo:[0,1] neg_hi:[0,1]
	v_add_f32_e32 v67, v67, v81
	v_add_f32_e32 v67, v80, v67
	;; [unrolled: 1-line block ×4, first 2 shown]
	v_sub_f32_e32 v81, v80, v112
	v_mul_f32_e32 v67, v102, v67
	v_sub_f32_e32 v81, v103, v81
	v_add_f32_e32 v67, v81, v67
	v_add_f32_e32 v83, v80, v67
	v_mul_f32_e32 v84, v83, v83
	v_mov_b32_e32 v82, 0x3ecc95a3
	v_fmac_f32_e32 v82, 0x3e9b6dac, v84
	v_mov_b32_e32 v81, 0x3f2aaada
	v_fmac_f32_e32 v81, v84, v82
	v_cvt_f32_i32_e32 v82, v100
	v_sub_f32_e32 v80, v83, v80
	v_sub_f32_e32 v67, v67, v80
	v_ldexp_f32 v85, v83, 1
	v_mul_f32_e32 v83, v83, v84
	v_mov_b32_e32 v80, 0x3f317218
	s_mov_b32 s13, 0x3f317218
	v_pk_mul_f32 v[80:81], v[82:83], v[80:81]
	v_fma_f32 v84, v82, s13, -v80
	v_fmac_f32_e32 v84, 0xb102e308, v82
	v_pk_add_f32 v[82:83], v[80:81], v[84:85]
	v_sub_f32_e32 v85, v83, v85
	v_ldexp_f32 v67, v67, 1
	v_sub_f32_e32 v85, v81, v85
	v_add_f32_e32 v99, v67, v85
	v_mov_b32_e32 v98, v80
	v_pk_add_f32 v[80:81], v[82:83], v[80:81] neg_lo:[0,1] neg_hi:[0,1]
	v_pk_add_f32 v[100:101], v[82:83], v[98:99]
	v_mov_b32_e32 v81, v101
	v_mov_b32_e32 v85, v82
	v_pk_add_f32 v[102:103], v[84:85], v[80:81] neg_lo:[0,1] neg_hi:[0,1]
	v_pk_add_f32 v[80:81], v[84:85], v[80:81]
	v_mov_b32_e32 v84, v81
	v_pk_add_f32 v[112:113], v[84:85], v[82:83] neg_lo:[0,1] neg_hi:[0,1]
	v_mov_b32_e32 v67, v112
	v_pk_add_f32 v[114:115], v[100:101], v[66:67] neg_lo:[0,1] neg_hi:[0,1]
	v_mov_b32_e32 v80, v101
	v_mov_b32_e32 v100, v83
	;; [unrolled: 1-line block ×4, first 2 shown]
	v_pk_add_f32 v[80:81], v[80:81], v[100:101] neg_lo:[0,1] neg_hi:[0,1]
	v_mov_b32_e32 v98, v99
	v_mov_b32_e32 v99, v82
	v_pk_add_f32 v[80:81], v[98:99], v[80:81] neg_lo:[0,1] neg_hi:[0,1]
	v_mov_b32_e32 v114, v102
	v_pk_add_f32 v[82:83], v[114:115], v[80:81]
	v_mov_b32_e32 v98, v83
	v_pk_add_f32 v[98:99], v[82:83], v[98:99]
	v_pk_add_f32 v[84:85], v[84:85], v[98:99]
	v_mov_b32_e32 v83, v84
	v_pk_add_f32 v[100:101], v[82:83], v[102:103] neg_lo:[0,1] neg_hi:[0,1]
	v_mov_b32_e32 v81, v98
	v_sub_f32_e32 v67, v82, v100
	v_pk_add_f32 v[80:81], v[80:81], v[100:101] neg_lo:[0,1] neg_hi:[0,1]
	v_sub_f32_e32 v67, v102, v67
	s_mov_b32 s14, 0x7f800000
	v_add_f32_e32 v67, v80, v67
	s_mov_b32 s13, 0x33800000
	v_add_f32_e32 v67, v67, v81
	v_cmp_eq_f32_e32 vcc, s14, v116
	v_cmp_lt_f32_e64 s[14:15], |v116|, s13
	v_add_f32_e32 v67, v84, v67
	s_or_b64 vcc, vcc, s[14:15]
	v_cndmask_b32_e32 v67, v67, v116, vcc
	v_add_f32_e32 v66, v66, v67
	v_cvt_f16_f32_e32 v99, v66
	v_cvt_f32_f16_e32 v98, v99
	v_mov_b32_e32 v80, v99
.LBB421_244:
	s_or_b64 exec, exec, s[10:11]
	v_max_f32_e32 v66, v86, v86
	v_max_f32_e32 v67, v98, v98
	v_min_f32_e32 v81, v67, v66
	v_cmp_u_f16_e32 vcc, v99, v99
	v_max_f32_e32 v66, v67, v66
	v_cndmask_b32_e32 v81, v81, v98, vcc
	v_cndmask_b32_e32 v66, v66, v98, vcc
	v_cndmask_b32_e64 v81, v81, v86, s[52:53]
	v_cndmask_b32_e64 v67, v66, v86, s[52:53]
	v_cmp_neq_f32_e32 vcc, v81, v67
	v_cmp_class_f32_e64 s[10:11], v81, s12
	s_or_b64 s[12:13], vcc, s[10:11]
	v_mov_b32_e32 v66, v80
	s_and_saveexec_b64 s[10:11], s[12:13]
	s_cbranch_execz .LBB421_246
; %bb.245:
	v_sub_f32_e32 v66, v81, v67
	s_mov_b32 s12, 0x3fb8aa3b
	v_mul_f32_e32 v81, 0x3fb8aa3b, v66
	v_fma_f32 v82, v66, s12, -v81
	v_rndne_f32_e32 v83, v81
	v_fmac_f32_e32 v82, 0x32a5705f, v66
	v_sub_f32_e32 v81, v81, v83
	v_add_f32_e32 v81, v81, v82
	v_exp_f32_e32 v81, v81
	v_cvt_i32_f32_e32 v82, v83
	s_mov_b32 s12, 0xc2ce8ed0
	v_cmp_ngt_f32_e32 vcc, s12, v66
	s_mov_b32 s12, 0x42b17218
	v_ldexp_f32 v81, v81, v82
	v_cndmask_b32_e32 v81, 0, v81, vcc
	v_mov_b32_e32 v82, 0x7f800000
	v_cmp_nlt_f32_e32 vcc, s12, v66
	v_cndmask_b32_e32 v116, v82, v81, vcc
	v_add_f32_e32 v66, 1.0, v116
	v_add_f32_e32 v81, -1.0, v66
	v_sub_f32_e32 v82, v81, v66
	v_add_f32_e32 v82, 1.0, v82
	v_sub_f32_e32 v81, v116, v81
	v_add_f32_e32 v81, v81, v82
	v_frexp_mant_f32_e32 v84, v66
	s_mov_b32 s12, 0x3f2aaaab
	v_cvt_f64_f32_e32 v[82:83], v66
	v_frexp_exp_i32_f64_e32 v82, v[82:83]
	v_cmp_gt_f32_e32 vcc, s12, v84
	v_subbrev_co_u32_e32 v86, vcc, 0, v82, vcc
	v_sub_u32_e32 v82, 0, v86
	v_ldexp_f32 v66, v66, v82
	v_ldexp_f32 v81, v81, v82
	v_add_f32_e32 v82, -1.0, v66
	v_add_f32_e32 v83, 1.0, v82
	v_sub_f32_e32 v83, v66, v83
	v_add_f32_e32 v84, v81, v83
	v_add_f32_e32 v83, 1.0, v66
	v_add_f32_e32 v85, -1.0, v83
	v_sub_f32_e32 v66, v66, v85
	v_add_f32_e32 v66, v81, v66
	v_add_f32_e32 v81, v83, v66
	v_rcp_f32_e32 v102, v81
	v_sub_f32_e32 v83, v83, v81
	v_add_f32_e32 v66, v66, v83
	v_add_f32_e32 v83, v82, v84
	v_sub_f32_e32 v82, v82, v83
	v_mul_f32_e32 v112, v83, v102
	v_add_f32_e32 v103, v84, v82
	v_mul_f32_e32 v84, v81, v112
	v_fma_f32 v98, v112, v81, -v84
	v_fmac_f32_e32 v98, v112, v66
	v_add_f32_e32 v82, v84, v98
	v_sub_f32_e32 v85, v83, v82
	v_pk_add_f32 v[100:101], v[82:83], v[84:85] neg_lo:[0,1] neg_hi:[0,1]
	v_mov_b32_e32 v99, v82
	v_pk_add_f32 v[82:83], v[100:101], v[98:99] neg_lo:[0,1] neg_hi:[0,1]
	v_add_f32_e32 v83, v103, v83
	v_add_f32_e32 v82, v82, v83
	;; [unrolled: 1-line block ×3, first 2 shown]
	v_mul_f32_e32 v103, v102, v83
	v_mul_f32_e32 v84, v81, v103
	v_fma_f32 v98, v103, v81, -v84
	v_fmac_f32_e32 v98, v103, v66
	v_sub_f32_e32 v66, v85, v83
	v_add_f32_e32 v66, v82, v66
	v_add_f32_e32 v82, v84, v98
	v_sub_f32_e32 v85, v83, v82
	v_pk_add_f32 v[100:101], v[82:83], v[84:85] neg_lo:[0,1] neg_hi:[0,1]
	v_mov_b32_e32 v99, v82
	v_pk_add_f32 v[82:83], v[100:101], v[98:99] neg_lo:[0,1] neg_hi:[0,1]
	v_add_f32_e32 v66, v66, v83
	v_add_f32_e32 v66, v82, v66
	;; [unrolled: 1-line block ×4, first 2 shown]
	v_sub_f32_e32 v82, v81, v112
	v_mul_f32_e32 v66, v102, v66
	v_sub_f32_e32 v82, v103, v82
	v_add_f32_e32 v66, v82, v66
	v_add_f32_e32 v82, v81, v66
	v_mul_f32_e32 v85, v82, v82
	v_mov_b32_e32 v84, 0x3ecc95a3
	v_fmac_f32_e32 v84, 0x3e9b6dac, v85
	v_mov_b32_e32 v83, 0x3f2aaada
	v_fmac_f32_e32 v83, v85, v84
	v_cvt_f32_i32_e32 v84, v86
	v_sub_f32_e32 v81, v82, v81
	v_ldexp_f32 v99, v82, 1
	v_mul_f32_e32 v85, v82, v85
	v_mov_b32_e32 v82, 0x3f317218
	s_mov_b32 s12, 0x3f317218
	v_pk_mul_f32 v[82:83], v[84:85], v[82:83]
	v_fma_f32 v98, v84, s12, -v82
	v_fmac_f32_e32 v98, 0xb102e308, v84
	v_pk_add_f32 v[84:85], v[82:83], v[98:99]
	v_sub_f32_e32 v66, v66, v81
	v_sub_f32_e32 v81, v85, v99
	v_ldexp_f32 v66, v66, 1
	v_sub_f32_e32 v81, v83, v81
	v_add_f32_e32 v101, v66, v81
	v_mov_b32_e32 v100, v82
	v_pk_add_f32 v[82:83], v[84:85], v[82:83] neg_lo:[0,1] neg_hi:[0,1]
	v_pk_add_f32 v[102:103], v[84:85], v[100:101]
	v_mov_b32_e32 v83, v103
	v_mov_b32_e32 v99, v84
	v_pk_add_f32 v[112:113], v[98:99], v[82:83] neg_lo:[0,1] neg_hi:[0,1]
	v_pk_add_f32 v[82:83], v[98:99], v[82:83]
	v_mov_b32_e32 v66, v83
	v_pk_add_f32 v[98:99], v[66:67], v[84:85] neg_lo:[0,1] neg_hi:[0,1]
	v_mov_b32_e32 v81, v98
	v_pk_add_f32 v[114:115], v[102:103], v[80:81] neg_lo:[0,1] neg_hi:[0,1]
	v_mov_b32_e32 v82, v103
	v_mov_b32_e32 v102, v85
	v_mov_b32_e32 v103, v98
	v_mov_b32_e32 v113, v83
	v_pk_add_f32 v[82:83], v[82:83], v[102:103] neg_lo:[0,1] neg_hi:[0,1]
	v_mov_b32_e32 v98, v101
	v_mov_b32_e32 v99, v84
	v_pk_add_f32 v[82:83], v[98:99], v[82:83] neg_lo:[0,1] neg_hi:[0,1]
	v_mov_b32_e32 v114, v112
	v_pk_add_f32 v[84:85], v[114:115], v[82:83]
	v_mov_b32_e32 v86, v85
	v_pk_add_f32 v[98:99], v[84:85], v[86:87]
	v_pk_add_f32 v[100:101], v[66:67], v[98:99]
	v_mov_b32_e32 v85, v100
	v_pk_add_f32 v[102:103], v[84:85], v[112:113] neg_lo:[0,1] neg_hi:[0,1]
	v_mov_b32_e32 v83, v98
	v_sub_f32_e32 v66, v84, v102
	v_pk_add_f32 v[82:83], v[82:83], v[102:103] neg_lo:[0,1] neg_hi:[0,1]
	v_sub_f32_e32 v66, v112, v66
	s_mov_b32 s13, 0x7f800000
	v_add_f32_e32 v66, v82, v66
	s_mov_b32 s12, 0x33800000
	v_add_f32_e32 v66, v66, v83
	v_cmp_eq_f32_e32 vcc, s13, v116
	v_cmp_lt_f32_e64 s[12:13], |v116|, s12
	v_add_f32_e32 v66, v100, v66
	s_or_b64 vcc, vcc, s[12:13]
	v_cndmask_b32_e32 v66, v66, v116, vcc
	v_add_f32_e32 v66, v67, v66
	v_cvt_f16_f32_e32 v99, v66
	v_cvt_f32_f16_e32 v98, v99
	v_mov_b32_e32 v66, v99
.LBB421_246:
	s_or_b64 exec, exec, s[10:11]
	v_max_f32_e32 v67, v87, v87
	v_max_f32_e32 v81, v98, v98
	v_min_f32_e32 v82, v81, v67
	v_cmp_u_f16_e32 vcc, v99, v99
	v_max_f32_e32 v67, v81, v67
	v_cndmask_b32_e32 v82, v82, v98, vcc
	v_cndmask_b32_e32 v67, v67, v98, vcc
	v_cndmask_b32_e64 v82, v82, v87, s[54:55]
	v_cndmask_b32_e64 v67, v67, v87, s[54:55]
	s_movk_i32 s12, 0x1f8
	v_cmp_neq_f32_e32 vcc, v82, v67
	v_cmp_class_f32_e64 s[10:11], v82, s12
	s_or_b64 s[14:15], vcc, s[10:11]
	v_mov_b32_e32 v81, v66
	s_and_saveexec_b64 s[10:11], s[14:15]
	s_cbranch_execz .LBB421_248
; %bb.247:
	v_sub_f32_e32 v81, v82, v67
	s_mov_b32 s13, 0x3fb8aa3b
	v_mul_f32_e32 v82, 0x3fb8aa3b, v81
	v_fma_f32 v83, v81, s13, -v82
	v_rndne_f32_e32 v84, v82
	v_fmac_f32_e32 v83, 0x32a5705f, v81
	v_sub_f32_e32 v82, v82, v84
	v_add_f32_e32 v82, v82, v83
	v_exp_f32_e32 v82, v82
	v_cvt_i32_f32_e32 v83, v84
	s_mov_b32 s13, 0xc2ce8ed0
	v_cmp_ngt_f32_e32 vcc, s13, v81
	s_mov_b32 s13, 0x42b17218
	v_ldexp_f32 v82, v82, v83
	v_cndmask_b32_e32 v82, 0, v82, vcc
	v_mov_b32_e32 v83, 0x7f800000
	v_cmp_nlt_f32_e32 vcc, s13, v81
	v_cndmask_b32_e32 v116, v83, v82, vcc
	v_add_f32_e32 v81, 1.0, v116
	v_add_f32_e32 v82, -1.0, v81
	v_sub_f32_e32 v83, v82, v81
	v_add_f32_e32 v83, 1.0, v83
	v_sub_f32_e32 v82, v116, v82
	v_add_f32_e32 v84, v82, v83
	v_frexp_mant_f32_e32 v85, v81
	s_mov_b32 s13, 0x3f2aaaab
	v_cvt_f64_f32_e32 v[82:83], v81
	v_frexp_exp_i32_f64_e32 v82, v[82:83]
	v_cmp_gt_f32_e32 vcc, s13, v85
	v_subbrev_co_u32_e32 v100, vcc, 0, v82, vcc
	v_sub_u32_e32 v82, 0, v100
	v_ldexp_f32 v81, v81, v82
	v_ldexp_f32 v82, v84, v82
	v_add_f32_e32 v84, -1.0, v81
	v_add_f32_e32 v83, 1.0, v84
	v_sub_f32_e32 v83, v81, v83
	v_add_f32_e32 v85, v82, v83
	v_add_f32_e32 v83, 1.0, v81
	v_add_f32_e32 v86, -1.0, v83
	v_sub_f32_e32 v81, v81, v86
	v_add_f32_e32 v81, v82, v81
	v_add_f32_e32 v101, v83, v81
	v_rcp_f32_e32 v102, v101
	v_sub_f32_e32 v82, v83, v101
	v_add_f32_e32 v83, v84, v85
	v_add_f32_e32 v81, v81, v82
	v_mul_f32_e32 v112, v83, v102
	v_sub_f32_e32 v82, v84, v83
	v_mul_f32_e32 v84, v101, v112
	v_fma_f32 v86, v112, v101, -v84
	v_fmac_f32_e32 v86, v112, v81
	v_add_f32_e32 v103, v85, v82
	v_add_f32_e32 v82, v84, v86
	v_sub_f32_e32 v85, v83, v82
	v_pk_add_f32 v[98:99], v[82:83], v[84:85] neg_lo:[0,1] neg_hi:[0,1]
	v_mov_b32_e32 v87, v82
	v_pk_add_f32 v[82:83], v[98:99], v[86:87] neg_lo:[0,1] neg_hi:[0,1]
	v_add_f32_e32 v83, v103, v83
	v_add_f32_e32 v82, v82, v83
	;; [unrolled: 1-line block ×3, first 2 shown]
	v_mul_f32_e32 v103, v102, v83
	v_mul_f32_e32 v84, v101, v103
	v_fma_f32 v86, v103, v101, -v84
	v_fmac_f32_e32 v86, v103, v81
	v_sub_f32_e32 v81, v85, v83
	v_add_f32_e32 v81, v82, v81
	v_add_f32_e32 v82, v84, v86
	v_sub_f32_e32 v85, v83, v82
	v_pk_add_f32 v[98:99], v[82:83], v[84:85] neg_lo:[0,1] neg_hi:[0,1]
	v_mov_b32_e32 v87, v82
	v_pk_add_f32 v[82:83], v[98:99], v[86:87] neg_lo:[0,1] neg_hi:[0,1]
	v_add_f32_e32 v81, v81, v83
	v_add_f32_e32 v81, v82, v81
	;; [unrolled: 1-line block ×4, first 2 shown]
	v_sub_f32_e32 v83, v82, v112
	v_mul_f32_e32 v81, v102, v81
	v_sub_f32_e32 v83, v103, v83
	v_add_f32_e32 v81, v83, v81
	v_add_f32_e32 v85, v82, v81
	v_mul_f32_e32 v86, v85, v85
	v_mov_b32_e32 v84, 0x3ecc95a3
	v_fmac_f32_e32 v84, 0x3e9b6dac, v86
	v_mov_b32_e32 v83, 0x3f2aaada
	v_fmac_f32_e32 v83, v86, v84
	v_cvt_f32_i32_e32 v84, v100
	v_sub_f32_e32 v82, v85, v82
	v_sub_f32_e32 v81, v81, v82
	v_ldexp_f32 v87, v85, 1
	v_mul_f32_e32 v85, v85, v86
	v_mov_b32_e32 v82, 0x3f317218
	s_mov_b32 s13, 0x3f317218
	v_pk_mul_f32 v[82:83], v[84:85], v[82:83]
	v_fma_f32 v86, v84, s13, -v82
	v_fmac_f32_e32 v86, 0xb102e308, v84
	v_pk_add_f32 v[84:85], v[82:83], v[86:87]
	v_sub_f32_e32 v87, v85, v87
	v_ldexp_f32 v81, v81, 1
	v_sub_f32_e32 v87, v83, v87
	v_add_f32_e32 v99, v81, v87
	v_mov_b32_e32 v98, v82
	v_pk_add_f32 v[82:83], v[84:85], v[82:83] neg_lo:[0,1] neg_hi:[0,1]
	v_pk_add_f32 v[100:101], v[84:85], v[98:99]
	v_mov_b32_e32 v83, v101
	v_mov_b32_e32 v87, v84
	v_pk_add_f32 v[102:103], v[86:87], v[82:83] neg_lo:[0,1] neg_hi:[0,1]
	v_pk_add_f32 v[82:83], v[86:87], v[82:83]
	v_mov_b32_e32 v86, v83
	v_pk_add_f32 v[112:113], v[86:87], v[84:85] neg_lo:[0,1] neg_hi:[0,1]
	v_mov_b32_e32 v81, v112
	v_pk_add_f32 v[114:115], v[100:101], v[80:81] neg_lo:[0,1] neg_hi:[0,1]
	v_mov_b32_e32 v82, v101
	v_mov_b32_e32 v100, v85
	;; [unrolled: 1-line block ×4, first 2 shown]
	v_pk_add_f32 v[82:83], v[82:83], v[100:101] neg_lo:[0,1] neg_hi:[0,1]
	v_mov_b32_e32 v98, v99
	v_mov_b32_e32 v99, v84
	v_pk_add_f32 v[82:83], v[98:99], v[82:83] neg_lo:[0,1] neg_hi:[0,1]
	v_mov_b32_e32 v114, v102
	v_pk_add_f32 v[84:85], v[114:115], v[82:83]
	v_mov_b32_e32 v98, v85
	v_pk_add_f32 v[98:99], v[84:85], v[98:99]
	v_pk_add_f32 v[86:87], v[86:87], v[98:99]
	v_mov_b32_e32 v85, v86
	v_pk_add_f32 v[100:101], v[84:85], v[102:103] neg_lo:[0,1] neg_hi:[0,1]
	v_mov_b32_e32 v83, v98
	v_sub_f32_e32 v81, v84, v100
	v_pk_add_f32 v[82:83], v[82:83], v[100:101] neg_lo:[0,1] neg_hi:[0,1]
	v_sub_f32_e32 v81, v102, v81
	s_mov_b32 s14, 0x7f800000
	v_add_f32_e32 v81, v82, v81
	s_mov_b32 s13, 0x33800000
	v_add_f32_e32 v81, v81, v83
	v_cmp_eq_f32_e32 vcc, s14, v116
	v_cmp_lt_f32_e64 s[14:15], |v116|, s13
	v_add_f32_e32 v81, v86, v81
	s_or_b64 vcc, vcc, s[14:15]
	v_cndmask_b32_e32 v81, v81, v116, vcc
	v_add_f32_e32 v67, v67, v81
	v_cvt_f16_f32_e32 v99, v67
	v_cvt_f32_f16_e32 v98, v99
	v_mov_b32_e32 v81, v99
.LBB421_248:
	s_or_b64 exec, exec, s[10:11]
	v_max_f32_e32 v67, v96, v96
	v_max_f32_e32 v82, v98, v98
	v_min_f32_e32 v83, v82, v67
	v_cmp_u_f16_e32 vcc, v99, v99
	v_max_f32_e32 v67, v82, v67
	v_cndmask_b32_e32 v83, v83, v98, vcc
	v_cndmask_b32_e32 v67, v67, v98, vcc
	v_cndmask_b32_e64 v83, v83, v96, s[56:57]
	v_cndmask_b32_e64 v82, v67, v96, s[56:57]
	v_cmp_neq_f32_e32 vcc, v83, v82
	v_cmp_class_f32_e64 s[10:11], v83, s12
	s_or_b64 s[12:13], vcc, s[10:11]
	v_mov_b32_e32 v67, v81
	s_and_saveexec_b64 s[10:11], s[12:13]
	s_cbranch_execz .LBB421_250
; %bb.249:
	v_sub_f32_e32 v67, v83, v82
	s_mov_b32 s12, 0x3fb8aa3b
	v_mul_f32_e32 v83, 0x3fb8aa3b, v67
	v_fma_f32 v84, v67, s12, -v83
	v_rndne_f32_e32 v85, v83
	v_fmac_f32_e32 v84, 0x32a5705f, v67
	v_sub_f32_e32 v83, v83, v85
	v_add_f32_e32 v83, v83, v84
	v_exp_f32_e32 v83, v83
	v_cvt_i32_f32_e32 v84, v85
	s_mov_b32 s12, 0xc2ce8ed0
	v_cmp_ngt_f32_e32 vcc, s12, v67
	s_mov_b32 s12, 0x42b17218
	v_ldexp_f32 v83, v83, v84
	v_cndmask_b32_e32 v83, 0, v83, vcc
	v_mov_b32_e32 v84, 0x7f800000
	v_cmp_nlt_f32_e32 vcc, s12, v67
	v_cndmask_b32_e32 v83, v84, v83, vcc
	v_add_f32_e32 v67, 1.0, v83
	v_add_f32_e32 v84, -1.0, v67
	v_sub_f32_e32 v85, v84, v67
	v_add_f32_e32 v85, 1.0, v85
	v_sub_f32_e32 v84, v83, v84
	v_add_f32_e32 v86, v84, v85
	v_frexp_mant_f32_e32 v87, v67
	s_mov_b32 s12, 0x3f2aaaab
	v_cvt_f64_f32_e32 v[84:85], v67
	v_frexp_exp_i32_f64_e32 v84, v[84:85]
	v_cmp_gt_f32_e32 vcc, s12, v87
	v_subbrev_co_u32_e32 v96, vcc, 0, v84, vcc
	v_sub_u32_e32 v84, 0, v96
	v_ldexp_f32 v67, v67, v84
	v_ldexp_f32 v84, v86, v84
	v_add_f32_e32 v86, -1.0, v67
	v_add_f32_e32 v85, 1.0, v86
	v_sub_f32_e32 v85, v67, v85
	v_add_f32_e32 v87, v84, v85
	v_add_f32_e32 v85, 1.0, v67
	v_add_f32_e32 v98, -1.0, v85
	v_sub_f32_e32 v67, v67, v98
	v_add_f32_e32 v67, v84, v67
	v_add_f32_e32 v102, v85, v67
	v_rcp_f32_e32 v103, v102
	v_sub_f32_e32 v84, v85, v102
	v_add_f32_e32 v85, v86, v87
	v_add_f32_e32 v67, v67, v84
	v_mul_f32_e32 v113, v85, v103
	v_sub_f32_e32 v84, v86, v85
	v_mul_f32_e32 v86, v102, v113
	v_fma_f32 v98, v113, v102, -v86
	v_fmac_f32_e32 v98, v113, v67
	v_add_f32_e32 v112, v87, v84
	v_add_f32_e32 v84, v86, v98
	v_sub_f32_e32 v87, v85, v84
	v_pk_add_f32 v[100:101], v[84:85], v[86:87] neg_lo:[0,1] neg_hi:[0,1]
	v_mov_b32_e32 v99, v84
	v_pk_add_f32 v[84:85], v[100:101], v[98:99] neg_lo:[0,1] neg_hi:[0,1]
	v_add_f32_e32 v85, v112, v85
	v_add_f32_e32 v84, v84, v85
	;; [unrolled: 1-line block ×3, first 2 shown]
	v_mul_f32_e32 v112, v103, v85
	v_mul_f32_e32 v86, v102, v112
	v_fma_f32 v98, v112, v102, -v86
	v_fmac_f32_e32 v98, v112, v67
	v_sub_f32_e32 v67, v87, v85
	v_add_f32_e32 v67, v84, v67
	v_add_f32_e32 v84, v86, v98
	v_sub_f32_e32 v87, v85, v84
	v_pk_add_f32 v[100:101], v[84:85], v[86:87] neg_lo:[0,1] neg_hi:[0,1]
	v_mov_b32_e32 v99, v84
	v_pk_add_f32 v[84:85], v[100:101], v[98:99] neg_lo:[0,1] neg_hi:[0,1]
	v_add_f32_e32 v67, v67, v85
	v_add_f32_e32 v67, v84, v67
	;; [unrolled: 1-line block ×4, first 2 shown]
	v_sub_f32_e32 v85, v84, v113
	v_mul_f32_e32 v67, v103, v67
	v_sub_f32_e32 v85, v112, v85
	v_add_f32_e32 v67, v85, v67
	v_add_f32_e32 v87, v84, v67
	v_mul_f32_e32 v98, v87, v87
	v_mov_b32_e32 v86, 0x3ecc95a3
	v_fmac_f32_e32 v86, 0x3e9b6dac, v98
	v_mov_b32_e32 v85, 0x3f2aaada
	v_fmac_f32_e32 v85, v98, v86
	v_cvt_f32_i32_e32 v86, v96
	v_sub_f32_e32 v84, v87, v84
	v_sub_f32_e32 v67, v67, v84
	v_ldexp_f32 v99, v87, 1
	v_mul_f32_e32 v87, v87, v98
	v_mov_b32_e32 v84, 0x3f317218
	s_mov_b32 s12, 0x3f317218
	v_pk_mul_f32 v[84:85], v[86:87], v[84:85]
	v_fma_f32 v98, v86, s12, -v84
	v_fmac_f32_e32 v98, 0xb102e308, v86
	v_pk_add_f32 v[86:87], v[84:85], v[98:99]
	v_sub_f32_e32 v96, v87, v99
	v_ldexp_f32 v67, v67, 1
	v_sub_f32_e32 v96, v85, v96
	v_add_f32_e32 v101, v67, v96
	v_mov_b32_e32 v100, v84
	v_pk_add_f32 v[84:85], v[86:87], v[84:85] neg_lo:[0,1] neg_hi:[0,1]
	v_pk_add_f32 v[102:103], v[86:87], v[100:101]
	v_mov_b32_e32 v85, v103
	v_mov_b32_e32 v99, v86
	v_pk_add_f32 v[112:113], v[98:99], v[84:85] neg_lo:[0,1] neg_hi:[0,1]
	v_pk_add_f32 v[84:85], v[98:99], v[84:85]
	v_mov_b32_e32 v96, v85
	v_pk_add_f32 v[98:99], v[96:97], v[86:87] neg_lo:[0,1] neg_hi:[0,1]
	v_mov_b32_e32 v67, v98
	v_pk_add_f32 v[114:115], v[102:103], v[66:67] neg_lo:[0,1] neg_hi:[0,1]
	v_mov_b32_e32 v84, v103
	v_mov_b32_e32 v102, v87
	v_mov_b32_e32 v103, v98
	v_mov_b32_e32 v113, v85
	v_pk_add_f32 v[84:85], v[84:85], v[102:103] neg_lo:[0,1] neg_hi:[0,1]
	v_mov_b32_e32 v98, v101
	v_mov_b32_e32 v99, v86
	v_pk_add_f32 v[84:85], v[98:99], v[84:85] neg_lo:[0,1] neg_hi:[0,1]
	v_mov_b32_e32 v114, v112
	v_pk_add_f32 v[86:87], v[114:115], v[84:85]
	v_mov_b32_e32 v98, v87
	v_pk_add_f32 v[98:99], v[86:87], v[98:99]
	v_pk_add_f32 v[100:101], v[96:97], v[98:99]
	v_mov_b32_e32 v87, v100
	v_pk_add_f32 v[102:103], v[86:87], v[112:113] neg_lo:[0,1] neg_hi:[0,1]
	v_mov_b32_e32 v85, v98
	v_sub_f32_e32 v67, v86, v102
	v_pk_add_f32 v[84:85], v[84:85], v[102:103] neg_lo:[0,1] neg_hi:[0,1]
	v_sub_f32_e32 v67, v112, v67
	s_mov_b32 s13, 0x7f800000
	v_add_f32_e32 v67, v84, v67
	s_mov_b32 s12, 0x33800000
	v_add_f32_e32 v67, v67, v85
	v_cmp_eq_f32_e32 vcc, s13, v83
	v_cmp_lt_f32_e64 s[12:13], |v83|, s12
	v_add_f32_e32 v67, v100, v67
	s_or_b64 vcc, vcc, s[12:13]
	v_cndmask_b32_e32 v67, v67, v83, vcc
	v_add_f32_e32 v67, v82, v67
	v_cvt_f16_f32_e32 v67, v67
.LBB421_250:
	s_or_b64 exec, exec, s[10:11]
	s_branch .LBB421_381
.LBB421_251:
                                        ; implicit-def: $vgpr30
                                        ; implicit-def: $vgpr31
                                        ; implicit-def: $vgpr32
                                        ; implicit-def: $vgpr33
                                        ; implicit-def: $vgpr34
                                        ; implicit-def: $vgpr35
                                        ; implicit-def: $vgpr36
                                        ; implicit-def: $vgpr37
                                        ; implicit-def: $vgpr51
                                        ; implicit-def: $vgpr52
                                        ; implicit-def: $vgpr97
                                        ; implicit-def: $vgpr53
                                        ; implicit-def: $vgpr68
                                        ; implicit-def: $vgpr54
                                        ; implicit-def: $vgpr69
                                        ; implicit-def: $vgpr55
                                        ; implicit-def: $vgpr70
                                        ; implicit-def: $vgpr64
                                        ; implicit-def: $vgpr71
                                        ; implicit-def: $vgpr65
                                        ; implicit-def: $vgpr80
                                        ; implicit-def: $vgpr66
                                        ; implicit-def: $vgpr81
                                        ; implicit-def: $vgpr67
	s_cbranch_execz .LBB421_381
; %bb.252:
	v_cmp_ne_u64_e32 vcc, 0, v[6:7]
	s_and_b64 s[10:11], s[8:9], vcc
	v_mov_b32_e32 v30, v20
	s_and_saveexec_b64 s[8:9], s[10:11]
	s_cbranch_execz .LBB421_256
; %bb.253:
	flat_load_ushort v30, v[2:3]
	v_cvt_f32_f16_e32 v2, v20
	s_movk_i32 s10, 0x1f8
	s_waitcnt vmcnt(0) lgkmcnt(0)
	v_cvt_f32_f16_e32 v3, v30
	v_cmp_u_f16_e32 vcc, v30, v30
	v_min_f32_e32 v6, v3, v2
	v_max_f32_e32 v7, v3, v2
	v_cndmask_b32_e32 v6, v6, v3, vcc
	v_cndmask_b32_e32 v7, v7, v3, vcc
	v_cmp_u_f16_e32 vcc, v20, v20
	v_cndmask_b32_e32 v3, v6, v2, vcc
	v_cndmask_b32_e32 v2, v7, v2, vcc
	v_cmp_neq_f32_e32 vcc, v3, v2
	v_cmp_class_f32_e64 s[10:11], v3, s10
	s_or_b64 s[12:13], vcc, s[10:11]
	s_and_saveexec_b64 s[10:11], s[12:13]
	s_cbranch_execz .LBB421_255
; %bb.254:
	v_sub_f32_e32 v3, v3, v2
	s_mov_b32 s12, 0x3fb8aa3b
	v_mul_f32_e32 v6, 0x3fb8aa3b, v3
	v_fma_f32 v7, v3, s12, -v6
	v_rndne_f32_e32 v30, v6
	v_fmac_f32_e32 v7, 0x32a5705f, v3
	v_sub_f32_e32 v6, v6, v30
	v_add_f32_e32 v6, v6, v7
	v_exp_f32_e32 v6, v6
	v_cvt_i32_f32_e32 v7, v30
	s_mov_b32 s12, 0xc2ce8ed0
	v_cmp_ngt_f32_e32 vcc, s12, v3
	s_mov_b32 s12, 0x42b17218
	v_ldexp_f32 v6, v6, v7
	v_cndmask_b32_e32 v6, 0, v6, vcc
	v_mov_b32_e32 v7, 0x7f800000
	v_cmp_nlt_f32_e32 vcc, s12, v3
	v_cndmask_b32_e32 v51, v7, v6, vcc
	v_add_f32_e32 v3, 1.0, v51
	v_add_f32_e32 v6, -1.0, v3
	v_sub_f32_e32 v7, v6, v3
	v_add_f32_e32 v7, 1.0, v7
	v_sub_f32_e32 v6, v51, v6
	v_add_f32_e32 v30, v6, v7
	v_frexp_mant_f32_e32 v31, v3
	s_mov_b32 s12, 0x3f2aaaab
	v_cvt_f64_f32_e32 v[6:7], v3
	v_frexp_exp_i32_f64_e32 v6, v[6:7]
	v_cmp_gt_f32_e32 vcc, s12, v31
	v_subbrev_co_u32_e32 v36, vcc, 0, v6, vcc
	v_sub_u32_e32 v6, 0, v36
	v_ldexp_f32 v3, v3, v6
	v_ldexp_f32 v6, v30, v6
	v_add_f32_e32 v30, -1.0, v3
	v_add_f32_e32 v7, 1.0, v30
	v_sub_f32_e32 v7, v3, v7
	v_add_f32_e32 v31, v6, v7
	v_add_f32_e32 v7, 1.0, v3
	v_add_f32_e32 v32, -1.0, v7
	v_sub_f32_e32 v3, v3, v32
	v_add_f32_e32 v3, v6, v3
	v_add_f32_e32 v37, v7, v3
	v_rcp_f32_e32 v52, v37
	v_sub_f32_e32 v6, v7, v37
	v_add_f32_e32 v7, v30, v31
	v_add_f32_e32 v3, v3, v6
	v_mul_f32_e32 v54, v7, v52
	v_sub_f32_e32 v6, v30, v7
	v_mul_f32_e32 v30, v37, v54
	v_fma_f32 v32, v54, v37, -v30
	v_fmac_f32_e32 v32, v54, v3
	v_add_f32_e32 v53, v31, v6
	v_add_f32_e32 v6, v30, v32
	v_sub_f32_e32 v31, v7, v6
	v_pk_add_f32 v[34:35], v[6:7], v[30:31] neg_lo:[0,1] neg_hi:[0,1]
	v_mov_b32_e32 v33, v6
	v_pk_add_f32 v[6:7], v[34:35], v[32:33] neg_lo:[0,1] neg_hi:[0,1]
	v_add_f32_e32 v7, v53, v7
	v_add_f32_e32 v6, v6, v7
	;; [unrolled: 1-line block ×3, first 2 shown]
	v_mul_f32_e32 v53, v52, v7
	v_mul_f32_e32 v30, v37, v53
	v_fma_f32 v32, v53, v37, -v30
	v_fmac_f32_e32 v32, v53, v3
	v_sub_f32_e32 v3, v31, v7
	v_add_f32_e32 v3, v6, v3
	v_add_f32_e32 v6, v30, v32
	v_sub_f32_e32 v31, v7, v6
	v_pk_add_f32 v[34:35], v[6:7], v[30:31] neg_lo:[0,1] neg_hi:[0,1]
	v_mov_b32_e32 v33, v6
	v_pk_add_f32 v[6:7], v[34:35], v[32:33] neg_lo:[0,1] neg_hi:[0,1]
	v_add_f32_e32 v3, v3, v7
	v_add_f32_e32 v3, v6, v3
	;; [unrolled: 1-line block ×4, first 2 shown]
	v_sub_f32_e32 v7, v6, v54
	v_mul_f32_e32 v3, v52, v3
	v_sub_f32_e32 v7, v53, v7
	v_add_f32_e32 v3, v7, v3
	v_add_f32_e32 v31, v6, v3
	v_mul_f32_e32 v32, v31, v31
	v_mov_b32_e32 v30, 0x3ecc95a3
	v_fmac_f32_e32 v30, 0x3e9b6dac, v32
	v_mov_b32_e32 v7, 0x3f2aaada
	v_fmac_f32_e32 v7, v32, v30
	v_cvt_f32_i32_e32 v30, v36
	v_sub_f32_e32 v6, v31, v6
	v_sub_f32_e32 v3, v3, v6
	v_ldexp_f32 v33, v31, 1
	v_mul_f32_e32 v31, v31, v32
	v_mov_b32_e32 v6, 0x3f317218
	s_mov_b32 s12, 0x3f317218
	v_pk_mul_f32 v[6:7], v[30:31], v[6:7]
	v_fma_f32 v32, v30, s12, -v6
	v_fmac_f32_e32 v32, 0xb102e308, v30
	v_pk_add_f32 v[30:31], v[6:7], v[32:33]
	v_sub_f32_e32 v33, v31, v33
	v_ldexp_f32 v3, v3, 1
	v_sub_f32_e32 v33, v7, v33
	v_add_f32_e32 v35, v3, v33
	v_mov_b32_e32 v34, v6
	v_pk_add_f32 v[6:7], v[30:31], v[6:7] neg_lo:[0,1] neg_hi:[0,1]
	v_pk_add_f32 v[36:37], v[30:31], v[34:35]
	v_mov_b32_e32 v7, v37
	v_mov_b32_e32 v33, v30
	v_pk_add_f32 v[52:53], v[32:33], v[6:7] neg_lo:[0,1] neg_hi:[0,1]
	v_pk_add_f32 v[6:7], v[32:33], v[6:7]
	v_mov_b32_e32 v32, v7
	v_pk_add_f32 v[54:55], v[32:33], v[30:31] neg_lo:[0,1] neg_hi:[0,1]
	v_mov_b32_e32 v3, v54
	v_pk_add_f32 v[64:65], v[36:37], v[2:3] neg_lo:[0,1] neg_hi:[0,1]
	v_mov_b32_e32 v6, v37
	v_mov_b32_e32 v36, v31
	;; [unrolled: 1-line block ×4, first 2 shown]
	v_pk_add_f32 v[6:7], v[6:7], v[36:37] neg_lo:[0,1] neg_hi:[0,1]
	v_mov_b32_e32 v34, v35
	v_mov_b32_e32 v35, v30
	v_pk_add_f32 v[6:7], v[34:35], v[6:7] neg_lo:[0,1] neg_hi:[0,1]
	v_mov_b32_e32 v64, v52
	v_pk_add_f32 v[30:31], v[64:65], v[6:7]
	v_mov_b32_e32 v34, v31
	v_pk_add_f32 v[34:35], v[30:31], v[34:35]
	v_pk_add_f32 v[32:33], v[32:33], v[34:35]
	v_mov_b32_e32 v31, v32
	v_pk_add_f32 v[36:37], v[30:31], v[52:53] neg_lo:[0,1] neg_hi:[0,1]
	v_mov_b32_e32 v7, v34
	v_sub_f32_e32 v3, v30, v36
	v_pk_add_f32 v[6:7], v[6:7], v[36:37] neg_lo:[0,1] neg_hi:[0,1]
	v_sub_f32_e32 v3, v52, v3
	s_mov_b32 s13, 0x7f800000
	v_add_f32_e32 v3, v6, v3
	s_mov_b32 s12, 0x33800000
	v_add_f32_e32 v3, v3, v7
	v_cmp_eq_f32_e32 vcc, s13, v51
	v_cmp_lt_f32_e64 s[12:13], |v51|, s12
	v_add_f32_e32 v3, v32, v3
	s_or_b64 vcc, vcc, s[12:13]
	v_cndmask_b32_e32 v3, v3, v51, vcc
	v_add_f32_e32 v2, v2, v3
	v_cvt_f16_f32_e32 v30, v2
.LBB421_255:
	s_or_b64 exec, exec, s[10:11]
.LBB421_256:
	s_or_b64 exec, exec, s[8:9]
	v_cvt_f32_f16_e32 v2, v30
	v_cmp_u_f16_e64 s[54:55], v30, v30
	v_cmp_u_f16_sdwa vcc, v20, v20 src0_sel:WORD_1 src1_sel:WORD_1
	s_movk_i32 s12, 0x1f8
	v_min_f32_e32 v31, v2, v50
	v_max_f32_e32 v32, v2, v50
	v_cndmask_b32_e64 v3, v31, v2, s[54:55]
	v_cndmask_b32_e32 v6, v3, v50, vcc
	v_cndmask_b32_e64 v3, v32, v2, s[54:55]
	v_cndmask_b32_e32 v3, v3, v50, vcc
	v_cmp_neq_f32_e64 s[8:9], v6, v3
	v_cmp_class_f32_e64 s[10:11], v6, s12
	s_or_b64 s[8:9], s[8:9], s[10:11]
	v_mov_b32_e32 v34, v2
	v_mov_b32_e32 v33, v30
	s_and_saveexec_b64 s[10:11], s[8:9]
	s_cbranch_execz .LBB421_258
; %bb.257:
	v_sub_f32_e32 v6, v6, v3
	s_mov_b32 s8, 0x3fb8aa3b
	v_mul_f32_e32 v7, 0x3fb8aa3b, v6
	v_fma_f32 v20, v6, s8, -v7
	v_rndne_f32_e32 v33, v7
	v_fmac_f32_e32 v20, 0x32a5705f, v6
	v_sub_f32_e32 v7, v7, v33
	v_add_f32_e32 v7, v7, v20
	v_exp_f32_e32 v7, v7
	v_cvt_i32_f32_e32 v20, v33
	s_mov_b32 s8, 0xc2ce8ed0
	v_cmp_ngt_f32_e64 s[8:9], s8, v6
	s_mov_b32 s13, 0x7f800000
	v_ldexp_f32 v7, v7, v20
	v_cndmask_b32_e64 v7, 0, v7, s[8:9]
	s_mov_b32 s8, 0x42b17218
	v_mov_b32_e32 v20, 0x7f800000
	v_cmp_nlt_f32_e64 s[8:9], s8, v6
	v_cndmask_b32_e64 v51, v20, v7, s[8:9]
	v_add_f32_e32 v20, 1.0, v51
	v_add_f32_e32 v6, -1.0, v20
	v_sub_f32_e32 v7, v6, v20
	v_add_f32_e32 v7, 1.0, v7
	v_sub_f32_e32 v6, v51, v6
	v_add_f32_e32 v33, v6, v7
	v_frexp_mant_f32_e32 v34, v20
	s_mov_b32 s8, 0x3f2aaaab
	v_cvt_f64_f32_e32 v[6:7], v20
	v_frexp_exp_i32_f64_e32 v6, v[6:7]
	v_cmp_gt_f32_e64 s[8:9], s8, v34
	v_subbrev_co_u32_e64 v54, s[8:9], 0, v6, s[8:9]
	v_sub_u32_e32 v6, 0, v54
	v_ldexp_f32 v7, v20, v6
	v_add_f32_e32 v20, -1.0, v7
	v_add_f32_e32 v34, 1.0, v7
	v_ldexp_f32 v6, v33, v6
	v_add_f32_e32 v33, 1.0, v20
	v_add_f32_e32 v35, -1.0, v34
	v_sub_f32_e32 v33, v7, v33
	v_sub_f32_e32 v7, v7, v35
	v_add_f32_e32 v33, v6, v33
	v_add_f32_e32 v6, v6, v7
	;; [unrolled: 1-line block ×3, first 2 shown]
	v_rcp_f32_e32 v65, v55
	v_sub_f32_e32 v7, v34, v55
	v_add_f32_e32 v64, v6, v7
	v_add_f32_e32 v7, v20, v33
	v_sub_f32_e32 v6, v20, v7
	v_add_f32_e32 v20, v33, v6
	v_mul_f32_e32 v33, v7, v65
	v_mul_f32_e32 v34, v55, v33
	v_fma_f32 v36, v33, v55, -v34
	v_fmac_f32_e32 v36, v33, v64
	v_add_f32_e32 v6, v34, v36
	v_sub_f32_e32 v35, v7, v6
	v_pk_add_f32 v[52:53], v[6:7], v[34:35] neg_lo:[0,1] neg_hi:[0,1]
	v_mov_b32_e32 v37, v6
	v_pk_add_f32 v[6:7], v[52:53], v[36:37] neg_lo:[0,1] neg_hi:[0,1]
	v_add_f32_e32 v7, v20, v7
	v_add_f32_e32 v6, v6, v7
	;; [unrolled: 1-line block ×3, first 2 shown]
	v_mul_f32_e32 v20, v65, v7
	v_mul_f32_e32 v34, v55, v20
	v_fma_f32 v36, v20, v55, -v34
	v_fmac_f32_e32 v36, v20, v64
	v_sub_f32_e32 v35, v35, v7
	v_add_f32_e32 v55, v6, v35
	v_add_f32_e32 v6, v34, v36
	v_sub_f32_e32 v35, v7, v6
	v_pk_add_f32 v[52:53], v[6:7], v[34:35] neg_lo:[0,1] neg_hi:[0,1]
	v_mov_b32_e32 v37, v6
	v_pk_add_f32 v[6:7], v[52:53], v[36:37] neg_lo:[0,1] neg_hi:[0,1]
	v_add_f32_e32 v7, v55, v7
	v_add_f32_e32 v6, v6, v7
	;; [unrolled: 1-line block ×4, first 2 shown]
	v_sub_f32_e32 v7, v35, v33
	v_mul_f32_e32 v6, v65, v6
	v_sub_f32_e32 v7, v20, v7
	v_add_f32_e32 v6, v7, v6
	v_add_f32_e32 v20, v35, v6
	v_mul_f32_e32 v33, v20, v20
	v_mov_b32_e32 v34, 0x3ecc95a3
	v_fmac_f32_e32 v34, 0x3e9b6dac, v33
	v_mov_b32_e32 v7, 0x3f2aaada
	v_fmac_f32_e32 v7, v33, v34
	v_cvt_f32_i32_e32 v34, v54
	v_sub_f32_e32 v35, v20, v35
	v_sub_f32_e32 v6, v6, v35
	v_ldexp_f32 v52, v6, 1
	v_mul_f32_e32 v35, v20, v33
	v_mov_b32_e32 v6, 0x3f317218
	s_mov_b32 s8, 0x3f317218
	v_pk_mul_f32 v[6:7], v[34:35], v[6:7]
	v_fma_f32 v36, v34, s8, -v6
	v_ldexp_f32 v37, v20, 1
	v_fmac_f32_e32 v36, 0xb102e308, v34
	v_pk_add_f32 v[34:35], v[6:7], v[36:37]
	v_sub_f32_e32 v20, v35, v37
	v_sub_f32_e32 v20, v7, v20
	v_add_f32_e32 v53, v52, v20
	v_mov_b32_e32 v52, v6
	v_pk_add_f32 v[6:7], v[34:35], v[6:7] neg_lo:[0,1] neg_hi:[0,1]
	v_pk_add_f32 v[54:55], v[34:35], v[52:53]
	v_mov_b32_e32 v7, v55
	v_mov_b32_e32 v37, v34
	v_pk_add_f32 v[64:65], v[36:37], v[6:7] neg_lo:[0,1] neg_hi:[0,1]
	v_pk_add_f32 v[6:7], v[36:37], v[6:7]
	v_mov_b32_e32 v20, v7
	v_pk_add_f32 v[36:37], v[20:21], v[34:35] neg_lo:[0,1] neg_hi:[0,1]
	v_mov_b32_e32 v33, v36
	v_pk_add_f32 v[66:67], v[54:55], v[32:33] neg_lo:[0,1] neg_hi:[0,1]
	v_mov_b32_e32 v6, v55
	v_mov_b32_e32 v54, v35
	;; [unrolled: 1-line block ×4, first 2 shown]
	v_pk_add_f32 v[6:7], v[6:7], v[54:55] neg_lo:[0,1] neg_hi:[0,1]
	v_mov_b32_e32 v36, v53
	v_mov_b32_e32 v37, v34
	v_pk_add_f32 v[6:7], v[36:37], v[6:7] neg_lo:[0,1] neg_hi:[0,1]
	v_mov_b32_e32 v66, v64
	v_pk_add_f32 v[34:35], v[66:67], v[6:7]
	v_mov_b32_e32 v36, v35
	v_pk_add_f32 v[36:37], v[34:35], v[36:37]
	v_pk_add_f32 v[52:53], v[20:21], v[36:37]
	v_mov_b32_e32 v35, v52
	v_pk_add_f32 v[54:55], v[34:35], v[64:65] neg_lo:[0,1] neg_hi:[0,1]
	v_mov_b32_e32 v7, v36
	v_sub_f32_e32 v20, v34, v54
	v_pk_add_f32 v[6:7], v[6:7], v[54:55] neg_lo:[0,1] neg_hi:[0,1]
	v_sub_f32_e32 v20, v64, v20
	v_add_f32_e32 v6, v6, v20
	v_cmp_eq_f32_e64 s[8:9], s13, v51
	s_mov_b32 s13, 0x33800000
	v_add_f32_e32 v6, v6, v7
	v_cmp_lt_f32_e64 s[14:15], |v51|, s13
	v_add_f32_e32 v6, v52, v6
	s_or_b64 s[8:9], s[8:9], s[14:15]
	v_cndmask_b32_e64 v6, v6, v51, s[8:9]
	v_add_f32_e32 v3, v3, v6
	v_cvt_f16_f32_e32 v33, v3
	v_cvt_f32_f16_e32 v34, v33
.LBB421_258:
	s_or_b64 exec, exec, s[10:11]
	v_cvt_f32_f16_e32 v3, v21
	v_max_f32_e32 v6, v34, v34
	v_cmp_u_f16_e64 s[10:11], v33, v33
	v_cmp_u_f16_e64 s[8:9], v21, v21
	v_min_f32_e32 v7, v6, v3
	v_max_f32_e32 v6, v6, v3
	v_cndmask_b32_e64 v7, v7, v34, s[10:11]
	v_cndmask_b32_e64 v6, v6, v34, s[10:11]
	;; [unrolled: 1-line block ×4, first 2 shown]
	v_cmp_neq_f32_e64 s[10:11], v7, v6
	v_cmp_class_f32_e64 s[12:13], v7, s12
	s_or_b64 s[10:11], s[10:11], s[12:13]
	s_and_saveexec_b64 s[12:13], s[10:11]
	s_cbranch_execz .LBB421_260
; %bb.259:
	v_sub_f32_e32 v7, v7, v6
	s_mov_b32 s10, 0x3fb8aa3b
	v_mul_f32_e32 v20, 0x3fb8aa3b, v7
	v_fma_f32 v33, v7, s10, -v20
	v_rndne_f32_e32 v34, v20
	v_fmac_f32_e32 v33, 0x32a5705f, v7
	v_sub_f32_e32 v20, v20, v34
	v_add_f32_e32 v20, v20, v33
	v_exp_f32_e32 v20, v20
	v_cvt_i32_f32_e32 v33, v34
	s_mov_b32 s10, 0xc2ce8ed0
	v_cmp_ngt_f32_e64 s[10:11], s10, v7
	s_mov_b32 s14, 0x7f800000
	v_ldexp_f32 v20, v20, v33
	v_cndmask_b32_e64 v20, 0, v20, s[10:11]
	s_mov_b32 s10, 0x42b17218
	v_mov_b32_e32 v33, 0x7f800000
	v_cmp_nlt_f32_e64 s[10:11], s10, v7
	v_cndmask_b32_e64 v33, v33, v20, s[10:11]
	v_add_f32_e32 v7, 1.0, v33
	v_add_f32_e32 v20, -1.0, v7
	v_sub_f32_e32 v34, v20, v7
	v_add_f32_e32 v34, 1.0, v34
	v_sub_f32_e32 v20, v33, v20
	v_add_f32_e32 v20, v20, v34
	v_frexp_mant_f32_e32 v36, v7
	s_mov_b32 s10, 0x3f2aaaab
	v_cvt_f64_f32_e32 v[34:35], v7
	v_frexp_exp_i32_f64_e32 v34, v[34:35]
	v_cmp_gt_f32_e64 s[10:11], s10, v36
	v_subbrev_co_u32_e64 v51, s[10:11], 0, v34, s[10:11]
	v_sub_u32_e32 v34, 0, v51
	v_ldexp_f32 v7, v7, v34
	v_ldexp_f32 v20, v20, v34
	v_add_f32_e32 v34, -1.0, v7
	v_add_f32_e32 v35, 1.0, v34
	v_sub_f32_e32 v35, v7, v35
	v_add_f32_e32 v36, v20, v35
	v_add_f32_e32 v35, 1.0, v7
	v_add_f32_e32 v37, -1.0, v35
	v_sub_f32_e32 v7, v7, v37
	v_add_f32_e32 v7, v20, v7
	v_add_f32_e32 v20, v35, v7
	v_rcp_f32_e32 v64, v20
	v_sub_f32_e32 v35, v35, v20
	v_add_f32_e32 v7, v7, v35
	v_add_f32_e32 v35, v34, v36
	v_sub_f32_e32 v34, v34, v35
	v_mul_f32_e32 v66, v35, v64
	v_add_f32_e32 v65, v36, v34
	v_mul_f32_e32 v36, v20, v66
	v_fma_f32 v52, v66, v20, -v36
	v_fmac_f32_e32 v52, v66, v7
	v_add_f32_e32 v34, v36, v52
	v_sub_f32_e32 v37, v35, v34
	v_pk_add_f32 v[54:55], v[34:35], v[36:37] neg_lo:[0,1] neg_hi:[0,1]
	v_mov_b32_e32 v53, v34
	v_pk_add_f32 v[34:35], v[54:55], v[52:53] neg_lo:[0,1] neg_hi:[0,1]
	v_add_f32_e32 v35, v65, v35
	v_add_f32_e32 v34, v34, v35
	;; [unrolled: 1-line block ×3, first 2 shown]
	v_mul_f32_e32 v65, v64, v35
	v_mul_f32_e32 v36, v20, v65
	v_fma_f32 v52, v65, v20, -v36
	v_fmac_f32_e32 v52, v65, v7
	v_sub_f32_e32 v7, v37, v35
	v_add_f32_e32 v7, v34, v7
	v_add_f32_e32 v34, v36, v52
	v_sub_f32_e32 v37, v35, v34
	v_pk_add_f32 v[54:55], v[34:35], v[36:37] neg_lo:[0,1] neg_hi:[0,1]
	v_mov_b32_e32 v53, v34
	v_pk_add_f32 v[34:35], v[54:55], v[52:53] neg_lo:[0,1] neg_hi:[0,1]
	v_add_f32_e32 v7, v7, v35
	v_add_f32_e32 v7, v34, v7
	;; [unrolled: 1-line block ×4, first 2 shown]
	v_sub_f32_e32 v34, v20, v66
	v_mul_f32_e32 v7, v64, v7
	v_sub_f32_e32 v34, v65, v34
	v_add_f32_e32 v7, v34, v7
	v_add_f32_e32 v34, v20, v7
	v_mul_f32_e32 v37, v34, v34
	v_mov_b32_e32 v36, 0x3ecc95a3
	v_fmac_f32_e32 v36, 0x3e9b6dac, v37
	v_mov_b32_e32 v35, 0x3f2aaada
	v_fmac_f32_e32 v35, v37, v36
	v_cvt_f32_i32_e32 v36, v51
	v_sub_f32_e32 v20, v34, v20
	v_ldexp_f32 v53, v34, 1
	v_mul_f32_e32 v37, v34, v37
	v_mov_b32_e32 v34, 0x3f317218
	s_mov_b32 s10, 0x3f317218
	v_pk_mul_f32 v[34:35], v[36:37], v[34:35]
	v_fma_f32 v52, v36, s10, -v34
	v_fmac_f32_e32 v52, 0xb102e308, v36
	v_pk_add_f32 v[36:37], v[34:35], v[52:53]
	v_sub_f32_e32 v7, v7, v20
	v_sub_f32_e32 v20, v37, v53
	v_ldexp_f32 v7, v7, 1
	v_sub_f32_e32 v20, v35, v20
	v_add_f32_e32 v55, v7, v20
	v_mov_b32_e32 v54, v34
	v_pk_add_f32 v[34:35], v[36:37], v[34:35] neg_lo:[0,1] neg_hi:[0,1]
	v_pk_add_f32 v[64:65], v[36:37], v[54:55]
	v_mov_b32_e32 v35, v65
	v_mov_b32_e32 v53, v36
	v_pk_add_f32 v[66:67], v[52:53], v[34:35] neg_lo:[0,1] neg_hi:[0,1]
	v_pk_add_f32 v[34:35], v[52:53], v[34:35]
	v_mov_b32_e32 v20, v35
	v_pk_add_f32 v[52:53], v[20:21], v[36:37] neg_lo:[0,1] neg_hi:[0,1]
	v_mov_b32_e32 v7, v52
	v_pk_add_f32 v[68:69], v[64:65], v[6:7] neg_lo:[0,1] neg_hi:[0,1]
	v_mov_b32_e32 v34, v65
	v_mov_b32_e32 v64, v37
	;; [unrolled: 1-line block ×4, first 2 shown]
	v_pk_add_f32 v[34:35], v[34:35], v[64:65] neg_lo:[0,1] neg_hi:[0,1]
	v_mov_b32_e32 v52, v55
	v_mov_b32_e32 v53, v36
	v_pk_add_f32 v[34:35], v[52:53], v[34:35] neg_lo:[0,1] neg_hi:[0,1]
	v_mov_b32_e32 v68, v66
	v_pk_add_f32 v[36:37], v[68:69], v[34:35]
	v_mov_b32_e32 v52, v37
	v_pk_add_f32 v[52:53], v[36:37], v[52:53]
	v_pk_add_f32 v[54:55], v[20:21], v[52:53]
	v_mov_b32_e32 v37, v54
	v_pk_add_f32 v[64:65], v[36:37], v[66:67] neg_lo:[0,1] neg_hi:[0,1]
	v_mov_b32_e32 v35, v52
	v_sub_f32_e32 v7, v36, v64
	v_pk_add_f32 v[34:35], v[34:35], v[64:65] neg_lo:[0,1] neg_hi:[0,1]
	v_sub_f32_e32 v7, v66, v7
	v_add_f32_e32 v7, v34, v7
	v_cmp_eq_f32_e64 s[10:11], s14, v33
	s_mov_b32 s14, 0x33800000
	v_add_f32_e32 v7, v7, v35
	v_cmp_lt_f32_e64 s[14:15], |v33|, s14
	v_add_f32_e32 v7, v54, v7
	s_or_b64 s[10:11], s[10:11], s[14:15]
	v_cndmask_b32_e64 v7, v7, v33, s[10:11]
	v_add_f32_e32 v6, v6, v7
	v_cvt_f16_f32_e32 v33, v6
	v_cvt_f32_f16_e32 v34, v33
.LBB421_260:
	s_or_b64 exec, exec, s[12:13]
	v_cvt_f32_f16_sdwa v6, v21 dst_sel:DWORD dst_unused:UNUSED_PAD src0_sel:WORD_1
	v_max_f32_e32 v7, v34, v34
	v_cmp_u_f16_e64 s[12:13], v33, v33
	v_cmp_u_f16_sdwa s[10:11], v21, v21 src0_sel:WORD_1 src1_sel:WORD_1
	v_min_f32_e32 v20, v7, v6
	v_max_f32_e32 v7, v7, v6
	v_cndmask_b32_e64 v20, v20, v34, s[12:13]
	v_cndmask_b32_e64 v7, v7, v34, s[12:13]
	;; [unrolled: 1-line block ×4, first 2 shown]
	s_movk_i32 s16, 0x1f8
	v_cmp_neq_f32_e64 s[12:13], v20, v7
	v_cmp_class_f32_e64 s[14:15], v20, s16
	s_or_b64 s[12:13], s[12:13], s[14:15]
	s_and_saveexec_b64 s[14:15], s[12:13]
	s_cbranch_execz .LBB421_262
; %bb.261:
	v_sub_f32_e32 v20, v20, v7
	s_mov_b32 s12, 0x3fb8aa3b
	v_mul_f32_e32 v21, 0x3fb8aa3b, v20
	v_fma_f32 v33, v20, s12, -v21
	v_rndne_f32_e32 v34, v21
	v_fmac_f32_e32 v33, 0x32a5705f, v20
	v_sub_f32_e32 v21, v21, v34
	v_add_f32_e32 v21, v21, v33
	v_exp_f32_e32 v21, v21
	v_cvt_i32_f32_e32 v33, v34
	s_mov_b32 s12, 0xc2ce8ed0
	v_cmp_ngt_f32_e64 s[12:13], s12, v20
	s_mov_b32 s17, 0x7f800000
	v_ldexp_f32 v21, v21, v33
	v_cndmask_b32_e64 v21, 0, v21, s[12:13]
	s_mov_b32 s12, 0x42b17218
	v_mov_b32_e32 v33, 0x7f800000
	v_cmp_nlt_f32_e64 s[12:13], s12, v20
	v_cndmask_b32_e64 v51, v33, v21, s[12:13]
	v_add_f32_e32 v33, 1.0, v51
	v_add_f32_e32 v20, -1.0, v33
	v_sub_f32_e32 v21, v20, v33
	v_add_f32_e32 v21, 1.0, v21
	v_sub_f32_e32 v20, v51, v20
	v_add_f32_e32 v34, v20, v21
	v_frexp_mant_f32_e32 v35, v33
	s_mov_b32 s12, 0x3f2aaaab
	v_cvt_f64_f32_e32 v[20:21], v33
	v_frexp_exp_i32_f64_e32 v20, v[20:21]
	v_cmp_gt_f32_e64 s[12:13], s12, v35
	v_subbrev_co_u32_e64 v54, s[12:13], 0, v20, s[12:13]
	v_sub_u32_e32 v20, 0, v54
	v_ldexp_f32 v21, v33, v20
	v_add_f32_e32 v33, -1.0, v21
	v_add_f32_e32 v35, 1.0, v21
	v_ldexp_f32 v20, v34, v20
	v_add_f32_e32 v34, 1.0, v33
	v_add_f32_e32 v36, -1.0, v35
	v_sub_f32_e32 v34, v21, v34
	v_sub_f32_e32 v21, v21, v36
	v_add_f32_e32 v34, v20, v34
	v_add_f32_e32 v20, v20, v21
	;; [unrolled: 1-line block ×3, first 2 shown]
	v_rcp_f32_e32 v65, v55
	v_sub_f32_e32 v21, v35, v55
	v_add_f32_e32 v64, v20, v21
	v_add_f32_e32 v21, v33, v34
	v_sub_f32_e32 v20, v33, v21
	v_mul_f32_e32 v66, v21, v65
	v_add_f32_e32 v33, v34, v20
	v_mul_f32_e32 v34, v55, v66
	v_fma_f32 v36, v66, v55, -v34
	v_fmac_f32_e32 v36, v66, v64
	v_add_f32_e32 v20, v34, v36
	v_sub_f32_e32 v35, v21, v20
	v_pk_add_f32 v[52:53], v[20:21], v[34:35] neg_lo:[0,1] neg_hi:[0,1]
	v_mov_b32_e32 v37, v20
	v_pk_add_f32 v[20:21], v[52:53], v[36:37] neg_lo:[0,1] neg_hi:[0,1]
	v_add_f32_e32 v21, v33, v21
	v_add_f32_e32 v20, v20, v21
	;; [unrolled: 1-line block ×3, first 2 shown]
	v_mul_f32_e32 v33, v65, v21
	v_mul_f32_e32 v34, v55, v33
	v_fma_f32 v36, v33, v55, -v34
	v_fmac_f32_e32 v36, v33, v64
	v_sub_f32_e32 v35, v35, v21
	v_add_f32_e32 v55, v20, v35
	v_add_f32_e32 v20, v34, v36
	v_sub_f32_e32 v35, v21, v20
	v_pk_add_f32 v[52:53], v[20:21], v[34:35] neg_lo:[0,1] neg_hi:[0,1]
	v_mov_b32_e32 v37, v20
	v_pk_add_f32 v[20:21], v[52:53], v[36:37] neg_lo:[0,1] neg_hi:[0,1]
	v_add_f32_e32 v21, v55, v21
	v_add_f32_e32 v20, v20, v21
	;; [unrolled: 1-line block ×4, first 2 shown]
	v_sub_f32_e32 v21, v35, v66
	v_mul_f32_e32 v20, v65, v20
	v_sub_f32_e32 v21, v33, v21
	v_add_f32_e32 v20, v21, v20
	v_add_f32_e32 v33, v35, v20
	v_mul_f32_e32 v36, v33, v33
	v_mov_b32_e32 v34, 0x3ecc95a3
	v_fmac_f32_e32 v34, 0x3e9b6dac, v36
	v_mov_b32_e32 v21, 0x3f2aaada
	v_fmac_f32_e32 v21, v36, v34
	v_cvt_f32_i32_e32 v34, v54
	v_sub_f32_e32 v35, v33, v35
	v_sub_f32_e32 v20, v20, v35
	v_ldexp_f32 v52, v20, 1
	v_mul_f32_e32 v35, v33, v36
	v_mov_b32_e32 v20, 0x3f317218
	s_mov_b32 s12, 0x3f317218
	v_pk_mul_f32 v[20:21], v[34:35], v[20:21]
	v_fma_f32 v36, v34, s12, -v20
	v_ldexp_f32 v37, v33, 1
	v_fmac_f32_e32 v36, 0xb102e308, v34
	v_pk_add_f32 v[34:35], v[20:21], v[36:37]
	v_sub_f32_e32 v33, v35, v37
	v_sub_f32_e32 v33, v21, v33
	v_add_f32_e32 v53, v52, v33
	v_mov_b32_e32 v52, v20
	v_pk_add_f32 v[20:21], v[34:35], v[20:21] neg_lo:[0,1] neg_hi:[0,1]
	v_pk_add_f32 v[54:55], v[34:35], v[52:53]
	v_mov_b32_e32 v21, v55
	v_mov_b32_e32 v37, v34
	v_pk_add_f32 v[64:65], v[36:37], v[20:21] neg_lo:[0,1] neg_hi:[0,1]
	v_pk_add_f32 v[20:21], v[36:37], v[20:21]
	v_mov_b32_e32 v36, v21
	v_pk_add_f32 v[66:67], v[36:37], v[34:35] neg_lo:[0,1] neg_hi:[0,1]
	v_mov_b32_e32 v33, v66
	v_pk_add_f32 v[68:69], v[54:55], v[32:33] neg_lo:[0,1] neg_hi:[0,1]
	v_mov_b32_e32 v20, v55
	v_mov_b32_e32 v54, v35
	;; [unrolled: 1-line block ×4, first 2 shown]
	v_pk_add_f32 v[20:21], v[20:21], v[54:55] neg_lo:[0,1] neg_hi:[0,1]
	v_mov_b32_e32 v52, v53
	v_mov_b32_e32 v53, v34
	v_pk_add_f32 v[20:21], v[52:53], v[20:21] neg_lo:[0,1] neg_hi:[0,1]
	v_mov_b32_e32 v68, v64
	v_pk_add_f32 v[34:35], v[68:69], v[20:21]
	v_mov_b32_e32 v52, v35
	v_pk_add_f32 v[52:53], v[34:35], v[52:53]
	v_pk_add_f32 v[36:37], v[36:37], v[52:53]
	v_mov_b32_e32 v35, v36
	v_pk_add_f32 v[54:55], v[34:35], v[64:65] neg_lo:[0,1] neg_hi:[0,1]
	v_mov_b32_e32 v21, v52
	v_sub_f32_e32 v33, v34, v54
	v_pk_add_f32 v[20:21], v[20:21], v[54:55] neg_lo:[0,1] neg_hi:[0,1]
	v_sub_f32_e32 v33, v64, v33
	v_add_f32_e32 v20, v20, v33
	v_cmp_eq_f32_e64 s[12:13], s17, v51
	s_mov_b32 s17, 0x33800000
	v_add_f32_e32 v20, v20, v21
	v_cmp_lt_f32_e64 s[18:19], |v51|, s17
	v_add_f32_e32 v20, v36, v20
	s_or_b64 s[12:13], s[12:13], s[18:19]
	v_cndmask_b32_e64 v20, v20, v51, s[12:13]
	v_add_f32_e32 v7, v7, v20
	v_cvt_f16_f32_e32 v33, v7
	v_cvt_f32_f16_e32 v34, v33
.LBB421_262:
	s_or_b64 exec, exec, s[14:15]
	v_cvt_f32_f16_e32 v7, v22
	v_max_f32_e32 v20, v34, v34
	v_cmp_u_f16_e64 s[14:15], v33, v33
	v_cmp_u_f16_e64 s[12:13], v22, v22
	v_min_f32_e32 v21, v20, v7
	v_max_f32_e32 v20, v20, v7
	v_cndmask_b32_e64 v21, v21, v34, s[14:15]
	v_cndmask_b32_e64 v20, v20, v34, s[14:15]
	;; [unrolled: 1-line block ×4, first 2 shown]
	v_cmp_neq_f32_e64 s[14:15], v21, v20
	v_cmp_class_f32_e64 s[16:17], v21, s16
	s_or_b64 s[14:15], s[14:15], s[16:17]
	s_and_saveexec_b64 s[16:17], s[14:15]
	s_cbranch_execz .LBB421_264
; %bb.263:
	v_sub_f32_e32 v21, v21, v20
	s_mov_b32 s14, 0x3fb8aa3b
	v_mul_f32_e32 v33, 0x3fb8aa3b, v21
	v_fma_f32 v34, v21, s14, -v33
	v_rndne_f32_e32 v35, v33
	v_fmac_f32_e32 v34, 0x32a5705f, v21
	v_sub_f32_e32 v33, v33, v35
	v_add_f32_e32 v33, v33, v34
	v_exp_f32_e32 v33, v33
	v_cvt_i32_f32_e32 v34, v35
	s_mov_b32 s14, 0xc2ce8ed0
	v_cmp_ngt_f32_e64 s[14:15], s14, v21
	s_mov_b32 s18, 0x7f800000
	v_ldexp_f32 v33, v33, v34
	v_cndmask_b32_e64 v33, 0, v33, s[14:15]
	s_mov_b32 s14, 0x42b17218
	v_mov_b32_e32 v34, 0x7f800000
	v_cmp_nlt_f32_e64 s[14:15], s14, v21
	v_cndmask_b32_e64 v33, v34, v33, s[14:15]
	v_add_f32_e32 v21, 1.0, v33
	v_add_f32_e32 v34, -1.0, v21
	v_sub_f32_e32 v35, v34, v21
	v_add_f32_e32 v35, 1.0, v35
	v_sub_f32_e32 v34, v33, v34
	v_add_f32_e32 v36, v34, v35
	v_frexp_mant_f32_e32 v37, v21
	s_mov_b32 s14, 0x3f2aaaab
	v_cvt_f64_f32_e32 v[34:35], v21
	v_frexp_exp_i32_f64_e32 v34, v[34:35]
	v_cmp_gt_f32_e64 s[14:15], s14, v37
	v_subbrev_co_u32_e64 v51, s[14:15], 0, v34, s[14:15]
	v_sub_u32_e32 v34, 0, v51
	v_ldexp_f32 v21, v21, v34
	v_ldexp_f32 v34, v36, v34
	v_add_f32_e32 v36, -1.0, v21
	v_add_f32_e32 v35, 1.0, v36
	v_sub_f32_e32 v35, v21, v35
	v_add_f32_e32 v37, v34, v35
	v_add_f32_e32 v35, 1.0, v21
	v_add_f32_e32 v52, -1.0, v35
	v_sub_f32_e32 v21, v21, v52
	v_add_f32_e32 v21, v34, v21
	v_add_f32_e32 v64, v35, v21
	v_rcp_f32_e32 v65, v64
	v_sub_f32_e32 v34, v35, v64
	v_add_f32_e32 v35, v36, v37
	v_add_f32_e32 v21, v21, v34
	v_mul_f32_e32 v67, v35, v65
	v_sub_f32_e32 v34, v36, v35
	v_mul_f32_e32 v36, v64, v67
	v_fma_f32 v52, v67, v64, -v36
	v_fmac_f32_e32 v52, v67, v21
	v_add_f32_e32 v66, v37, v34
	v_add_f32_e32 v34, v36, v52
	v_sub_f32_e32 v37, v35, v34
	v_pk_add_f32 v[54:55], v[34:35], v[36:37] neg_lo:[0,1] neg_hi:[0,1]
	v_mov_b32_e32 v53, v34
	v_pk_add_f32 v[34:35], v[54:55], v[52:53] neg_lo:[0,1] neg_hi:[0,1]
	v_add_f32_e32 v35, v66, v35
	v_add_f32_e32 v34, v34, v35
	;; [unrolled: 1-line block ×3, first 2 shown]
	v_mul_f32_e32 v66, v65, v35
	v_mul_f32_e32 v36, v64, v66
	v_fma_f32 v52, v66, v64, -v36
	v_fmac_f32_e32 v52, v66, v21
	v_sub_f32_e32 v21, v37, v35
	v_add_f32_e32 v21, v34, v21
	v_add_f32_e32 v34, v36, v52
	v_sub_f32_e32 v37, v35, v34
	v_pk_add_f32 v[54:55], v[34:35], v[36:37] neg_lo:[0,1] neg_hi:[0,1]
	v_mov_b32_e32 v53, v34
	v_pk_add_f32 v[34:35], v[54:55], v[52:53] neg_lo:[0,1] neg_hi:[0,1]
	v_add_f32_e32 v21, v21, v35
	v_add_f32_e32 v21, v34, v21
	;; [unrolled: 1-line block ×4, first 2 shown]
	v_sub_f32_e32 v35, v34, v67
	v_mul_f32_e32 v21, v65, v21
	v_sub_f32_e32 v35, v66, v35
	v_add_f32_e32 v21, v35, v21
	v_add_f32_e32 v37, v34, v21
	v_mul_f32_e32 v52, v37, v37
	v_mov_b32_e32 v36, 0x3ecc95a3
	v_fmac_f32_e32 v36, 0x3e9b6dac, v52
	v_mov_b32_e32 v35, 0x3f2aaada
	v_fmac_f32_e32 v35, v52, v36
	v_cvt_f32_i32_e32 v36, v51
	v_sub_f32_e32 v34, v37, v34
	v_sub_f32_e32 v21, v21, v34
	v_ldexp_f32 v53, v37, 1
	v_mul_f32_e32 v37, v37, v52
	v_mov_b32_e32 v34, 0x3f317218
	s_mov_b32 s14, 0x3f317218
	v_pk_mul_f32 v[34:35], v[36:37], v[34:35]
	v_fma_f32 v52, v36, s14, -v34
	v_fmac_f32_e32 v52, 0xb102e308, v36
	v_pk_add_f32 v[36:37], v[34:35], v[52:53]
	v_sub_f32_e32 v51, v37, v53
	v_ldexp_f32 v21, v21, 1
	v_sub_f32_e32 v51, v35, v51
	v_add_f32_e32 v55, v21, v51
	v_mov_b32_e32 v54, v34
	v_pk_add_f32 v[34:35], v[36:37], v[34:35] neg_lo:[0,1] neg_hi:[0,1]
	v_pk_add_f32 v[64:65], v[36:37], v[54:55]
	v_mov_b32_e32 v35, v65
	v_mov_b32_e32 v53, v36
	v_pk_add_f32 v[66:67], v[52:53], v[34:35] neg_lo:[0,1] neg_hi:[0,1]
	v_pk_add_f32 v[34:35], v[52:53], v[34:35]
	v_mov_b32_e32 v52, v35
	v_pk_add_f32 v[68:69], v[52:53], v[36:37] neg_lo:[0,1] neg_hi:[0,1]
	v_mov_b32_e32 v21, v68
	v_pk_add_f32 v[70:71], v[64:65], v[20:21] neg_lo:[0,1] neg_hi:[0,1]
	v_mov_b32_e32 v34, v65
	v_mov_b32_e32 v64, v37
	;; [unrolled: 1-line block ×4, first 2 shown]
	v_pk_add_f32 v[34:35], v[34:35], v[64:65] neg_lo:[0,1] neg_hi:[0,1]
	v_mov_b32_e32 v54, v55
	v_mov_b32_e32 v55, v36
	v_pk_add_f32 v[34:35], v[54:55], v[34:35] neg_lo:[0,1] neg_hi:[0,1]
	v_mov_b32_e32 v70, v66
	v_pk_add_f32 v[36:37], v[70:71], v[34:35]
	v_mov_b32_e32 v54, v37
	v_pk_add_f32 v[54:55], v[36:37], v[54:55]
	v_pk_add_f32 v[52:53], v[52:53], v[54:55]
	v_mov_b32_e32 v37, v52
	v_pk_add_f32 v[64:65], v[36:37], v[66:67] neg_lo:[0,1] neg_hi:[0,1]
	v_mov_b32_e32 v35, v54
	v_sub_f32_e32 v21, v36, v64
	v_pk_add_f32 v[34:35], v[34:35], v[64:65] neg_lo:[0,1] neg_hi:[0,1]
	v_sub_f32_e32 v21, v66, v21
	v_add_f32_e32 v21, v34, v21
	v_cmp_eq_f32_e64 s[14:15], s18, v33
	s_mov_b32 s18, 0x33800000
	v_add_f32_e32 v21, v21, v35
	v_cmp_lt_f32_e64 s[18:19], |v33|, s18
	v_add_f32_e32 v21, v52, v21
	s_or_b64 s[14:15], s[14:15], s[18:19]
	v_cndmask_b32_e64 v21, v21, v33, s[14:15]
	v_add_f32_e32 v20, v20, v21
	v_cvt_f16_f32_e32 v33, v20
	v_cvt_f32_f16_e32 v34, v33
.LBB421_264:
	s_or_b64 exec, exec, s[16:17]
	v_cvt_f32_f16_sdwa v20, v22 dst_sel:DWORD dst_unused:UNUSED_PAD src0_sel:WORD_1
	v_max_f32_e32 v21, v34, v34
	v_cmp_u_f16_e64 s[16:17], v33, v33
	v_cmp_u_f16_sdwa s[14:15], v22, v22 src0_sel:WORD_1 src1_sel:WORD_1
	v_min_f32_e32 v35, v21, v20
	v_max_f32_e32 v21, v21, v20
	v_cndmask_b32_e64 v35, v35, v34, s[16:17]
	v_cndmask_b32_e64 v21, v21, v34, s[16:17]
	v_cndmask_b32_e64 v22, v35, v20, s[14:15]
	v_cndmask_b32_e64 v21, v21, v20, s[14:15]
	s_movk_i32 s20, 0x1f8
	v_cmp_neq_f32_e64 s[16:17], v22, v21
	v_cmp_class_f32_e64 s[18:19], v22, s20
	s_or_b64 s[16:17], s[16:17], s[18:19]
	s_and_saveexec_b64 s[18:19], s[16:17]
	s_cbranch_execz .LBB421_266
; %bb.265:
	v_sub_f32_e32 v22, v22, v21
	s_mov_b32 s16, 0x3fb8aa3b
	v_mul_f32_e32 v33, 0x3fb8aa3b, v22
	v_fma_f32 v34, v22, s16, -v33
	v_rndne_f32_e32 v35, v33
	v_fmac_f32_e32 v34, 0x32a5705f, v22
	v_sub_f32_e32 v33, v33, v35
	v_add_f32_e32 v33, v33, v34
	v_exp_f32_e32 v33, v33
	v_cvt_i32_f32_e32 v34, v35
	s_mov_b32 s16, 0xc2ce8ed0
	v_cmp_ngt_f32_e64 s[16:17], s16, v22
	s_mov_b32 s21, 0x7f800000
	v_ldexp_f32 v33, v33, v34
	v_cndmask_b32_e64 v33, 0, v33, s[16:17]
	s_mov_b32 s16, 0x42b17218
	v_mov_b32_e32 v34, 0x7f800000
	v_cmp_nlt_f32_e64 s[16:17], s16, v22
	v_cndmask_b32_e64 v51, v34, v33, s[16:17]
	v_add_f32_e32 v22, 1.0, v51
	v_add_f32_e32 v33, -1.0, v22
	v_sub_f32_e32 v34, v33, v22
	v_add_f32_e32 v34, 1.0, v34
	v_sub_f32_e32 v33, v51, v33
	v_add_f32_e32 v33, v33, v34
	v_frexp_mant_f32_e32 v36, v22
	s_mov_b32 s16, 0x3f2aaaab
	v_cvt_f64_f32_e32 v[34:35], v22
	v_frexp_exp_i32_f64_e32 v34, v[34:35]
	v_cmp_gt_f32_e64 s[16:17], s16, v36
	v_subbrev_co_u32_e64 v64, s[16:17], 0, v34, s[16:17]
	v_sub_u32_e32 v34, 0, v64
	v_ldexp_f32 v22, v22, v34
	v_ldexp_f32 v33, v33, v34
	v_add_f32_e32 v34, -1.0, v22
	v_add_f32_e32 v35, 1.0, v34
	v_sub_f32_e32 v35, v22, v35
	v_add_f32_e32 v36, v33, v35
	v_add_f32_e32 v35, 1.0, v22
	v_add_f32_e32 v37, -1.0, v35
	v_sub_f32_e32 v22, v22, v37
	v_add_f32_e32 v22, v33, v22
	v_add_f32_e32 v33, v35, v22
	v_rcp_f32_e32 v65, v33
	v_sub_f32_e32 v35, v35, v33
	v_add_f32_e32 v22, v22, v35
	v_add_f32_e32 v35, v34, v36
	v_sub_f32_e32 v34, v34, v35
	v_mul_f32_e32 v67, v35, v65
	v_add_f32_e32 v66, v36, v34
	v_mul_f32_e32 v36, v33, v67
	v_fma_f32 v52, v67, v33, -v36
	v_fmac_f32_e32 v52, v67, v22
	v_add_f32_e32 v34, v36, v52
	v_sub_f32_e32 v37, v35, v34
	v_pk_add_f32 v[54:55], v[34:35], v[36:37] neg_lo:[0,1] neg_hi:[0,1]
	v_mov_b32_e32 v53, v34
	v_pk_add_f32 v[34:35], v[54:55], v[52:53] neg_lo:[0,1] neg_hi:[0,1]
	v_add_f32_e32 v35, v66, v35
	v_add_f32_e32 v34, v34, v35
	;; [unrolled: 1-line block ×3, first 2 shown]
	v_mul_f32_e32 v66, v65, v35
	v_mul_f32_e32 v36, v33, v66
	v_fma_f32 v52, v66, v33, -v36
	v_fmac_f32_e32 v52, v66, v22
	v_sub_f32_e32 v22, v37, v35
	v_add_f32_e32 v22, v34, v22
	v_add_f32_e32 v34, v36, v52
	v_sub_f32_e32 v37, v35, v34
	v_pk_add_f32 v[54:55], v[34:35], v[36:37] neg_lo:[0,1] neg_hi:[0,1]
	v_mov_b32_e32 v53, v34
	v_pk_add_f32 v[34:35], v[54:55], v[52:53] neg_lo:[0,1] neg_hi:[0,1]
	v_add_f32_e32 v22, v22, v35
	v_add_f32_e32 v22, v34, v22
	;; [unrolled: 1-line block ×4, first 2 shown]
	v_sub_f32_e32 v34, v33, v67
	v_mul_f32_e32 v22, v65, v22
	v_sub_f32_e32 v34, v66, v34
	v_add_f32_e32 v22, v34, v22
	v_add_f32_e32 v34, v33, v22
	v_mul_f32_e32 v37, v34, v34
	v_mov_b32_e32 v36, 0x3ecc95a3
	v_fmac_f32_e32 v36, 0x3e9b6dac, v37
	v_mov_b32_e32 v35, 0x3f2aaada
	v_fmac_f32_e32 v35, v37, v36
	v_cvt_f32_i32_e32 v36, v64
	v_sub_f32_e32 v33, v34, v33
	v_ldexp_f32 v53, v34, 1
	v_mul_f32_e32 v37, v34, v37
	v_mov_b32_e32 v34, 0x3f317218
	s_mov_b32 s16, 0x3f317218
	v_pk_mul_f32 v[34:35], v[36:37], v[34:35]
	v_fma_f32 v52, v36, s16, -v34
	v_fmac_f32_e32 v52, 0xb102e308, v36
	v_pk_add_f32 v[36:37], v[34:35], v[52:53]
	v_sub_f32_e32 v22, v22, v33
	v_sub_f32_e32 v33, v37, v53
	v_ldexp_f32 v22, v22, 1
	v_sub_f32_e32 v33, v35, v33
	v_add_f32_e32 v55, v22, v33
	v_mov_b32_e32 v54, v34
	v_pk_add_f32 v[34:35], v[36:37], v[34:35] neg_lo:[0,1] neg_hi:[0,1]
	v_pk_add_f32 v[64:65], v[36:37], v[54:55]
	v_mov_b32_e32 v35, v65
	v_mov_b32_e32 v53, v36
	v_pk_add_f32 v[66:67], v[52:53], v[34:35] neg_lo:[0,1] neg_hi:[0,1]
	v_pk_add_f32 v[34:35], v[52:53], v[34:35]
	v_mov_b32_e32 v22, v35
	v_pk_add_f32 v[52:53], v[22:23], v[36:37] neg_lo:[0,1] neg_hi:[0,1]
	v_mov_b32_e32 v33, v52
	v_pk_add_f32 v[68:69], v[64:65], v[32:33] neg_lo:[0,1] neg_hi:[0,1]
	v_mov_b32_e32 v34, v65
	v_mov_b32_e32 v64, v37
	;; [unrolled: 1-line block ×4, first 2 shown]
	v_pk_add_f32 v[34:35], v[34:35], v[64:65] neg_lo:[0,1] neg_hi:[0,1]
	v_mov_b32_e32 v52, v55
	v_mov_b32_e32 v53, v36
	v_pk_add_f32 v[34:35], v[52:53], v[34:35] neg_lo:[0,1] neg_hi:[0,1]
	v_mov_b32_e32 v68, v66
	v_pk_add_f32 v[36:37], v[68:69], v[34:35]
	v_mov_b32_e32 v52, v37
	v_pk_add_f32 v[52:53], v[36:37], v[52:53]
	v_pk_add_f32 v[54:55], v[22:23], v[52:53]
	v_mov_b32_e32 v37, v54
	v_pk_add_f32 v[64:65], v[36:37], v[66:67] neg_lo:[0,1] neg_hi:[0,1]
	v_mov_b32_e32 v35, v52
	v_sub_f32_e32 v22, v36, v64
	v_pk_add_f32 v[34:35], v[34:35], v[64:65] neg_lo:[0,1] neg_hi:[0,1]
	v_sub_f32_e32 v22, v66, v22
	v_add_f32_e32 v22, v34, v22
	v_cmp_eq_f32_e64 s[16:17], s21, v51
	s_mov_b32 s21, 0x33800000
	v_add_f32_e32 v22, v22, v35
	v_cmp_lt_f32_e64 s[22:23], |v51|, s21
	v_add_f32_e32 v22, v54, v22
	s_or_b64 s[16:17], s[16:17], s[22:23]
	v_cndmask_b32_e64 v22, v22, v51, s[16:17]
	v_add_f32_e32 v21, v21, v22
	v_cvt_f16_f32_e32 v33, v21
	v_cvt_f32_f16_e32 v34, v33
.LBB421_266:
	s_or_b64 exec, exec, s[18:19]
	v_cvt_f32_f16_e32 v21, v23
	v_max_f32_e32 v22, v34, v34
	v_cmp_u_f16_e64 s[18:19], v33, v33
	v_cmp_u_f16_e64 s[16:17], v23, v23
	v_min_f32_e32 v35, v22, v21
	v_max_f32_e32 v22, v22, v21
	v_cndmask_b32_e64 v35, v35, v34, s[18:19]
	v_cndmask_b32_e64 v22, v22, v34, s[18:19]
	;; [unrolled: 1-line block ×4, first 2 shown]
	v_cmp_neq_f32_e64 s[18:19], v35, v22
	v_cmp_class_f32_e64 s[20:21], v35, s20
	s_or_b64 s[18:19], s[18:19], s[20:21]
	s_and_saveexec_b64 s[20:21], s[18:19]
	s_cbranch_execz .LBB421_268
; %bb.267:
	v_sub_f32_e32 v33, v35, v22
	s_mov_b32 s18, 0x3fb8aa3b
	v_mul_f32_e32 v34, 0x3fb8aa3b, v33
	v_fma_f32 v35, v33, s18, -v34
	v_rndne_f32_e32 v36, v34
	v_fmac_f32_e32 v35, 0x32a5705f, v33
	v_sub_f32_e32 v34, v34, v36
	v_add_f32_e32 v34, v34, v35
	v_exp_f32_e32 v34, v34
	v_cvt_i32_f32_e32 v35, v36
	s_mov_b32 s18, 0xc2ce8ed0
	v_cmp_ngt_f32_e64 s[18:19], s18, v33
	s_mov_b32 s22, 0x7f800000
	v_ldexp_f32 v34, v34, v35
	v_cndmask_b32_e64 v34, 0, v34, s[18:19]
	s_mov_b32 s18, 0x42b17218
	v_mov_b32_e32 v35, 0x7f800000
	v_cmp_nlt_f32_e64 s[18:19], s18, v33
	v_cndmask_b32_e64 v51, v35, v34, s[18:19]
	v_add_f32_e32 v33, 1.0, v51
	v_add_f32_e32 v34, -1.0, v33
	v_sub_f32_e32 v35, v34, v33
	v_add_f32_e32 v35, 1.0, v35
	v_sub_f32_e32 v34, v51, v34
	v_add_f32_e32 v36, v34, v35
	v_frexp_mant_f32_e32 v37, v33
	s_mov_b32 s18, 0x3f2aaaab
	v_cvt_f64_f32_e32 v[34:35], v33
	v_frexp_exp_i32_f64_e32 v34, v[34:35]
	v_cmp_gt_f32_e64 s[18:19], s18, v37
	v_subbrev_co_u32_e64 v64, s[18:19], 0, v34, s[18:19]
	v_sub_u32_e32 v34, 0, v64
	v_ldexp_f32 v33, v33, v34
	v_ldexp_f32 v34, v36, v34
	v_add_f32_e32 v36, -1.0, v33
	v_add_f32_e32 v35, 1.0, v36
	v_sub_f32_e32 v35, v33, v35
	v_add_f32_e32 v37, v34, v35
	v_add_f32_e32 v35, 1.0, v33
	v_add_f32_e32 v52, -1.0, v35
	v_sub_f32_e32 v33, v33, v52
	v_add_f32_e32 v33, v34, v33
	v_add_f32_e32 v65, v35, v33
	v_rcp_f32_e32 v66, v65
	v_sub_f32_e32 v34, v35, v65
	v_add_f32_e32 v35, v36, v37
	v_add_f32_e32 v33, v33, v34
	v_mul_f32_e32 v68, v35, v66
	v_sub_f32_e32 v34, v36, v35
	v_mul_f32_e32 v36, v65, v68
	v_fma_f32 v52, v68, v65, -v36
	v_fmac_f32_e32 v52, v68, v33
	v_add_f32_e32 v67, v37, v34
	v_add_f32_e32 v34, v36, v52
	v_sub_f32_e32 v37, v35, v34
	v_pk_add_f32 v[54:55], v[34:35], v[36:37] neg_lo:[0,1] neg_hi:[0,1]
	v_mov_b32_e32 v53, v34
	v_pk_add_f32 v[34:35], v[54:55], v[52:53] neg_lo:[0,1] neg_hi:[0,1]
	v_add_f32_e32 v35, v67, v35
	v_add_f32_e32 v34, v34, v35
	;; [unrolled: 1-line block ×3, first 2 shown]
	v_mul_f32_e32 v67, v66, v35
	v_mul_f32_e32 v36, v65, v67
	v_fma_f32 v52, v67, v65, -v36
	v_fmac_f32_e32 v52, v67, v33
	v_sub_f32_e32 v33, v37, v35
	v_add_f32_e32 v33, v34, v33
	v_add_f32_e32 v34, v36, v52
	v_sub_f32_e32 v37, v35, v34
	v_pk_add_f32 v[54:55], v[34:35], v[36:37] neg_lo:[0,1] neg_hi:[0,1]
	v_mov_b32_e32 v53, v34
	v_pk_add_f32 v[34:35], v[54:55], v[52:53] neg_lo:[0,1] neg_hi:[0,1]
	v_add_f32_e32 v33, v33, v35
	v_add_f32_e32 v33, v34, v33
	;; [unrolled: 1-line block ×4, first 2 shown]
	v_sub_f32_e32 v35, v34, v68
	v_mul_f32_e32 v33, v66, v33
	v_sub_f32_e32 v35, v67, v35
	v_add_f32_e32 v33, v35, v33
	v_add_f32_e32 v37, v34, v33
	v_mul_f32_e32 v52, v37, v37
	v_mov_b32_e32 v36, 0x3ecc95a3
	v_fmac_f32_e32 v36, 0x3e9b6dac, v52
	v_mov_b32_e32 v35, 0x3f2aaada
	v_fmac_f32_e32 v35, v52, v36
	v_cvt_f32_i32_e32 v36, v64
	v_sub_f32_e32 v34, v37, v34
	v_sub_f32_e32 v33, v33, v34
	v_ldexp_f32 v53, v37, 1
	v_mul_f32_e32 v37, v37, v52
	v_mov_b32_e32 v34, 0x3f317218
	s_mov_b32 s18, 0x3f317218
	v_pk_mul_f32 v[34:35], v[36:37], v[34:35]
	v_fma_f32 v52, v36, s18, -v34
	v_fmac_f32_e32 v52, 0xb102e308, v36
	v_pk_add_f32 v[36:37], v[34:35], v[52:53]
	v_sub_f32_e32 v53, v37, v53
	v_ldexp_f32 v33, v33, 1
	v_sub_f32_e32 v53, v35, v53
	v_add_f32_e32 v55, v33, v53
	v_mov_b32_e32 v54, v34
	v_pk_add_f32 v[34:35], v[36:37], v[34:35] neg_lo:[0,1] neg_hi:[0,1]
	v_pk_add_f32 v[64:65], v[36:37], v[54:55]
	v_mov_b32_e32 v35, v65
	v_mov_b32_e32 v53, v36
	v_pk_add_f32 v[66:67], v[52:53], v[34:35] neg_lo:[0,1] neg_hi:[0,1]
	v_pk_add_f32 v[34:35], v[52:53], v[34:35]
	v_mov_b32_e32 v52, v35
	v_pk_add_f32 v[68:69], v[52:53], v[36:37] neg_lo:[0,1] neg_hi:[0,1]
	v_mov_b32_e32 v33, v68
	v_pk_add_f32 v[70:71], v[64:65], v[32:33] neg_lo:[0,1] neg_hi:[0,1]
	v_mov_b32_e32 v34, v65
	v_mov_b32_e32 v64, v37
	;; [unrolled: 1-line block ×4, first 2 shown]
	v_pk_add_f32 v[34:35], v[34:35], v[64:65] neg_lo:[0,1] neg_hi:[0,1]
	v_mov_b32_e32 v54, v55
	v_mov_b32_e32 v55, v36
	v_pk_add_f32 v[34:35], v[54:55], v[34:35] neg_lo:[0,1] neg_hi:[0,1]
	v_mov_b32_e32 v70, v66
	v_pk_add_f32 v[36:37], v[70:71], v[34:35]
	v_mov_b32_e32 v54, v37
	v_pk_add_f32 v[54:55], v[36:37], v[54:55]
	v_pk_add_f32 v[52:53], v[52:53], v[54:55]
	v_mov_b32_e32 v37, v52
	v_pk_add_f32 v[64:65], v[36:37], v[66:67] neg_lo:[0,1] neg_hi:[0,1]
	v_mov_b32_e32 v35, v54
	v_sub_f32_e32 v33, v36, v64
	v_pk_add_f32 v[34:35], v[34:35], v[64:65] neg_lo:[0,1] neg_hi:[0,1]
	v_sub_f32_e32 v33, v66, v33
	v_add_f32_e32 v33, v34, v33
	v_cmp_eq_f32_e64 s[18:19], s22, v51
	s_mov_b32 s22, 0x33800000
	v_add_f32_e32 v33, v33, v35
	v_cmp_lt_f32_e64 s[22:23], |v51|, s22
	v_add_f32_e32 v33, v52, v33
	s_or_b64 s[18:19], s[18:19], s[22:23]
	v_cndmask_b32_e64 v33, v33, v51, s[18:19]
	v_add_f32_e32 v22, v22, v33
	v_cvt_f16_f32_e32 v33, v22
	v_cvt_f32_f16_e32 v34, v33
.LBB421_268:
	s_or_b64 exec, exec, s[20:21]
	v_cvt_f32_f16_sdwa v22, v23 dst_sel:DWORD dst_unused:UNUSED_PAD src0_sel:WORD_1
	v_max_f32_e32 v36, v34, v34
	v_cmp_u_f16_e64 s[20:21], v33, v33
	v_cmp_u_f16_sdwa s[18:19], v23, v23 src0_sel:WORD_1 src1_sel:WORD_1
	v_min_f32_e32 v35, v36, v22
	v_max_f32_e32 v23, v36, v22
	v_cndmask_b32_e64 v35, v35, v34, s[20:21]
	v_cndmask_b32_e64 v23, v23, v34, s[20:21]
	;; [unrolled: 1-line block ×4, first 2 shown]
	s_movk_i32 s24, 0x1f8
	v_cmp_neq_f32_e64 s[20:21], v35, v23
	v_cmp_class_f32_e64 s[22:23], v35, s24
	s_or_b64 s[20:21], s[20:21], s[22:23]
	s_and_saveexec_b64 s[22:23], s[20:21]
	s_cbranch_execz .LBB421_270
; %bb.269:
	v_sub_f32_e32 v33, v35, v23
	s_mov_b32 s20, 0x3fb8aa3b
	v_mul_f32_e32 v34, 0x3fb8aa3b, v33
	v_fma_f32 v35, v33, s20, -v34
	v_rndne_f32_e32 v36, v34
	v_fmac_f32_e32 v35, 0x32a5705f, v33
	v_sub_f32_e32 v34, v34, v36
	v_add_f32_e32 v34, v34, v35
	v_exp_f32_e32 v34, v34
	v_cvt_i32_f32_e32 v35, v36
	s_mov_b32 s20, 0xc2ce8ed0
	v_cmp_ngt_f32_e64 s[20:21], s20, v33
	s_mov_b32 s25, 0x7f800000
	v_ldexp_f32 v34, v34, v35
	v_cndmask_b32_e64 v34, 0, v34, s[20:21]
	s_mov_b32 s20, 0x42b17218
	v_mov_b32_e32 v35, 0x7f800000
	v_cmp_nlt_f32_e64 s[20:21], s20, v33
	v_cndmask_b32_e64 v51, v35, v34, s[20:21]
	v_add_f32_e32 v33, 1.0, v51
	v_add_f32_e32 v34, -1.0, v33
	v_sub_f32_e32 v35, v34, v33
	v_add_f32_e32 v35, 1.0, v35
	v_sub_f32_e32 v34, v51, v34
	v_add_f32_e32 v36, v34, v35
	v_frexp_mant_f32_e32 v37, v33
	s_mov_b32 s20, 0x3f2aaaab
	v_cvt_f64_f32_e32 v[34:35], v33
	v_frexp_exp_i32_f64_e32 v34, v[34:35]
	v_cmp_gt_f32_e64 s[20:21], s20, v37
	v_subbrev_co_u32_e64 v64, s[20:21], 0, v34, s[20:21]
	v_sub_u32_e32 v34, 0, v64
	v_ldexp_f32 v33, v33, v34
	v_ldexp_f32 v34, v36, v34
	v_add_f32_e32 v36, -1.0, v33
	v_add_f32_e32 v35, 1.0, v36
	v_sub_f32_e32 v35, v33, v35
	v_add_f32_e32 v37, v34, v35
	v_add_f32_e32 v35, 1.0, v33
	v_add_f32_e32 v52, -1.0, v35
	v_sub_f32_e32 v33, v33, v52
	v_add_f32_e32 v33, v34, v33
	v_add_f32_e32 v65, v35, v33
	v_rcp_f32_e32 v66, v65
	v_sub_f32_e32 v34, v35, v65
	v_add_f32_e32 v35, v36, v37
	v_add_f32_e32 v33, v33, v34
	v_mul_f32_e32 v68, v35, v66
	v_sub_f32_e32 v34, v36, v35
	v_mul_f32_e32 v36, v65, v68
	v_fma_f32 v52, v68, v65, -v36
	v_fmac_f32_e32 v52, v68, v33
	v_add_f32_e32 v67, v37, v34
	v_add_f32_e32 v34, v36, v52
	v_sub_f32_e32 v37, v35, v34
	v_pk_add_f32 v[54:55], v[34:35], v[36:37] neg_lo:[0,1] neg_hi:[0,1]
	v_mov_b32_e32 v53, v34
	v_pk_add_f32 v[34:35], v[54:55], v[52:53] neg_lo:[0,1] neg_hi:[0,1]
	v_add_f32_e32 v35, v67, v35
	v_add_f32_e32 v34, v34, v35
	;; [unrolled: 1-line block ×3, first 2 shown]
	v_mul_f32_e32 v67, v66, v35
	v_mul_f32_e32 v36, v65, v67
	v_fma_f32 v52, v67, v65, -v36
	v_fmac_f32_e32 v52, v67, v33
	v_sub_f32_e32 v33, v37, v35
	v_add_f32_e32 v33, v34, v33
	v_add_f32_e32 v34, v36, v52
	v_sub_f32_e32 v37, v35, v34
	v_pk_add_f32 v[54:55], v[34:35], v[36:37] neg_lo:[0,1] neg_hi:[0,1]
	v_mov_b32_e32 v53, v34
	v_pk_add_f32 v[34:35], v[54:55], v[52:53] neg_lo:[0,1] neg_hi:[0,1]
	v_add_f32_e32 v33, v33, v35
	v_add_f32_e32 v33, v34, v33
	;; [unrolled: 1-line block ×4, first 2 shown]
	v_sub_f32_e32 v35, v34, v68
	v_mul_f32_e32 v33, v66, v33
	v_sub_f32_e32 v35, v67, v35
	v_add_f32_e32 v33, v35, v33
	v_add_f32_e32 v37, v34, v33
	v_mul_f32_e32 v52, v37, v37
	v_mov_b32_e32 v36, 0x3ecc95a3
	v_fmac_f32_e32 v36, 0x3e9b6dac, v52
	v_mov_b32_e32 v35, 0x3f2aaada
	v_fmac_f32_e32 v35, v52, v36
	v_cvt_f32_i32_e32 v36, v64
	v_sub_f32_e32 v34, v37, v34
	v_sub_f32_e32 v33, v33, v34
	v_ldexp_f32 v53, v37, 1
	v_mul_f32_e32 v37, v37, v52
	v_mov_b32_e32 v34, 0x3f317218
	s_mov_b32 s20, 0x3f317218
	v_pk_mul_f32 v[34:35], v[36:37], v[34:35]
	v_fma_f32 v52, v36, s20, -v34
	v_fmac_f32_e32 v52, 0xb102e308, v36
	v_pk_add_f32 v[36:37], v[34:35], v[52:53]
	v_sub_f32_e32 v53, v37, v53
	v_ldexp_f32 v33, v33, 1
	v_sub_f32_e32 v53, v35, v53
	v_add_f32_e32 v55, v33, v53
	v_mov_b32_e32 v54, v34
	v_pk_add_f32 v[34:35], v[36:37], v[34:35] neg_lo:[0,1] neg_hi:[0,1]
	v_pk_add_f32 v[64:65], v[36:37], v[54:55]
	v_mov_b32_e32 v35, v65
	v_mov_b32_e32 v53, v36
	v_pk_add_f32 v[66:67], v[52:53], v[34:35] neg_lo:[0,1] neg_hi:[0,1]
	v_pk_add_f32 v[34:35], v[52:53], v[34:35]
	v_mov_b32_e32 v52, v35
	v_pk_add_f32 v[68:69], v[52:53], v[36:37] neg_lo:[0,1] neg_hi:[0,1]
	v_mov_b32_e32 v33, v68
	v_pk_add_f32 v[70:71], v[64:65], v[32:33] neg_lo:[0,1] neg_hi:[0,1]
	v_mov_b32_e32 v34, v65
	v_mov_b32_e32 v64, v37
	;; [unrolled: 1-line block ×4, first 2 shown]
	v_pk_add_f32 v[34:35], v[34:35], v[64:65] neg_lo:[0,1] neg_hi:[0,1]
	v_mov_b32_e32 v54, v55
	v_mov_b32_e32 v55, v36
	v_pk_add_f32 v[34:35], v[54:55], v[34:35] neg_lo:[0,1] neg_hi:[0,1]
	v_mov_b32_e32 v70, v66
	v_pk_add_f32 v[36:37], v[70:71], v[34:35]
	v_mov_b32_e32 v54, v37
	v_pk_add_f32 v[54:55], v[36:37], v[54:55]
	v_pk_add_f32 v[52:53], v[52:53], v[54:55]
	v_mov_b32_e32 v37, v52
	v_pk_add_f32 v[64:65], v[36:37], v[66:67] neg_lo:[0,1] neg_hi:[0,1]
	v_mov_b32_e32 v35, v54
	v_sub_f32_e32 v33, v36, v64
	v_pk_add_f32 v[34:35], v[34:35], v[64:65] neg_lo:[0,1] neg_hi:[0,1]
	v_sub_f32_e32 v33, v66, v33
	v_add_f32_e32 v33, v34, v33
	v_cmp_eq_f32_e64 s[20:21], s25, v51
	s_mov_b32 s25, 0x33800000
	v_add_f32_e32 v33, v33, v35
	v_cmp_lt_f32_e64 s[26:27], |v51|, s25
	v_add_f32_e32 v33, v52, v33
	s_or_b64 s[20:21], s[20:21], s[26:27]
	v_cndmask_b32_e64 v33, v33, v51, s[20:21]
	v_add_f32_e32 v23, v23, v33
	v_cvt_f16_f32_e32 v33, v23
	v_cvt_f32_f16_e32 v34, v33
.LBB421_270:
	s_or_b64 exec, exec, s[22:23]
	v_cvt_f32_f16_e32 v23, v16
	v_max_f32_e32 v35, v34, v34
	v_cmp_u_f16_e64 s[22:23], v33, v33
	v_cmp_u_f16_e64 s[20:21], v16, v16
	v_min_f32_e32 v36, v35, v23
	v_max_f32_e32 v35, v35, v23
	v_cndmask_b32_e64 v36, v36, v34, s[22:23]
	v_cndmask_b32_e64 v35, v35, v34, s[22:23]
	;; [unrolled: 1-line block ×4, first 2 shown]
	v_cmp_neq_f32_e64 s[22:23], v36, v35
	v_cmp_class_f32_e64 s[24:25], v36, s24
	s_or_b64 s[22:23], s[22:23], s[24:25]
	s_and_saveexec_b64 s[24:25], s[22:23]
	s_cbranch_execz .LBB421_272
; %bb.271:
	v_sub_f32_e32 v33, v36, v35
	s_mov_b32 s22, 0x3fb8aa3b
	v_mul_f32_e32 v34, 0x3fb8aa3b, v33
	v_fma_f32 v36, v33, s22, -v34
	v_rndne_f32_e32 v37, v34
	v_fmac_f32_e32 v36, 0x32a5705f, v33
	v_sub_f32_e32 v34, v34, v37
	v_add_f32_e32 v34, v34, v36
	v_exp_f32_e32 v34, v34
	v_cvt_i32_f32_e32 v36, v37
	s_mov_b32 s22, 0xc2ce8ed0
	v_cmp_ngt_f32_e64 s[22:23], s22, v33
	s_mov_b32 s26, 0x7f800000
	v_ldexp_f32 v34, v34, v36
	v_cndmask_b32_e64 v34, 0, v34, s[22:23]
	s_mov_b32 s22, 0x42b17218
	v_mov_b32_e32 v36, 0x7f800000
	v_cmp_nlt_f32_e64 s[22:23], s22, v33
	v_cndmask_b32_e64 v51, v36, v34, s[22:23]
	v_add_f32_e32 v33, 1.0, v51
	v_add_f32_e32 v34, -1.0, v33
	v_sub_f32_e32 v36, v34, v33
	v_add_f32_e32 v36, 1.0, v36
	v_sub_f32_e32 v34, v51, v34
	v_add_f32_e32 v34, v34, v36
	v_frexp_mant_f32_e32 v52, v33
	s_mov_b32 s22, 0x3f2aaaab
	v_cvt_f64_f32_e32 v[36:37], v33
	v_frexp_exp_i32_f64_e32 v36, v[36:37]
	v_cmp_gt_f32_e64 s[22:23], s22, v52
	v_subbrev_co_u32_e64 v66, s[22:23], 0, v36, s[22:23]
	v_sub_u32_e32 v36, 0, v66
	v_ldexp_f32 v33, v33, v36
	v_ldexp_f32 v34, v34, v36
	v_add_f32_e32 v36, -1.0, v33
	v_add_f32_e32 v37, 1.0, v36
	v_sub_f32_e32 v37, v33, v37
	v_add_f32_e32 v52, v34, v37
	v_add_f32_e32 v37, 1.0, v33
	v_add_f32_e32 v53, -1.0, v37
	v_sub_f32_e32 v33, v33, v53
	v_add_f32_e32 v33, v34, v33
	v_add_f32_e32 v34, v37, v33
	v_rcp_f32_e32 v67, v34
	v_sub_f32_e32 v37, v37, v34
	v_add_f32_e32 v33, v33, v37
	v_add_f32_e32 v37, v36, v52
	v_sub_f32_e32 v36, v36, v37
	v_mul_f32_e32 v69, v37, v67
	v_add_f32_e32 v68, v52, v36
	v_mul_f32_e32 v52, v34, v69
	v_fma_f32 v54, v69, v34, -v52
	v_fmac_f32_e32 v54, v69, v33
	v_add_f32_e32 v36, v52, v54
	v_sub_f32_e32 v53, v37, v36
	v_pk_add_f32 v[64:65], v[36:37], v[52:53] neg_lo:[0,1] neg_hi:[0,1]
	v_mov_b32_e32 v55, v36
	v_pk_add_f32 v[36:37], v[64:65], v[54:55] neg_lo:[0,1] neg_hi:[0,1]
	v_add_f32_e32 v37, v68, v37
	v_add_f32_e32 v36, v36, v37
	;; [unrolled: 1-line block ×3, first 2 shown]
	v_mul_f32_e32 v68, v67, v37
	v_mul_f32_e32 v52, v34, v68
	v_fma_f32 v54, v68, v34, -v52
	v_fmac_f32_e32 v54, v68, v33
	v_sub_f32_e32 v33, v53, v37
	v_add_f32_e32 v33, v36, v33
	v_add_f32_e32 v36, v52, v54
	v_sub_f32_e32 v53, v37, v36
	v_pk_add_f32 v[64:65], v[36:37], v[52:53] neg_lo:[0,1] neg_hi:[0,1]
	v_mov_b32_e32 v55, v36
	v_pk_add_f32 v[36:37], v[64:65], v[54:55] neg_lo:[0,1] neg_hi:[0,1]
	v_add_f32_e32 v33, v33, v37
	v_add_f32_e32 v33, v36, v33
	v_add_f32_e32 v34, v69, v68
	v_add_f32_e32 v33, v53, v33
	v_sub_f32_e32 v36, v34, v69
	v_mul_f32_e32 v33, v67, v33
	v_sub_f32_e32 v36, v68, v36
	v_add_f32_e32 v33, v36, v33
	v_add_f32_e32 v36, v34, v33
	v_mul_f32_e32 v53, v36, v36
	v_mov_b32_e32 v52, 0x3ecc95a3
	v_fmac_f32_e32 v52, 0x3e9b6dac, v53
	v_mov_b32_e32 v37, 0x3f2aaada
	v_fmac_f32_e32 v37, v53, v52
	v_cvt_f32_i32_e32 v52, v66
	v_sub_f32_e32 v34, v36, v34
	v_ldexp_f32 v55, v36, 1
	v_mul_f32_e32 v53, v36, v53
	v_mov_b32_e32 v36, 0x3f317218
	s_mov_b32 s22, 0x3f317218
	v_pk_mul_f32 v[36:37], v[52:53], v[36:37]
	v_fma_f32 v54, v52, s22, -v36
	v_fmac_f32_e32 v54, 0xb102e308, v52
	v_pk_add_f32 v[52:53], v[36:37], v[54:55]
	v_sub_f32_e32 v33, v33, v34
	v_sub_f32_e32 v34, v53, v55
	v_ldexp_f32 v33, v33, 1
	v_sub_f32_e32 v34, v37, v34
	v_add_f32_e32 v65, v33, v34
	v_mov_b32_e32 v64, v36
	v_pk_add_f32 v[36:37], v[52:53], v[36:37] neg_lo:[0,1] neg_hi:[0,1]
	v_pk_add_f32 v[66:67], v[52:53], v[64:65]
	v_mov_b32_e32 v37, v67
	v_mov_b32_e32 v55, v52
	v_pk_add_f32 v[68:69], v[54:55], v[36:37] neg_lo:[0,1] neg_hi:[0,1]
	v_pk_add_f32 v[36:37], v[54:55], v[36:37]
	v_mov_b32_e32 v34, v37
	v_pk_add_f32 v[54:55], v[34:35], v[52:53] neg_lo:[0,1] neg_hi:[0,1]
	v_mov_b32_e32 v33, v54
	v_pk_add_f32 v[70:71], v[66:67], v[32:33] neg_lo:[0,1] neg_hi:[0,1]
	v_mov_b32_e32 v36, v67
	v_mov_b32_e32 v66, v53
	;; [unrolled: 1-line block ×4, first 2 shown]
	v_pk_add_f32 v[36:37], v[36:37], v[66:67] neg_lo:[0,1] neg_hi:[0,1]
	v_mov_b32_e32 v54, v65
	v_mov_b32_e32 v55, v52
	v_pk_add_f32 v[36:37], v[54:55], v[36:37] neg_lo:[0,1] neg_hi:[0,1]
	v_mov_b32_e32 v70, v68
	v_pk_add_f32 v[52:53], v[70:71], v[36:37]
	v_mov_b32_e32 v54, v53
	v_pk_add_f32 v[54:55], v[52:53], v[54:55]
	v_pk_add_f32 v[64:65], v[34:35], v[54:55]
	v_mov_b32_e32 v53, v64
	v_pk_add_f32 v[66:67], v[52:53], v[68:69] neg_lo:[0,1] neg_hi:[0,1]
	v_mov_b32_e32 v37, v54
	v_sub_f32_e32 v33, v52, v66
	v_pk_add_f32 v[36:37], v[36:37], v[66:67] neg_lo:[0,1] neg_hi:[0,1]
	v_sub_f32_e32 v33, v68, v33
	v_add_f32_e32 v33, v36, v33
	v_cmp_eq_f32_e64 s[22:23], s26, v51
	s_mov_b32 s26, 0x33800000
	v_add_f32_e32 v33, v33, v37
	v_cmp_lt_f32_e64 s[26:27], |v51|, s26
	v_add_f32_e32 v33, v64, v33
	s_or_b64 s[22:23], s[22:23], s[26:27]
	v_cndmask_b32_e64 v33, v33, v51, s[22:23]
	v_add_f32_e32 v33, v35, v33
	v_cvt_f16_f32_e32 v33, v33
	v_cvt_f32_f16_e32 v34, v33
.LBB421_272:
	s_or_b64 exec, exec, s[24:25]
	v_cvt_f32_f16_sdwa v52, v16 dst_sel:DWORD dst_unused:UNUSED_PAD src0_sel:WORD_1
	v_max_f32_e32 v36, v34, v34
	v_cmp_u_f16_e64 s[24:25], v33, v33
	v_cmp_u_f16_sdwa s[22:23], v16, v16 src0_sel:WORD_1 src1_sel:WORD_1
	v_min_f32_e32 v35, v36, v52
	v_max_f32_e32 v16, v36, v52
	v_cndmask_b32_e64 v35, v35, v34, s[24:25]
	v_cndmask_b32_e64 v16, v16, v34, s[24:25]
	;; [unrolled: 1-line block ×4, first 2 shown]
	s_movk_i32 s28, 0x1f8
	v_cmp_neq_f32_e64 s[24:25], v35, v16
	v_cmp_class_f32_e64 s[26:27], v35, s28
	s_or_b64 s[24:25], s[24:25], s[26:27]
	s_and_saveexec_b64 s[26:27], s[24:25]
	s_cbranch_execz .LBB421_274
; %bb.273:
	v_sub_f32_e32 v33, v35, v16
	s_mov_b32 s24, 0x3fb8aa3b
	v_mul_f32_e32 v34, 0x3fb8aa3b, v33
	v_fma_f32 v35, v33, s24, -v34
	v_rndne_f32_e32 v36, v34
	v_fmac_f32_e32 v35, 0x32a5705f, v33
	v_sub_f32_e32 v34, v34, v36
	v_add_f32_e32 v34, v34, v35
	v_exp_f32_e32 v34, v34
	v_cvt_i32_f32_e32 v35, v36
	s_mov_b32 s24, 0xc2ce8ed0
	v_cmp_ngt_f32_e64 s[24:25], s24, v33
	s_mov_b32 s29, 0x7f800000
	v_ldexp_f32 v34, v34, v35
	v_cndmask_b32_e64 v34, 0, v34, s[24:25]
	s_mov_b32 s24, 0x42b17218
	v_mov_b32_e32 v35, 0x7f800000
	v_cmp_nlt_f32_e64 s[24:25], s24, v33
	v_cndmask_b32_e64 v51, v35, v34, s[24:25]
	v_add_f32_e32 v33, 1.0, v51
	v_add_f32_e32 v34, -1.0, v33
	v_sub_f32_e32 v35, v34, v33
	v_add_f32_e32 v35, 1.0, v35
	v_sub_f32_e32 v34, v51, v34
	v_add_f32_e32 v36, v34, v35
	v_frexp_mant_f32_e32 v37, v33
	s_mov_b32 s24, 0x3f2aaaab
	v_cvt_f64_f32_e32 v[34:35], v33
	v_frexp_exp_i32_f64_e32 v34, v[34:35]
	v_cmp_gt_f32_e64 s[24:25], s24, v37
	v_subbrev_co_u32_e64 v53, s[24:25], 0, v34, s[24:25]
	v_sub_u32_e32 v34, 0, v53
	v_ldexp_f32 v33, v33, v34
	v_ldexp_f32 v34, v36, v34
	v_add_f32_e32 v36, -1.0, v33
	v_add_f32_e32 v35, 1.0, v36
	v_sub_f32_e32 v35, v33, v35
	v_add_f32_e32 v37, v34, v35
	v_add_f32_e32 v35, 1.0, v33
	v_add_f32_e32 v54, -1.0, v35
	v_sub_f32_e32 v33, v33, v54
	v_add_f32_e32 v33, v34, v33
	v_add_f32_e32 v66, v35, v33
	v_rcp_f32_e32 v67, v66
	v_sub_f32_e32 v34, v35, v66
	v_add_f32_e32 v35, v36, v37
	v_add_f32_e32 v33, v33, v34
	v_mul_f32_e32 v69, v35, v67
	v_sub_f32_e32 v34, v36, v35
	v_mul_f32_e32 v36, v66, v69
	v_fma_f32 v54, v69, v66, -v36
	v_fmac_f32_e32 v54, v69, v33
	v_add_f32_e32 v68, v37, v34
	v_add_f32_e32 v34, v36, v54
	v_sub_f32_e32 v37, v35, v34
	v_pk_add_f32 v[64:65], v[34:35], v[36:37] neg_lo:[0,1] neg_hi:[0,1]
	v_mov_b32_e32 v55, v34
	v_pk_add_f32 v[34:35], v[64:65], v[54:55] neg_lo:[0,1] neg_hi:[0,1]
	v_add_f32_e32 v35, v68, v35
	v_add_f32_e32 v34, v34, v35
	;; [unrolled: 1-line block ×3, first 2 shown]
	v_mul_f32_e32 v68, v67, v35
	v_mul_f32_e32 v36, v66, v68
	v_fma_f32 v54, v68, v66, -v36
	v_fmac_f32_e32 v54, v68, v33
	v_sub_f32_e32 v33, v37, v35
	v_add_f32_e32 v33, v34, v33
	v_add_f32_e32 v34, v36, v54
	v_sub_f32_e32 v37, v35, v34
	v_pk_add_f32 v[64:65], v[34:35], v[36:37] neg_lo:[0,1] neg_hi:[0,1]
	v_mov_b32_e32 v55, v34
	v_pk_add_f32 v[34:35], v[64:65], v[54:55] neg_lo:[0,1] neg_hi:[0,1]
	v_add_f32_e32 v33, v33, v35
	v_add_f32_e32 v33, v34, v33
	;; [unrolled: 1-line block ×4, first 2 shown]
	v_sub_f32_e32 v35, v34, v69
	v_mul_f32_e32 v33, v67, v33
	v_sub_f32_e32 v35, v68, v35
	v_add_f32_e32 v33, v35, v33
	v_add_f32_e32 v37, v34, v33
	v_mul_f32_e32 v54, v37, v37
	v_mov_b32_e32 v36, 0x3ecc95a3
	v_fmac_f32_e32 v36, 0x3e9b6dac, v54
	v_mov_b32_e32 v35, 0x3f2aaada
	v_fmac_f32_e32 v35, v54, v36
	v_cvt_f32_i32_e32 v36, v53
	v_sub_f32_e32 v34, v37, v34
	v_sub_f32_e32 v33, v33, v34
	v_ldexp_f32 v55, v37, 1
	v_mul_f32_e32 v37, v37, v54
	v_mov_b32_e32 v34, 0x3f317218
	s_mov_b32 s24, 0x3f317218
	v_pk_mul_f32 v[34:35], v[36:37], v[34:35]
	v_fma_f32 v54, v36, s24, -v34
	v_fmac_f32_e32 v54, 0xb102e308, v36
	v_pk_add_f32 v[36:37], v[34:35], v[54:55]
	v_sub_f32_e32 v53, v37, v55
	v_ldexp_f32 v33, v33, 1
	v_sub_f32_e32 v53, v35, v53
	v_add_f32_e32 v65, v33, v53
	v_mov_b32_e32 v64, v34
	v_pk_add_f32 v[34:35], v[36:37], v[34:35] neg_lo:[0,1] neg_hi:[0,1]
	v_pk_add_f32 v[66:67], v[36:37], v[64:65]
	v_mov_b32_e32 v35, v67
	v_mov_b32_e32 v55, v36
	v_pk_add_f32 v[68:69], v[54:55], v[34:35] neg_lo:[0,1] neg_hi:[0,1]
	v_pk_add_f32 v[34:35], v[54:55], v[34:35]
	v_mov_b32_e32 v54, v35
	v_pk_add_f32 v[70:71], v[54:55], v[36:37] neg_lo:[0,1] neg_hi:[0,1]
	v_mov_b32_e32 v33, v70
	v_pk_add_f32 v[80:81], v[66:67], v[32:33] neg_lo:[0,1] neg_hi:[0,1]
	v_mov_b32_e32 v34, v67
	v_mov_b32_e32 v66, v37
	;; [unrolled: 1-line block ×4, first 2 shown]
	v_pk_add_f32 v[34:35], v[34:35], v[66:67] neg_lo:[0,1] neg_hi:[0,1]
	v_mov_b32_e32 v64, v65
	v_mov_b32_e32 v65, v36
	v_pk_add_f32 v[34:35], v[64:65], v[34:35] neg_lo:[0,1] neg_hi:[0,1]
	v_mov_b32_e32 v80, v68
	v_pk_add_f32 v[36:37], v[80:81], v[34:35]
	v_mov_b32_e32 v64, v37
	v_pk_add_f32 v[64:65], v[36:37], v[64:65]
	v_pk_add_f32 v[54:55], v[54:55], v[64:65]
	v_mov_b32_e32 v37, v54
	v_pk_add_f32 v[66:67], v[36:37], v[68:69] neg_lo:[0,1] neg_hi:[0,1]
	v_mov_b32_e32 v35, v64
	v_sub_f32_e32 v33, v36, v66
	v_pk_add_f32 v[34:35], v[34:35], v[66:67] neg_lo:[0,1] neg_hi:[0,1]
	v_sub_f32_e32 v33, v68, v33
	v_add_f32_e32 v33, v34, v33
	v_cmp_eq_f32_e64 s[24:25], s29, v51
	s_mov_b32 s29, 0x33800000
	v_add_f32_e32 v33, v33, v35
	v_cmp_lt_f32_e64 s[30:31], |v51|, s29
	v_add_f32_e32 v33, v54, v33
	s_or_b64 s[24:25], s[24:25], s[30:31]
	v_cndmask_b32_e64 v33, v33, v51, s[24:25]
	v_add_f32_e32 v16, v16, v33
	v_cvt_f16_f32_e32 v33, v16
	v_cvt_f32_f16_e32 v34, v33
.LBB421_274:
	s_or_b64 exec, exec, s[26:27]
	v_cvt_f32_f16_e32 v16, v17
	v_max_f32_e32 v35, v34, v34
	v_cmp_u_f16_e64 s[26:27], v33, v33
	v_cmp_u_f16_e64 s[24:25], v17, v17
	v_min_f32_e32 v36, v35, v16
	v_max_f32_e32 v35, v35, v16
	v_cndmask_b32_e64 v36, v36, v34, s[26:27]
	v_cndmask_b32_e64 v35, v35, v34, s[26:27]
	;; [unrolled: 1-line block ×4, first 2 shown]
	v_cmp_neq_f32_e64 s[26:27], v36, v35
	v_cmp_class_f32_e64 s[28:29], v36, s28
	s_or_b64 s[26:27], s[26:27], s[28:29]
	s_and_saveexec_b64 s[28:29], s[26:27]
	s_cbranch_execz .LBB421_276
; %bb.275:
	v_sub_f32_e32 v33, v36, v35
	s_mov_b32 s26, 0x3fb8aa3b
	v_mul_f32_e32 v34, 0x3fb8aa3b, v33
	v_fma_f32 v36, v33, s26, -v34
	v_rndne_f32_e32 v37, v34
	v_fmac_f32_e32 v36, 0x32a5705f, v33
	v_sub_f32_e32 v34, v34, v37
	v_add_f32_e32 v34, v34, v36
	v_exp_f32_e32 v34, v34
	v_cvt_i32_f32_e32 v36, v37
	s_mov_b32 s26, 0xc2ce8ed0
	v_cmp_ngt_f32_e64 s[26:27], s26, v33
	s_mov_b32 s30, 0x7f800000
	v_ldexp_f32 v34, v34, v36
	v_cndmask_b32_e64 v34, 0, v34, s[26:27]
	s_mov_b32 s26, 0x42b17218
	v_mov_b32_e32 v36, 0x7f800000
	v_cmp_nlt_f32_e64 s[26:27], s26, v33
	v_cndmask_b32_e64 v51, v36, v34, s[26:27]
	v_add_f32_e32 v33, 1.0, v51
	v_add_f32_e32 v34, -1.0, v33
	v_sub_f32_e32 v36, v34, v33
	v_add_f32_e32 v36, 1.0, v36
	v_sub_f32_e32 v34, v51, v34
	v_add_f32_e32 v34, v34, v36
	v_frexp_mant_f32_e32 v53, v33
	s_mov_b32 s26, 0x3f2aaaab
	v_cvt_f64_f32_e32 v[36:37], v33
	v_frexp_exp_i32_f64_e32 v36, v[36:37]
	v_cmp_gt_f32_e64 s[26:27], s26, v53
	v_subbrev_co_u32_e64 v53, s[26:27], 0, v36, s[26:27]
	v_sub_u32_e32 v36, 0, v53
	v_ldexp_f32 v33, v33, v36
	v_ldexp_f32 v34, v34, v36
	v_add_f32_e32 v36, -1.0, v33
	v_add_f32_e32 v37, 1.0, v36
	v_sub_f32_e32 v37, v33, v37
	v_add_f32_e32 v54, v34, v37
	v_add_f32_e32 v37, 1.0, v33
	v_add_f32_e32 v55, -1.0, v37
	v_sub_f32_e32 v33, v33, v55
	v_add_f32_e32 v33, v34, v33
	v_add_f32_e32 v34, v37, v33
	v_rcp_f32_e32 v68, v34
	v_sub_f32_e32 v37, v37, v34
	v_add_f32_e32 v33, v33, v37
	v_add_f32_e32 v37, v36, v54
	v_sub_f32_e32 v36, v36, v37
	v_mul_f32_e32 v70, v37, v68
	v_add_f32_e32 v69, v54, v36
	v_mul_f32_e32 v54, v34, v70
	v_fma_f32 v64, v70, v34, -v54
	v_fmac_f32_e32 v64, v70, v33
	v_add_f32_e32 v36, v54, v64
	v_sub_f32_e32 v55, v37, v36
	v_pk_add_f32 v[66:67], v[36:37], v[54:55] neg_lo:[0,1] neg_hi:[0,1]
	v_mov_b32_e32 v65, v36
	v_pk_add_f32 v[36:37], v[66:67], v[64:65] neg_lo:[0,1] neg_hi:[0,1]
	v_add_f32_e32 v37, v69, v37
	v_add_f32_e32 v36, v36, v37
	;; [unrolled: 1-line block ×3, first 2 shown]
	v_mul_f32_e32 v69, v68, v37
	v_mul_f32_e32 v54, v34, v69
	v_fma_f32 v64, v69, v34, -v54
	v_fmac_f32_e32 v64, v69, v33
	v_sub_f32_e32 v33, v55, v37
	v_add_f32_e32 v33, v36, v33
	v_add_f32_e32 v36, v54, v64
	v_sub_f32_e32 v55, v37, v36
	v_pk_add_f32 v[66:67], v[36:37], v[54:55] neg_lo:[0,1] neg_hi:[0,1]
	v_mov_b32_e32 v65, v36
	v_pk_add_f32 v[36:37], v[66:67], v[64:65] neg_lo:[0,1] neg_hi:[0,1]
	v_add_f32_e32 v33, v33, v37
	v_add_f32_e32 v33, v36, v33
	v_add_f32_e32 v34, v70, v69
	v_add_f32_e32 v33, v55, v33
	v_sub_f32_e32 v36, v34, v70
	v_mul_f32_e32 v33, v68, v33
	v_sub_f32_e32 v36, v69, v36
	v_add_f32_e32 v33, v36, v33
	v_add_f32_e32 v36, v34, v33
	v_mul_f32_e32 v55, v36, v36
	v_mov_b32_e32 v54, 0x3ecc95a3
	v_fmac_f32_e32 v54, 0x3e9b6dac, v55
	v_mov_b32_e32 v37, 0x3f2aaada
	v_fmac_f32_e32 v37, v55, v54
	v_cvt_f32_i32_e32 v54, v53
	v_sub_f32_e32 v34, v36, v34
	v_ldexp_f32 v65, v36, 1
	v_mul_f32_e32 v55, v36, v55
	v_mov_b32_e32 v36, 0x3f317218
	s_mov_b32 s26, 0x3f317218
	v_pk_mul_f32 v[36:37], v[54:55], v[36:37]
	v_fma_f32 v64, v54, s26, -v36
	v_fmac_f32_e32 v64, 0xb102e308, v54
	v_pk_add_f32 v[54:55], v[36:37], v[64:65]
	v_sub_f32_e32 v33, v33, v34
	v_sub_f32_e32 v34, v55, v65
	v_ldexp_f32 v33, v33, 1
	v_sub_f32_e32 v34, v37, v34
	v_add_f32_e32 v67, v33, v34
	v_mov_b32_e32 v66, v36
	v_pk_add_f32 v[36:37], v[54:55], v[36:37] neg_lo:[0,1] neg_hi:[0,1]
	v_pk_add_f32 v[68:69], v[54:55], v[66:67]
	v_mov_b32_e32 v37, v69
	v_mov_b32_e32 v65, v54
	v_pk_add_f32 v[70:71], v[64:65], v[36:37] neg_lo:[0,1] neg_hi:[0,1]
	v_pk_add_f32 v[36:37], v[64:65], v[36:37]
	v_mov_b32_e32 v34, v37
	v_pk_add_f32 v[64:65], v[34:35], v[54:55] neg_lo:[0,1] neg_hi:[0,1]
	v_mov_b32_e32 v33, v64
	v_pk_add_f32 v[80:81], v[68:69], v[32:33] neg_lo:[0,1] neg_hi:[0,1]
	v_mov_b32_e32 v36, v69
	v_mov_b32_e32 v68, v55
	;; [unrolled: 1-line block ×4, first 2 shown]
	v_pk_add_f32 v[36:37], v[36:37], v[68:69] neg_lo:[0,1] neg_hi:[0,1]
	v_mov_b32_e32 v64, v67
	v_mov_b32_e32 v65, v54
	v_pk_add_f32 v[36:37], v[64:65], v[36:37] neg_lo:[0,1] neg_hi:[0,1]
	v_mov_b32_e32 v80, v70
	v_pk_add_f32 v[54:55], v[80:81], v[36:37]
	v_mov_b32_e32 v64, v55
	v_pk_add_f32 v[64:65], v[54:55], v[64:65]
	v_pk_add_f32 v[66:67], v[34:35], v[64:65]
	v_mov_b32_e32 v55, v66
	v_pk_add_f32 v[68:69], v[54:55], v[70:71] neg_lo:[0,1] neg_hi:[0,1]
	v_mov_b32_e32 v37, v64
	v_sub_f32_e32 v33, v54, v68
	v_pk_add_f32 v[36:37], v[36:37], v[68:69] neg_lo:[0,1] neg_hi:[0,1]
	v_sub_f32_e32 v33, v70, v33
	v_add_f32_e32 v33, v36, v33
	v_cmp_eq_f32_e64 s[26:27], s30, v51
	s_mov_b32 s30, 0x33800000
	v_add_f32_e32 v33, v33, v37
	v_cmp_lt_f32_e64 s[30:31], |v51|, s30
	v_add_f32_e32 v33, v66, v33
	s_or_b64 s[26:27], s[26:27], s[30:31]
	v_cndmask_b32_e64 v33, v33, v51, s[26:27]
	v_add_f32_e32 v33, v35, v33
	v_cvt_f16_f32_e32 v33, v33
	v_cvt_f32_f16_e32 v34, v33
.LBB421_276:
	s_or_b64 exec, exec, s[28:29]
	v_cvt_f32_f16_sdwa v53, v17 dst_sel:DWORD dst_unused:UNUSED_PAD src0_sel:WORD_1
	v_max_f32_e32 v36, v34, v34
	v_cmp_u_f16_e64 s[28:29], v33, v33
	v_cmp_u_f16_sdwa s[26:27], v17, v17 src0_sel:WORD_1 src1_sel:WORD_1
	v_min_f32_e32 v35, v36, v53
	v_max_f32_e32 v17, v36, v53
	v_cndmask_b32_e64 v35, v35, v34, s[28:29]
	v_cndmask_b32_e64 v17, v17, v34, s[28:29]
	;; [unrolled: 1-line block ×4, first 2 shown]
	s_movk_i32 s34, 0x1f8
	v_cmp_neq_f32_e64 s[28:29], v35, v17
	v_cmp_class_f32_e64 s[30:31], v35, s34
	s_or_b64 s[28:29], s[28:29], s[30:31]
	s_and_saveexec_b64 s[30:31], s[28:29]
	s_cbranch_execz .LBB421_278
; %bb.277:
	v_sub_f32_e32 v33, v35, v17
	s_mov_b32 s28, 0x3fb8aa3b
	v_mul_f32_e32 v34, 0x3fb8aa3b, v33
	v_fma_f32 v35, v33, s28, -v34
	v_rndne_f32_e32 v36, v34
	v_fmac_f32_e32 v35, 0x32a5705f, v33
	v_sub_f32_e32 v34, v34, v36
	v_add_f32_e32 v34, v34, v35
	v_exp_f32_e32 v34, v34
	v_cvt_i32_f32_e32 v35, v36
	s_mov_b32 s28, 0xc2ce8ed0
	v_cmp_ngt_f32_e64 s[28:29], s28, v33
	s_mov_b32 s35, 0x7f800000
	v_ldexp_f32 v34, v34, v35
	v_cndmask_b32_e64 v34, 0, v34, s[28:29]
	s_mov_b32 s28, 0x42b17218
	v_mov_b32_e32 v35, 0x7f800000
	v_cmp_nlt_f32_e64 s[28:29], s28, v33
	v_cndmask_b32_e64 v51, v35, v34, s[28:29]
	v_add_f32_e32 v33, 1.0, v51
	v_add_f32_e32 v34, -1.0, v33
	v_sub_f32_e32 v35, v34, v33
	v_add_f32_e32 v35, 1.0, v35
	v_sub_f32_e32 v34, v51, v34
	v_add_f32_e32 v36, v34, v35
	v_frexp_mant_f32_e32 v37, v33
	s_mov_b32 s28, 0x3f2aaaab
	v_cvt_f64_f32_e32 v[34:35], v33
	v_frexp_exp_i32_f64_e32 v34, v[34:35]
	v_cmp_gt_f32_e64 s[28:29], s28, v37
	v_subbrev_co_u32_e64 v66, s[28:29], 0, v34, s[28:29]
	v_sub_u32_e32 v34, 0, v66
	v_ldexp_f32 v33, v33, v34
	v_ldexp_f32 v34, v36, v34
	v_add_f32_e32 v36, -1.0, v33
	v_add_f32_e32 v35, 1.0, v36
	v_sub_f32_e32 v35, v33, v35
	v_add_f32_e32 v37, v34, v35
	v_add_f32_e32 v35, 1.0, v33
	v_add_f32_e32 v54, -1.0, v35
	v_sub_f32_e32 v33, v33, v54
	v_add_f32_e32 v33, v34, v33
	v_add_f32_e32 v67, v35, v33
	v_rcp_f32_e32 v68, v67
	v_sub_f32_e32 v34, v35, v67
	v_add_f32_e32 v35, v36, v37
	v_add_f32_e32 v33, v33, v34
	v_mul_f32_e32 v70, v35, v68
	v_sub_f32_e32 v34, v36, v35
	v_mul_f32_e32 v36, v67, v70
	v_fma_f32 v54, v70, v67, -v36
	v_fmac_f32_e32 v54, v70, v33
	v_add_f32_e32 v69, v37, v34
	v_add_f32_e32 v34, v36, v54
	v_sub_f32_e32 v37, v35, v34
	v_pk_add_f32 v[64:65], v[34:35], v[36:37] neg_lo:[0,1] neg_hi:[0,1]
	v_mov_b32_e32 v55, v34
	v_pk_add_f32 v[34:35], v[64:65], v[54:55] neg_lo:[0,1] neg_hi:[0,1]
	v_add_f32_e32 v35, v69, v35
	v_add_f32_e32 v34, v34, v35
	;; [unrolled: 1-line block ×3, first 2 shown]
	v_mul_f32_e32 v69, v68, v35
	v_mul_f32_e32 v36, v67, v69
	v_fma_f32 v54, v69, v67, -v36
	v_fmac_f32_e32 v54, v69, v33
	v_sub_f32_e32 v33, v37, v35
	v_add_f32_e32 v33, v34, v33
	v_add_f32_e32 v34, v36, v54
	v_sub_f32_e32 v37, v35, v34
	v_pk_add_f32 v[64:65], v[34:35], v[36:37] neg_lo:[0,1] neg_hi:[0,1]
	v_mov_b32_e32 v55, v34
	v_pk_add_f32 v[34:35], v[64:65], v[54:55] neg_lo:[0,1] neg_hi:[0,1]
	v_add_f32_e32 v33, v33, v35
	v_add_f32_e32 v33, v34, v33
	;; [unrolled: 1-line block ×4, first 2 shown]
	v_sub_f32_e32 v35, v34, v70
	v_mul_f32_e32 v33, v68, v33
	v_sub_f32_e32 v35, v69, v35
	v_add_f32_e32 v33, v35, v33
	v_add_f32_e32 v37, v34, v33
	v_mul_f32_e32 v54, v37, v37
	v_mov_b32_e32 v36, 0x3ecc95a3
	v_fmac_f32_e32 v36, 0x3e9b6dac, v54
	v_mov_b32_e32 v35, 0x3f2aaada
	v_fmac_f32_e32 v35, v54, v36
	v_cvt_f32_i32_e32 v36, v66
	v_sub_f32_e32 v34, v37, v34
	v_sub_f32_e32 v33, v33, v34
	v_ldexp_f32 v55, v37, 1
	v_mul_f32_e32 v37, v37, v54
	v_mov_b32_e32 v34, 0x3f317218
	s_mov_b32 s28, 0x3f317218
	v_pk_mul_f32 v[34:35], v[36:37], v[34:35]
	v_fma_f32 v54, v36, s28, -v34
	v_fmac_f32_e32 v54, 0xb102e308, v36
	v_pk_add_f32 v[36:37], v[34:35], v[54:55]
	v_sub_f32_e32 v55, v37, v55
	v_ldexp_f32 v33, v33, 1
	v_sub_f32_e32 v55, v35, v55
	v_add_f32_e32 v65, v33, v55
	v_mov_b32_e32 v64, v34
	v_pk_add_f32 v[34:35], v[36:37], v[34:35] neg_lo:[0,1] neg_hi:[0,1]
	v_pk_add_f32 v[66:67], v[36:37], v[64:65]
	v_mov_b32_e32 v35, v67
	v_mov_b32_e32 v55, v36
	v_pk_add_f32 v[68:69], v[54:55], v[34:35] neg_lo:[0,1] neg_hi:[0,1]
	v_pk_add_f32 v[34:35], v[54:55], v[34:35]
	v_mov_b32_e32 v54, v35
	v_pk_add_f32 v[70:71], v[54:55], v[36:37] neg_lo:[0,1] neg_hi:[0,1]
	v_mov_b32_e32 v33, v70
	v_pk_add_f32 v[80:81], v[66:67], v[32:33] neg_lo:[0,1] neg_hi:[0,1]
	v_mov_b32_e32 v34, v67
	v_mov_b32_e32 v66, v37
	;; [unrolled: 1-line block ×4, first 2 shown]
	v_pk_add_f32 v[34:35], v[34:35], v[66:67] neg_lo:[0,1] neg_hi:[0,1]
	v_mov_b32_e32 v64, v65
	v_mov_b32_e32 v65, v36
	v_pk_add_f32 v[34:35], v[64:65], v[34:35] neg_lo:[0,1] neg_hi:[0,1]
	v_mov_b32_e32 v80, v68
	v_pk_add_f32 v[36:37], v[80:81], v[34:35]
	v_mov_b32_e32 v64, v37
	v_pk_add_f32 v[64:65], v[36:37], v[64:65]
	v_pk_add_f32 v[54:55], v[54:55], v[64:65]
	v_mov_b32_e32 v37, v54
	v_pk_add_f32 v[66:67], v[36:37], v[68:69] neg_lo:[0,1] neg_hi:[0,1]
	v_mov_b32_e32 v35, v64
	v_sub_f32_e32 v33, v36, v66
	v_pk_add_f32 v[34:35], v[34:35], v[66:67] neg_lo:[0,1] neg_hi:[0,1]
	v_sub_f32_e32 v33, v68, v33
	v_add_f32_e32 v33, v34, v33
	v_cmp_eq_f32_e64 s[28:29], s35, v51
	s_mov_b32 s35, 0x33800000
	v_add_f32_e32 v33, v33, v35
	v_cmp_lt_f32_e64 s[36:37], |v51|, s35
	v_add_f32_e32 v33, v54, v33
	s_or_b64 s[28:29], s[28:29], s[36:37]
	v_cndmask_b32_e64 v33, v33, v51, s[28:29]
	v_add_f32_e32 v17, v17, v33
	v_cvt_f16_f32_e32 v33, v17
	v_cvt_f32_f16_e32 v34, v33
.LBB421_278:
	s_or_b64 exec, exec, s[30:31]
	v_cvt_f32_f16_e32 v17, v18
	v_max_f32_e32 v35, v34, v34
	v_cmp_u_f16_e64 s[30:31], v33, v33
	v_cmp_u_f16_e64 s[28:29], v18, v18
	v_min_f32_e32 v36, v35, v17
	v_max_f32_e32 v35, v35, v17
	v_cndmask_b32_e64 v36, v36, v34, s[30:31]
	v_cndmask_b32_e64 v35, v35, v34, s[30:31]
	;; [unrolled: 1-line block ×4, first 2 shown]
	v_cmp_neq_f32_e64 s[30:31], v36, v35
	v_cmp_class_f32_e64 s[34:35], v36, s34
	s_or_b64 s[30:31], s[30:31], s[34:35]
	s_and_saveexec_b64 s[34:35], s[30:31]
	s_cbranch_execz .LBB421_280
; %bb.279:
	v_sub_f32_e32 v33, v36, v35
	s_mov_b32 s30, 0x3fb8aa3b
	v_mul_f32_e32 v34, 0x3fb8aa3b, v33
	v_fma_f32 v36, v33, s30, -v34
	v_rndne_f32_e32 v37, v34
	v_fmac_f32_e32 v36, 0x32a5705f, v33
	v_sub_f32_e32 v34, v34, v37
	v_add_f32_e32 v34, v34, v36
	v_exp_f32_e32 v34, v34
	v_cvt_i32_f32_e32 v36, v37
	s_mov_b32 s30, 0xc2ce8ed0
	v_cmp_ngt_f32_e64 s[30:31], s30, v33
	s_mov_b32 s36, 0x7f800000
	v_ldexp_f32 v34, v34, v36
	v_cndmask_b32_e64 v34, 0, v34, s[30:31]
	s_mov_b32 s30, 0x42b17218
	v_mov_b32_e32 v36, 0x7f800000
	v_cmp_nlt_f32_e64 s[30:31], s30, v33
	v_cndmask_b32_e64 v51, v36, v34, s[30:31]
	v_add_f32_e32 v33, 1.0, v51
	v_add_f32_e32 v34, -1.0, v33
	v_sub_f32_e32 v36, v34, v33
	v_add_f32_e32 v36, 1.0, v36
	v_sub_f32_e32 v34, v51, v34
	v_add_f32_e32 v34, v34, v36
	v_frexp_mant_f32_e32 v54, v33
	s_mov_b32 s30, 0x3f2aaaab
	v_cvt_f64_f32_e32 v[36:37], v33
	v_frexp_exp_i32_f64_e32 v36, v[36:37]
	v_cmp_gt_f32_e64 s[30:31], s30, v54
	v_subbrev_co_u32_e64 v68, s[30:31], 0, v36, s[30:31]
	v_sub_u32_e32 v36, 0, v68
	v_ldexp_f32 v33, v33, v36
	v_ldexp_f32 v34, v34, v36
	v_add_f32_e32 v36, -1.0, v33
	v_add_f32_e32 v37, 1.0, v36
	v_sub_f32_e32 v37, v33, v37
	v_add_f32_e32 v54, v34, v37
	v_add_f32_e32 v37, 1.0, v33
	v_add_f32_e32 v55, -1.0, v37
	v_sub_f32_e32 v33, v33, v55
	v_add_f32_e32 v33, v34, v33
	v_add_f32_e32 v34, v37, v33
	v_rcp_f32_e32 v69, v34
	v_sub_f32_e32 v37, v37, v34
	v_add_f32_e32 v33, v33, v37
	v_add_f32_e32 v37, v36, v54
	v_sub_f32_e32 v36, v36, v37
	v_mul_f32_e32 v71, v37, v69
	v_add_f32_e32 v70, v54, v36
	v_mul_f32_e32 v54, v34, v71
	v_fma_f32 v64, v71, v34, -v54
	v_fmac_f32_e32 v64, v71, v33
	v_add_f32_e32 v36, v54, v64
	v_sub_f32_e32 v55, v37, v36
	v_pk_add_f32 v[66:67], v[36:37], v[54:55] neg_lo:[0,1] neg_hi:[0,1]
	v_mov_b32_e32 v65, v36
	v_pk_add_f32 v[36:37], v[66:67], v[64:65] neg_lo:[0,1] neg_hi:[0,1]
	v_add_f32_e32 v37, v70, v37
	v_add_f32_e32 v36, v36, v37
	;; [unrolled: 1-line block ×3, first 2 shown]
	v_mul_f32_e32 v70, v69, v37
	v_mul_f32_e32 v54, v34, v70
	v_fma_f32 v64, v70, v34, -v54
	v_fmac_f32_e32 v64, v70, v33
	v_sub_f32_e32 v33, v55, v37
	v_add_f32_e32 v33, v36, v33
	v_add_f32_e32 v36, v54, v64
	v_sub_f32_e32 v55, v37, v36
	v_pk_add_f32 v[66:67], v[36:37], v[54:55] neg_lo:[0,1] neg_hi:[0,1]
	v_mov_b32_e32 v65, v36
	v_pk_add_f32 v[36:37], v[66:67], v[64:65] neg_lo:[0,1] neg_hi:[0,1]
	v_add_f32_e32 v33, v33, v37
	v_add_f32_e32 v33, v36, v33
	;; [unrolled: 1-line block ×4, first 2 shown]
	v_sub_f32_e32 v36, v34, v71
	v_mul_f32_e32 v33, v69, v33
	v_sub_f32_e32 v36, v70, v36
	v_add_f32_e32 v33, v36, v33
	v_add_f32_e32 v36, v34, v33
	v_mul_f32_e32 v55, v36, v36
	v_mov_b32_e32 v54, 0x3ecc95a3
	v_fmac_f32_e32 v54, 0x3e9b6dac, v55
	v_mov_b32_e32 v37, 0x3f2aaada
	v_fmac_f32_e32 v37, v55, v54
	v_cvt_f32_i32_e32 v54, v68
	v_sub_f32_e32 v34, v36, v34
	v_ldexp_f32 v65, v36, 1
	v_mul_f32_e32 v55, v36, v55
	v_mov_b32_e32 v36, 0x3f317218
	s_mov_b32 s30, 0x3f317218
	v_pk_mul_f32 v[36:37], v[54:55], v[36:37]
	v_fma_f32 v64, v54, s30, -v36
	v_fmac_f32_e32 v64, 0xb102e308, v54
	v_pk_add_f32 v[54:55], v[36:37], v[64:65]
	v_sub_f32_e32 v33, v33, v34
	v_sub_f32_e32 v34, v55, v65
	v_ldexp_f32 v33, v33, 1
	v_sub_f32_e32 v34, v37, v34
	v_add_f32_e32 v67, v33, v34
	v_mov_b32_e32 v66, v36
	v_pk_add_f32 v[36:37], v[54:55], v[36:37] neg_lo:[0,1] neg_hi:[0,1]
	v_pk_add_f32 v[68:69], v[54:55], v[66:67]
	v_mov_b32_e32 v37, v69
	v_mov_b32_e32 v65, v54
	v_pk_add_f32 v[70:71], v[64:65], v[36:37] neg_lo:[0,1] neg_hi:[0,1]
	v_pk_add_f32 v[36:37], v[64:65], v[36:37]
	v_mov_b32_e32 v34, v37
	v_pk_add_f32 v[64:65], v[34:35], v[54:55] neg_lo:[0,1] neg_hi:[0,1]
	v_mov_b32_e32 v33, v64
	v_pk_add_f32 v[80:81], v[68:69], v[32:33] neg_lo:[0,1] neg_hi:[0,1]
	v_mov_b32_e32 v36, v69
	v_mov_b32_e32 v68, v55
	;; [unrolled: 1-line block ×4, first 2 shown]
	v_pk_add_f32 v[36:37], v[36:37], v[68:69] neg_lo:[0,1] neg_hi:[0,1]
	v_mov_b32_e32 v64, v67
	v_mov_b32_e32 v65, v54
	v_pk_add_f32 v[36:37], v[64:65], v[36:37] neg_lo:[0,1] neg_hi:[0,1]
	v_mov_b32_e32 v80, v70
	v_pk_add_f32 v[54:55], v[80:81], v[36:37]
	v_mov_b32_e32 v64, v55
	v_pk_add_f32 v[64:65], v[54:55], v[64:65]
	v_pk_add_f32 v[66:67], v[34:35], v[64:65]
	v_mov_b32_e32 v55, v66
	v_pk_add_f32 v[68:69], v[54:55], v[70:71] neg_lo:[0,1] neg_hi:[0,1]
	v_mov_b32_e32 v37, v64
	v_sub_f32_e32 v33, v54, v68
	v_pk_add_f32 v[36:37], v[36:37], v[68:69] neg_lo:[0,1] neg_hi:[0,1]
	v_sub_f32_e32 v33, v70, v33
	v_add_f32_e32 v33, v36, v33
	v_cmp_eq_f32_e64 s[30:31], s36, v51
	s_mov_b32 s36, 0x33800000
	v_add_f32_e32 v33, v33, v37
	v_cmp_lt_f32_e64 s[36:37], |v51|, s36
	v_add_f32_e32 v33, v66, v33
	s_or_b64 s[30:31], s[30:31], s[36:37]
	v_cndmask_b32_e64 v33, v33, v51, s[30:31]
	v_add_f32_e32 v33, v35, v33
	v_cvt_f16_f32_e32 v33, v33
	v_cvt_f32_f16_e32 v34, v33
.LBB421_280:
	s_or_b64 exec, exec, s[34:35]
	v_cvt_f32_f16_sdwa v54, v18 dst_sel:DWORD dst_unused:UNUSED_PAD src0_sel:WORD_1
	v_max_f32_e32 v36, v34, v34
	v_cmp_u_f16_e64 s[34:35], v33, v33
	v_cmp_u_f16_sdwa s[30:31], v18, v18 src0_sel:WORD_1 src1_sel:WORD_1
	v_min_f32_e32 v35, v36, v54
	v_max_f32_e32 v18, v36, v54
	v_cndmask_b32_e64 v35, v35, v34, s[34:35]
	v_cndmask_b32_e64 v18, v18, v34, s[34:35]
	;; [unrolled: 1-line block ×4, first 2 shown]
	s_movk_i32 s38, 0x1f8
	v_cmp_neq_f32_e64 s[34:35], v35, v18
	v_cmp_class_f32_e64 s[36:37], v35, s38
	s_or_b64 s[34:35], s[34:35], s[36:37]
	s_and_saveexec_b64 s[36:37], s[34:35]
	s_cbranch_execz .LBB421_282
; %bb.281:
	v_sub_f32_e32 v33, v35, v18
	s_mov_b32 s34, 0x3fb8aa3b
	v_mul_f32_e32 v34, 0x3fb8aa3b, v33
	v_fma_f32 v35, v33, s34, -v34
	v_rndne_f32_e32 v36, v34
	v_fmac_f32_e32 v35, 0x32a5705f, v33
	v_sub_f32_e32 v34, v34, v36
	v_add_f32_e32 v34, v34, v35
	v_exp_f32_e32 v34, v34
	v_cvt_i32_f32_e32 v35, v36
	s_mov_b32 s34, 0xc2ce8ed0
	v_cmp_ngt_f32_e64 s[34:35], s34, v33
	s_mov_b32 s39, 0x7f800000
	v_ldexp_f32 v34, v34, v35
	v_cndmask_b32_e64 v34, 0, v34, s[34:35]
	s_mov_b32 s34, 0x42b17218
	v_mov_b32_e32 v35, 0x7f800000
	v_cmp_nlt_f32_e64 s[34:35], s34, v33
	v_cndmask_b32_e64 v51, v35, v34, s[34:35]
	v_add_f32_e32 v33, 1.0, v51
	v_add_f32_e32 v34, -1.0, v33
	v_sub_f32_e32 v35, v34, v33
	v_add_f32_e32 v35, 1.0, v35
	v_sub_f32_e32 v34, v51, v34
	v_add_f32_e32 v36, v34, v35
	v_frexp_mant_f32_e32 v37, v33
	s_mov_b32 s34, 0x3f2aaaab
	v_cvt_f64_f32_e32 v[34:35], v33
	v_frexp_exp_i32_f64_e32 v34, v[34:35]
	v_cmp_gt_f32_e64 s[34:35], s34, v37
	v_subbrev_co_u32_e64 v55, s[34:35], 0, v34, s[34:35]
	v_sub_u32_e32 v34, 0, v55
	v_ldexp_f32 v33, v33, v34
	v_ldexp_f32 v34, v36, v34
	v_add_f32_e32 v36, -1.0, v33
	v_add_f32_e32 v35, 1.0, v36
	v_sub_f32_e32 v35, v33, v35
	v_add_f32_e32 v37, v34, v35
	v_add_f32_e32 v35, 1.0, v33
	v_add_f32_e32 v64, -1.0, v35
	v_sub_f32_e32 v33, v33, v64
	v_add_f32_e32 v33, v34, v33
	v_add_f32_e32 v68, v35, v33
	v_rcp_f32_e32 v69, v68
	v_sub_f32_e32 v34, v35, v68
	v_add_f32_e32 v35, v36, v37
	v_add_f32_e32 v33, v33, v34
	v_mul_f32_e32 v71, v35, v69
	v_sub_f32_e32 v34, v36, v35
	v_mul_f32_e32 v36, v68, v71
	v_fma_f32 v64, v71, v68, -v36
	v_fmac_f32_e32 v64, v71, v33
	v_add_f32_e32 v70, v37, v34
	v_add_f32_e32 v34, v36, v64
	v_sub_f32_e32 v37, v35, v34
	v_pk_add_f32 v[66:67], v[34:35], v[36:37] neg_lo:[0,1] neg_hi:[0,1]
	v_mov_b32_e32 v65, v34
	v_pk_add_f32 v[34:35], v[66:67], v[64:65] neg_lo:[0,1] neg_hi:[0,1]
	v_add_f32_e32 v35, v70, v35
	v_add_f32_e32 v34, v34, v35
	;; [unrolled: 1-line block ×3, first 2 shown]
	v_mul_f32_e32 v70, v69, v35
	v_mul_f32_e32 v36, v68, v70
	v_fma_f32 v64, v70, v68, -v36
	v_fmac_f32_e32 v64, v70, v33
	v_sub_f32_e32 v33, v37, v35
	v_add_f32_e32 v33, v34, v33
	v_add_f32_e32 v34, v36, v64
	v_sub_f32_e32 v37, v35, v34
	v_pk_add_f32 v[66:67], v[34:35], v[36:37] neg_lo:[0,1] neg_hi:[0,1]
	v_mov_b32_e32 v65, v34
	v_pk_add_f32 v[34:35], v[66:67], v[64:65] neg_lo:[0,1] neg_hi:[0,1]
	v_add_f32_e32 v33, v33, v35
	v_add_f32_e32 v33, v34, v33
	;; [unrolled: 1-line block ×4, first 2 shown]
	v_sub_f32_e32 v35, v34, v71
	v_mul_f32_e32 v33, v69, v33
	v_sub_f32_e32 v35, v70, v35
	v_add_f32_e32 v33, v35, v33
	v_add_f32_e32 v37, v34, v33
	v_mul_f32_e32 v64, v37, v37
	v_mov_b32_e32 v36, 0x3ecc95a3
	v_fmac_f32_e32 v36, 0x3e9b6dac, v64
	v_mov_b32_e32 v35, 0x3f2aaada
	v_fmac_f32_e32 v35, v64, v36
	v_cvt_f32_i32_e32 v36, v55
	v_sub_f32_e32 v34, v37, v34
	v_sub_f32_e32 v33, v33, v34
	v_ldexp_f32 v65, v37, 1
	v_mul_f32_e32 v37, v37, v64
	v_mov_b32_e32 v34, 0x3f317218
	s_mov_b32 s34, 0x3f317218
	v_pk_mul_f32 v[34:35], v[36:37], v[34:35]
	v_fma_f32 v64, v36, s34, -v34
	v_fmac_f32_e32 v64, 0xb102e308, v36
	v_pk_add_f32 v[36:37], v[34:35], v[64:65]
	v_sub_f32_e32 v55, v37, v65
	v_ldexp_f32 v33, v33, 1
	v_sub_f32_e32 v55, v35, v55
	v_add_f32_e32 v67, v33, v55
	v_mov_b32_e32 v66, v34
	v_pk_add_f32 v[34:35], v[36:37], v[34:35] neg_lo:[0,1] neg_hi:[0,1]
	v_pk_add_f32 v[68:69], v[36:37], v[66:67]
	v_mov_b32_e32 v35, v69
	v_mov_b32_e32 v65, v36
	v_pk_add_f32 v[70:71], v[64:65], v[34:35] neg_lo:[0,1] neg_hi:[0,1]
	v_pk_add_f32 v[34:35], v[64:65], v[34:35]
	v_mov_b32_e32 v64, v35
	v_pk_add_f32 v[80:81], v[64:65], v[36:37] neg_lo:[0,1] neg_hi:[0,1]
	v_mov_b32_e32 v33, v80
	v_pk_add_f32 v[82:83], v[68:69], v[32:33] neg_lo:[0,1] neg_hi:[0,1]
	v_mov_b32_e32 v34, v69
	v_mov_b32_e32 v68, v37
	;; [unrolled: 1-line block ×4, first 2 shown]
	v_pk_add_f32 v[34:35], v[34:35], v[68:69] neg_lo:[0,1] neg_hi:[0,1]
	v_mov_b32_e32 v66, v67
	v_mov_b32_e32 v67, v36
	v_pk_add_f32 v[34:35], v[66:67], v[34:35] neg_lo:[0,1] neg_hi:[0,1]
	v_mov_b32_e32 v82, v70
	v_pk_add_f32 v[36:37], v[82:83], v[34:35]
	v_mov_b32_e32 v66, v37
	v_pk_add_f32 v[66:67], v[36:37], v[66:67]
	v_pk_add_f32 v[64:65], v[64:65], v[66:67]
	v_mov_b32_e32 v37, v64
	v_pk_add_f32 v[68:69], v[36:37], v[70:71] neg_lo:[0,1] neg_hi:[0,1]
	v_mov_b32_e32 v35, v66
	v_sub_f32_e32 v33, v36, v68
	v_pk_add_f32 v[34:35], v[34:35], v[68:69] neg_lo:[0,1] neg_hi:[0,1]
	v_sub_f32_e32 v33, v70, v33
	v_add_f32_e32 v33, v34, v33
	v_cmp_eq_f32_e64 s[34:35], s39, v51
	s_mov_b32 s39, 0x33800000
	v_add_f32_e32 v33, v33, v35
	v_cmp_lt_f32_e64 s[40:41], |v51|, s39
	v_add_f32_e32 v33, v64, v33
	s_or_b64 s[34:35], s[34:35], s[40:41]
	v_cndmask_b32_e64 v33, v33, v51, s[34:35]
	v_add_f32_e32 v18, v18, v33
	v_cvt_f16_f32_e32 v33, v18
	v_cvt_f32_f16_e32 v34, v33
.LBB421_282:
	s_or_b64 exec, exec, s[36:37]
	v_cvt_f32_f16_e32 v18, v19
	v_max_f32_e32 v35, v34, v34
	v_cmp_u_f16_e64 s[36:37], v33, v33
	v_cmp_u_f16_e64 s[34:35], v19, v19
	v_min_f32_e32 v36, v35, v18
	v_max_f32_e32 v35, v35, v18
	v_cndmask_b32_e64 v36, v36, v34, s[36:37]
	v_cndmask_b32_e64 v35, v35, v34, s[36:37]
	;; [unrolled: 1-line block ×4, first 2 shown]
	v_cmp_neq_f32_e64 s[36:37], v36, v35
	v_cmp_class_f32_e64 s[38:39], v36, s38
	s_or_b64 s[36:37], s[36:37], s[38:39]
	s_and_saveexec_b64 s[38:39], s[36:37]
	s_cbranch_execz .LBB421_284
; %bb.283:
	v_sub_f32_e32 v33, v36, v35
	s_mov_b32 s36, 0x3fb8aa3b
	v_mul_f32_e32 v34, 0x3fb8aa3b, v33
	v_fma_f32 v36, v33, s36, -v34
	v_rndne_f32_e32 v37, v34
	v_fmac_f32_e32 v36, 0x32a5705f, v33
	v_sub_f32_e32 v34, v34, v37
	v_add_f32_e32 v34, v34, v36
	v_exp_f32_e32 v34, v34
	v_cvt_i32_f32_e32 v36, v37
	s_mov_b32 s36, 0xc2ce8ed0
	v_cmp_ngt_f32_e64 s[36:37], s36, v33
	s_mov_b32 s40, 0x7f800000
	v_ldexp_f32 v34, v34, v36
	v_cndmask_b32_e64 v34, 0, v34, s[36:37]
	s_mov_b32 s36, 0x42b17218
	v_mov_b32_e32 v36, 0x7f800000
	v_cmp_nlt_f32_e64 s[36:37], s36, v33
	v_cndmask_b32_e64 v51, v36, v34, s[36:37]
	v_add_f32_e32 v33, 1.0, v51
	v_add_f32_e32 v34, -1.0, v33
	v_sub_f32_e32 v36, v34, v33
	v_add_f32_e32 v36, 1.0, v36
	v_sub_f32_e32 v34, v51, v34
	v_add_f32_e32 v34, v34, v36
	v_frexp_mant_f32_e32 v55, v33
	s_mov_b32 s36, 0x3f2aaaab
	v_cvt_f64_f32_e32 v[36:37], v33
	v_frexp_exp_i32_f64_e32 v36, v[36:37]
	v_cmp_gt_f32_e64 s[36:37], s36, v55
	v_subbrev_co_u32_e64 v55, s[36:37], 0, v36, s[36:37]
	v_sub_u32_e32 v36, 0, v55
	v_ldexp_f32 v33, v33, v36
	v_ldexp_f32 v34, v34, v36
	v_add_f32_e32 v36, -1.0, v33
	v_add_f32_e32 v37, 1.0, v36
	v_sub_f32_e32 v37, v33, v37
	v_add_f32_e32 v64, v34, v37
	v_add_f32_e32 v37, 1.0, v33
	v_add_f32_e32 v65, -1.0, v37
	v_sub_f32_e32 v33, v33, v65
	v_add_f32_e32 v33, v34, v33
	v_add_f32_e32 v34, v37, v33
	v_rcp_f32_e32 v70, v34
	v_sub_f32_e32 v37, v37, v34
	v_add_f32_e32 v33, v33, v37
	v_add_f32_e32 v37, v36, v64
	v_sub_f32_e32 v36, v36, v37
	v_mul_f32_e32 v80, v37, v70
	v_add_f32_e32 v71, v64, v36
	v_mul_f32_e32 v64, v34, v80
	v_fma_f32 v66, v80, v34, -v64
	v_fmac_f32_e32 v66, v80, v33
	v_add_f32_e32 v36, v64, v66
	v_sub_f32_e32 v65, v37, v36
	v_pk_add_f32 v[68:69], v[36:37], v[64:65] neg_lo:[0,1] neg_hi:[0,1]
	v_mov_b32_e32 v67, v36
	v_pk_add_f32 v[36:37], v[68:69], v[66:67] neg_lo:[0,1] neg_hi:[0,1]
	v_add_f32_e32 v37, v71, v37
	v_add_f32_e32 v36, v36, v37
	;; [unrolled: 1-line block ×3, first 2 shown]
	v_mul_f32_e32 v71, v70, v37
	v_mul_f32_e32 v64, v34, v71
	v_fma_f32 v66, v71, v34, -v64
	v_fmac_f32_e32 v66, v71, v33
	v_sub_f32_e32 v33, v65, v37
	v_add_f32_e32 v33, v36, v33
	v_add_f32_e32 v36, v64, v66
	v_sub_f32_e32 v65, v37, v36
	v_pk_add_f32 v[68:69], v[36:37], v[64:65] neg_lo:[0,1] neg_hi:[0,1]
	v_mov_b32_e32 v67, v36
	v_pk_add_f32 v[36:37], v[68:69], v[66:67] neg_lo:[0,1] neg_hi:[0,1]
	v_add_f32_e32 v33, v33, v37
	v_add_f32_e32 v33, v36, v33
	;; [unrolled: 1-line block ×4, first 2 shown]
	v_sub_f32_e32 v36, v34, v80
	v_mul_f32_e32 v33, v70, v33
	v_sub_f32_e32 v36, v71, v36
	v_add_f32_e32 v33, v36, v33
	v_add_f32_e32 v36, v34, v33
	v_mul_f32_e32 v65, v36, v36
	v_mov_b32_e32 v64, 0x3ecc95a3
	v_fmac_f32_e32 v64, 0x3e9b6dac, v65
	v_mov_b32_e32 v37, 0x3f2aaada
	v_fmac_f32_e32 v37, v65, v64
	v_cvt_f32_i32_e32 v64, v55
	v_sub_f32_e32 v34, v36, v34
	v_ldexp_f32 v67, v36, 1
	v_mul_f32_e32 v65, v36, v65
	v_mov_b32_e32 v36, 0x3f317218
	s_mov_b32 s36, 0x3f317218
	v_pk_mul_f32 v[36:37], v[64:65], v[36:37]
	v_fma_f32 v66, v64, s36, -v36
	v_fmac_f32_e32 v66, 0xb102e308, v64
	v_pk_add_f32 v[64:65], v[36:37], v[66:67]
	v_sub_f32_e32 v33, v33, v34
	v_sub_f32_e32 v34, v65, v67
	v_ldexp_f32 v33, v33, 1
	v_sub_f32_e32 v34, v37, v34
	v_add_f32_e32 v69, v33, v34
	v_mov_b32_e32 v68, v36
	v_pk_add_f32 v[36:37], v[64:65], v[36:37] neg_lo:[0,1] neg_hi:[0,1]
	v_pk_add_f32 v[70:71], v[64:65], v[68:69]
	v_mov_b32_e32 v37, v71
	v_mov_b32_e32 v67, v64
	v_pk_add_f32 v[80:81], v[66:67], v[36:37] neg_lo:[0,1] neg_hi:[0,1]
	v_pk_add_f32 v[36:37], v[66:67], v[36:37]
	v_mov_b32_e32 v34, v37
	v_pk_add_f32 v[66:67], v[34:35], v[64:65] neg_lo:[0,1] neg_hi:[0,1]
	v_mov_b32_e32 v33, v66
	v_pk_add_f32 v[82:83], v[70:71], v[32:33] neg_lo:[0,1] neg_hi:[0,1]
	v_mov_b32_e32 v36, v71
	v_mov_b32_e32 v70, v65
	;; [unrolled: 1-line block ×4, first 2 shown]
	v_pk_add_f32 v[36:37], v[36:37], v[70:71] neg_lo:[0,1] neg_hi:[0,1]
	v_mov_b32_e32 v66, v69
	v_mov_b32_e32 v67, v64
	v_pk_add_f32 v[36:37], v[66:67], v[36:37] neg_lo:[0,1] neg_hi:[0,1]
	v_mov_b32_e32 v82, v80
	v_pk_add_f32 v[64:65], v[82:83], v[36:37]
	v_mov_b32_e32 v66, v65
	v_pk_add_f32 v[66:67], v[64:65], v[66:67]
	v_pk_add_f32 v[68:69], v[34:35], v[66:67]
	v_mov_b32_e32 v65, v68
	v_pk_add_f32 v[70:71], v[64:65], v[80:81] neg_lo:[0,1] neg_hi:[0,1]
	v_mov_b32_e32 v37, v66
	v_sub_f32_e32 v33, v64, v70
	v_pk_add_f32 v[36:37], v[36:37], v[70:71] neg_lo:[0,1] neg_hi:[0,1]
	v_sub_f32_e32 v33, v80, v33
	v_add_f32_e32 v33, v36, v33
	v_cmp_eq_f32_e64 s[36:37], s40, v51
	s_mov_b32 s40, 0x33800000
	v_add_f32_e32 v33, v33, v37
	v_cmp_lt_f32_e64 s[40:41], |v51|, s40
	v_add_f32_e32 v33, v68, v33
	s_or_b64 s[36:37], s[36:37], s[40:41]
	v_cndmask_b32_e64 v33, v33, v51, s[36:37]
	v_add_f32_e32 v33, v35, v33
	v_cvt_f16_f32_e32 v33, v33
	v_cvt_f32_f16_e32 v34, v33
.LBB421_284:
	s_or_b64 exec, exec, s[38:39]
	v_cvt_f32_f16_sdwa v55, v19 dst_sel:DWORD dst_unused:UNUSED_PAD src0_sel:WORD_1
	v_max_f32_e32 v36, v34, v34
	v_cmp_u_f16_e64 s[38:39], v33, v33
	v_cmp_u_f16_sdwa s[36:37], v19, v19 src0_sel:WORD_1 src1_sel:WORD_1
	v_min_f32_e32 v35, v36, v55
	v_max_f32_e32 v19, v36, v55
	v_cndmask_b32_e64 v35, v35, v34, s[38:39]
	v_cndmask_b32_e64 v19, v19, v34, s[38:39]
	;; [unrolled: 1-line block ×4, first 2 shown]
	s_movk_i32 s42, 0x1f8
	v_cmp_neq_f32_e64 s[38:39], v35, v19
	v_cmp_class_f32_e64 s[40:41], v35, s42
	s_or_b64 s[38:39], s[38:39], s[40:41]
	s_and_saveexec_b64 s[40:41], s[38:39]
	s_cbranch_execz .LBB421_286
; %bb.285:
	v_sub_f32_e32 v33, v35, v19
	s_mov_b32 s38, 0x3fb8aa3b
	v_mul_f32_e32 v34, 0x3fb8aa3b, v33
	v_fma_f32 v35, v33, s38, -v34
	v_rndne_f32_e32 v36, v34
	v_fmac_f32_e32 v35, 0x32a5705f, v33
	v_sub_f32_e32 v34, v34, v36
	v_add_f32_e32 v34, v34, v35
	v_exp_f32_e32 v34, v34
	v_cvt_i32_f32_e32 v35, v36
	s_mov_b32 s38, 0xc2ce8ed0
	v_cmp_ngt_f32_e64 s[38:39], s38, v33
	s_mov_b32 s43, 0x7f800000
	v_ldexp_f32 v34, v34, v35
	v_cndmask_b32_e64 v34, 0, v34, s[38:39]
	s_mov_b32 s38, 0x42b17218
	v_mov_b32_e32 v35, 0x7f800000
	v_cmp_nlt_f32_e64 s[38:39], s38, v33
	v_cndmask_b32_e64 v51, v35, v34, s[38:39]
	v_add_f32_e32 v33, 1.0, v51
	v_add_f32_e32 v34, -1.0, v33
	v_sub_f32_e32 v35, v34, v33
	v_add_f32_e32 v35, 1.0, v35
	v_sub_f32_e32 v34, v51, v34
	v_add_f32_e32 v36, v34, v35
	v_frexp_mant_f32_e32 v37, v33
	s_mov_b32 s38, 0x3f2aaaab
	v_cvt_f64_f32_e32 v[34:35], v33
	v_frexp_exp_i32_f64_e32 v34, v[34:35]
	v_cmp_gt_f32_e64 s[38:39], s38, v37
	v_subbrev_co_u32_e64 v68, s[38:39], 0, v34, s[38:39]
	v_sub_u32_e32 v34, 0, v68
	v_ldexp_f32 v33, v33, v34
	v_ldexp_f32 v34, v36, v34
	v_add_f32_e32 v36, -1.0, v33
	v_add_f32_e32 v35, 1.0, v36
	v_sub_f32_e32 v35, v33, v35
	v_add_f32_e32 v37, v34, v35
	v_add_f32_e32 v35, 1.0, v33
	v_add_f32_e32 v64, -1.0, v35
	v_sub_f32_e32 v33, v33, v64
	v_add_f32_e32 v33, v34, v33
	v_add_f32_e32 v69, v35, v33
	v_rcp_f32_e32 v70, v69
	v_sub_f32_e32 v34, v35, v69
	v_add_f32_e32 v35, v36, v37
	v_add_f32_e32 v33, v33, v34
	v_mul_f32_e32 v80, v35, v70
	v_sub_f32_e32 v34, v36, v35
	v_mul_f32_e32 v36, v69, v80
	v_fma_f32 v64, v80, v69, -v36
	v_fmac_f32_e32 v64, v80, v33
	v_add_f32_e32 v71, v37, v34
	v_add_f32_e32 v34, v36, v64
	v_sub_f32_e32 v37, v35, v34
	v_pk_add_f32 v[66:67], v[34:35], v[36:37] neg_lo:[0,1] neg_hi:[0,1]
	v_mov_b32_e32 v65, v34
	v_pk_add_f32 v[34:35], v[66:67], v[64:65] neg_lo:[0,1] neg_hi:[0,1]
	v_add_f32_e32 v35, v71, v35
	v_add_f32_e32 v34, v34, v35
	;; [unrolled: 1-line block ×3, first 2 shown]
	v_mul_f32_e32 v71, v70, v35
	v_mul_f32_e32 v36, v69, v71
	v_fma_f32 v64, v71, v69, -v36
	v_fmac_f32_e32 v64, v71, v33
	v_sub_f32_e32 v33, v37, v35
	v_add_f32_e32 v33, v34, v33
	v_add_f32_e32 v34, v36, v64
	v_sub_f32_e32 v37, v35, v34
	v_pk_add_f32 v[66:67], v[34:35], v[36:37] neg_lo:[0,1] neg_hi:[0,1]
	v_mov_b32_e32 v65, v34
	v_pk_add_f32 v[34:35], v[66:67], v[64:65] neg_lo:[0,1] neg_hi:[0,1]
	v_add_f32_e32 v33, v33, v35
	v_add_f32_e32 v33, v34, v33
	;; [unrolled: 1-line block ×4, first 2 shown]
	v_sub_f32_e32 v35, v34, v80
	v_mul_f32_e32 v33, v70, v33
	v_sub_f32_e32 v35, v71, v35
	v_add_f32_e32 v33, v35, v33
	v_add_f32_e32 v37, v34, v33
	v_mul_f32_e32 v64, v37, v37
	v_mov_b32_e32 v36, 0x3ecc95a3
	v_fmac_f32_e32 v36, 0x3e9b6dac, v64
	v_mov_b32_e32 v35, 0x3f2aaada
	v_fmac_f32_e32 v35, v64, v36
	v_cvt_f32_i32_e32 v36, v68
	v_sub_f32_e32 v34, v37, v34
	v_sub_f32_e32 v33, v33, v34
	v_ldexp_f32 v65, v37, 1
	v_mul_f32_e32 v37, v37, v64
	v_mov_b32_e32 v34, 0x3f317218
	s_mov_b32 s38, 0x3f317218
	v_pk_mul_f32 v[34:35], v[36:37], v[34:35]
	v_fma_f32 v64, v36, s38, -v34
	v_fmac_f32_e32 v64, 0xb102e308, v36
	v_pk_add_f32 v[36:37], v[34:35], v[64:65]
	v_sub_f32_e32 v65, v37, v65
	v_ldexp_f32 v33, v33, 1
	v_sub_f32_e32 v65, v35, v65
	v_add_f32_e32 v67, v33, v65
	v_mov_b32_e32 v66, v34
	v_pk_add_f32 v[34:35], v[36:37], v[34:35] neg_lo:[0,1] neg_hi:[0,1]
	v_pk_add_f32 v[68:69], v[36:37], v[66:67]
	v_mov_b32_e32 v35, v69
	v_mov_b32_e32 v65, v36
	v_pk_add_f32 v[70:71], v[64:65], v[34:35] neg_lo:[0,1] neg_hi:[0,1]
	v_pk_add_f32 v[34:35], v[64:65], v[34:35]
	v_mov_b32_e32 v64, v35
	v_pk_add_f32 v[80:81], v[64:65], v[36:37] neg_lo:[0,1] neg_hi:[0,1]
	v_mov_b32_e32 v33, v80
	v_pk_add_f32 v[82:83], v[68:69], v[32:33] neg_lo:[0,1] neg_hi:[0,1]
	v_mov_b32_e32 v34, v69
	v_mov_b32_e32 v68, v37
	;; [unrolled: 1-line block ×4, first 2 shown]
	v_pk_add_f32 v[34:35], v[34:35], v[68:69] neg_lo:[0,1] neg_hi:[0,1]
	v_mov_b32_e32 v66, v67
	v_mov_b32_e32 v67, v36
	v_pk_add_f32 v[34:35], v[66:67], v[34:35] neg_lo:[0,1] neg_hi:[0,1]
	v_mov_b32_e32 v82, v70
	v_pk_add_f32 v[36:37], v[82:83], v[34:35]
	v_mov_b32_e32 v66, v37
	v_pk_add_f32 v[66:67], v[36:37], v[66:67]
	v_pk_add_f32 v[64:65], v[64:65], v[66:67]
	v_mov_b32_e32 v37, v64
	v_pk_add_f32 v[68:69], v[36:37], v[70:71] neg_lo:[0,1] neg_hi:[0,1]
	v_mov_b32_e32 v35, v66
	v_sub_f32_e32 v33, v36, v68
	v_pk_add_f32 v[34:35], v[34:35], v[68:69] neg_lo:[0,1] neg_hi:[0,1]
	v_sub_f32_e32 v33, v70, v33
	v_add_f32_e32 v33, v34, v33
	v_cmp_eq_f32_e64 s[38:39], s43, v51
	s_mov_b32 s43, 0x33800000
	v_add_f32_e32 v33, v33, v35
	v_cmp_lt_f32_e64 s[44:45], |v51|, s43
	v_add_f32_e32 v33, v64, v33
	s_or_b64 s[38:39], s[38:39], s[44:45]
	v_cndmask_b32_e64 v33, v33, v51, s[38:39]
	v_add_f32_e32 v19, v19, v33
	v_cvt_f16_f32_e32 v33, v19
	v_cvt_f32_f16_e32 v34, v33
.LBB421_286:
	s_or_b64 exec, exec, s[40:41]
	v_cvt_f32_f16_e32 v19, v12
	v_max_f32_e32 v35, v34, v34
	v_cmp_u_f16_e64 s[40:41], v33, v33
	v_cmp_u_f16_e64 s[38:39], v12, v12
	v_min_f32_e32 v36, v35, v19
	v_max_f32_e32 v35, v35, v19
	v_cndmask_b32_e64 v36, v36, v34, s[40:41]
	v_cndmask_b32_e64 v35, v35, v34, s[40:41]
	;; [unrolled: 1-line block ×4, first 2 shown]
	v_cmp_neq_f32_e64 s[40:41], v36, v35
	v_cmp_class_f32_e64 s[42:43], v36, s42
	s_or_b64 s[40:41], s[40:41], s[42:43]
	s_and_saveexec_b64 s[42:43], s[40:41]
	s_cbranch_execz .LBB421_288
; %bb.287:
	v_sub_f32_e32 v33, v36, v35
	s_mov_b32 s40, 0x3fb8aa3b
	v_mul_f32_e32 v34, 0x3fb8aa3b, v33
	v_fma_f32 v36, v33, s40, -v34
	v_rndne_f32_e32 v37, v34
	v_fmac_f32_e32 v36, 0x32a5705f, v33
	v_sub_f32_e32 v34, v34, v37
	v_add_f32_e32 v34, v34, v36
	v_exp_f32_e32 v34, v34
	v_cvt_i32_f32_e32 v36, v37
	s_mov_b32 s40, 0xc2ce8ed0
	v_cmp_ngt_f32_e64 s[40:41], s40, v33
	s_mov_b32 s44, 0x7f800000
	v_ldexp_f32 v34, v34, v36
	v_cndmask_b32_e64 v34, 0, v34, s[40:41]
	s_mov_b32 s40, 0x42b17218
	v_mov_b32_e32 v36, 0x7f800000
	v_cmp_nlt_f32_e64 s[40:41], s40, v33
	v_cndmask_b32_e64 v51, v36, v34, s[40:41]
	v_add_f32_e32 v33, 1.0, v51
	v_add_f32_e32 v34, -1.0, v33
	v_sub_f32_e32 v36, v34, v33
	v_add_f32_e32 v36, 1.0, v36
	v_sub_f32_e32 v34, v51, v34
	v_add_f32_e32 v34, v34, v36
	v_frexp_mant_f32_e32 v64, v33
	s_mov_b32 s40, 0x3f2aaaab
	v_cvt_f64_f32_e32 v[36:37], v33
	v_frexp_exp_i32_f64_e32 v36, v[36:37]
	v_cmp_gt_f32_e64 s[40:41], s40, v64
	v_subbrev_co_u32_e64 v70, s[40:41], 0, v36, s[40:41]
	v_sub_u32_e32 v36, 0, v70
	v_ldexp_f32 v33, v33, v36
	v_ldexp_f32 v34, v34, v36
	v_add_f32_e32 v36, -1.0, v33
	v_add_f32_e32 v37, 1.0, v36
	v_sub_f32_e32 v37, v33, v37
	v_add_f32_e32 v64, v34, v37
	v_add_f32_e32 v37, 1.0, v33
	v_add_f32_e32 v65, -1.0, v37
	v_sub_f32_e32 v33, v33, v65
	v_add_f32_e32 v33, v34, v33
	v_add_f32_e32 v34, v37, v33
	v_rcp_f32_e32 v71, v34
	v_sub_f32_e32 v37, v37, v34
	v_add_f32_e32 v33, v33, v37
	v_add_f32_e32 v37, v36, v64
	v_sub_f32_e32 v36, v36, v37
	v_mul_f32_e32 v81, v37, v71
	v_add_f32_e32 v80, v64, v36
	v_mul_f32_e32 v64, v34, v81
	v_fma_f32 v66, v81, v34, -v64
	v_fmac_f32_e32 v66, v81, v33
	v_add_f32_e32 v36, v64, v66
	v_sub_f32_e32 v65, v37, v36
	v_pk_add_f32 v[68:69], v[36:37], v[64:65] neg_lo:[0,1] neg_hi:[0,1]
	v_mov_b32_e32 v67, v36
	v_pk_add_f32 v[36:37], v[68:69], v[66:67] neg_lo:[0,1] neg_hi:[0,1]
	v_add_f32_e32 v37, v80, v37
	v_add_f32_e32 v36, v36, v37
	;; [unrolled: 1-line block ×3, first 2 shown]
	v_mul_f32_e32 v80, v71, v37
	v_mul_f32_e32 v64, v34, v80
	v_fma_f32 v66, v80, v34, -v64
	v_fmac_f32_e32 v66, v80, v33
	v_sub_f32_e32 v33, v65, v37
	v_add_f32_e32 v33, v36, v33
	v_add_f32_e32 v36, v64, v66
	v_sub_f32_e32 v65, v37, v36
	v_pk_add_f32 v[68:69], v[36:37], v[64:65] neg_lo:[0,1] neg_hi:[0,1]
	v_mov_b32_e32 v67, v36
	v_pk_add_f32 v[36:37], v[68:69], v[66:67] neg_lo:[0,1] neg_hi:[0,1]
	v_add_f32_e32 v33, v33, v37
	v_add_f32_e32 v33, v36, v33
	v_add_f32_e32 v34, v81, v80
	v_add_f32_e32 v33, v65, v33
	v_sub_f32_e32 v36, v34, v81
	v_mul_f32_e32 v33, v71, v33
	v_sub_f32_e32 v36, v80, v36
	v_add_f32_e32 v33, v36, v33
	v_add_f32_e32 v36, v34, v33
	v_mul_f32_e32 v65, v36, v36
	v_mov_b32_e32 v64, 0x3ecc95a3
	v_fmac_f32_e32 v64, 0x3e9b6dac, v65
	v_mov_b32_e32 v37, 0x3f2aaada
	v_fmac_f32_e32 v37, v65, v64
	v_cvt_f32_i32_e32 v64, v70
	v_sub_f32_e32 v34, v36, v34
	v_ldexp_f32 v67, v36, 1
	v_mul_f32_e32 v65, v36, v65
	v_mov_b32_e32 v36, 0x3f317218
	s_mov_b32 s40, 0x3f317218
	v_pk_mul_f32 v[36:37], v[64:65], v[36:37]
	v_fma_f32 v66, v64, s40, -v36
	v_fmac_f32_e32 v66, 0xb102e308, v64
	v_pk_add_f32 v[64:65], v[36:37], v[66:67]
	v_sub_f32_e32 v33, v33, v34
	v_sub_f32_e32 v34, v65, v67
	v_ldexp_f32 v33, v33, 1
	v_sub_f32_e32 v34, v37, v34
	v_add_f32_e32 v69, v33, v34
	v_mov_b32_e32 v68, v36
	v_pk_add_f32 v[36:37], v[64:65], v[36:37] neg_lo:[0,1] neg_hi:[0,1]
	v_pk_add_f32 v[70:71], v[64:65], v[68:69]
	v_mov_b32_e32 v37, v71
	v_mov_b32_e32 v67, v64
	v_pk_add_f32 v[80:81], v[66:67], v[36:37] neg_lo:[0,1] neg_hi:[0,1]
	v_pk_add_f32 v[36:37], v[66:67], v[36:37]
	v_mov_b32_e32 v34, v37
	v_pk_add_f32 v[66:67], v[34:35], v[64:65] neg_lo:[0,1] neg_hi:[0,1]
	v_mov_b32_e32 v33, v66
	v_pk_add_f32 v[82:83], v[70:71], v[32:33] neg_lo:[0,1] neg_hi:[0,1]
	v_mov_b32_e32 v36, v71
	v_mov_b32_e32 v70, v65
	;; [unrolled: 1-line block ×4, first 2 shown]
	v_pk_add_f32 v[36:37], v[36:37], v[70:71] neg_lo:[0,1] neg_hi:[0,1]
	v_mov_b32_e32 v66, v69
	v_mov_b32_e32 v67, v64
	v_pk_add_f32 v[36:37], v[66:67], v[36:37] neg_lo:[0,1] neg_hi:[0,1]
	v_mov_b32_e32 v82, v80
	v_pk_add_f32 v[64:65], v[82:83], v[36:37]
	v_mov_b32_e32 v66, v65
	v_pk_add_f32 v[66:67], v[64:65], v[66:67]
	v_pk_add_f32 v[68:69], v[34:35], v[66:67]
	v_mov_b32_e32 v65, v68
	v_pk_add_f32 v[70:71], v[64:65], v[80:81] neg_lo:[0,1] neg_hi:[0,1]
	v_mov_b32_e32 v37, v66
	v_sub_f32_e32 v33, v64, v70
	v_pk_add_f32 v[36:37], v[36:37], v[70:71] neg_lo:[0,1] neg_hi:[0,1]
	v_sub_f32_e32 v33, v80, v33
	v_add_f32_e32 v33, v36, v33
	v_cmp_eq_f32_e64 s[40:41], s44, v51
	s_mov_b32 s44, 0x33800000
	v_add_f32_e32 v33, v33, v37
	v_cmp_lt_f32_e64 s[44:45], |v51|, s44
	v_add_f32_e32 v33, v68, v33
	s_or_b64 s[40:41], s[40:41], s[44:45]
	v_cndmask_b32_e64 v33, v33, v51, s[40:41]
	v_add_f32_e32 v33, v35, v33
	v_cvt_f16_f32_e32 v33, v33
	v_cvt_f32_f16_e32 v34, v33
.LBB421_288:
	s_or_b64 exec, exec, s[42:43]
	v_cvt_f32_f16_sdwa v64, v12 dst_sel:DWORD dst_unused:UNUSED_PAD src0_sel:WORD_1
	v_max_f32_e32 v36, v34, v34
	v_cmp_u_f16_e64 s[42:43], v33, v33
	v_cmp_u_f16_sdwa s[40:41], v12, v12 src0_sel:WORD_1 src1_sel:WORD_1
	v_min_f32_e32 v35, v36, v64
	v_max_f32_e32 v12, v36, v64
	v_cndmask_b32_e64 v35, v35, v34, s[42:43]
	v_cndmask_b32_e64 v12, v12, v34, s[42:43]
	;; [unrolled: 1-line block ×4, first 2 shown]
	s_movk_i32 s46, 0x1f8
	v_cmp_neq_f32_e64 s[42:43], v35, v12
	v_cmp_class_f32_e64 s[44:45], v35, s46
	s_or_b64 s[42:43], s[42:43], s[44:45]
	s_and_saveexec_b64 s[44:45], s[42:43]
	s_cbranch_execz .LBB421_290
; %bb.289:
	v_sub_f32_e32 v33, v35, v12
	s_mov_b32 s42, 0x3fb8aa3b
	v_mul_f32_e32 v34, 0x3fb8aa3b, v33
	v_fma_f32 v35, v33, s42, -v34
	v_rndne_f32_e32 v36, v34
	v_fmac_f32_e32 v35, 0x32a5705f, v33
	v_sub_f32_e32 v34, v34, v36
	v_add_f32_e32 v34, v34, v35
	v_exp_f32_e32 v34, v34
	v_cvt_i32_f32_e32 v35, v36
	s_mov_b32 s42, 0xc2ce8ed0
	v_cmp_ngt_f32_e64 s[42:43], s42, v33
	s_mov_b32 s47, 0x7f800000
	v_ldexp_f32 v34, v34, v35
	v_cndmask_b32_e64 v34, 0, v34, s[42:43]
	s_mov_b32 s42, 0x42b17218
	v_mov_b32_e32 v35, 0x7f800000
	v_cmp_nlt_f32_e64 s[42:43], s42, v33
	v_cndmask_b32_e64 v51, v35, v34, s[42:43]
	v_add_f32_e32 v33, 1.0, v51
	v_add_f32_e32 v34, -1.0, v33
	v_sub_f32_e32 v35, v34, v33
	v_add_f32_e32 v35, 1.0, v35
	v_sub_f32_e32 v34, v51, v34
	v_add_f32_e32 v36, v34, v35
	v_frexp_mant_f32_e32 v37, v33
	s_mov_b32 s42, 0x3f2aaaab
	v_cvt_f64_f32_e32 v[34:35], v33
	v_frexp_exp_i32_f64_e32 v34, v[34:35]
	v_cmp_gt_f32_e64 s[42:43], s42, v37
	v_subbrev_co_u32_e64 v65, s[42:43], 0, v34, s[42:43]
	v_sub_u32_e32 v34, 0, v65
	v_ldexp_f32 v33, v33, v34
	v_ldexp_f32 v34, v36, v34
	v_add_f32_e32 v36, -1.0, v33
	v_add_f32_e32 v35, 1.0, v36
	v_sub_f32_e32 v35, v33, v35
	v_add_f32_e32 v37, v34, v35
	v_add_f32_e32 v35, 1.0, v33
	v_add_f32_e32 v66, -1.0, v35
	v_sub_f32_e32 v33, v33, v66
	v_add_f32_e32 v33, v34, v33
	v_add_f32_e32 v70, v35, v33
	v_rcp_f32_e32 v71, v70
	v_sub_f32_e32 v34, v35, v70
	v_add_f32_e32 v35, v36, v37
	v_add_f32_e32 v33, v33, v34
	v_mul_f32_e32 v81, v35, v71
	v_sub_f32_e32 v34, v36, v35
	v_mul_f32_e32 v36, v70, v81
	v_fma_f32 v66, v81, v70, -v36
	v_fmac_f32_e32 v66, v81, v33
	v_add_f32_e32 v80, v37, v34
	v_add_f32_e32 v34, v36, v66
	v_sub_f32_e32 v37, v35, v34
	v_pk_add_f32 v[68:69], v[34:35], v[36:37] neg_lo:[0,1] neg_hi:[0,1]
	v_mov_b32_e32 v67, v34
	v_pk_add_f32 v[34:35], v[68:69], v[66:67] neg_lo:[0,1] neg_hi:[0,1]
	v_add_f32_e32 v35, v80, v35
	v_add_f32_e32 v34, v34, v35
	;; [unrolled: 1-line block ×3, first 2 shown]
	v_mul_f32_e32 v80, v71, v35
	v_mul_f32_e32 v36, v70, v80
	v_fma_f32 v66, v80, v70, -v36
	v_fmac_f32_e32 v66, v80, v33
	v_sub_f32_e32 v33, v37, v35
	v_add_f32_e32 v33, v34, v33
	v_add_f32_e32 v34, v36, v66
	v_sub_f32_e32 v37, v35, v34
	v_pk_add_f32 v[68:69], v[34:35], v[36:37] neg_lo:[0,1] neg_hi:[0,1]
	v_mov_b32_e32 v67, v34
	v_pk_add_f32 v[34:35], v[68:69], v[66:67] neg_lo:[0,1] neg_hi:[0,1]
	v_add_f32_e32 v33, v33, v35
	v_add_f32_e32 v33, v34, v33
	;; [unrolled: 1-line block ×4, first 2 shown]
	v_sub_f32_e32 v35, v34, v81
	v_mul_f32_e32 v33, v71, v33
	v_sub_f32_e32 v35, v80, v35
	v_add_f32_e32 v33, v35, v33
	v_add_f32_e32 v37, v34, v33
	v_mul_f32_e32 v66, v37, v37
	v_mov_b32_e32 v36, 0x3ecc95a3
	v_fmac_f32_e32 v36, 0x3e9b6dac, v66
	v_mov_b32_e32 v35, 0x3f2aaada
	v_fmac_f32_e32 v35, v66, v36
	v_cvt_f32_i32_e32 v36, v65
	v_sub_f32_e32 v34, v37, v34
	v_sub_f32_e32 v33, v33, v34
	v_ldexp_f32 v67, v37, 1
	v_mul_f32_e32 v37, v37, v66
	v_mov_b32_e32 v34, 0x3f317218
	s_mov_b32 s42, 0x3f317218
	v_pk_mul_f32 v[34:35], v[36:37], v[34:35]
	v_fma_f32 v66, v36, s42, -v34
	v_fmac_f32_e32 v66, 0xb102e308, v36
	v_pk_add_f32 v[36:37], v[34:35], v[66:67]
	v_sub_f32_e32 v65, v37, v67
	v_ldexp_f32 v33, v33, 1
	v_sub_f32_e32 v65, v35, v65
	v_add_f32_e32 v69, v33, v65
	v_mov_b32_e32 v68, v34
	v_pk_add_f32 v[34:35], v[36:37], v[34:35] neg_lo:[0,1] neg_hi:[0,1]
	v_pk_add_f32 v[70:71], v[36:37], v[68:69]
	v_mov_b32_e32 v35, v71
	v_mov_b32_e32 v67, v36
	v_pk_add_f32 v[80:81], v[66:67], v[34:35] neg_lo:[0,1] neg_hi:[0,1]
	v_pk_add_f32 v[34:35], v[66:67], v[34:35]
	v_mov_b32_e32 v66, v35
	v_pk_add_f32 v[82:83], v[66:67], v[36:37] neg_lo:[0,1] neg_hi:[0,1]
	v_mov_b32_e32 v33, v82
	v_pk_add_f32 v[84:85], v[70:71], v[32:33] neg_lo:[0,1] neg_hi:[0,1]
	v_mov_b32_e32 v34, v71
	v_mov_b32_e32 v70, v37
	;; [unrolled: 1-line block ×4, first 2 shown]
	v_pk_add_f32 v[34:35], v[34:35], v[70:71] neg_lo:[0,1] neg_hi:[0,1]
	v_mov_b32_e32 v68, v69
	v_mov_b32_e32 v69, v36
	v_pk_add_f32 v[34:35], v[68:69], v[34:35] neg_lo:[0,1] neg_hi:[0,1]
	v_mov_b32_e32 v84, v80
	v_pk_add_f32 v[36:37], v[84:85], v[34:35]
	v_mov_b32_e32 v68, v37
	v_pk_add_f32 v[68:69], v[36:37], v[68:69]
	v_pk_add_f32 v[66:67], v[66:67], v[68:69]
	v_mov_b32_e32 v37, v66
	v_pk_add_f32 v[70:71], v[36:37], v[80:81] neg_lo:[0,1] neg_hi:[0,1]
	v_mov_b32_e32 v35, v68
	v_sub_f32_e32 v33, v36, v70
	v_pk_add_f32 v[34:35], v[34:35], v[70:71] neg_lo:[0,1] neg_hi:[0,1]
	v_sub_f32_e32 v33, v80, v33
	v_add_f32_e32 v33, v34, v33
	v_cmp_eq_f32_e64 s[42:43], s47, v51
	s_mov_b32 s47, 0x33800000
	v_add_f32_e32 v33, v33, v35
	v_cmp_lt_f32_e64 s[48:49], |v51|, s47
	v_add_f32_e32 v33, v66, v33
	s_or_b64 s[42:43], s[42:43], s[48:49]
	v_cndmask_b32_e64 v33, v33, v51, s[42:43]
	v_add_f32_e32 v12, v12, v33
	v_cvt_f16_f32_e32 v33, v12
	v_cvt_f32_f16_e32 v34, v33
.LBB421_290:
	s_or_b64 exec, exec, s[44:45]
	v_cvt_f32_f16_e32 v12, v13
	v_max_f32_e32 v35, v34, v34
	v_cmp_u_f16_e64 s[44:45], v33, v33
	v_cmp_u_f16_e64 s[42:43], v13, v13
	v_min_f32_e32 v36, v35, v12
	v_max_f32_e32 v35, v35, v12
	v_cndmask_b32_e64 v36, v36, v34, s[44:45]
	v_cndmask_b32_e64 v35, v35, v34, s[44:45]
	v_cndmask_b32_e64 v36, v36, v12, s[42:43]
	v_cndmask_b32_e64 v35, v35, v12, s[42:43]
	v_cmp_neq_f32_e64 s[44:45], v36, v35
	v_cmp_class_f32_e64 s[46:47], v36, s46
	s_or_b64 s[44:45], s[44:45], s[46:47]
	s_and_saveexec_b64 s[46:47], s[44:45]
	s_cbranch_execz .LBB421_292
; %bb.291:
	v_sub_f32_e32 v33, v36, v35
	s_mov_b32 s44, 0x3fb8aa3b
	v_mul_f32_e32 v34, 0x3fb8aa3b, v33
	v_fma_f32 v36, v33, s44, -v34
	v_rndne_f32_e32 v37, v34
	v_fmac_f32_e32 v36, 0x32a5705f, v33
	v_sub_f32_e32 v34, v34, v37
	v_add_f32_e32 v34, v34, v36
	v_exp_f32_e32 v34, v34
	v_cvt_i32_f32_e32 v36, v37
	s_mov_b32 s44, 0xc2ce8ed0
	v_cmp_ngt_f32_e64 s[44:45], s44, v33
	s_mov_b32 s48, 0x7f800000
	v_ldexp_f32 v34, v34, v36
	v_cndmask_b32_e64 v34, 0, v34, s[44:45]
	s_mov_b32 s44, 0x42b17218
	v_mov_b32_e32 v36, 0x7f800000
	v_cmp_nlt_f32_e64 s[44:45], s44, v33
	v_cndmask_b32_e64 v51, v36, v34, s[44:45]
	v_add_f32_e32 v33, 1.0, v51
	v_add_f32_e32 v34, -1.0, v33
	v_sub_f32_e32 v36, v34, v33
	v_add_f32_e32 v36, 1.0, v36
	v_sub_f32_e32 v34, v51, v34
	v_add_f32_e32 v34, v34, v36
	v_frexp_mant_f32_e32 v65, v33
	s_mov_b32 s44, 0x3f2aaaab
	v_cvt_f64_f32_e32 v[36:37], v33
	v_frexp_exp_i32_f64_e32 v36, v[36:37]
	v_cmp_gt_f32_e64 s[44:45], s44, v65
	v_subbrev_co_u32_e64 v65, s[44:45], 0, v36, s[44:45]
	v_sub_u32_e32 v36, 0, v65
	v_ldexp_f32 v33, v33, v36
	v_ldexp_f32 v34, v34, v36
	v_add_f32_e32 v36, -1.0, v33
	v_add_f32_e32 v37, 1.0, v36
	v_sub_f32_e32 v37, v33, v37
	v_add_f32_e32 v66, v34, v37
	v_add_f32_e32 v37, 1.0, v33
	v_add_f32_e32 v67, -1.0, v37
	v_sub_f32_e32 v33, v33, v67
	v_add_f32_e32 v33, v34, v33
	v_add_f32_e32 v34, v37, v33
	v_rcp_f32_e32 v80, v34
	v_sub_f32_e32 v37, v37, v34
	v_add_f32_e32 v33, v33, v37
	v_add_f32_e32 v37, v36, v66
	v_sub_f32_e32 v36, v36, v37
	v_mul_f32_e32 v82, v37, v80
	v_add_f32_e32 v81, v66, v36
	v_mul_f32_e32 v66, v34, v82
	v_fma_f32 v68, v82, v34, -v66
	v_fmac_f32_e32 v68, v82, v33
	v_add_f32_e32 v36, v66, v68
	v_sub_f32_e32 v67, v37, v36
	v_pk_add_f32 v[70:71], v[36:37], v[66:67] neg_lo:[0,1] neg_hi:[0,1]
	v_mov_b32_e32 v69, v36
	v_pk_add_f32 v[36:37], v[70:71], v[68:69] neg_lo:[0,1] neg_hi:[0,1]
	v_add_f32_e32 v37, v81, v37
	v_add_f32_e32 v36, v36, v37
	;; [unrolled: 1-line block ×3, first 2 shown]
	v_mul_f32_e32 v81, v80, v37
	v_mul_f32_e32 v66, v34, v81
	v_fma_f32 v68, v81, v34, -v66
	v_fmac_f32_e32 v68, v81, v33
	v_sub_f32_e32 v33, v67, v37
	v_add_f32_e32 v33, v36, v33
	v_add_f32_e32 v36, v66, v68
	v_sub_f32_e32 v67, v37, v36
	v_pk_add_f32 v[70:71], v[36:37], v[66:67] neg_lo:[0,1] neg_hi:[0,1]
	v_mov_b32_e32 v69, v36
	v_pk_add_f32 v[36:37], v[70:71], v[68:69] neg_lo:[0,1] neg_hi:[0,1]
	v_add_f32_e32 v33, v33, v37
	v_add_f32_e32 v33, v36, v33
	;; [unrolled: 1-line block ×4, first 2 shown]
	v_sub_f32_e32 v36, v34, v82
	v_mul_f32_e32 v33, v80, v33
	v_sub_f32_e32 v36, v81, v36
	v_add_f32_e32 v33, v36, v33
	v_add_f32_e32 v36, v34, v33
	v_mul_f32_e32 v67, v36, v36
	v_mov_b32_e32 v66, 0x3ecc95a3
	v_fmac_f32_e32 v66, 0x3e9b6dac, v67
	v_mov_b32_e32 v37, 0x3f2aaada
	v_fmac_f32_e32 v37, v67, v66
	v_cvt_f32_i32_e32 v66, v65
	v_sub_f32_e32 v34, v36, v34
	v_ldexp_f32 v69, v36, 1
	v_mul_f32_e32 v67, v36, v67
	v_mov_b32_e32 v36, 0x3f317218
	s_mov_b32 s44, 0x3f317218
	v_pk_mul_f32 v[36:37], v[66:67], v[36:37]
	v_fma_f32 v68, v66, s44, -v36
	v_fmac_f32_e32 v68, 0xb102e308, v66
	v_pk_add_f32 v[66:67], v[36:37], v[68:69]
	v_sub_f32_e32 v33, v33, v34
	v_sub_f32_e32 v34, v67, v69
	v_ldexp_f32 v33, v33, 1
	v_sub_f32_e32 v34, v37, v34
	v_add_f32_e32 v71, v33, v34
	v_mov_b32_e32 v70, v36
	v_pk_add_f32 v[36:37], v[66:67], v[36:37] neg_lo:[0,1] neg_hi:[0,1]
	v_pk_add_f32 v[80:81], v[66:67], v[70:71]
	v_mov_b32_e32 v37, v81
	v_mov_b32_e32 v69, v66
	v_pk_add_f32 v[82:83], v[68:69], v[36:37] neg_lo:[0,1] neg_hi:[0,1]
	v_pk_add_f32 v[36:37], v[68:69], v[36:37]
	v_mov_b32_e32 v34, v37
	v_pk_add_f32 v[68:69], v[34:35], v[66:67] neg_lo:[0,1] neg_hi:[0,1]
	v_mov_b32_e32 v33, v68
	v_pk_add_f32 v[84:85], v[80:81], v[32:33] neg_lo:[0,1] neg_hi:[0,1]
	v_mov_b32_e32 v36, v81
	v_mov_b32_e32 v80, v67
	;; [unrolled: 1-line block ×4, first 2 shown]
	v_pk_add_f32 v[36:37], v[36:37], v[80:81] neg_lo:[0,1] neg_hi:[0,1]
	v_mov_b32_e32 v68, v71
	v_mov_b32_e32 v69, v66
	v_pk_add_f32 v[36:37], v[68:69], v[36:37] neg_lo:[0,1] neg_hi:[0,1]
	v_mov_b32_e32 v84, v82
	v_pk_add_f32 v[66:67], v[84:85], v[36:37]
	v_mov_b32_e32 v68, v67
	v_pk_add_f32 v[68:69], v[66:67], v[68:69]
	v_pk_add_f32 v[70:71], v[34:35], v[68:69]
	v_mov_b32_e32 v67, v70
	v_pk_add_f32 v[80:81], v[66:67], v[82:83] neg_lo:[0,1] neg_hi:[0,1]
	v_mov_b32_e32 v37, v68
	v_sub_f32_e32 v33, v66, v80
	v_pk_add_f32 v[36:37], v[36:37], v[80:81] neg_lo:[0,1] neg_hi:[0,1]
	v_sub_f32_e32 v33, v82, v33
	v_add_f32_e32 v33, v36, v33
	v_cmp_eq_f32_e64 s[44:45], s48, v51
	s_mov_b32 s48, 0x33800000
	v_add_f32_e32 v33, v33, v37
	v_cmp_lt_f32_e64 s[48:49], |v51|, s48
	v_add_f32_e32 v33, v70, v33
	s_or_b64 s[44:45], s[44:45], s[48:49]
	v_cndmask_b32_e64 v33, v33, v51, s[44:45]
	v_add_f32_e32 v33, v35, v33
	v_cvt_f16_f32_e32 v33, v33
	v_cvt_f32_f16_e32 v34, v33
.LBB421_292:
	s_or_b64 exec, exec, s[46:47]
	v_cvt_f32_f16_sdwa v65, v13 dst_sel:DWORD dst_unused:UNUSED_PAD src0_sel:WORD_1
	v_max_f32_e32 v36, v34, v34
	v_cmp_u_f16_e64 s[46:47], v33, v33
	v_cmp_u_f16_sdwa s[44:45], v13, v13 src0_sel:WORD_1 src1_sel:WORD_1
	v_min_f32_e32 v35, v36, v65
	v_max_f32_e32 v13, v36, v65
	v_cndmask_b32_e64 v35, v35, v34, s[46:47]
	v_cndmask_b32_e64 v13, v13, v34, s[46:47]
	;; [unrolled: 1-line block ×4, first 2 shown]
	s_movk_i32 s50, 0x1f8
	v_cmp_neq_f32_e64 s[46:47], v35, v13
	v_cmp_class_f32_e64 s[48:49], v35, s50
	s_or_b64 s[46:47], s[46:47], s[48:49]
	s_and_saveexec_b64 s[48:49], s[46:47]
	s_cbranch_execz .LBB421_294
; %bb.293:
	v_sub_f32_e32 v33, v35, v13
	s_mov_b32 s46, 0x3fb8aa3b
	v_mul_f32_e32 v34, 0x3fb8aa3b, v33
	v_fma_f32 v35, v33, s46, -v34
	v_rndne_f32_e32 v36, v34
	v_fmac_f32_e32 v35, 0x32a5705f, v33
	v_sub_f32_e32 v34, v34, v36
	v_add_f32_e32 v34, v34, v35
	v_exp_f32_e32 v34, v34
	v_cvt_i32_f32_e32 v35, v36
	s_mov_b32 s46, 0xc2ce8ed0
	v_cmp_ngt_f32_e64 s[46:47], s46, v33
	s_mov_b32 s51, 0x7f800000
	v_ldexp_f32 v34, v34, v35
	v_cndmask_b32_e64 v34, 0, v34, s[46:47]
	s_mov_b32 s46, 0x42b17218
	v_mov_b32_e32 v35, 0x7f800000
	v_cmp_nlt_f32_e64 s[46:47], s46, v33
	v_cndmask_b32_e64 v51, v35, v34, s[46:47]
	v_add_f32_e32 v33, 1.0, v51
	v_add_f32_e32 v34, -1.0, v33
	v_sub_f32_e32 v35, v34, v33
	v_add_f32_e32 v35, 1.0, v35
	v_sub_f32_e32 v34, v51, v34
	v_add_f32_e32 v36, v34, v35
	v_frexp_mant_f32_e32 v37, v33
	s_mov_b32 s46, 0x3f2aaaab
	v_cvt_f64_f32_e32 v[34:35], v33
	v_frexp_exp_i32_f64_e32 v34, v[34:35]
	v_cmp_gt_f32_e64 s[46:47], s46, v37
	v_subbrev_co_u32_e64 v70, s[46:47], 0, v34, s[46:47]
	v_sub_u32_e32 v34, 0, v70
	v_ldexp_f32 v33, v33, v34
	v_ldexp_f32 v34, v36, v34
	v_add_f32_e32 v36, -1.0, v33
	v_add_f32_e32 v35, 1.0, v36
	v_sub_f32_e32 v35, v33, v35
	v_add_f32_e32 v37, v34, v35
	v_add_f32_e32 v35, 1.0, v33
	v_add_f32_e32 v66, -1.0, v35
	v_sub_f32_e32 v33, v33, v66
	v_add_f32_e32 v33, v34, v33
	v_add_f32_e32 v71, v35, v33
	v_rcp_f32_e32 v80, v71
	v_sub_f32_e32 v34, v35, v71
	v_add_f32_e32 v35, v36, v37
	v_add_f32_e32 v33, v33, v34
	v_mul_f32_e32 v82, v35, v80
	v_sub_f32_e32 v34, v36, v35
	v_mul_f32_e32 v36, v71, v82
	v_fma_f32 v66, v82, v71, -v36
	v_fmac_f32_e32 v66, v82, v33
	v_add_f32_e32 v81, v37, v34
	v_add_f32_e32 v34, v36, v66
	v_sub_f32_e32 v37, v35, v34
	v_pk_add_f32 v[68:69], v[34:35], v[36:37] neg_lo:[0,1] neg_hi:[0,1]
	v_mov_b32_e32 v67, v34
	v_pk_add_f32 v[34:35], v[68:69], v[66:67] neg_lo:[0,1] neg_hi:[0,1]
	v_add_f32_e32 v35, v81, v35
	v_add_f32_e32 v34, v34, v35
	;; [unrolled: 1-line block ×3, first 2 shown]
	v_mul_f32_e32 v81, v80, v35
	v_mul_f32_e32 v36, v71, v81
	v_fma_f32 v66, v81, v71, -v36
	v_fmac_f32_e32 v66, v81, v33
	v_sub_f32_e32 v33, v37, v35
	v_add_f32_e32 v33, v34, v33
	v_add_f32_e32 v34, v36, v66
	v_sub_f32_e32 v37, v35, v34
	v_pk_add_f32 v[68:69], v[34:35], v[36:37] neg_lo:[0,1] neg_hi:[0,1]
	v_mov_b32_e32 v67, v34
	v_pk_add_f32 v[34:35], v[68:69], v[66:67] neg_lo:[0,1] neg_hi:[0,1]
	v_add_f32_e32 v33, v33, v35
	v_add_f32_e32 v33, v34, v33
	;; [unrolled: 1-line block ×4, first 2 shown]
	v_sub_f32_e32 v35, v34, v82
	v_mul_f32_e32 v33, v80, v33
	v_sub_f32_e32 v35, v81, v35
	v_add_f32_e32 v33, v35, v33
	v_add_f32_e32 v37, v34, v33
	v_mul_f32_e32 v66, v37, v37
	v_mov_b32_e32 v36, 0x3ecc95a3
	v_fmac_f32_e32 v36, 0x3e9b6dac, v66
	v_mov_b32_e32 v35, 0x3f2aaada
	v_fmac_f32_e32 v35, v66, v36
	v_cvt_f32_i32_e32 v36, v70
	v_sub_f32_e32 v34, v37, v34
	v_sub_f32_e32 v33, v33, v34
	v_ldexp_f32 v67, v37, 1
	v_mul_f32_e32 v37, v37, v66
	v_mov_b32_e32 v34, 0x3f317218
	s_mov_b32 s46, 0x3f317218
	v_pk_mul_f32 v[34:35], v[36:37], v[34:35]
	v_fma_f32 v66, v36, s46, -v34
	v_fmac_f32_e32 v66, 0xb102e308, v36
	v_pk_add_f32 v[36:37], v[34:35], v[66:67]
	v_sub_f32_e32 v67, v37, v67
	v_ldexp_f32 v33, v33, 1
	v_sub_f32_e32 v67, v35, v67
	v_add_f32_e32 v69, v33, v67
	v_mov_b32_e32 v68, v34
	v_pk_add_f32 v[34:35], v[36:37], v[34:35] neg_lo:[0,1] neg_hi:[0,1]
	v_pk_add_f32 v[70:71], v[36:37], v[68:69]
	v_mov_b32_e32 v35, v71
	v_mov_b32_e32 v67, v36
	v_pk_add_f32 v[80:81], v[66:67], v[34:35] neg_lo:[0,1] neg_hi:[0,1]
	v_pk_add_f32 v[34:35], v[66:67], v[34:35]
	v_mov_b32_e32 v66, v35
	v_pk_add_f32 v[82:83], v[66:67], v[36:37] neg_lo:[0,1] neg_hi:[0,1]
	v_mov_b32_e32 v33, v82
	v_pk_add_f32 v[84:85], v[70:71], v[32:33] neg_lo:[0,1] neg_hi:[0,1]
	v_mov_b32_e32 v34, v71
	v_mov_b32_e32 v70, v37
	v_mov_b32_e32 v71, v82
	v_mov_b32_e32 v81, v35
	v_pk_add_f32 v[34:35], v[34:35], v[70:71] neg_lo:[0,1] neg_hi:[0,1]
	v_mov_b32_e32 v68, v69
	v_mov_b32_e32 v69, v36
	v_pk_add_f32 v[34:35], v[68:69], v[34:35] neg_lo:[0,1] neg_hi:[0,1]
	v_mov_b32_e32 v84, v80
	v_pk_add_f32 v[36:37], v[84:85], v[34:35]
	v_mov_b32_e32 v68, v37
	v_pk_add_f32 v[68:69], v[36:37], v[68:69]
	v_pk_add_f32 v[66:67], v[66:67], v[68:69]
	v_mov_b32_e32 v37, v66
	v_pk_add_f32 v[70:71], v[36:37], v[80:81] neg_lo:[0,1] neg_hi:[0,1]
	v_mov_b32_e32 v35, v68
	v_sub_f32_e32 v33, v36, v70
	v_pk_add_f32 v[34:35], v[34:35], v[70:71] neg_lo:[0,1] neg_hi:[0,1]
	v_sub_f32_e32 v33, v80, v33
	v_add_f32_e32 v33, v34, v33
	v_cmp_eq_f32_e64 s[46:47], s51, v51
	s_mov_b32 s51, 0x33800000
	v_add_f32_e32 v33, v33, v35
	v_cmp_lt_f32_e64 s[52:53], |v51|, s51
	v_add_f32_e32 v33, v66, v33
	s_or_b64 s[46:47], s[46:47], s[52:53]
	v_cndmask_b32_e64 v33, v33, v51, s[46:47]
	v_add_f32_e32 v13, v13, v33
	v_cvt_f16_f32_e32 v33, v13
	v_cvt_f32_f16_e32 v34, v33
.LBB421_294:
	s_or_b64 exec, exec, s[48:49]
	v_cvt_f32_f16_e32 v13, v14
	v_max_f32_e32 v35, v34, v34
	v_cmp_u_f16_e64 s[48:49], v33, v33
	v_cmp_u_f16_e64 s[46:47], v14, v14
	v_min_f32_e32 v36, v35, v13
	v_max_f32_e32 v35, v35, v13
	v_cndmask_b32_e64 v36, v36, v34, s[48:49]
	v_cndmask_b32_e64 v35, v35, v34, s[48:49]
	;; [unrolled: 1-line block ×4, first 2 shown]
	v_cmp_neq_f32_e64 s[48:49], v36, v35
	v_cmp_class_f32_e64 s[50:51], v36, s50
	s_or_b64 s[48:49], s[48:49], s[50:51]
	s_and_saveexec_b64 s[50:51], s[48:49]
	s_cbranch_execz .LBB421_296
; %bb.295:
	v_sub_f32_e32 v33, v36, v35
	s_mov_b32 s48, 0x3fb8aa3b
	v_mul_f32_e32 v34, 0x3fb8aa3b, v33
	v_fma_f32 v36, v33, s48, -v34
	v_rndne_f32_e32 v37, v34
	v_fmac_f32_e32 v36, 0x32a5705f, v33
	v_sub_f32_e32 v34, v34, v37
	v_add_f32_e32 v34, v34, v36
	v_exp_f32_e32 v34, v34
	v_cvt_i32_f32_e32 v36, v37
	s_mov_b32 s48, 0xc2ce8ed0
	v_cmp_ngt_f32_e64 s[48:49], s48, v33
	s_mov_b32 s52, 0x7f800000
	v_ldexp_f32 v34, v34, v36
	v_cndmask_b32_e64 v34, 0, v34, s[48:49]
	s_mov_b32 s48, 0x42b17218
	v_mov_b32_e32 v36, 0x7f800000
	v_cmp_nlt_f32_e64 s[48:49], s48, v33
	v_cndmask_b32_e64 v51, v36, v34, s[48:49]
	v_add_f32_e32 v33, 1.0, v51
	v_add_f32_e32 v34, -1.0, v33
	v_sub_f32_e32 v36, v34, v33
	v_add_f32_e32 v36, 1.0, v36
	v_sub_f32_e32 v34, v51, v34
	v_add_f32_e32 v34, v34, v36
	v_frexp_mant_f32_e32 v66, v33
	s_mov_b32 s48, 0x3f2aaaab
	v_cvt_f64_f32_e32 v[36:37], v33
	v_frexp_exp_i32_f64_e32 v36, v[36:37]
	v_cmp_gt_f32_e64 s[48:49], s48, v66
	v_subbrev_co_u32_e64 v80, s[48:49], 0, v36, s[48:49]
	v_sub_u32_e32 v36, 0, v80
	v_ldexp_f32 v33, v33, v36
	v_ldexp_f32 v34, v34, v36
	v_add_f32_e32 v36, -1.0, v33
	v_add_f32_e32 v37, 1.0, v36
	v_sub_f32_e32 v37, v33, v37
	v_add_f32_e32 v66, v34, v37
	v_add_f32_e32 v37, 1.0, v33
	v_add_f32_e32 v67, -1.0, v37
	v_sub_f32_e32 v33, v33, v67
	v_add_f32_e32 v33, v34, v33
	v_add_f32_e32 v34, v37, v33
	v_rcp_f32_e32 v81, v34
	v_sub_f32_e32 v37, v37, v34
	v_add_f32_e32 v33, v33, v37
	v_add_f32_e32 v37, v36, v66
	v_sub_f32_e32 v36, v36, v37
	v_mul_f32_e32 v83, v37, v81
	v_add_f32_e32 v82, v66, v36
	v_mul_f32_e32 v66, v34, v83
	v_fma_f32 v68, v83, v34, -v66
	v_fmac_f32_e32 v68, v83, v33
	v_add_f32_e32 v36, v66, v68
	v_sub_f32_e32 v67, v37, v36
	v_pk_add_f32 v[70:71], v[36:37], v[66:67] neg_lo:[0,1] neg_hi:[0,1]
	v_mov_b32_e32 v69, v36
	v_pk_add_f32 v[36:37], v[70:71], v[68:69] neg_lo:[0,1] neg_hi:[0,1]
	v_add_f32_e32 v37, v82, v37
	v_add_f32_e32 v36, v36, v37
	;; [unrolled: 1-line block ×3, first 2 shown]
	v_mul_f32_e32 v82, v81, v37
	v_mul_f32_e32 v66, v34, v82
	v_fma_f32 v68, v82, v34, -v66
	v_fmac_f32_e32 v68, v82, v33
	v_sub_f32_e32 v33, v67, v37
	v_add_f32_e32 v33, v36, v33
	v_add_f32_e32 v36, v66, v68
	v_sub_f32_e32 v67, v37, v36
	v_pk_add_f32 v[70:71], v[36:37], v[66:67] neg_lo:[0,1] neg_hi:[0,1]
	v_mov_b32_e32 v69, v36
	v_pk_add_f32 v[36:37], v[70:71], v[68:69] neg_lo:[0,1] neg_hi:[0,1]
	v_add_f32_e32 v33, v33, v37
	v_add_f32_e32 v33, v36, v33
	;; [unrolled: 1-line block ×4, first 2 shown]
	v_sub_f32_e32 v36, v34, v83
	v_mul_f32_e32 v33, v81, v33
	v_sub_f32_e32 v36, v82, v36
	v_add_f32_e32 v33, v36, v33
	v_add_f32_e32 v36, v34, v33
	v_mul_f32_e32 v67, v36, v36
	v_mov_b32_e32 v66, 0x3ecc95a3
	v_fmac_f32_e32 v66, 0x3e9b6dac, v67
	v_mov_b32_e32 v37, 0x3f2aaada
	v_fmac_f32_e32 v37, v67, v66
	v_cvt_f32_i32_e32 v66, v80
	v_sub_f32_e32 v34, v36, v34
	v_ldexp_f32 v69, v36, 1
	v_mul_f32_e32 v67, v36, v67
	v_mov_b32_e32 v36, 0x3f317218
	s_mov_b32 s48, 0x3f317218
	v_pk_mul_f32 v[36:37], v[66:67], v[36:37]
	v_fma_f32 v68, v66, s48, -v36
	v_fmac_f32_e32 v68, 0xb102e308, v66
	v_pk_add_f32 v[66:67], v[36:37], v[68:69]
	v_sub_f32_e32 v33, v33, v34
	v_sub_f32_e32 v34, v67, v69
	v_ldexp_f32 v33, v33, 1
	v_sub_f32_e32 v34, v37, v34
	v_add_f32_e32 v71, v33, v34
	v_mov_b32_e32 v70, v36
	v_pk_add_f32 v[36:37], v[66:67], v[36:37] neg_lo:[0,1] neg_hi:[0,1]
	v_pk_add_f32 v[80:81], v[66:67], v[70:71]
	v_mov_b32_e32 v37, v81
	v_mov_b32_e32 v69, v66
	v_pk_add_f32 v[82:83], v[68:69], v[36:37] neg_lo:[0,1] neg_hi:[0,1]
	v_pk_add_f32 v[36:37], v[68:69], v[36:37]
	v_mov_b32_e32 v34, v37
	v_pk_add_f32 v[68:69], v[34:35], v[66:67] neg_lo:[0,1] neg_hi:[0,1]
	v_mov_b32_e32 v33, v68
	v_pk_add_f32 v[84:85], v[80:81], v[32:33] neg_lo:[0,1] neg_hi:[0,1]
	v_mov_b32_e32 v36, v81
	v_mov_b32_e32 v80, v67
	;; [unrolled: 1-line block ×4, first 2 shown]
	v_pk_add_f32 v[36:37], v[36:37], v[80:81] neg_lo:[0,1] neg_hi:[0,1]
	v_mov_b32_e32 v68, v71
	v_mov_b32_e32 v69, v66
	v_pk_add_f32 v[36:37], v[68:69], v[36:37] neg_lo:[0,1] neg_hi:[0,1]
	v_mov_b32_e32 v84, v82
	v_pk_add_f32 v[66:67], v[84:85], v[36:37]
	v_mov_b32_e32 v68, v67
	v_pk_add_f32 v[68:69], v[66:67], v[68:69]
	v_pk_add_f32 v[70:71], v[34:35], v[68:69]
	v_mov_b32_e32 v67, v70
	v_pk_add_f32 v[80:81], v[66:67], v[82:83] neg_lo:[0,1] neg_hi:[0,1]
	v_mov_b32_e32 v37, v68
	v_sub_f32_e32 v33, v66, v80
	v_pk_add_f32 v[36:37], v[36:37], v[80:81] neg_lo:[0,1] neg_hi:[0,1]
	v_sub_f32_e32 v33, v82, v33
	v_add_f32_e32 v33, v36, v33
	v_cmp_eq_f32_e64 s[48:49], s52, v51
	s_mov_b32 s52, 0x33800000
	v_add_f32_e32 v33, v33, v37
	v_cmp_lt_f32_e64 s[52:53], |v51|, s52
	v_add_f32_e32 v33, v70, v33
	s_or_b64 s[48:49], s[48:49], s[52:53]
	v_cndmask_b32_e64 v33, v33, v51, s[48:49]
	v_add_f32_e32 v33, v35, v33
	v_cvt_f16_f32_e32 v33, v33
	v_cvt_f32_f16_e32 v34, v33
.LBB421_296:
	s_or_b64 exec, exec, s[50:51]
	v_cvt_f32_f16_sdwa v66, v14 dst_sel:DWORD dst_unused:UNUSED_PAD src0_sel:WORD_1
	v_max_f32_e32 v36, v34, v34
	v_cmp_u_f16_e64 s[50:51], v33, v33
	v_cmp_u_f16_sdwa s[48:49], v14, v14 src0_sel:WORD_1 src1_sel:WORD_1
	v_min_f32_e32 v35, v36, v66
	v_max_f32_e32 v14, v36, v66
	v_cndmask_b32_e64 v35, v35, v34, s[50:51]
	v_cndmask_b32_e64 v14, v14, v34, s[50:51]
	;; [unrolled: 1-line block ×4, first 2 shown]
	s_movk_i32 s56, 0x1f8
	v_cmp_neq_f32_e64 s[50:51], v35, v14
	v_cmp_class_f32_e64 s[52:53], v35, s56
	s_or_b64 s[50:51], s[50:51], s[52:53]
	s_and_saveexec_b64 s[52:53], s[50:51]
	s_cbranch_execz .LBB421_298
; %bb.297:
	v_sub_f32_e32 v33, v35, v14
	s_mov_b32 s50, 0x3fb8aa3b
	v_mul_f32_e32 v34, 0x3fb8aa3b, v33
	v_fma_f32 v35, v33, s50, -v34
	v_rndne_f32_e32 v36, v34
	v_fmac_f32_e32 v35, 0x32a5705f, v33
	v_sub_f32_e32 v34, v34, v36
	v_add_f32_e32 v34, v34, v35
	v_exp_f32_e32 v34, v34
	v_cvt_i32_f32_e32 v35, v36
	s_mov_b32 s50, 0xc2ce8ed0
	v_cmp_ngt_f32_e64 s[50:51], s50, v33
	s_mov_b32 s57, 0x7f800000
	v_ldexp_f32 v34, v34, v35
	v_cndmask_b32_e64 v34, 0, v34, s[50:51]
	s_mov_b32 s50, 0x42b17218
	v_mov_b32_e32 v35, 0x7f800000
	v_cmp_nlt_f32_e64 s[50:51], s50, v33
	v_cndmask_b32_e64 v51, v35, v34, s[50:51]
	v_add_f32_e32 v33, 1.0, v51
	v_add_f32_e32 v34, -1.0, v33
	v_sub_f32_e32 v35, v34, v33
	v_add_f32_e32 v35, 1.0, v35
	v_sub_f32_e32 v34, v51, v34
	v_add_f32_e32 v36, v34, v35
	v_frexp_mant_f32_e32 v37, v33
	s_mov_b32 s50, 0x3f2aaaab
	v_cvt_f64_f32_e32 v[34:35], v33
	v_frexp_exp_i32_f64_e32 v34, v[34:35]
	v_cmp_gt_f32_e64 s[50:51], s50, v37
	v_subbrev_co_u32_e64 v67, s[50:51], 0, v34, s[50:51]
	v_sub_u32_e32 v34, 0, v67
	v_ldexp_f32 v33, v33, v34
	v_ldexp_f32 v34, v36, v34
	v_add_f32_e32 v36, -1.0, v33
	v_add_f32_e32 v35, 1.0, v36
	v_sub_f32_e32 v35, v33, v35
	v_add_f32_e32 v37, v34, v35
	v_add_f32_e32 v35, 1.0, v33
	v_add_f32_e32 v68, -1.0, v35
	v_sub_f32_e32 v33, v33, v68
	v_add_f32_e32 v33, v34, v33
	v_add_f32_e32 v80, v35, v33
	v_rcp_f32_e32 v81, v80
	v_sub_f32_e32 v34, v35, v80
	v_add_f32_e32 v35, v36, v37
	v_add_f32_e32 v33, v33, v34
	v_mul_f32_e32 v83, v35, v81
	v_sub_f32_e32 v34, v36, v35
	v_mul_f32_e32 v36, v80, v83
	v_fma_f32 v68, v83, v80, -v36
	v_fmac_f32_e32 v68, v83, v33
	v_add_f32_e32 v82, v37, v34
	v_add_f32_e32 v34, v36, v68
	v_sub_f32_e32 v37, v35, v34
	v_pk_add_f32 v[70:71], v[34:35], v[36:37] neg_lo:[0,1] neg_hi:[0,1]
	v_mov_b32_e32 v69, v34
	v_pk_add_f32 v[34:35], v[70:71], v[68:69] neg_lo:[0,1] neg_hi:[0,1]
	v_add_f32_e32 v35, v82, v35
	v_add_f32_e32 v34, v34, v35
	;; [unrolled: 1-line block ×3, first 2 shown]
	v_mul_f32_e32 v82, v81, v35
	v_mul_f32_e32 v36, v80, v82
	v_fma_f32 v68, v82, v80, -v36
	v_fmac_f32_e32 v68, v82, v33
	v_sub_f32_e32 v33, v37, v35
	v_add_f32_e32 v33, v34, v33
	v_add_f32_e32 v34, v36, v68
	v_sub_f32_e32 v37, v35, v34
	v_pk_add_f32 v[70:71], v[34:35], v[36:37] neg_lo:[0,1] neg_hi:[0,1]
	v_mov_b32_e32 v69, v34
	v_pk_add_f32 v[34:35], v[70:71], v[68:69] neg_lo:[0,1] neg_hi:[0,1]
	v_add_f32_e32 v33, v33, v35
	v_add_f32_e32 v33, v34, v33
	;; [unrolled: 1-line block ×4, first 2 shown]
	v_sub_f32_e32 v35, v34, v83
	v_mul_f32_e32 v33, v81, v33
	v_sub_f32_e32 v35, v82, v35
	v_add_f32_e32 v33, v35, v33
	v_add_f32_e32 v37, v34, v33
	v_mul_f32_e32 v68, v37, v37
	v_mov_b32_e32 v36, 0x3ecc95a3
	v_fmac_f32_e32 v36, 0x3e9b6dac, v68
	v_mov_b32_e32 v35, 0x3f2aaada
	v_fmac_f32_e32 v35, v68, v36
	v_cvt_f32_i32_e32 v36, v67
	v_sub_f32_e32 v34, v37, v34
	v_sub_f32_e32 v33, v33, v34
	v_ldexp_f32 v69, v37, 1
	v_mul_f32_e32 v37, v37, v68
	v_mov_b32_e32 v34, 0x3f317218
	s_mov_b32 s50, 0x3f317218
	v_pk_mul_f32 v[34:35], v[36:37], v[34:35]
	v_fma_f32 v68, v36, s50, -v34
	v_fmac_f32_e32 v68, 0xb102e308, v36
	v_pk_add_f32 v[36:37], v[34:35], v[68:69]
	v_sub_f32_e32 v67, v37, v69
	v_ldexp_f32 v33, v33, 1
	v_sub_f32_e32 v67, v35, v67
	v_add_f32_e32 v71, v33, v67
	v_mov_b32_e32 v70, v34
	v_pk_add_f32 v[34:35], v[36:37], v[34:35] neg_lo:[0,1] neg_hi:[0,1]
	v_pk_add_f32 v[80:81], v[36:37], v[70:71]
	v_mov_b32_e32 v35, v81
	v_mov_b32_e32 v69, v36
	v_pk_add_f32 v[82:83], v[68:69], v[34:35] neg_lo:[0,1] neg_hi:[0,1]
	v_pk_add_f32 v[34:35], v[68:69], v[34:35]
	v_mov_b32_e32 v68, v35
	v_pk_add_f32 v[84:85], v[68:69], v[36:37] neg_lo:[0,1] neg_hi:[0,1]
	v_mov_b32_e32 v33, v84
	v_pk_add_f32 v[86:87], v[80:81], v[32:33] neg_lo:[0,1] neg_hi:[0,1]
	v_mov_b32_e32 v34, v81
	v_mov_b32_e32 v80, v37
	;; [unrolled: 1-line block ×4, first 2 shown]
	v_pk_add_f32 v[34:35], v[34:35], v[80:81] neg_lo:[0,1] neg_hi:[0,1]
	v_mov_b32_e32 v70, v71
	v_mov_b32_e32 v71, v36
	v_pk_add_f32 v[34:35], v[70:71], v[34:35] neg_lo:[0,1] neg_hi:[0,1]
	v_mov_b32_e32 v86, v82
	v_pk_add_f32 v[36:37], v[86:87], v[34:35]
	v_mov_b32_e32 v70, v37
	v_pk_add_f32 v[70:71], v[36:37], v[70:71]
	v_pk_add_f32 v[68:69], v[68:69], v[70:71]
	v_mov_b32_e32 v37, v68
	v_pk_add_f32 v[80:81], v[36:37], v[82:83] neg_lo:[0,1] neg_hi:[0,1]
	v_mov_b32_e32 v35, v70
	v_sub_f32_e32 v33, v36, v80
	v_pk_add_f32 v[34:35], v[34:35], v[80:81] neg_lo:[0,1] neg_hi:[0,1]
	v_sub_f32_e32 v33, v82, v33
	v_add_f32_e32 v33, v34, v33
	v_cmp_eq_f32_e64 s[50:51], s57, v51
	s_mov_b32 s57, 0x33800000
	v_add_f32_e32 v33, v33, v35
	v_cmp_lt_f32_e64 s[58:59], |v51|, s57
	v_add_f32_e32 v33, v68, v33
	s_or_b64 s[50:51], s[50:51], s[58:59]
	v_cndmask_b32_e64 v33, v33, v51, s[50:51]
	v_add_f32_e32 v14, v14, v33
	v_cvt_f16_f32_e32 v33, v14
	v_cvt_f32_f16_e32 v34, v33
.LBB421_298:
	s_or_b64 exec, exec, s[52:53]
	v_cvt_f32_f16_e32 v14, v15
	v_max_f32_e32 v35, v34, v34
	v_cmp_u_f16_e64 s[52:53], v33, v33
	v_cmp_u_f16_e64 s[50:51], v15, v15
	v_min_f32_e32 v36, v35, v14
	v_max_f32_e32 v35, v35, v14
	v_cndmask_b32_e64 v36, v36, v34, s[52:53]
	v_cndmask_b32_e64 v35, v35, v34, s[52:53]
	;; [unrolled: 1-line block ×4, first 2 shown]
	v_cmp_neq_f32_e64 s[52:53], v36, v35
	v_cmp_class_f32_e64 s[56:57], v36, s56
	s_or_b64 s[52:53], s[52:53], s[56:57]
	s_and_saveexec_b64 s[56:57], s[52:53]
	s_cbranch_execz .LBB421_300
; %bb.299:
	v_sub_f32_e32 v33, v36, v35
	s_mov_b32 s52, 0x3fb8aa3b
	v_mul_f32_e32 v34, 0x3fb8aa3b, v33
	v_fma_f32 v36, v33, s52, -v34
	v_rndne_f32_e32 v37, v34
	v_fmac_f32_e32 v36, 0x32a5705f, v33
	v_sub_f32_e32 v34, v34, v37
	v_add_f32_e32 v34, v34, v36
	v_exp_f32_e32 v34, v34
	v_cvt_i32_f32_e32 v36, v37
	s_mov_b32 s52, 0xc2ce8ed0
	v_cmp_ngt_f32_e64 s[52:53], s52, v33
	s_mov_b32 s58, 0x7f800000
	v_ldexp_f32 v34, v34, v36
	v_cndmask_b32_e64 v34, 0, v34, s[52:53]
	s_mov_b32 s52, 0x42b17218
	v_mov_b32_e32 v36, 0x7f800000
	v_cmp_nlt_f32_e64 s[52:53], s52, v33
	v_cndmask_b32_e64 v51, v36, v34, s[52:53]
	v_add_f32_e32 v33, 1.0, v51
	v_add_f32_e32 v34, -1.0, v33
	v_sub_f32_e32 v36, v34, v33
	v_add_f32_e32 v36, 1.0, v36
	v_sub_f32_e32 v34, v51, v34
	v_add_f32_e32 v34, v34, v36
	v_frexp_mant_f32_e32 v67, v33
	s_mov_b32 s52, 0x3f2aaaab
	v_cvt_f64_f32_e32 v[36:37], v33
	v_frexp_exp_i32_f64_e32 v36, v[36:37]
	v_cmp_gt_f32_e64 s[52:53], s52, v67
	v_subbrev_co_u32_e64 v67, s[52:53], 0, v36, s[52:53]
	v_sub_u32_e32 v36, 0, v67
	v_ldexp_f32 v33, v33, v36
	v_ldexp_f32 v34, v34, v36
	v_add_f32_e32 v36, -1.0, v33
	v_add_f32_e32 v37, 1.0, v36
	v_sub_f32_e32 v37, v33, v37
	v_add_f32_e32 v68, v34, v37
	v_add_f32_e32 v37, 1.0, v33
	v_add_f32_e32 v69, -1.0, v37
	v_sub_f32_e32 v33, v33, v69
	v_add_f32_e32 v33, v34, v33
	v_add_f32_e32 v34, v37, v33
	v_rcp_f32_e32 v82, v34
	v_sub_f32_e32 v37, v37, v34
	v_add_f32_e32 v33, v33, v37
	v_add_f32_e32 v37, v36, v68
	v_sub_f32_e32 v36, v36, v37
	v_mul_f32_e32 v84, v37, v82
	v_add_f32_e32 v83, v68, v36
	v_mul_f32_e32 v68, v34, v84
	v_fma_f32 v70, v84, v34, -v68
	v_fmac_f32_e32 v70, v84, v33
	v_add_f32_e32 v36, v68, v70
	v_sub_f32_e32 v69, v37, v36
	v_pk_add_f32 v[80:81], v[36:37], v[68:69] neg_lo:[0,1] neg_hi:[0,1]
	v_mov_b32_e32 v71, v36
	v_pk_add_f32 v[36:37], v[80:81], v[70:71] neg_lo:[0,1] neg_hi:[0,1]
	v_add_f32_e32 v37, v83, v37
	v_add_f32_e32 v36, v36, v37
	;; [unrolled: 1-line block ×3, first 2 shown]
	v_mul_f32_e32 v83, v82, v37
	v_mul_f32_e32 v68, v34, v83
	v_fma_f32 v70, v83, v34, -v68
	v_fmac_f32_e32 v70, v83, v33
	v_sub_f32_e32 v33, v69, v37
	v_add_f32_e32 v33, v36, v33
	v_add_f32_e32 v36, v68, v70
	v_sub_f32_e32 v69, v37, v36
	v_pk_add_f32 v[80:81], v[36:37], v[68:69] neg_lo:[0,1] neg_hi:[0,1]
	v_mov_b32_e32 v71, v36
	v_pk_add_f32 v[36:37], v[80:81], v[70:71] neg_lo:[0,1] neg_hi:[0,1]
	v_add_f32_e32 v33, v33, v37
	v_add_f32_e32 v33, v36, v33
	;; [unrolled: 1-line block ×4, first 2 shown]
	v_sub_f32_e32 v36, v34, v84
	v_mul_f32_e32 v33, v82, v33
	v_sub_f32_e32 v36, v83, v36
	v_add_f32_e32 v33, v36, v33
	v_add_f32_e32 v36, v34, v33
	v_mul_f32_e32 v69, v36, v36
	v_mov_b32_e32 v68, 0x3ecc95a3
	v_fmac_f32_e32 v68, 0x3e9b6dac, v69
	v_mov_b32_e32 v37, 0x3f2aaada
	v_fmac_f32_e32 v37, v69, v68
	v_cvt_f32_i32_e32 v68, v67
	v_sub_f32_e32 v34, v36, v34
	v_ldexp_f32 v71, v36, 1
	v_mul_f32_e32 v69, v36, v69
	v_mov_b32_e32 v36, 0x3f317218
	s_mov_b32 s52, 0x3f317218
	v_pk_mul_f32 v[36:37], v[68:69], v[36:37]
	v_fma_f32 v70, v68, s52, -v36
	v_fmac_f32_e32 v70, 0xb102e308, v68
	v_pk_add_f32 v[68:69], v[36:37], v[70:71]
	v_sub_f32_e32 v33, v33, v34
	v_sub_f32_e32 v34, v69, v71
	v_ldexp_f32 v33, v33, 1
	v_sub_f32_e32 v34, v37, v34
	v_add_f32_e32 v81, v33, v34
	v_mov_b32_e32 v80, v36
	v_pk_add_f32 v[36:37], v[68:69], v[36:37] neg_lo:[0,1] neg_hi:[0,1]
	v_pk_add_f32 v[82:83], v[68:69], v[80:81]
	v_mov_b32_e32 v37, v83
	v_mov_b32_e32 v71, v68
	v_pk_add_f32 v[84:85], v[70:71], v[36:37] neg_lo:[0,1] neg_hi:[0,1]
	v_pk_add_f32 v[36:37], v[70:71], v[36:37]
	v_mov_b32_e32 v34, v37
	v_pk_add_f32 v[70:71], v[34:35], v[68:69] neg_lo:[0,1] neg_hi:[0,1]
	v_mov_b32_e32 v33, v70
	v_pk_add_f32 v[86:87], v[82:83], v[32:33] neg_lo:[0,1] neg_hi:[0,1]
	v_mov_b32_e32 v36, v83
	v_mov_b32_e32 v82, v69
	;; [unrolled: 1-line block ×4, first 2 shown]
	v_pk_add_f32 v[36:37], v[36:37], v[82:83] neg_lo:[0,1] neg_hi:[0,1]
	v_mov_b32_e32 v70, v81
	v_mov_b32_e32 v71, v68
	v_pk_add_f32 v[36:37], v[70:71], v[36:37] neg_lo:[0,1] neg_hi:[0,1]
	v_mov_b32_e32 v86, v84
	v_pk_add_f32 v[68:69], v[86:87], v[36:37]
	v_mov_b32_e32 v70, v69
	v_pk_add_f32 v[70:71], v[68:69], v[70:71]
	v_pk_add_f32 v[80:81], v[34:35], v[70:71]
	v_mov_b32_e32 v69, v80
	v_pk_add_f32 v[82:83], v[68:69], v[84:85] neg_lo:[0,1] neg_hi:[0,1]
	v_mov_b32_e32 v37, v70
	v_sub_f32_e32 v33, v68, v82
	v_pk_add_f32 v[36:37], v[36:37], v[82:83] neg_lo:[0,1] neg_hi:[0,1]
	v_sub_f32_e32 v33, v84, v33
	v_add_f32_e32 v33, v36, v33
	v_cmp_eq_f32_e64 s[52:53], s58, v51
	s_mov_b32 s58, 0x33800000
	v_add_f32_e32 v33, v33, v37
	v_cmp_lt_f32_e64 s[58:59], |v51|, s58
	v_add_f32_e32 v33, v80, v33
	s_or_b64 s[52:53], s[52:53], s[58:59]
	v_cndmask_b32_e64 v33, v33, v51, s[52:53]
	v_add_f32_e32 v33, v35, v33
	v_cvt_f16_f32_e32 v33, v33
	v_cvt_f32_f16_e32 v34, v33
.LBB421_300:
	s_or_b64 exec, exec, s[56:57]
	v_cvt_f32_f16_sdwa v67, v15 dst_sel:DWORD dst_unused:UNUSED_PAD src0_sel:WORD_1
	v_max_f32_e32 v36, v34, v34
	v_cmp_u_f16_e64 s[56:57], v33, v33
	v_cmp_u_f16_sdwa s[52:53], v15, v15 src0_sel:WORD_1 src1_sel:WORD_1
	v_min_f32_e32 v35, v36, v67
	v_max_f32_e32 v15, v36, v67
	v_cndmask_b32_e64 v35, v35, v34, s[56:57]
	v_cndmask_b32_e64 v15, v15, v34, s[56:57]
	v_cndmask_b32_e64 v35, v35, v67, s[52:53]
	v_cndmask_b32_e64 v15, v15, v67, s[52:53]
	s_movk_i32 s58, 0x1f8
	v_cmp_neq_f32_e64 s[56:57], v35, v15
	v_cmp_class_f32_e64 s[58:59], v35, s58
	s_or_b64 s[56:57], s[56:57], s[58:59]
	s_and_saveexec_b64 s[58:59], s[56:57]
	s_cbranch_execz .LBB421_302
; %bb.301:
	v_sub_f32_e32 v33, v35, v15
	s_mov_b32 s56, 0x3fb8aa3b
	v_mul_f32_e32 v34, 0x3fb8aa3b, v33
	v_fma_f32 v35, v33, s56, -v34
	v_rndne_f32_e32 v36, v34
	v_fmac_f32_e32 v35, 0x32a5705f, v33
	v_sub_f32_e32 v34, v34, v36
	v_add_f32_e32 v34, v34, v35
	v_exp_f32_e32 v34, v34
	v_cvt_i32_f32_e32 v35, v36
	s_mov_b32 s56, 0xc2ce8ed0
	v_cmp_ngt_f32_e64 s[56:57], s56, v33
	s_mov_b32 s60, 0x7f800000
	v_ldexp_f32 v34, v34, v35
	v_cndmask_b32_e64 v34, 0, v34, s[56:57]
	s_mov_b32 s56, 0x42b17218
	v_mov_b32_e32 v35, 0x7f800000
	v_cmp_nlt_f32_e64 s[56:57], s56, v33
	v_cndmask_b32_e64 v51, v35, v34, s[56:57]
	v_add_f32_e32 v33, 1.0, v51
	v_add_f32_e32 v34, -1.0, v33
	v_sub_f32_e32 v35, v34, v33
	v_add_f32_e32 v35, 1.0, v35
	v_sub_f32_e32 v34, v51, v34
	v_add_f32_e32 v36, v34, v35
	v_frexp_mant_f32_e32 v37, v33
	s_mov_b32 s56, 0x3f2aaaab
	v_cvt_f64_f32_e32 v[34:35], v33
	v_frexp_exp_i32_f64_e32 v34, v[34:35]
	v_cmp_gt_f32_e64 s[56:57], s56, v37
	v_subbrev_co_u32_e64 v80, s[56:57], 0, v34, s[56:57]
	v_sub_u32_e32 v34, 0, v80
	v_ldexp_f32 v33, v33, v34
	v_ldexp_f32 v34, v36, v34
	v_add_f32_e32 v36, -1.0, v33
	v_add_f32_e32 v35, 1.0, v36
	v_sub_f32_e32 v35, v33, v35
	v_add_f32_e32 v37, v34, v35
	v_add_f32_e32 v35, 1.0, v33
	v_add_f32_e32 v68, -1.0, v35
	v_sub_f32_e32 v33, v33, v68
	v_add_f32_e32 v33, v34, v33
	v_add_f32_e32 v81, v35, v33
	v_rcp_f32_e32 v82, v81
	v_sub_f32_e32 v34, v35, v81
	v_add_f32_e32 v35, v36, v37
	v_add_f32_e32 v33, v33, v34
	v_mul_f32_e32 v84, v35, v82
	v_sub_f32_e32 v34, v36, v35
	v_mul_f32_e32 v36, v81, v84
	v_fma_f32 v68, v84, v81, -v36
	v_fmac_f32_e32 v68, v84, v33
	v_add_f32_e32 v83, v37, v34
	v_add_f32_e32 v34, v36, v68
	v_sub_f32_e32 v37, v35, v34
	v_pk_add_f32 v[70:71], v[34:35], v[36:37] neg_lo:[0,1] neg_hi:[0,1]
	v_mov_b32_e32 v69, v34
	v_pk_add_f32 v[34:35], v[70:71], v[68:69] neg_lo:[0,1] neg_hi:[0,1]
	v_add_f32_e32 v35, v83, v35
	v_add_f32_e32 v34, v34, v35
	;; [unrolled: 1-line block ×3, first 2 shown]
	v_mul_f32_e32 v83, v82, v35
	v_mul_f32_e32 v36, v81, v83
	v_fma_f32 v68, v83, v81, -v36
	v_fmac_f32_e32 v68, v83, v33
	v_sub_f32_e32 v33, v37, v35
	v_add_f32_e32 v33, v34, v33
	v_add_f32_e32 v34, v36, v68
	v_sub_f32_e32 v37, v35, v34
	v_pk_add_f32 v[70:71], v[34:35], v[36:37] neg_lo:[0,1] neg_hi:[0,1]
	v_mov_b32_e32 v69, v34
	v_pk_add_f32 v[34:35], v[70:71], v[68:69] neg_lo:[0,1] neg_hi:[0,1]
	v_add_f32_e32 v33, v33, v35
	v_add_f32_e32 v33, v34, v33
	;; [unrolled: 1-line block ×4, first 2 shown]
	v_sub_f32_e32 v35, v34, v84
	v_mul_f32_e32 v33, v82, v33
	v_sub_f32_e32 v35, v83, v35
	v_add_f32_e32 v33, v35, v33
	v_add_f32_e32 v37, v34, v33
	v_mul_f32_e32 v68, v37, v37
	v_mov_b32_e32 v36, 0x3ecc95a3
	v_fmac_f32_e32 v36, 0x3e9b6dac, v68
	v_mov_b32_e32 v35, 0x3f2aaada
	v_fmac_f32_e32 v35, v68, v36
	v_cvt_f32_i32_e32 v36, v80
	v_sub_f32_e32 v34, v37, v34
	v_sub_f32_e32 v33, v33, v34
	v_ldexp_f32 v69, v37, 1
	v_mul_f32_e32 v37, v37, v68
	v_mov_b32_e32 v34, 0x3f317218
	s_mov_b32 s56, 0x3f317218
	v_pk_mul_f32 v[34:35], v[36:37], v[34:35]
	v_fma_f32 v68, v36, s56, -v34
	v_fmac_f32_e32 v68, 0xb102e308, v36
	v_pk_add_f32 v[36:37], v[34:35], v[68:69]
	v_sub_f32_e32 v69, v37, v69
	v_ldexp_f32 v33, v33, 1
	v_sub_f32_e32 v69, v35, v69
	v_add_f32_e32 v71, v33, v69
	v_mov_b32_e32 v70, v34
	v_pk_add_f32 v[34:35], v[36:37], v[34:35] neg_lo:[0,1] neg_hi:[0,1]
	v_pk_add_f32 v[80:81], v[36:37], v[70:71]
	v_mov_b32_e32 v35, v81
	v_mov_b32_e32 v69, v36
	v_pk_add_f32 v[82:83], v[68:69], v[34:35] neg_lo:[0,1] neg_hi:[0,1]
	v_pk_add_f32 v[34:35], v[68:69], v[34:35]
	v_mov_b32_e32 v68, v35
	v_pk_add_f32 v[84:85], v[68:69], v[36:37] neg_lo:[0,1] neg_hi:[0,1]
	v_mov_b32_e32 v33, v84
	v_pk_add_f32 v[86:87], v[80:81], v[32:33] neg_lo:[0,1] neg_hi:[0,1]
	v_mov_b32_e32 v34, v81
	v_mov_b32_e32 v80, v37
	;; [unrolled: 1-line block ×4, first 2 shown]
	v_pk_add_f32 v[34:35], v[34:35], v[80:81] neg_lo:[0,1] neg_hi:[0,1]
	v_mov_b32_e32 v70, v71
	v_mov_b32_e32 v71, v36
	v_pk_add_f32 v[34:35], v[70:71], v[34:35] neg_lo:[0,1] neg_hi:[0,1]
	v_mov_b32_e32 v86, v82
	v_pk_add_f32 v[36:37], v[86:87], v[34:35]
	v_mov_b32_e32 v70, v37
	v_pk_add_f32 v[70:71], v[36:37], v[70:71]
	v_pk_add_f32 v[68:69], v[68:69], v[70:71]
	v_mov_b32_e32 v37, v68
	v_pk_add_f32 v[80:81], v[36:37], v[82:83] neg_lo:[0,1] neg_hi:[0,1]
	v_mov_b32_e32 v35, v70
	v_sub_f32_e32 v33, v36, v80
	v_pk_add_f32 v[34:35], v[34:35], v[80:81] neg_lo:[0,1] neg_hi:[0,1]
	v_sub_f32_e32 v33, v82, v33
	v_add_f32_e32 v33, v34, v33
	v_cmp_eq_f32_e64 s[56:57], s60, v51
	s_mov_b32 s60, 0x33800000
	v_add_f32_e32 v33, v33, v35
	v_cmp_lt_f32_e64 s[60:61], |v51|, s60
	v_add_f32_e32 v33, v68, v33
	s_or_b64 s[56:57], s[56:57], s[60:61]
	v_cndmask_b32_e64 v33, v33, v51, s[56:57]
	v_add_f32_e32 v15, v15, v33
	v_cvt_f16_f32_e32 v33, v15
.LBB421_302:
	s_or_b64 exec, exec, s[58:59]
	v_mbcnt_lo_u32_b32 v15, -1, 0
	v_mbcnt_hi_u32_b32 v15, -1, v15
	v_and_b32_e32 v34, 15, v15
	v_and_b32_e32 v35, 0xffff, v33
	v_cmp_ne_u32_e64 s[56:57], 0, v34
	s_nop 0
	v_mov_b32_dpp v36, v35 row_shr:1 row_mask:0xf bank_mask:0xf
	s_and_saveexec_b64 s[60:61], s[56:57]
	s_cbranch_execz .LBB421_306
; %bb.303:
	v_cvt_f32_f16_e32 v37, v36
	v_cvt_f32_f16_e32 v51, v33
	v_cmp_u_f16_e64 s[56:57], v36, v36
	v_cmp_u_f16_e64 s[58:59], v33, v33
	v_min_f32_e32 v35, v37, v51
	v_max_f32_e32 v33, v37, v51
	v_cndmask_b32_e64 v35, v35, v37, s[56:57]
	v_cndmask_b32_e64 v33, v33, v37, s[56:57]
	;; [unrolled: 1-line block ×4, first 2 shown]
	s_movk_i32 s58, 0x1f8
	v_cmp_neq_f32_e64 s[56:57], v35, v33
	v_cmp_class_f32_e64 s[58:59], v35, s58
	s_or_b64 s[56:57], s[56:57], s[58:59]
	s_and_saveexec_b64 s[58:59], s[56:57]
	s_cbranch_execz .LBB421_305
; %bb.304:
	v_sub_f32_e32 v35, v35, v33
	s_mov_b32 s56, 0x3fb8aa3b
	v_mul_f32_e32 v36, 0x3fb8aa3b, v35
	v_fma_f32 v37, v35, s56, -v36
	v_rndne_f32_e32 v51, v36
	v_fmac_f32_e32 v37, 0x32a5705f, v35
	v_sub_f32_e32 v36, v36, v51
	v_add_f32_e32 v36, v36, v37
	v_exp_f32_e32 v36, v36
	v_cvt_i32_f32_e32 v37, v51
	s_mov_b32 s56, 0xc2ce8ed0
	v_cmp_ngt_f32_e64 s[56:57], s56, v35
	s_mov_b32 s62, 0x7f800000
	v_ldexp_f32 v36, v36, v37
	v_cndmask_b32_e64 v36, 0, v36, s[56:57]
	s_mov_b32 s56, 0x42b17218
	v_mov_b32_e32 v37, 0x7f800000
	v_cmp_nlt_f32_e64 s[56:57], s56, v35
	v_cndmask_b32_e64 v51, v37, v36, s[56:57]
	v_add_f32_e32 v35, 1.0, v51
	v_add_f32_e32 v36, -1.0, v35
	v_sub_f32_e32 v37, v36, v35
	v_add_f32_e32 v37, 1.0, v37
	v_sub_f32_e32 v36, v51, v36
	v_add_f32_e32 v68, v36, v37
	v_frexp_mant_f32_e32 v69, v35
	s_mov_b32 s56, 0x3f2aaaab
	v_cvt_f64_f32_e32 v[36:37], v35
	v_frexp_exp_i32_f64_e32 v36, v[36:37]
	v_cmp_gt_f32_e64 s[56:57], s56, v69
	v_subbrev_co_u32_e64 v82, s[56:57], 0, v36, s[56:57]
	v_sub_u32_e32 v36, 0, v82
	v_ldexp_f32 v35, v35, v36
	v_ldexp_f32 v36, v68, v36
	v_add_f32_e32 v68, -1.0, v35
	v_add_f32_e32 v37, 1.0, v68
	v_sub_f32_e32 v37, v35, v37
	v_add_f32_e32 v69, v36, v37
	v_add_f32_e32 v37, 1.0, v35
	v_add_f32_e32 v70, -1.0, v37
	v_sub_f32_e32 v35, v35, v70
	v_add_f32_e32 v35, v36, v35
	v_add_f32_e32 v83, v37, v35
	v_rcp_f32_e32 v84, v83
	v_sub_f32_e32 v36, v37, v83
	v_add_f32_e32 v37, v68, v69
	v_add_f32_e32 v35, v35, v36
	v_mul_f32_e32 v86, v37, v84
	v_sub_f32_e32 v36, v68, v37
	v_mul_f32_e32 v68, v83, v86
	v_fma_f32 v70, v86, v83, -v68
	v_fmac_f32_e32 v70, v86, v35
	v_add_f32_e32 v85, v69, v36
	v_add_f32_e32 v36, v68, v70
	v_sub_f32_e32 v69, v37, v36
	v_pk_add_f32 v[80:81], v[36:37], v[68:69] neg_lo:[0,1] neg_hi:[0,1]
	v_mov_b32_e32 v71, v36
	v_pk_add_f32 v[36:37], v[80:81], v[70:71] neg_lo:[0,1] neg_hi:[0,1]
	v_add_f32_e32 v37, v85, v37
	v_add_f32_e32 v36, v36, v37
	;; [unrolled: 1-line block ×3, first 2 shown]
	v_mul_f32_e32 v85, v84, v37
	v_mul_f32_e32 v68, v83, v85
	v_fma_f32 v70, v85, v83, -v68
	v_fmac_f32_e32 v70, v85, v35
	v_sub_f32_e32 v35, v69, v37
	v_add_f32_e32 v35, v36, v35
	v_add_f32_e32 v36, v68, v70
	v_sub_f32_e32 v69, v37, v36
	v_pk_add_f32 v[80:81], v[36:37], v[68:69] neg_lo:[0,1] neg_hi:[0,1]
	v_mov_b32_e32 v71, v36
	v_pk_add_f32 v[36:37], v[80:81], v[70:71] neg_lo:[0,1] neg_hi:[0,1]
	v_add_f32_e32 v35, v35, v37
	v_add_f32_e32 v35, v36, v35
	;; [unrolled: 1-line block ×4, first 2 shown]
	v_sub_f32_e32 v37, v36, v86
	v_mul_f32_e32 v35, v84, v35
	v_sub_f32_e32 v37, v85, v37
	v_add_f32_e32 v35, v37, v35
	v_add_f32_e32 v69, v36, v35
	v_mul_f32_e32 v70, v69, v69
	v_mov_b32_e32 v68, 0x3ecc95a3
	v_fmac_f32_e32 v68, 0x3e9b6dac, v70
	v_mov_b32_e32 v37, 0x3f2aaada
	v_fmac_f32_e32 v37, v70, v68
	v_cvt_f32_i32_e32 v68, v82
	v_sub_f32_e32 v36, v69, v36
	v_sub_f32_e32 v35, v35, v36
	v_ldexp_f32 v71, v69, 1
	v_mul_f32_e32 v69, v69, v70
	v_mov_b32_e32 v36, 0x3f317218
	s_mov_b32 s56, 0x3f317218
	v_pk_mul_f32 v[36:37], v[68:69], v[36:37]
	v_fma_f32 v70, v68, s56, -v36
	v_fmac_f32_e32 v70, 0xb102e308, v68
	v_pk_add_f32 v[68:69], v[36:37], v[70:71]
	v_sub_f32_e32 v71, v69, v71
	v_ldexp_f32 v35, v35, 1
	v_sub_f32_e32 v71, v37, v71
	v_add_f32_e32 v81, v35, v71
	v_mov_b32_e32 v80, v36
	v_pk_add_f32 v[36:37], v[68:69], v[36:37] neg_lo:[0,1] neg_hi:[0,1]
	v_pk_add_f32 v[82:83], v[68:69], v[80:81]
	v_mov_b32_e32 v37, v83
	v_mov_b32_e32 v71, v68
	v_pk_add_f32 v[84:85], v[70:71], v[36:37] neg_lo:[0,1] neg_hi:[0,1]
	v_pk_add_f32 v[36:37], v[70:71], v[36:37]
	v_mov_b32_e32 v70, v37
	v_pk_add_f32 v[86:87], v[70:71], v[68:69] neg_lo:[0,1] neg_hi:[0,1]
	v_mov_b32_e32 v35, v86
	v_pk_add_f32 v[96:97], v[82:83], v[34:35] neg_lo:[0,1] neg_hi:[0,1]
	v_mov_b32_e32 v36, v83
	v_mov_b32_e32 v82, v69
	;; [unrolled: 1-line block ×4, first 2 shown]
	v_pk_add_f32 v[36:37], v[36:37], v[82:83] neg_lo:[0,1] neg_hi:[0,1]
	v_mov_b32_e32 v80, v81
	v_mov_b32_e32 v81, v68
	v_pk_add_f32 v[36:37], v[80:81], v[36:37] neg_lo:[0,1] neg_hi:[0,1]
	v_mov_b32_e32 v96, v84
	v_pk_add_f32 v[68:69], v[96:97], v[36:37]
	v_mov_b32_e32 v80, v69
	v_pk_add_f32 v[80:81], v[68:69], v[80:81]
	v_pk_add_f32 v[70:71], v[70:71], v[80:81]
	v_mov_b32_e32 v69, v70
	v_pk_add_f32 v[82:83], v[68:69], v[84:85] neg_lo:[0,1] neg_hi:[0,1]
	v_mov_b32_e32 v37, v80
	v_sub_f32_e32 v35, v68, v82
	v_pk_add_f32 v[36:37], v[36:37], v[82:83] neg_lo:[0,1] neg_hi:[0,1]
	v_sub_f32_e32 v35, v84, v35
	v_add_f32_e32 v35, v36, v35
	v_cmp_eq_f32_e64 s[56:57], s62, v51
	s_mov_b32 s62, 0x33800000
	v_add_f32_e32 v35, v35, v37
	v_cmp_lt_f32_e64 s[62:63], |v51|, s62
	v_add_f32_e32 v35, v70, v35
	s_or_b64 s[56:57], s[56:57], s[62:63]
	v_cndmask_b32_e64 v35, v35, v51, s[56:57]
	v_add_f32_e32 v33, v33, v35
	v_cvt_f16_f32_e32 v36, v33
.LBB421_305:
	s_or_b64 exec, exec, s[58:59]
	v_and_b32_e32 v35, 0xffff, v36
	v_mov_b32_e32 v33, v36
.LBB421_306:
	s_or_b64 exec, exec, s[60:61]
	v_mov_b32_dpp v36, v35 row_shr:2 row_mask:0xf bank_mask:0xf
	v_cmp_lt_u32_e64 s[56:57], 1, v34
	s_and_saveexec_b64 s[60:61], s[56:57]
	s_cbranch_execz .LBB421_310
; %bb.307:
	v_cvt_f32_f16_e32 v37, v36
	v_cvt_f32_f16_e32 v51, v33
	v_cmp_u_f16_e64 s[56:57], v36, v36
	v_cmp_u_f16_e64 s[58:59], v33, v33
	v_min_f32_e32 v35, v37, v51
	v_max_f32_e32 v33, v37, v51
	v_cndmask_b32_e64 v35, v35, v37, s[56:57]
	v_cndmask_b32_e64 v33, v33, v37, s[56:57]
	;; [unrolled: 1-line block ×4, first 2 shown]
	s_movk_i32 s58, 0x1f8
	v_cmp_neq_f32_e64 s[56:57], v35, v33
	v_cmp_class_f32_e64 s[58:59], v35, s58
	s_or_b64 s[56:57], s[56:57], s[58:59]
	s_and_saveexec_b64 s[58:59], s[56:57]
	s_cbranch_execz .LBB421_309
; %bb.308:
	v_sub_f32_e32 v35, v35, v33
	s_mov_b32 s56, 0x3fb8aa3b
	v_mul_f32_e32 v36, 0x3fb8aa3b, v35
	v_fma_f32 v37, v35, s56, -v36
	v_rndne_f32_e32 v51, v36
	v_fmac_f32_e32 v37, 0x32a5705f, v35
	v_sub_f32_e32 v36, v36, v51
	v_add_f32_e32 v36, v36, v37
	v_exp_f32_e32 v36, v36
	v_cvt_i32_f32_e32 v37, v51
	s_mov_b32 s56, 0xc2ce8ed0
	v_cmp_ngt_f32_e64 s[56:57], s56, v35
	s_mov_b32 s62, 0x7f800000
	v_ldexp_f32 v36, v36, v37
	v_cndmask_b32_e64 v36, 0, v36, s[56:57]
	s_mov_b32 s56, 0x42b17218
	v_mov_b32_e32 v37, 0x7f800000
	v_cmp_nlt_f32_e64 s[56:57], s56, v35
	v_cndmask_b32_e64 v51, v37, v36, s[56:57]
	v_add_f32_e32 v35, 1.0, v51
	v_add_f32_e32 v36, -1.0, v35
	v_sub_f32_e32 v37, v36, v35
	v_add_f32_e32 v37, 1.0, v37
	v_sub_f32_e32 v36, v51, v36
	v_add_f32_e32 v68, v36, v37
	v_frexp_mant_f32_e32 v69, v35
	s_mov_b32 s56, 0x3f2aaaab
	v_cvt_f64_f32_e32 v[36:37], v35
	v_frexp_exp_i32_f64_e32 v36, v[36:37]
	v_cmp_gt_f32_e64 s[56:57], s56, v69
	v_subbrev_co_u32_e64 v82, s[56:57], 0, v36, s[56:57]
	v_sub_u32_e32 v36, 0, v82
	v_ldexp_f32 v35, v35, v36
	v_ldexp_f32 v36, v68, v36
	v_add_f32_e32 v68, -1.0, v35
	v_add_f32_e32 v37, 1.0, v68
	v_sub_f32_e32 v37, v35, v37
	v_add_f32_e32 v69, v36, v37
	v_add_f32_e32 v37, 1.0, v35
	v_add_f32_e32 v70, -1.0, v37
	v_sub_f32_e32 v35, v35, v70
	v_add_f32_e32 v35, v36, v35
	v_add_f32_e32 v83, v37, v35
	v_rcp_f32_e32 v84, v83
	v_sub_f32_e32 v36, v37, v83
	v_add_f32_e32 v37, v68, v69
	v_add_f32_e32 v35, v35, v36
	v_mul_f32_e32 v86, v37, v84
	v_sub_f32_e32 v36, v68, v37
	v_mul_f32_e32 v68, v83, v86
	v_fma_f32 v70, v86, v83, -v68
	v_fmac_f32_e32 v70, v86, v35
	v_add_f32_e32 v85, v69, v36
	v_add_f32_e32 v36, v68, v70
	v_sub_f32_e32 v69, v37, v36
	v_pk_add_f32 v[80:81], v[36:37], v[68:69] neg_lo:[0,1] neg_hi:[0,1]
	v_mov_b32_e32 v71, v36
	v_pk_add_f32 v[36:37], v[80:81], v[70:71] neg_lo:[0,1] neg_hi:[0,1]
	v_add_f32_e32 v37, v85, v37
	v_add_f32_e32 v36, v36, v37
	;; [unrolled: 1-line block ×3, first 2 shown]
	v_mul_f32_e32 v85, v84, v37
	v_mul_f32_e32 v68, v83, v85
	v_fma_f32 v70, v85, v83, -v68
	v_fmac_f32_e32 v70, v85, v35
	v_sub_f32_e32 v35, v69, v37
	v_add_f32_e32 v35, v36, v35
	v_add_f32_e32 v36, v68, v70
	v_sub_f32_e32 v69, v37, v36
	v_pk_add_f32 v[80:81], v[36:37], v[68:69] neg_lo:[0,1] neg_hi:[0,1]
	v_mov_b32_e32 v71, v36
	v_pk_add_f32 v[36:37], v[80:81], v[70:71] neg_lo:[0,1] neg_hi:[0,1]
	v_add_f32_e32 v35, v35, v37
	v_add_f32_e32 v35, v36, v35
	;; [unrolled: 1-line block ×4, first 2 shown]
	v_sub_f32_e32 v37, v36, v86
	v_mul_f32_e32 v35, v84, v35
	v_sub_f32_e32 v37, v85, v37
	v_add_f32_e32 v35, v37, v35
	v_add_f32_e32 v69, v36, v35
	v_mul_f32_e32 v70, v69, v69
	v_mov_b32_e32 v68, 0x3ecc95a3
	v_fmac_f32_e32 v68, 0x3e9b6dac, v70
	v_mov_b32_e32 v37, 0x3f2aaada
	v_fmac_f32_e32 v37, v70, v68
	v_cvt_f32_i32_e32 v68, v82
	v_sub_f32_e32 v36, v69, v36
	v_sub_f32_e32 v35, v35, v36
	v_ldexp_f32 v71, v69, 1
	v_mul_f32_e32 v69, v69, v70
	v_mov_b32_e32 v36, 0x3f317218
	s_mov_b32 s56, 0x3f317218
	v_pk_mul_f32 v[36:37], v[68:69], v[36:37]
	v_fma_f32 v70, v68, s56, -v36
	v_fmac_f32_e32 v70, 0xb102e308, v68
	v_pk_add_f32 v[68:69], v[36:37], v[70:71]
	v_sub_f32_e32 v71, v69, v71
	v_ldexp_f32 v35, v35, 1
	v_sub_f32_e32 v71, v37, v71
	v_add_f32_e32 v81, v35, v71
	v_mov_b32_e32 v80, v36
	v_pk_add_f32 v[36:37], v[68:69], v[36:37] neg_lo:[0,1] neg_hi:[0,1]
	v_pk_add_f32 v[82:83], v[68:69], v[80:81]
	v_mov_b32_e32 v37, v83
	v_mov_b32_e32 v71, v68
	v_pk_add_f32 v[84:85], v[70:71], v[36:37] neg_lo:[0,1] neg_hi:[0,1]
	v_pk_add_f32 v[36:37], v[70:71], v[36:37]
	v_mov_b32_e32 v70, v37
	v_pk_add_f32 v[86:87], v[70:71], v[68:69] neg_lo:[0,1] neg_hi:[0,1]
	v_mov_b32_e32 v35, v86
	v_pk_add_f32 v[96:97], v[82:83], v[34:35] neg_lo:[0,1] neg_hi:[0,1]
	v_mov_b32_e32 v36, v83
	v_mov_b32_e32 v82, v69
	;; [unrolled: 1-line block ×4, first 2 shown]
	v_pk_add_f32 v[36:37], v[36:37], v[82:83] neg_lo:[0,1] neg_hi:[0,1]
	v_mov_b32_e32 v80, v81
	v_mov_b32_e32 v81, v68
	v_pk_add_f32 v[36:37], v[80:81], v[36:37] neg_lo:[0,1] neg_hi:[0,1]
	v_mov_b32_e32 v96, v84
	v_pk_add_f32 v[68:69], v[96:97], v[36:37]
	v_mov_b32_e32 v80, v69
	v_pk_add_f32 v[80:81], v[68:69], v[80:81]
	v_pk_add_f32 v[70:71], v[70:71], v[80:81]
	v_mov_b32_e32 v69, v70
	v_pk_add_f32 v[82:83], v[68:69], v[84:85] neg_lo:[0,1] neg_hi:[0,1]
	v_mov_b32_e32 v37, v80
	v_sub_f32_e32 v35, v68, v82
	v_pk_add_f32 v[36:37], v[36:37], v[82:83] neg_lo:[0,1] neg_hi:[0,1]
	v_sub_f32_e32 v35, v84, v35
	v_add_f32_e32 v35, v36, v35
	v_cmp_eq_f32_e64 s[56:57], s62, v51
	s_mov_b32 s62, 0x33800000
	v_add_f32_e32 v35, v35, v37
	v_cmp_lt_f32_e64 s[62:63], |v51|, s62
	v_add_f32_e32 v35, v70, v35
	s_or_b64 s[56:57], s[56:57], s[62:63]
	v_cndmask_b32_e64 v35, v35, v51, s[56:57]
	v_add_f32_e32 v33, v33, v35
	v_cvt_f16_f32_e32 v36, v33
.LBB421_309:
	s_or_b64 exec, exec, s[58:59]
	v_and_b32_e32 v35, 0xffff, v36
	v_mov_b32_e32 v33, v36
.LBB421_310:
	s_or_b64 exec, exec, s[60:61]
	v_mov_b32_dpp v36, v35 row_shr:4 row_mask:0xf bank_mask:0xf
	v_cmp_lt_u32_e64 s[56:57], 3, v34
	s_and_saveexec_b64 s[60:61], s[56:57]
	s_cbranch_execz .LBB421_314
; %bb.311:
	v_cvt_f32_f16_e32 v37, v36
	v_cvt_f32_f16_e32 v51, v33
	v_cmp_u_f16_e64 s[56:57], v36, v36
	v_cmp_u_f16_e64 s[58:59], v33, v33
	v_min_f32_e32 v35, v37, v51
	v_max_f32_e32 v33, v37, v51
	v_cndmask_b32_e64 v35, v35, v37, s[56:57]
	v_cndmask_b32_e64 v33, v33, v37, s[56:57]
	;; [unrolled: 1-line block ×4, first 2 shown]
	s_movk_i32 s58, 0x1f8
	v_cmp_neq_f32_e64 s[56:57], v35, v33
	v_cmp_class_f32_e64 s[58:59], v35, s58
	s_or_b64 s[56:57], s[56:57], s[58:59]
	s_and_saveexec_b64 s[58:59], s[56:57]
	s_cbranch_execz .LBB421_313
; %bb.312:
	v_sub_f32_e32 v35, v35, v33
	s_mov_b32 s56, 0x3fb8aa3b
	v_mul_f32_e32 v36, 0x3fb8aa3b, v35
	v_fma_f32 v37, v35, s56, -v36
	v_rndne_f32_e32 v51, v36
	v_fmac_f32_e32 v37, 0x32a5705f, v35
	v_sub_f32_e32 v36, v36, v51
	v_add_f32_e32 v36, v36, v37
	v_exp_f32_e32 v36, v36
	v_cvt_i32_f32_e32 v37, v51
	s_mov_b32 s56, 0xc2ce8ed0
	v_cmp_ngt_f32_e64 s[56:57], s56, v35
	s_mov_b32 s62, 0x7f800000
	v_ldexp_f32 v36, v36, v37
	v_cndmask_b32_e64 v36, 0, v36, s[56:57]
	s_mov_b32 s56, 0x42b17218
	v_mov_b32_e32 v37, 0x7f800000
	v_cmp_nlt_f32_e64 s[56:57], s56, v35
	v_cndmask_b32_e64 v51, v37, v36, s[56:57]
	v_add_f32_e32 v35, 1.0, v51
	v_add_f32_e32 v36, -1.0, v35
	v_sub_f32_e32 v37, v36, v35
	v_add_f32_e32 v37, 1.0, v37
	v_sub_f32_e32 v36, v51, v36
	v_add_f32_e32 v68, v36, v37
	v_frexp_mant_f32_e32 v69, v35
	s_mov_b32 s56, 0x3f2aaaab
	v_cvt_f64_f32_e32 v[36:37], v35
	v_frexp_exp_i32_f64_e32 v36, v[36:37]
	v_cmp_gt_f32_e64 s[56:57], s56, v69
	v_subbrev_co_u32_e64 v82, s[56:57], 0, v36, s[56:57]
	v_sub_u32_e32 v36, 0, v82
	v_ldexp_f32 v35, v35, v36
	v_ldexp_f32 v36, v68, v36
	v_add_f32_e32 v68, -1.0, v35
	v_add_f32_e32 v37, 1.0, v68
	v_sub_f32_e32 v37, v35, v37
	v_add_f32_e32 v69, v36, v37
	v_add_f32_e32 v37, 1.0, v35
	v_add_f32_e32 v70, -1.0, v37
	v_sub_f32_e32 v35, v35, v70
	v_add_f32_e32 v35, v36, v35
	v_add_f32_e32 v83, v37, v35
	v_rcp_f32_e32 v84, v83
	v_sub_f32_e32 v36, v37, v83
	v_add_f32_e32 v37, v68, v69
	v_add_f32_e32 v35, v35, v36
	v_mul_f32_e32 v86, v37, v84
	v_sub_f32_e32 v36, v68, v37
	v_mul_f32_e32 v68, v83, v86
	v_fma_f32 v70, v86, v83, -v68
	v_fmac_f32_e32 v70, v86, v35
	v_add_f32_e32 v85, v69, v36
	v_add_f32_e32 v36, v68, v70
	v_sub_f32_e32 v69, v37, v36
	v_pk_add_f32 v[80:81], v[36:37], v[68:69] neg_lo:[0,1] neg_hi:[0,1]
	v_mov_b32_e32 v71, v36
	v_pk_add_f32 v[36:37], v[80:81], v[70:71] neg_lo:[0,1] neg_hi:[0,1]
	v_add_f32_e32 v37, v85, v37
	v_add_f32_e32 v36, v36, v37
	;; [unrolled: 1-line block ×3, first 2 shown]
	v_mul_f32_e32 v85, v84, v37
	v_mul_f32_e32 v68, v83, v85
	v_fma_f32 v70, v85, v83, -v68
	v_fmac_f32_e32 v70, v85, v35
	v_sub_f32_e32 v35, v69, v37
	v_add_f32_e32 v35, v36, v35
	v_add_f32_e32 v36, v68, v70
	v_sub_f32_e32 v69, v37, v36
	v_pk_add_f32 v[80:81], v[36:37], v[68:69] neg_lo:[0,1] neg_hi:[0,1]
	v_mov_b32_e32 v71, v36
	v_pk_add_f32 v[36:37], v[80:81], v[70:71] neg_lo:[0,1] neg_hi:[0,1]
	v_add_f32_e32 v35, v35, v37
	v_add_f32_e32 v35, v36, v35
	;; [unrolled: 1-line block ×4, first 2 shown]
	v_sub_f32_e32 v37, v36, v86
	v_mul_f32_e32 v35, v84, v35
	v_sub_f32_e32 v37, v85, v37
	v_add_f32_e32 v35, v37, v35
	v_add_f32_e32 v69, v36, v35
	v_mul_f32_e32 v70, v69, v69
	v_mov_b32_e32 v68, 0x3ecc95a3
	v_fmac_f32_e32 v68, 0x3e9b6dac, v70
	v_mov_b32_e32 v37, 0x3f2aaada
	v_fmac_f32_e32 v37, v70, v68
	v_cvt_f32_i32_e32 v68, v82
	v_sub_f32_e32 v36, v69, v36
	v_sub_f32_e32 v35, v35, v36
	v_ldexp_f32 v71, v69, 1
	v_mul_f32_e32 v69, v69, v70
	v_mov_b32_e32 v36, 0x3f317218
	s_mov_b32 s56, 0x3f317218
	v_pk_mul_f32 v[36:37], v[68:69], v[36:37]
	v_fma_f32 v70, v68, s56, -v36
	v_fmac_f32_e32 v70, 0xb102e308, v68
	v_pk_add_f32 v[68:69], v[36:37], v[70:71]
	v_sub_f32_e32 v71, v69, v71
	v_ldexp_f32 v35, v35, 1
	v_sub_f32_e32 v71, v37, v71
	v_add_f32_e32 v81, v35, v71
	v_mov_b32_e32 v80, v36
	v_pk_add_f32 v[36:37], v[68:69], v[36:37] neg_lo:[0,1] neg_hi:[0,1]
	v_pk_add_f32 v[82:83], v[68:69], v[80:81]
	v_mov_b32_e32 v37, v83
	v_mov_b32_e32 v71, v68
	v_pk_add_f32 v[84:85], v[70:71], v[36:37] neg_lo:[0,1] neg_hi:[0,1]
	v_pk_add_f32 v[36:37], v[70:71], v[36:37]
	v_mov_b32_e32 v70, v37
	v_pk_add_f32 v[86:87], v[70:71], v[68:69] neg_lo:[0,1] neg_hi:[0,1]
	v_mov_b32_e32 v35, v86
	v_pk_add_f32 v[96:97], v[82:83], v[34:35] neg_lo:[0,1] neg_hi:[0,1]
	v_mov_b32_e32 v36, v83
	v_mov_b32_e32 v82, v69
	;; [unrolled: 1-line block ×4, first 2 shown]
	v_pk_add_f32 v[36:37], v[36:37], v[82:83] neg_lo:[0,1] neg_hi:[0,1]
	v_mov_b32_e32 v80, v81
	v_mov_b32_e32 v81, v68
	v_pk_add_f32 v[36:37], v[80:81], v[36:37] neg_lo:[0,1] neg_hi:[0,1]
	v_mov_b32_e32 v96, v84
	v_pk_add_f32 v[68:69], v[96:97], v[36:37]
	v_mov_b32_e32 v80, v69
	v_pk_add_f32 v[80:81], v[68:69], v[80:81]
	v_pk_add_f32 v[70:71], v[70:71], v[80:81]
	v_mov_b32_e32 v69, v70
	v_pk_add_f32 v[82:83], v[68:69], v[84:85] neg_lo:[0,1] neg_hi:[0,1]
	v_mov_b32_e32 v37, v80
	v_sub_f32_e32 v35, v68, v82
	v_pk_add_f32 v[36:37], v[36:37], v[82:83] neg_lo:[0,1] neg_hi:[0,1]
	v_sub_f32_e32 v35, v84, v35
	v_add_f32_e32 v35, v36, v35
	v_cmp_eq_f32_e64 s[56:57], s62, v51
	s_mov_b32 s62, 0x33800000
	v_add_f32_e32 v35, v35, v37
	v_cmp_lt_f32_e64 s[62:63], |v51|, s62
	v_add_f32_e32 v35, v70, v35
	s_or_b64 s[56:57], s[56:57], s[62:63]
	v_cndmask_b32_e64 v35, v35, v51, s[56:57]
	v_add_f32_e32 v33, v33, v35
	v_cvt_f16_f32_e32 v36, v33
.LBB421_313:
	s_or_b64 exec, exec, s[58:59]
	v_and_b32_e32 v35, 0xffff, v36
	v_mov_b32_e32 v33, v36
.LBB421_314:
	s_or_b64 exec, exec, s[60:61]
	v_mov_b32_dpp v36, v35 row_shr:8 row_mask:0xf bank_mask:0xf
	v_cmp_lt_u32_e64 s[56:57], 7, v34
	s_and_saveexec_b64 s[60:61], s[56:57]
	s_cbranch_execz .LBB421_318
; %bb.315:
	v_cvt_f32_f16_e32 v35, v36
	v_cvt_f32_f16_e32 v37, v33
	v_cmp_u_f16_e64 s[56:57], v36, v36
	v_cmp_u_f16_e64 s[58:59], v33, v33
	v_min_f32_e32 v34, v35, v37
	v_max_f32_e32 v33, v35, v37
	v_cndmask_b32_e64 v34, v34, v35, s[56:57]
	v_cndmask_b32_e64 v33, v33, v35, s[56:57]
	;; [unrolled: 1-line block ×4, first 2 shown]
	s_movk_i32 s58, 0x1f8
	v_cmp_neq_f32_e64 s[56:57], v34, v33
	v_cmp_class_f32_e64 s[58:59], v34, s58
	s_or_b64 s[56:57], s[56:57], s[58:59]
	s_and_saveexec_b64 s[58:59], s[56:57]
	s_cbranch_execz .LBB421_317
; %bb.316:
	v_sub_f32_e32 v34, v34, v33
	s_mov_b32 s56, 0x3fb8aa3b
	v_mul_f32_e32 v35, 0x3fb8aa3b, v34
	v_fma_f32 v36, v34, s56, -v35
	v_rndne_f32_e32 v37, v35
	v_fmac_f32_e32 v36, 0x32a5705f, v34
	v_sub_f32_e32 v35, v35, v37
	v_add_f32_e32 v35, v35, v36
	v_exp_f32_e32 v35, v35
	v_cvt_i32_f32_e32 v36, v37
	s_mov_b32 s56, 0xc2ce8ed0
	v_cmp_ngt_f32_e64 s[56:57], s56, v34
	s_mov_b32 s62, 0x7f800000
	v_ldexp_f32 v35, v35, v36
	v_cndmask_b32_e64 v35, 0, v35, s[56:57]
	s_mov_b32 s56, 0x42b17218
	v_mov_b32_e32 v36, 0x7f800000
	v_cmp_nlt_f32_e64 s[56:57], s56, v34
	v_cndmask_b32_e64 v96, v36, v35, s[56:57]
	v_add_f32_e32 v36, 1.0, v96
	v_add_f32_e32 v34, -1.0, v36
	v_sub_f32_e32 v35, v34, v36
	v_add_f32_e32 v35, 1.0, v35
	v_sub_f32_e32 v34, v96, v34
	v_add_f32_e32 v37, v34, v35
	v_frexp_mant_f32_e32 v51, v36
	s_mov_b32 s56, 0x3f2aaaab
	v_cvt_f64_f32_e32 v[34:35], v36
	v_frexp_exp_i32_f64_e32 v34, v[34:35]
	v_cmp_gt_f32_e64 s[56:57], s56, v51
	v_subbrev_co_u32_e64 v51, s[56:57], 0, v34, s[56:57]
	v_sub_u32_e32 v34, 0, v51
	v_ldexp_f32 v35, v36, v34
	v_add_f32_e32 v36, -1.0, v35
	v_add_f32_e32 v68, 1.0, v35
	v_ldexp_f32 v34, v37, v34
	v_add_f32_e32 v37, 1.0, v36
	v_add_f32_e32 v69, -1.0, v68
	v_sub_f32_e32 v37, v35, v37
	v_sub_f32_e32 v35, v35, v69
	v_add_f32_e32 v37, v34, v37
	v_add_f32_e32 v34, v34, v35
	v_add_f32_e32 v80, v68, v34
	v_rcp_f32_e32 v82, v80
	v_sub_f32_e32 v35, v68, v80
	v_add_f32_e32 v81, v34, v35
	v_add_f32_e32 v35, v36, v37
	v_mul_f32_e32 v84, v35, v82
	v_sub_f32_e32 v34, v36, v35
	v_mul_f32_e32 v36, v80, v84
	v_fma_f32 v68, v84, v80, -v36
	v_fmac_f32_e32 v68, v84, v81
	v_add_f32_e32 v83, v37, v34
	v_add_f32_e32 v34, v36, v68
	v_sub_f32_e32 v37, v35, v34
	v_pk_add_f32 v[70:71], v[34:35], v[36:37] neg_lo:[0,1] neg_hi:[0,1]
	v_mov_b32_e32 v69, v34
	v_pk_add_f32 v[34:35], v[70:71], v[68:69] neg_lo:[0,1] neg_hi:[0,1]
	v_add_f32_e32 v35, v83, v35
	v_add_f32_e32 v34, v34, v35
	;; [unrolled: 1-line block ×3, first 2 shown]
	v_mul_f32_e32 v83, v82, v35
	v_mul_f32_e32 v36, v80, v83
	v_fma_f32 v68, v83, v80, -v36
	v_fmac_f32_e32 v68, v83, v81
	v_sub_f32_e32 v37, v37, v35
	v_add_f32_e32 v80, v34, v37
	v_add_f32_e32 v34, v36, v68
	v_sub_f32_e32 v37, v35, v34
	v_pk_add_f32 v[70:71], v[34:35], v[36:37] neg_lo:[0,1] neg_hi:[0,1]
	v_mov_b32_e32 v69, v34
	v_pk_add_f32 v[34:35], v[70:71], v[68:69] neg_lo:[0,1] neg_hi:[0,1]
	v_add_f32_e32 v35, v80, v35
	v_add_f32_e32 v34, v34, v35
	;; [unrolled: 1-line block ×4, first 2 shown]
	v_sub_f32_e32 v35, v37, v84
	v_mul_f32_e32 v34, v82, v34
	v_sub_f32_e32 v35, v83, v35
	v_add_f32_e32 v34, v35, v34
	v_add_f32_e32 v68, v37, v34
	v_mul_f32_e32 v70, v68, v68
	v_mov_b32_e32 v36, 0x3ecc95a3
	v_fmac_f32_e32 v36, 0x3e9b6dac, v70
	v_mov_b32_e32 v35, 0x3f2aaada
	v_fmac_f32_e32 v35, v70, v36
	v_cvt_f32_i32_e32 v36, v51
	v_sub_f32_e32 v37, v68, v37
	v_sub_f32_e32 v34, v34, v37
	v_ldexp_f32 v51, v34, 1
	v_mul_f32_e32 v37, v68, v70
	v_mov_b32_e32 v34, 0x3f317218
	s_mov_b32 s56, 0x3f317218
	v_pk_mul_f32 v[34:35], v[36:37], v[34:35]
	v_ldexp_f32 v69, v68, 1
	v_fma_f32 v68, v36, s56, -v34
	v_fmac_f32_e32 v68, 0xb102e308, v36
	v_pk_add_f32 v[36:37], v[34:35], v[68:69]
	v_sub_f32_e32 v69, v37, v69
	v_sub_f32_e32 v69, v35, v69
	v_add_f32_e32 v71, v51, v69
	v_mov_b32_e32 v70, v34
	v_pk_add_f32 v[34:35], v[36:37], v[34:35] neg_lo:[0,1] neg_hi:[0,1]
	v_pk_add_f32 v[80:81], v[36:37], v[70:71]
	v_mov_b32_e32 v35, v81
	v_mov_b32_e32 v69, v36
	v_pk_add_f32 v[82:83], v[68:69], v[34:35] neg_lo:[0,1] neg_hi:[0,1]
	v_pk_add_f32 v[34:35], v[68:69], v[34:35]
	v_mov_b32_e32 v68, v35
	v_pk_add_f32 v[84:85], v[68:69], v[36:37] neg_lo:[0,1] neg_hi:[0,1]
	v_mov_b32_e32 v51, v84
	v_pk_add_f32 v[86:87], v[80:81], v[50:51] neg_lo:[0,1] neg_hi:[0,1]
	v_mov_b32_e32 v34, v81
	v_mov_b32_e32 v80, v37
	;; [unrolled: 1-line block ×4, first 2 shown]
	v_pk_add_f32 v[34:35], v[34:35], v[80:81] neg_lo:[0,1] neg_hi:[0,1]
	v_mov_b32_e32 v70, v71
	v_mov_b32_e32 v71, v36
	v_pk_add_f32 v[34:35], v[70:71], v[34:35] neg_lo:[0,1] neg_hi:[0,1]
	v_mov_b32_e32 v86, v82
	v_pk_add_f32 v[36:37], v[86:87], v[34:35]
	v_mov_b32_e32 v70, v37
	v_pk_add_f32 v[70:71], v[36:37], v[70:71]
	v_pk_add_f32 v[68:69], v[68:69], v[70:71]
	v_mov_b32_e32 v37, v68
	v_pk_add_f32 v[80:81], v[36:37], v[82:83] neg_lo:[0,1] neg_hi:[0,1]
	v_mov_b32_e32 v35, v70
	v_sub_f32_e32 v36, v36, v80
	v_pk_add_f32 v[34:35], v[34:35], v[80:81] neg_lo:[0,1] neg_hi:[0,1]
	v_sub_f32_e32 v36, v82, v36
	v_add_f32_e32 v34, v34, v36
	v_cmp_eq_f32_e64 s[56:57], s62, v96
	s_mov_b32 s62, 0x33800000
	v_add_f32_e32 v34, v34, v35
	v_cmp_lt_f32_e64 s[62:63], |v96|, s62
	v_add_f32_e32 v34, v68, v34
	s_or_b64 s[56:57], s[56:57], s[62:63]
	v_cndmask_b32_e64 v34, v34, v96, s[56:57]
	v_add_f32_e32 v33, v33, v34
	v_cvt_f16_f32_e32 v36, v33
.LBB421_317:
	s_or_b64 exec, exec, s[58:59]
	v_and_b32_e32 v35, 0xffff, v36
	v_mov_b32_e32 v33, v36
.LBB421_318:
	s_or_b64 exec, exec, s[60:61]
	v_and_b32_e32 v36, 16, v15
	v_mov_b32_dpp v34, v35 row_bcast:15 row_mask:0xf bank_mask:0xf
	v_cmp_ne_u32_e64 s[56:57], 0, v36
	s_and_saveexec_b64 s[60:61], s[56:57]
	s_cbranch_execz .LBB421_322
; %bb.319:
	v_cvt_f32_f16_e32 v36, v34
	v_cvt_f32_f16_e32 v37, v33
	v_cmp_u_f16_e64 s[56:57], v34, v34
	v_cmp_u_f16_e64 s[58:59], v33, v33
	v_min_f32_e32 v35, v36, v37
	v_max_f32_e32 v33, v36, v37
	v_cndmask_b32_e64 v35, v35, v36, s[56:57]
	v_cndmask_b32_e64 v33, v33, v36, s[56:57]
	;; [unrolled: 1-line block ×4, first 2 shown]
	s_movk_i32 s58, 0x1f8
	v_cmp_neq_f32_e64 s[56:57], v35, v33
	v_cmp_class_f32_e64 s[58:59], v35, s58
	s_or_b64 s[56:57], s[56:57], s[58:59]
	s_and_saveexec_b64 s[58:59], s[56:57]
	s_cbranch_execz .LBB421_321
; %bb.320:
	v_sub_f32_e32 v34, v35, v33
	s_mov_b32 s56, 0x3fb8aa3b
	v_mul_f32_e32 v35, 0x3fb8aa3b, v34
	v_fma_f32 v36, v34, s56, -v35
	v_rndne_f32_e32 v37, v35
	v_fmac_f32_e32 v36, 0x32a5705f, v34
	v_sub_f32_e32 v35, v35, v37
	v_add_f32_e32 v35, v35, v36
	v_exp_f32_e32 v35, v35
	v_cvt_i32_f32_e32 v36, v37
	s_mov_b32 s56, 0xc2ce8ed0
	v_cmp_ngt_f32_e64 s[56:57], s56, v34
	s_mov_b32 s62, 0x7f800000
	v_ldexp_f32 v35, v35, v36
	v_cndmask_b32_e64 v35, 0, v35, s[56:57]
	s_mov_b32 s56, 0x42b17218
	v_mov_b32_e32 v36, 0x7f800000
	v_cmp_nlt_f32_e64 s[56:57], s56, v34
	v_cndmask_b32_e64 v96, v36, v35, s[56:57]
	v_add_f32_e32 v36, 1.0, v96
	v_add_f32_e32 v34, -1.0, v36
	v_sub_f32_e32 v35, v34, v36
	v_add_f32_e32 v35, 1.0, v35
	v_sub_f32_e32 v34, v96, v34
	v_add_f32_e32 v37, v34, v35
	v_frexp_mant_f32_e32 v51, v36
	s_mov_b32 s56, 0x3f2aaaab
	v_cvt_f64_f32_e32 v[34:35], v36
	v_frexp_exp_i32_f64_e32 v34, v[34:35]
	v_cmp_gt_f32_e64 s[56:57], s56, v51
	v_subbrev_co_u32_e64 v51, s[56:57], 0, v34, s[56:57]
	v_sub_u32_e32 v34, 0, v51
	v_ldexp_f32 v35, v36, v34
	v_add_f32_e32 v36, -1.0, v35
	v_add_f32_e32 v68, 1.0, v35
	v_ldexp_f32 v34, v37, v34
	v_add_f32_e32 v37, 1.0, v36
	v_add_f32_e32 v69, -1.0, v68
	v_sub_f32_e32 v37, v35, v37
	v_sub_f32_e32 v35, v35, v69
	v_add_f32_e32 v37, v34, v37
	v_add_f32_e32 v34, v34, v35
	;; [unrolled: 1-line block ×3, first 2 shown]
	v_rcp_f32_e32 v82, v80
	v_sub_f32_e32 v35, v68, v80
	v_add_f32_e32 v81, v34, v35
	v_add_f32_e32 v35, v36, v37
	v_mul_f32_e32 v84, v35, v82
	v_sub_f32_e32 v34, v36, v35
	v_mul_f32_e32 v36, v80, v84
	v_fma_f32 v68, v84, v80, -v36
	v_fmac_f32_e32 v68, v84, v81
	v_add_f32_e32 v83, v37, v34
	v_add_f32_e32 v34, v36, v68
	v_sub_f32_e32 v37, v35, v34
	v_pk_add_f32 v[70:71], v[34:35], v[36:37] neg_lo:[0,1] neg_hi:[0,1]
	v_mov_b32_e32 v69, v34
	v_pk_add_f32 v[34:35], v[70:71], v[68:69] neg_lo:[0,1] neg_hi:[0,1]
	v_add_f32_e32 v35, v83, v35
	v_add_f32_e32 v34, v34, v35
	;; [unrolled: 1-line block ×3, first 2 shown]
	v_mul_f32_e32 v83, v82, v35
	v_mul_f32_e32 v36, v80, v83
	v_fma_f32 v68, v83, v80, -v36
	v_fmac_f32_e32 v68, v83, v81
	v_sub_f32_e32 v37, v37, v35
	v_add_f32_e32 v80, v34, v37
	v_add_f32_e32 v34, v36, v68
	v_sub_f32_e32 v37, v35, v34
	v_pk_add_f32 v[70:71], v[34:35], v[36:37] neg_lo:[0,1] neg_hi:[0,1]
	v_mov_b32_e32 v69, v34
	v_pk_add_f32 v[34:35], v[70:71], v[68:69] neg_lo:[0,1] neg_hi:[0,1]
	v_add_f32_e32 v35, v80, v35
	v_add_f32_e32 v34, v34, v35
	;; [unrolled: 1-line block ×4, first 2 shown]
	v_sub_f32_e32 v35, v37, v84
	v_mul_f32_e32 v34, v82, v34
	v_sub_f32_e32 v35, v83, v35
	v_add_f32_e32 v34, v35, v34
	v_add_f32_e32 v68, v37, v34
	v_mul_f32_e32 v70, v68, v68
	v_mov_b32_e32 v36, 0x3ecc95a3
	v_fmac_f32_e32 v36, 0x3e9b6dac, v70
	v_mov_b32_e32 v35, 0x3f2aaada
	v_fmac_f32_e32 v35, v70, v36
	v_cvt_f32_i32_e32 v36, v51
	v_sub_f32_e32 v37, v68, v37
	v_sub_f32_e32 v34, v34, v37
	v_ldexp_f32 v51, v34, 1
	v_mul_f32_e32 v37, v68, v70
	v_mov_b32_e32 v34, 0x3f317218
	s_mov_b32 s56, 0x3f317218
	v_pk_mul_f32 v[34:35], v[36:37], v[34:35]
	v_ldexp_f32 v69, v68, 1
	v_fma_f32 v68, v36, s56, -v34
	v_fmac_f32_e32 v68, 0xb102e308, v36
	v_pk_add_f32 v[36:37], v[34:35], v[68:69]
	v_sub_f32_e32 v69, v37, v69
	v_sub_f32_e32 v69, v35, v69
	v_add_f32_e32 v71, v51, v69
	v_mov_b32_e32 v70, v34
	v_pk_add_f32 v[34:35], v[36:37], v[34:35] neg_lo:[0,1] neg_hi:[0,1]
	v_pk_add_f32 v[80:81], v[36:37], v[70:71]
	v_mov_b32_e32 v35, v81
	v_mov_b32_e32 v69, v36
	v_pk_add_f32 v[82:83], v[68:69], v[34:35] neg_lo:[0,1] neg_hi:[0,1]
	v_pk_add_f32 v[34:35], v[68:69], v[34:35]
	v_mov_b32_e32 v68, v35
	v_pk_add_f32 v[84:85], v[68:69], v[36:37] neg_lo:[0,1] neg_hi:[0,1]
	v_mov_b32_e32 v51, v84
	v_pk_add_f32 v[86:87], v[80:81], v[50:51] neg_lo:[0,1] neg_hi:[0,1]
	v_mov_b32_e32 v34, v81
	v_mov_b32_e32 v80, v37
	;; [unrolled: 1-line block ×4, first 2 shown]
	v_pk_add_f32 v[34:35], v[34:35], v[80:81] neg_lo:[0,1] neg_hi:[0,1]
	v_mov_b32_e32 v70, v71
	v_mov_b32_e32 v71, v36
	v_pk_add_f32 v[34:35], v[70:71], v[34:35] neg_lo:[0,1] neg_hi:[0,1]
	v_mov_b32_e32 v86, v82
	v_pk_add_f32 v[36:37], v[86:87], v[34:35]
	v_mov_b32_e32 v70, v37
	v_pk_add_f32 v[70:71], v[36:37], v[70:71]
	v_pk_add_f32 v[68:69], v[68:69], v[70:71]
	v_mov_b32_e32 v37, v68
	v_pk_add_f32 v[80:81], v[36:37], v[82:83] neg_lo:[0,1] neg_hi:[0,1]
	v_mov_b32_e32 v35, v70
	v_sub_f32_e32 v36, v36, v80
	v_pk_add_f32 v[34:35], v[34:35], v[80:81] neg_lo:[0,1] neg_hi:[0,1]
	v_sub_f32_e32 v36, v82, v36
	v_add_f32_e32 v34, v34, v36
	v_cmp_eq_f32_e64 s[56:57], s62, v96
	s_mov_b32 s62, 0x33800000
	v_add_f32_e32 v34, v34, v35
	v_cmp_lt_f32_e64 s[62:63], |v96|, s62
	v_add_f32_e32 v34, v68, v34
	s_or_b64 s[56:57], s[56:57], s[62:63]
	v_cndmask_b32_e64 v34, v34, v96, s[56:57]
	v_add_f32_e32 v33, v33, v34
	v_cvt_f16_f32_e32 v34, v33
.LBB421_321:
	s_or_b64 exec, exec, s[58:59]
	v_and_b32_e32 v35, 0xffff, v34
	v_mov_b32_e32 v33, v34
.LBB421_322:
	s_or_b64 exec, exec, s[60:61]
	v_mov_b32_dpp v34, v35 row_bcast:31 row_mask:0xf bank_mask:0xf
	v_cmp_lt_u32_e64 s[56:57], 31, v15
	s_and_saveexec_b64 s[60:61], s[56:57]
	s_cbranch_execz .LBB421_326
; %bb.323:
	v_cvt_f32_f16_e32 v36, v34
	v_cvt_f32_f16_e32 v37, v33
	v_cmp_u_f16_e64 s[56:57], v34, v34
	v_cmp_u_f16_e64 s[58:59], v33, v33
	v_min_f32_e32 v35, v36, v37
	v_max_f32_e32 v33, v36, v37
	v_cndmask_b32_e64 v35, v35, v36, s[56:57]
	v_cndmask_b32_e64 v33, v33, v36, s[56:57]
	;; [unrolled: 1-line block ×4, first 2 shown]
	s_movk_i32 s58, 0x1f8
	v_cmp_neq_f32_e64 s[56:57], v35, v33
	v_cmp_class_f32_e64 s[58:59], v35, s58
	s_or_b64 s[56:57], s[56:57], s[58:59]
	s_and_saveexec_b64 s[58:59], s[56:57]
	s_cbranch_execz .LBB421_325
; %bb.324:
	v_sub_f32_e32 v34, v35, v33
	s_mov_b32 s56, 0x3fb8aa3b
	v_mul_f32_e32 v35, 0x3fb8aa3b, v34
	v_fma_f32 v36, v34, s56, -v35
	v_rndne_f32_e32 v37, v35
	v_fmac_f32_e32 v36, 0x32a5705f, v34
	v_sub_f32_e32 v35, v35, v37
	v_add_f32_e32 v35, v35, v36
	v_exp_f32_e32 v35, v35
	v_cvt_i32_f32_e32 v36, v37
	s_mov_b32 s56, 0xc2ce8ed0
	v_cmp_ngt_f32_e64 s[56:57], s56, v34
	s_mov_b32 s62, 0x7f800000
	v_ldexp_f32 v35, v35, v36
	v_cndmask_b32_e64 v35, 0, v35, s[56:57]
	s_mov_b32 s56, 0x42b17218
	v_mov_b32_e32 v36, 0x7f800000
	v_cmp_nlt_f32_e64 s[56:57], s56, v34
	v_cndmask_b32_e64 v96, v36, v35, s[56:57]
	v_add_f32_e32 v36, 1.0, v96
	v_add_f32_e32 v34, -1.0, v36
	v_sub_f32_e32 v35, v34, v36
	v_add_f32_e32 v35, 1.0, v35
	v_sub_f32_e32 v34, v96, v34
	v_add_f32_e32 v37, v34, v35
	v_frexp_mant_f32_e32 v51, v36
	s_mov_b32 s56, 0x3f2aaaab
	v_cvt_f64_f32_e32 v[34:35], v36
	v_frexp_exp_i32_f64_e32 v34, v[34:35]
	v_cmp_gt_f32_e64 s[56:57], s56, v51
	v_subbrev_co_u32_e64 v51, s[56:57], 0, v34, s[56:57]
	v_sub_u32_e32 v34, 0, v51
	v_ldexp_f32 v35, v36, v34
	v_add_f32_e32 v36, -1.0, v35
	v_add_f32_e32 v68, 1.0, v35
	v_ldexp_f32 v34, v37, v34
	v_add_f32_e32 v37, 1.0, v36
	v_add_f32_e32 v69, -1.0, v68
	v_sub_f32_e32 v37, v35, v37
	v_sub_f32_e32 v35, v35, v69
	v_add_f32_e32 v37, v34, v37
	v_add_f32_e32 v34, v34, v35
	;; [unrolled: 1-line block ×3, first 2 shown]
	v_rcp_f32_e32 v82, v80
	v_sub_f32_e32 v35, v68, v80
	v_add_f32_e32 v81, v34, v35
	v_add_f32_e32 v35, v36, v37
	v_mul_f32_e32 v84, v35, v82
	v_sub_f32_e32 v34, v36, v35
	v_mul_f32_e32 v36, v80, v84
	v_fma_f32 v68, v84, v80, -v36
	v_fmac_f32_e32 v68, v84, v81
	v_add_f32_e32 v83, v37, v34
	v_add_f32_e32 v34, v36, v68
	v_sub_f32_e32 v37, v35, v34
	v_pk_add_f32 v[70:71], v[34:35], v[36:37] neg_lo:[0,1] neg_hi:[0,1]
	v_mov_b32_e32 v69, v34
	v_pk_add_f32 v[34:35], v[70:71], v[68:69] neg_lo:[0,1] neg_hi:[0,1]
	v_add_f32_e32 v35, v83, v35
	v_add_f32_e32 v34, v34, v35
	;; [unrolled: 1-line block ×3, first 2 shown]
	v_mul_f32_e32 v83, v82, v35
	v_mul_f32_e32 v36, v80, v83
	v_fma_f32 v68, v83, v80, -v36
	v_fmac_f32_e32 v68, v83, v81
	v_sub_f32_e32 v37, v37, v35
	v_add_f32_e32 v80, v34, v37
	v_add_f32_e32 v34, v36, v68
	v_sub_f32_e32 v37, v35, v34
	v_pk_add_f32 v[70:71], v[34:35], v[36:37] neg_lo:[0,1] neg_hi:[0,1]
	v_mov_b32_e32 v69, v34
	v_pk_add_f32 v[34:35], v[70:71], v[68:69] neg_lo:[0,1] neg_hi:[0,1]
	v_add_f32_e32 v35, v80, v35
	v_add_f32_e32 v34, v34, v35
	;; [unrolled: 1-line block ×4, first 2 shown]
	v_sub_f32_e32 v35, v37, v84
	v_mul_f32_e32 v34, v82, v34
	v_sub_f32_e32 v35, v83, v35
	v_add_f32_e32 v34, v35, v34
	v_add_f32_e32 v68, v37, v34
	v_mul_f32_e32 v70, v68, v68
	v_mov_b32_e32 v36, 0x3ecc95a3
	v_fmac_f32_e32 v36, 0x3e9b6dac, v70
	v_mov_b32_e32 v35, 0x3f2aaada
	v_fmac_f32_e32 v35, v70, v36
	v_cvt_f32_i32_e32 v36, v51
	v_sub_f32_e32 v37, v68, v37
	v_sub_f32_e32 v34, v34, v37
	v_ldexp_f32 v51, v34, 1
	v_mul_f32_e32 v37, v68, v70
	v_mov_b32_e32 v34, 0x3f317218
	s_mov_b32 s56, 0x3f317218
	v_pk_mul_f32 v[34:35], v[36:37], v[34:35]
	v_ldexp_f32 v69, v68, 1
	v_fma_f32 v68, v36, s56, -v34
	v_fmac_f32_e32 v68, 0xb102e308, v36
	v_pk_add_f32 v[36:37], v[34:35], v[68:69]
	v_sub_f32_e32 v69, v37, v69
	v_sub_f32_e32 v69, v35, v69
	v_add_f32_e32 v71, v51, v69
	v_mov_b32_e32 v70, v34
	v_pk_add_f32 v[34:35], v[36:37], v[34:35] neg_lo:[0,1] neg_hi:[0,1]
	v_pk_add_f32 v[80:81], v[36:37], v[70:71]
	v_mov_b32_e32 v35, v81
	v_mov_b32_e32 v69, v36
	v_pk_add_f32 v[82:83], v[68:69], v[34:35] neg_lo:[0,1] neg_hi:[0,1]
	v_pk_add_f32 v[34:35], v[68:69], v[34:35]
	v_mov_b32_e32 v68, v35
	v_pk_add_f32 v[84:85], v[68:69], v[36:37] neg_lo:[0,1] neg_hi:[0,1]
	v_mov_b32_e32 v51, v84
	v_pk_add_f32 v[86:87], v[80:81], v[50:51] neg_lo:[0,1] neg_hi:[0,1]
	v_mov_b32_e32 v34, v81
	v_mov_b32_e32 v80, v37
	;; [unrolled: 1-line block ×4, first 2 shown]
	v_pk_add_f32 v[34:35], v[34:35], v[80:81] neg_lo:[0,1] neg_hi:[0,1]
	v_mov_b32_e32 v70, v71
	v_mov_b32_e32 v71, v36
	v_pk_add_f32 v[34:35], v[70:71], v[34:35] neg_lo:[0,1] neg_hi:[0,1]
	v_mov_b32_e32 v86, v82
	v_pk_add_f32 v[36:37], v[86:87], v[34:35]
	v_mov_b32_e32 v70, v37
	v_pk_add_f32 v[70:71], v[36:37], v[70:71]
	v_pk_add_f32 v[68:69], v[68:69], v[70:71]
	v_mov_b32_e32 v37, v68
	v_pk_add_f32 v[80:81], v[36:37], v[82:83] neg_lo:[0,1] neg_hi:[0,1]
	v_mov_b32_e32 v35, v70
	v_sub_f32_e32 v36, v36, v80
	v_pk_add_f32 v[34:35], v[34:35], v[80:81] neg_lo:[0,1] neg_hi:[0,1]
	v_sub_f32_e32 v36, v82, v36
	v_add_f32_e32 v34, v34, v36
	v_cmp_eq_f32_e64 s[56:57], s62, v96
	s_mov_b32 s62, 0x33800000
	v_add_f32_e32 v34, v34, v35
	v_cmp_lt_f32_e64 s[62:63], |v96|, s62
	v_add_f32_e32 v34, v68, v34
	s_or_b64 s[56:57], s[56:57], s[62:63]
	v_cndmask_b32_e64 v34, v34, v96, s[56:57]
	v_add_f32_e32 v33, v33, v34
	v_cvt_f16_f32_e32 v34, v33
.LBB421_325:
	s_or_b64 exec, exec, s[58:59]
	v_mov_b32_e32 v33, v34
.LBB421_326:
	s_or_b64 exec, exec, s[60:61]
	v_cmp_eq_u32_e64 s[56:57], 63, v28
	s_and_saveexec_b64 s[58:59], s[56:57]
	s_cbranch_execz .LBB421_328
; %bb.327:
	v_mov_b32_e32 v34, 0
	ds_write_b16 v34, v33
.LBB421_328:
	s_or_b64 exec, exec, s[58:59]
	v_add_u32_e32 v34, -1, v15
	v_and_b32_e32 v35, 64, v15
	v_cmp_lt_i32_e64 s[58:59], v34, v35
	v_cndmask_b32_e64 v15, v34, v15, s[58:59]
	v_and_b32_e32 v33, 0xffff, v33
	v_lshlrev_b32_e32 v15, 2, v15
	ds_bpermute_b32 v33, v15, v33
	v_mov_b32_e32 v15, v30
	s_waitcnt lgkmcnt(0)
	; wave barrier
	s_waitcnt lgkmcnt(0)
	s_and_saveexec_b64 s[58:59], s[6:7]
	s_cbranch_execz .LBB421_332
; %bb.329:
	v_cvt_f32_f16_e32 v34, v33
	v_max_f32_e32 v15, v2, v2
	v_cmp_u_f16_e64 s[6:7], v33, v33
	v_min_f32_e32 v30, v34, v15
	v_max_f32_e32 v31, v34, v15
	v_cndmask_b32_e64 v15, v30, v34, s[6:7]
	v_cndmask_b32_e64 v30, v31, v34, s[6:7]
	;; [unrolled: 1-line block ×4, first 2 shown]
	s_movk_i32 s54, 0x1f8
	v_cmp_neq_f32_e64 s[6:7], v15, v2
	v_cmp_class_f32_e64 s[54:55], v15, s54
	s_or_b64 s[6:7], s[6:7], s[54:55]
	s_and_saveexec_b64 s[54:55], s[6:7]
	s_cbranch_execz .LBB421_331
; %bb.330:
	v_sub_f32_e32 v15, v15, v2
	s_mov_b32 s6, 0x3fb8aa3b
	v_mul_f32_e32 v30, 0x3fb8aa3b, v15
	v_fma_f32 v31, v15, s6, -v30
	v_rndne_f32_e32 v32, v30
	v_fmac_f32_e32 v31, 0x32a5705f, v15
	v_sub_f32_e32 v30, v30, v32
	v_add_f32_e32 v30, v30, v31
	v_exp_f32_e32 v30, v30
	v_cvt_i32_f32_e32 v31, v32
	s_mov_b32 s6, 0xc2ce8ed0
	v_cmp_ngt_f32_e64 s[6:7], s6, v15
	s_mov_b32 s60, 0x7f800000
	v_ldexp_f32 v30, v30, v31
	v_cndmask_b32_e64 v30, 0, v30, s[6:7]
	s_mov_b32 s6, 0x42b17218
	v_mov_b32_e32 v31, 0x7f800000
	v_cmp_nlt_f32_e64 s[6:7], s6, v15
	v_cndmask_b32_e64 v51, v31, v30, s[6:7]
	v_add_f32_e32 v15, 1.0, v51
	v_add_f32_e32 v30, -1.0, v15
	v_sub_f32_e32 v31, v30, v15
	v_add_f32_e32 v31, 1.0, v31
	v_sub_f32_e32 v30, v51, v30
	v_add_f32_e32 v32, v30, v31
	v_frexp_mant_f32_e32 v33, v15
	s_mov_b32 s6, 0x3f2aaaab
	v_cvt_f64_f32_e32 v[30:31], v15
	v_frexp_exp_i32_f64_e32 v30, v[30:31]
	v_cmp_gt_f32_e64 s[6:7], s6, v33
	v_subbrev_co_u32_e64 v68, s[6:7], 0, v30, s[6:7]
	v_sub_u32_e32 v30, 0, v68
	v_ldexp_f32 v15, v15, v30
	v_ldexp_f32 v30, v32, v30
	v_add_f32_e32 v32, -1.0, v15
	v_add_f32_e32 v31, 1.0, v32
	v_sub_f32_e32 v31, v15, v31
	v_add_f32_e32 v33, v30, v31
	v_add_f32_e32 v31, 1.0, v15
	v_add_f32_e32 v34, -1.0, v31
	v_sub_f32_e32 v15, v15, v34
	v_add_f32_e32 v15, v30, v15
	v_add_f32_e32 v69, v31, v15
	v_rcp_f32_e32 v70, v69
	v_sub_f32_e32 v30, v31, v69
	v_add_f32_e32 v31, v32, v33
	v_add_f32_e32 v15, v15, v30
	v_mul_f32_e32 v80, v31, v70
	v_sub_f32_e32 v30, v32, v31
	v_mul_f32_e32 v32, v69, v80
	v_fma_f32 v34, v80, v69, -v32
	v_fmac_f32_e32 v34, v80, v15
	v_add_f32_e32 v71, v33, v30
	v_add_f32_e32 v30, v32, v34
	v_sub_f32_e32 v33, v31, v30
	v_pk_add_f32 v[36:37], v[30:31], v[32:33] neg_lo:[0,1] neg_hi:[0,1]
	v_mov_b32_e32 v35, v30
	v_pk_add_f32 v[30:31], v[36:37], v[34:35] neg_lo:[0,1] neg_hi:[0,1]
	v_add_f32_e32 v31, v71, v31
	v_add_f32_e32 v30, v30, v31
	;; [unrolled: 1-line block ×3, first 2 shown]
	v_mul_f32_e32 v71, v70, v31
	v_mul_f32_e32 v32, v69, v71
	v_fma_f32 v34, v71, v69, -v32
	v_fmac_f32_e32 v34, v71, v15
	v_sub_f32_e32 v15, v33, v31
	v_add_f32_e32 v15, v30, v15
	v_add_f32_e32 v30, v32, v34
	v_sub_f32_e32 v33, v31, v30
	v_pk_add_f32 v[36:37], v[30:31], v[32:33] neg_lo:[0,1] neg_hi:[0,1]
	v_mov_b32_e32 v35, v30
	v_pk_add_f32 v[30:31], v[36:37], v[34:35] neg_lo:[0,1] neg_hi:[0,1]
	v_add_f32_e32 v15, v15, v31
	v_add_f32_e32 v15, v30, v15
	;; [unrolled: 1-line block ×4, first 2 shown]
	v_sub_f32_e32 v31, v30, v80
	v_mul_f32_e32 v15, v70, v15
	v_sub_f32_e32 v31, v71, v31
	v_add_f32_e32 v15, v31, v15
	v_add_f32_e32 v33, v30, v15
	v_mul_f32_e32 v34, v33, v33
	v_mov_b32_e32 v32, 0x3ecc95a3
	v_fmac_f32_e32 v32, 0x3e9b6dac, v34
	v_mov_b32_e32 v31, 0x3f2aaada
	v_fmac_f32_e32 v31, v34, v32
	v_cvt_f32_i32_e32 v32, v68
	v_sub_f32_e32 v30, v33, v30
	v_sub_f32_e32 v15, v15, v30
	v_ldexp_f32 v35, v33, 1
	v_mul_f32_e32 v33, v33, v34
	v_mov_b32_e32 v30, 0x3f317218
	s_mov_b32 s6, 0x3f317218
	v_pk_mul_f32 v[30:31], v[32:33], v[30:31]
	v_fma_f32 v34, v32, s6, -v30
	v_fmac_f32_e32 v34, 0xb102e308, v32
	v_pk_add_f32 v[32:33], v[30:31], v[34:35]
	v_sub_f32_e32 v35, v33, v35
	v_ldexp_f32 v15, v15, 1
	v_sub_f32_e32 v35, v31, v35
	v_add_f32_e32 v37, v15, v35
	v_mov_b32_e32 v36, v30
	v_pk_add_f32 v[30:31], v[32:33], v[30:31] neg_lo:[0,1] neg_hi:[0,1]
	v_pk_add_f32 v[68:69], v[32:33], v[36:37]
	v_mov_b32_e32 v31, v69
	v_mov_b32_e32 v35, v32
	v_pk_add_f32 v[70:71], v[34:35], v[30:31] neg_lo:[0,1] neg_hi:[0,1]
	v_pk_add_f32 v[30:31], v[34:35], v[30:31]
	v_mov_b32_e32 v34, v31
	v_pk_add_f32 v[80:81], v[34:35], v[32:33] neg_lo:[0,1] neg_hi:[0,1]
	v_mov_b32_e32 v15, v80
	v_pk_add_f32 v[82:83], v[68:69], v[14:15] neg_lo:[0,1] neg_hi:[0,1]
	v_mov_b32_e32 v30, v69
	v_mov_b32_e32 v68, v33
	;; [unrolled: 1-line block ×4, first 2 shown]
	v_pk_add_f32 v[30:31], v[30:31], v[68:69] neg_lo:[0,1] neg_hi:[0,1]
	v_mov_b32_e32 v36, v37
	v_mov_b32_e32 v37, v32
	v_pk_add_f32 v[30:31], v[36:37], v[30:31] neg_lo:[0,1] neg_hi:[0,1]
	v_mov_b32_e32 v82, v70
	v_pk_add_f32 v[32:33], v[82:83], v[30:31]
	v_mov_b32_e32 v36, v33
	v_pk_add_f32 v[36:37], v[32:33], v[36:37]
	v_pk_add_f32 v[34:35], v[34:35], v[36:37]
	v_mov_b32_e32 v33, v34
	v_pk_add_f32 v[68:69], v[32:33], v[70:71] neg_lo:[0,1] neg_hi:[0,1]
	v_mov_b32_e32 v31, v36
	v_sub_f32_e32 v15, v32, v68
	v_pk_add_f32 v[30:31], v[30:31], v[68:69] neg_lo:[0,1] neg_hi:[0,1]
	v_sub_f32_e32 v15, v70, v15
	v_add_f32_e32 v15, v30, v15
	v_cmp_eq_f32_e64 s[6:7], s60, v51
	s_mov_b32 s60, 0x33800000
	v_add_f32_e32 v15, v15, v31
	v_cmp_lt_f32_e64 s[60:61], |v51|, s60
	v_add_f32_e32 v15, v34, v15
	s_or_b64 s[6:7], s[6:7], s[60:61]
	v_cndmask_b32_e64 v15, v15, v51, s[6:7]
	v_add_f32_e32 v2, v2, v15
	v_cvt_f16_f32_e32 v33, v2
	v_cvt_f32_f16_e32 v34, v33
.LBB421_331:
	s_or_b64 exec, exec, s[54:55]
	v_max_f32_e32 v2, v50, v50
	v_max_f32_e32 v15, v34, v34
	v_min_f32_e32 v31, v15, v2
	v_max_f32_e32 v32, v15, v2
	v_mov_b32_e32 v30, v33
	v_mov_b32_e32 v15, v33
	;; [unrolled: 1-line block ×3, first 2 shown]
	;;#ASMSTART
	;;#ASMEND
.LBB421_332:
	s_or_b64 exec, exec, s[58:59]
	v_cmp_u_f16_e64 s[6:7], v15, v15
	v_cndmask_b32_e64 v31, v31, v2, s[6:7]
	v_cndmask_b32_e32 v33, v31, v50, vcc
	v_cndmask_b32_e64 v31, v32, v2, s[6:7]
	v_cndmask_b32_e32 v32, v31, v50, vcc
	s_movk_i32 s54, 0x1f8
	v_cmp_neq_f32_e32 vcc, v33, v32
	v_cmp_class_f32_e64 s[6:7], v33, s54
	s_or_b64 vcc, vcc, s[6:7]
	v_mov_b32_e32 v31, v30
	s_and_saveexec_b64 s[6:7], vcc
	s_cbranch_execz .LBB421_334
; %bb.333:
	v_sub_f32_e32 v2, v33, v32
	s_mov_b32 s55, 0x3fb8aa3b
	v_mul_f32_e32 v15, 0x3fb8aa3b, v2
	v_fma_f32 v31, v2, s55, -v15
	v_rndne_f32_e32 v33, v15
	v_fmac_f32_e32 v31, 0x32a5705f, v2
	v_sub_f32_e32 v15, v15, v33
	v_add_f32_e32 v15, v15, v31
	v_exp_f32_e32 v15, v15
	v_cvt_i32_f32_e32 v31, v33
	s_mov_b32 s55, 0xc2ce8ed0
	v_cmp_ngt_f32_e32 vcc, s55, v2
	s_mov_b32 s55, 0x42b17218
	v_ldexp_f32 v15, v15, v31
	v_cndmask_b32_e32 v15, 0, v15, vcc
	v_mov_b32_e32 v31, 0x7f800000
	v_cmp_nlt_f32_e32 vcc, s55, v2
	v_cndmask_b32_e32 v31, v31, v15, vcc
	v_add_f32_e32 v2, 1.0, v31
	v_add_f32_e32 v15, -1.0, v2
	v_sub_f32_e32 v33, v15, v2
	v_add_f32_e32 v33, 1.0, v33
	v_sub_f32_e32 v15, v31, v15
	v_add_f32_e32 v15, v15, v33
	v_frexp_mant_f32_e32 v33, v2
	s_mov_b32 s55, 0x3f2aaaab
	v_cvt_f64_f32_e32 v[34:35], v2
	v_frexp_exp_i32_f64_e32 v34, v[34:35]
	v_cmp_gt_f32_e32 vcc, s55, v33
	v_subbrev_co_u32_e32 v33, vcc, 0, v34, vcc
	v_sub_u32_e32 v34, 0, v33
	v_ldexp_f32 v2, v2, v34
	v_ldexp_f32 v15, v15, v34
	v_add_f32_e32 v34, -1.0, v2
	v_add_f32_e32 v35, 1.0, v34
	v_sub_f32_e32 v35, v2, v35
	v_add_f32_e32 v36, v15, v35
	v_add_f32_e32 v35, 1.0, v2
	v_add_f32_e32 v37, -1.0, v35
	v_sub_f32_e32 v2, v2, v37
	v_add_f32_e32 v2, v15, v2
	v_add_f32_e32 v15, v35, v2
	v_rcp_f32_e32 v70, v15
	v_sub_f32_e32 v35, v35, v15
	v_add_f32_e32 v2, v2, v35
	v_add_f32_e32 v35, v34, v36
	v_sub_f32_e32 v34, v34, v35
	v_mul_f32_e32 v80, v35, v70
	v_add_f32_e32 v71, v36, v34
	v_mul_f32_e32 v36, v15, v80
	v_fma_f32 v50, v80, v15, -v36
	v_fmac_f32_e32 v50, v80, v2
	v_add_f32_e32 v34, v36, v50
	v_sub_f32_e32 v37, v35, v34
	v_pk_add_f32 v[68:69], v[34:35], v[36:37] neg_lo:[0,1] neg_hi:[0,1]
	v_mov_b32_e32 v51, v34
	v_pk_add_f32 v[34:35], v[68:69], v[50:51] neg_lo:[0,1] neg_hi:[0,1]
	v_add_f32_e32 v35, v71, v35
	v_add_f32_e32 v34, v34, v35
	v_add_f32_e32 v35, v37, v34
	v_mul_f32_e32 v71, v70, v35
	v_mul_f32_e32 v36, v15, v71
	v_fma_f32 v50, v71, v15, -v36
	v_fmac_f32_e32 v50, v71, v2
	v_sub_f32_e32 v2, v37, v35
	v_add_f32_e32 v2, v34, v2
	v_add_f32_e32 v34, v36, v50
	v_sub_f32_e32 v37, v35, v34
	v_pk_add_f32 v[68:69], v[34:35], v[36:37] neg_lo:[0,1] neg_hi:[0,1]
	v_mov_b32_e32 v51, v34
	v_pk_add_f32 v[34:35], v[68:69], v[50:51] neg_lo:[0,1] neg_hi:[0,1]
	v_add_f32_e32 v2, v2, v35
	v_add_f32_e32 v2, v34, v2
	;; [unrolled: 1-line block ×4, first 2 shown]
	v_sub_f32_e32 v34, v15, v80
	v_mul_f32_e32 v2, v70, v2
	v_sub_f32_e32 v34, v71, v34
	v_add_f32_e32 v2, v34, v2
	v_add_f32_e32 v34, v15, v2
	v_mul_f32_e32 v37, v34, v34
	v_mov_b32_e32 v36, 0x3ecc95a3
	v_fmac_f32_e32 v36, 0x3e9b6dac, v37
	v_mov_b32_e32 v35, 0x3f2aaada
	v_fmac_f32_e32 v35, v37, v36
	v_cvt_f32_i32_e32 v36, v33
	v_sub_f32_e32 v15, v34, v15
	v_ldexp_f32 v51, v34, 1
	v_mul_f32_e32 v37, v34, v37
	v_mov_b32_e32 v34, 0x3f317218
	s_mov_b32 s55, 0x3f317218
	v_pk_mul_f32 v[34:35], v[36:37], v[34:35]
	v_fma_f32 v50, v36, s55, -v34
	v_fmac_f32_e32 v50, 0xb102e308, v36
	v_pk_add_f32 v[36:37], v[34:35], v[50:51]
	v_sub_f32_e32 v2, v2, v15
	v_sub_f32_e32 v15, v37, v51
	v_ldexp_f32 v2, v2, 1
	v_sub_f32_e32 v15, v35, v15
	v_add_f32_e32 v69, v2, v15
	v_mov_b32_e32 v68, v34
	v_pk_add_f32 v[34:35], v[36:37], v[34:35] neg_lo:[0,1] neg_hi:[0,1]
	v_pk_add_f32 v[70:71], v[36:37], v[68:69]
	v_mov_b32_e32 v35, v71
	v_mov_b32_e32 v51, v36
	v_pk_add_f32 v[80:81], v[50:51], v[34:35] neg_lo:[0,1] neg_hi:[0,1]
	v_pk_add_f32 v[34:35], v[50:51], v[34:35]
	v_mov_b32_e32 v2, v35
	v_pk_add_f32 v[50:51], v[2:3], v[36:37] neg_lo:[0,1] neg_hi:[0,1]
	v_mov_b32_e32 v15, v50
	v_pk_add_f32 v[82:83], v[70:71], v[14:15] neg_lo:[0,1] neg_hi:[0,1]
	v_mov_b32_e32 v34, v71
	v_mov_b32_e32 v70, v37
	v_mov_b32_e32 v71, v50
	v_mov_b32_e32 v81, v35
	v_pk_add_f32 v[34:35], v[34:35], v[70:71] neg_lo:[0,1] neg_hi:[0,1]
	v_mov_b32_e32 v50, v69
	v_mov_b32_e32 v51, v36
	v_pk_add_f32 v[34:35], v[50:51], v[34:35] neg_lo:[0,1] neg_hi:[0,1]
	v_mov_b32_e32 v82, v80
	v_pk_add_f32 v[36:37], v[82:83], v[34:35]
	v_mov_b32_e32 v50, v37
	v_pk_add_f32 v[50:51], v[36:37], v[50:51]
	v_pk_add_f32 v[68:69], v[2:3], v[50:51]
	v_mov_b32_e32 v37, v68
	v_pk_add_f32 v[70:71], v[36:37], v[80:81] neg_lo:[0,1] neg_hi:[0,1]
	v_mov_b32_e32 v35, v50
	v_sub_f32_e32 v2, v36, v70
	v_pk_add_f32 v[34:35], v[34:35], v[70:71] neg_lo:[0,1] neg_hi:[0,1]
	v_sub_f32_e32 v2, v80, v2
	s_mov_b32 s58, 0x7f800000
	v_add_f32_e32 v2, v34, v2
	s_mov_b32 s55, 0x33800000
	v_add_f32_e32 v2, v2, v35
	v_cmp_eq_f32_e32 vcc, s58, v31
	v_cmp_lt_f32_e64 s[58:59], |v31|, s55
	v_add_f32_e32 v2, v68, v2
	s_or_b64 vcc, vcc, s[58:59]
	v_cndmask_b32_e32 v2, v2, v31, vcc
	v_add_f32_e32 v2, v32, v2
	v_cvt_f16_f32_e32 v15, v2
	v_cvt_f32_f16_e32 v2, v15
	v_mov_b32_e32 v31, v15
.LBB421_334:
	s_or_b64 exec, exec, s[6:7]
	v_max_f32_e32 v32, v3, v3
	v_max_f32_e32 v34, v2, v2
	v_min_f32_e32 v33, v34, v32
	v_cmp_u_f16_e32 vcc, v15, v15
	v_max_f32_e32 v32, v34, v32
	v_cndmask_b32_e32 v33, v33, v2, vcc
	v_cndmask_b32_e32 v32, v32, v2, vcc
	v_cndmask_b32_e64 v33, v33, v3, s[8:9]
	v_cndmask_b32_e64 v3, v32, v3, s[8:9]
	v_cmp_neq_f32_e32 vcc, v33, v3
	v_cmp_class_f32_e64 s[6:7], v33, s54
	s_or_b64 s[8:9], vcc, s[6:7]
	v_mov_b32_e32 v32, v31
	s_and_saveexec_b64 s[6:7], s[8:9]
	s_cbranch_execz .LBB421_336
; %bb.335:
	v_sub_f32_e32 v2, v33, v3
	s_mov_b32 s8, 0x3fb8aa3b
	v_mul_f32_e32 v15, 0x3fb8aa3b, v2
	v_fma_f32 v32, v2, s8, -v15
	v_rndne_f32_e32 v33, v15
	v_fmac_f32_e32 v32, 0x32a5705f, v2
	v_sub_f32_e32 v15, v15, v33
	v_add_f32_e32 v15, v15, v32
	v_exp_f32_e32 v15, v15
	v_cvt_i32_f32_e32 v32, v33
	s_mov_b32 s8, 0xc2ce8ed0
	v_cmp_ngt_f32_e32 vcc, s8, v2
	s_mov_b32 s8, 0x42b17218
	v_ldexp_f32 v15, v15, v32
	v_cndmask_b32_e32 v15, 0, v15, vcc
	v_mov_b32_e32 v32, 0x7f800000
	v_cmp_nlt_f32_e32 vcc, s8, v2
	v_cndmask_b32_e32 v82, v32, v15, vcc
	v_add_f32_e32 v2, 1.0, v82
	v_add_f32_e32 v15, -1.0, v2
	v_sub_f32_e32 v32, v15, v2
	v_add_f32_e32 v32, 1.0, v32
	v_sub_f32_e32 v15, v82, v15
	v_add_f32_e32 v15, v15, v32
	v_frexp_mant_f32_e32 v34, v2
	s_mov_b32 s8, 0x3f2aaaab
	v_cvt_f64_f32_e32 v[32:33], v2
	v_frexp_exp_i32_f64_e32 v32, v[32:33]
	v_cmp_gt_f32_e32 vcc, s8, v34
	v_subbrev_co_u32_e32 v68, vcc, 0, v32, vcc
	v_sub_u32_e32 v32, 0, v68
	v_ldexp_f32 v2, v2, v32
	v_ldexp_f32 v15, v15, v32
	v_add_f32_e32 v32, -1.0, v2
	v_add_f32_e32 v33, 1.0, v32
	v_sub_f32_e32 v33, v2, v33
	v_add_f32_e32 v34, v15, v33
	v_add_f32_e32 v33, 1.0, v2
	v_add_f32_e32 v35, -1.0, v33
	v_sub_f32_e32 v2, v2, v35
	v_add_f32_e32 v2, v15, v2
	v_add_f32_e32 v15, v33, v2
	v_rcp_f32_e32 v69, v15
	v_sub_f32_e32 v33, v33, v15
	v_add_f32_e32 v2, v2, v33
	v_add_f32_e32 v33, v32, v34
	v_sub_f32_e32 v32, v32, v33
	v_mul_f32_e32 v71, v33, v69
	v_add_f32_e32 v70, v34, v32
	v_mul_f32_e32 v34, v15, v71
	v_fma_f32 v36, v71, v15, -v34
	v_fmac_f32_e32 v36, v71, v2
	v_add_f32_e32 v32, v34, v36
	v_sub_f32_e32 v35, v33, v32
	v_pk_add_f32 v[50:51], v[32:33], v[34:35] neg_lo:[0,1] neg_hi:[0,1]
	v_mov_b32_e32 v37, v32
	v_pk_add_f32 v[32:33], v[50:51], v[36:37] neg_lo:[0,1] neg_hi:[0,1]
	v_add_f32_e32 v33, v70, v33
	v_add_f32_e32 v32, v32, v33
	;; [unrolled: 1-line block ×3, first 2 shown]
	v_mul_f32_e32 v70, v69, v33
	v_mul_f32_e32 v34, v15, v70
	v_fma_f32 v36, v70, v15, -v34
	v_fmac_f32_e32 v36, v70, v2
	v_sub_f32_e32 v2, v35, v33
	v_add_f32_e32 v2, v32, v2
	v_add_f32_e32 v32, v34, v36
	v_sub_f32_e32 v35, v33, v32
	v_pk_add_f32 v[50:51], v[32:33], v[34:35] neg_lo:[0,1] neg_hi:[0,1]
	v_mov_b32_e32 v37, v32
	v_pk_add_f32 v[32:33], v[50:51], v[36:37] neg_lo:[0,1] neg_hi:[0,1]
	v_add_f32_e32 v2, v2, v33
	v_add_f32_e32 v2, v32, v2
	;; [unrolled: 1-line block ×4, first 2 shown]
	v_sub_f32_e32 v32, v15, v71
	v_mul_f32_e32 v2, v69, v2
	v_sub_f32_e32 v32, v70, v32
	v_add_f32_e32 v2, v32, v2
	v_add_f32_e32 v32, v15, v2
	v_mul_f32_e32 v35, v32, v32
	v_mov_b32_e32 v34, 0x3ecc95a3
	v_fmac_f32_e32 v34, 0x3e9b6dac, v35
	v_mov_b32_e32 v33, 0x3f2aaada
	v_fmac_f32_e32 v33, v35, v34
	v_cvt_f32_i32_e32 v34, v68
	v_sub_f32_e32 v15, v32, v15
	v_ldexp_f32 v37, v32, 1
	v_mul_f32_e32 v35, v32, v35
	v_mov_b32_e32 v32, 0x3f317218
	s_mov_b32 s8, 0x3f317218
	v_pk_mul_f32 v[32:33], v[34:35], v[32:33]
	v_fma_f32 v36, v34, s8, -v32
	v_fmac_f32_e32 v36, 0xb102e308, v34
	v_pk_add_f32 v[34:35], v[32:33], v[36:37]
	v_sub_f32_e32 v2, v2, v15
	v_sub_f32_e32 v15, v35, v37
	v_ldexp_f32 v2, v2, 1
	v_sub_f32_e32 v15, v33, v15
	v_add_f32_e32 v51, v2, v15
	v_mov_b32_e32 v50, v32
	v_pk_add_f32 v[32:33], v[34:35], v[32:33] neg_lo:[0,1] neg_hi:[0,1]
	v_pk_add_f32 v[68:69], v[34:35], v[50:51]
	v_mov_b32_e32 v33, v69
	v_mov_b32_e32 v37, v34
	v_pk_add_f32 v[70:71], v[36:37], v[32:33] neg_lo:[0,1] neg_hi:[0,1]
	v_pk_add_f32 v[32:33], v[36:37], v[32:33]
	v_mov_b32_e32 v2, v33
	v_pk_add_f32 v[36:37], v[2:3], v[34:35] neg_lo:[0,1] neg_hi:[0,1]
	v_mov_b32_e32 v15, v36
	v_pk_add_f32 v[80:81], v[68:69], v[14:15] neg_lo:[0,1] neg_hi:[0,1]
	v_mov_b32_e32 v32, v69
	v_mov_b32_e32 v68, v35
	;; [unrolled: 1-line block ×4, first 2 shown]
	v_pk_add_f32 v[32:33], v[32:33], v[68:69] neg_lo:[0,1] neg_hi:[0,1]
	v_mov_b32_e32 v36, v51
	v_mov_b32_e32 v37, v34
	v_pk_add_f32 v[32:33], v[36:37], v[32:33] neg_lo:[0,1] neg_hi:[0,1]
	v_mov_b32_e32 v80, v70
	v_pk_add_f32 v[34:35], v[80:81], v[32:33]
	v_mov_b32_e32 v36, v35
	v_pk_add_f32 v[36:37], v[34:35], v[36:37]
	v_pk_add_f32 v[50:51], v[2:3], v[36:37]
	v_mov_b32_e32 v35, v50
	v_pk_add_f32 v[68:69], v[34:35], v[70:71] neg_lo:[0,1] neg_hi:[0,1]
	v_mov_b32_e32 v33, v36
	v_sub_f32_e32 v2, v34, v68
	v_pk_add_f32 v[32:33], v[32:33], v[68:69] neg_lo:[0,1] neg_hi:[0,1]
	v_sub_f32_e32 v2, v70, v2
	s_mov_b32 s9, 0x7f800000
	v_add_f32_e32 v2, v32, v2
	s_mov_b32 s8, 0x33800000
	v_add_f32_e32 v2, v2, v33
	v_cmp_eq_f32_e32 vcc, s9, v82
	v_cmp_lt_f32_e64 s[8:9], |v82|, s8
	v_add_f32_e32 v2, v50, v2
	s_or_b64 vcc, vcc, s[8:9]
	v_cndmask_b32_e32 v2, v2, v82, vcc
	v_add_f32_e32 v2, v3, v2
	v_cvt_f16_f32_e32 v15, v2
	v_cvt_f32_f16_e32 v2, v15
	v_mov_b32_e32 v32, v15
.LBB421_336:
	s_or_b64 exec, exec, s[6:7]
	v_max_f32_e32 v3, v6, v6
	v_max_f32_e32 v33, v2, v2
	v_min_f32_e32 v34, v33, v3
	v_cmp_u_f16_e32 vcc, v15, v15
	v_max_f32_e32 v3, v33, v3
	v_cndmask_b32_e32 v34, v34, v2, vcc
	v_cndmask_b32_e32 v3, v3, v2, vcc
	v_cndmask_b32_e64 v34, v34, v6, s[10:11]
	v_cndmask_b32_e64 v3, v3, v6, s[10:11]
	s_movk_i32 s8, 0x1f8
	v_cmp_neq_f32_e32 vcc, v34, v3
	v_cmp_class_f32_e64 s[6:7], v34, s8
	s_or_b64 s[10:11], vcc, s[6:7]
	v_mov_b32_e32 v33, v32
	s_and_saveexec_b64 s[6:7], s[10:11]
	s_cbranch_execz .LBB421_338
; %bb.337:
	v_sub_f32_e32 v2, v34, v3
	s_mov_b32 s9, 0x3fb8aa3b
	v_mul_f32_e32 v6, 0x3fb8aa3b, v2
	v_fma_f32 v15, v2, s9, -v6
	v_rndne_f32_e32 v33, v6
	v_fmac_f32_e32 v15, 0x32a5705f, v2
	v_sub_f32_e32 v6, v6, v33
	v_add_f32_e32 v6, v6, v15
	v_exp_f32_e32 v6, v6
	v_cvt_i32_f32_e32 v15, v33
	s_mov_b32 s9, 0xc2ce8ed0
	v_cmp_ngt_f32_e32 vcc, s9, v2
	s_mov_b32 s9, 0x42b17218
	v_ldexp_f32 v6, v6, v15
	v_cndmask_b32_e32 v6, 0, v6, vcc
	v_mov_b32_e32 v15, 0x7f800000
	v_cmp_nlt_f32_e32 vcc, s9, v2
	v_cndmask_b32_e32 v33, v15, v6, vcc
	v_add_f32_e32 v2, 1.0, v33
	v_add_f32_e32 v6, -1.0, v2
	v_sub_f32_e32 v15, v6, v2
	v_add_f32_e32 v15, 1.0, v15
	v_sub_f32_e32 v6, v33, v6
	v_add_f32_e32 v6, v6, v15
	v_frexp_mant_f32_e32 v15, v2
	s_mov_b32 s9, 0x3f2aaaab
	v_cvt_f64_f32_e32 v[34:35], v2
	v_frexp_exp_i32_f64_e32 v34, v[34:35]
	v_cmp_gt_f32_e32 vcc, s9, v15
	v_subbrev_co_u32_e32 v15, vcc, 0, v34, vcc
	v_sub_u32_e32 v34, 0, v15
	v_ldexp_f32 v2, v2, v34
	v_ldexp_f32 v6, v6, v34
	v_add_f32_e32 v34, -1.0, v2
	v_add_f32_e32 v35, 1.0, v34
	v_sub_f32_e32 v35, v2, v35
	v_add_f32_e32 v36, v6, v35
	v_add_f32_e32 v35, 1.0, v2
	v_add_f32_e32 v37, -1.0, v35
	v_sub_f32_e32 v2, v2, v37
	v_add_f32_e32 v2, v6, v2
	v_add_f32_e32 v6, v35, v2
	v_rcp_f32_e32 v70, v6
	v_sub_f32_e32 v35, v35, v6
	v_add_f32_e32 v2, v2, v35
	v_add_f32_e32 v35, v34, v36
	v_sub_f32_e32 v34, v34, v35
	v_mul_f32_e32 v80, v35, v70
	v_add_f32_e32 v71, v36, v34
	v_mul_f32_e32 v36, v6, v80
	v_fma_f32 v50, v80, v6, -v36
	v_fmac_f32_e32 v50, v80, v2
	v_add_f32_e32 v34, v36, v50
	v_sub_f32_e32 v37, v35, v34
	v_pk_add_f32 v[68:69], v[34:35], v[36:37] neg_lo:[0,1] neg_hi:[0,1]
	v_mov_b32_e32 v51, v34
	v_pk_add_f32 v[34:35], v[68:69], v[50:51] neg_lo:[0,1] neg_hi:[0,1]
	v_add_f32_e32 v35, v71, v35
	v_add_f32_e32 v34, v34, v35
	;; [unrolled: 1-line block ×3, first 2 shown]
	v_mul_f32_e32 v71, v70, v35
	v_mul_f32_e32 v36, v6, v71
	v_fma_f32 v50, v71, v6, -v36
	v_fmac_f32_e32 v50, v71, v2
	v_sub_f32_e32 v2, v37, v35
	v_add_f32_e32 v2, v34, v2
	v_add_f32_e32 v34, v36, v50
	v_sub_f32_e32 v37, v35, v34
	v_pk_add_f32 v[68:69], v[34:35], v[36:37] neg_lo:[0,1] neg_hi:[0,1]
	v_mov_b32_e32 v51, v34
	v_pk_add_f32 v[34:35], v[68:69], v[50:51] neg_lo:[0,1] neg_hi:[0,1]
	v_add_f32_e32 v2, v2, v35
	v_add_f32_e32 v2, v34, v2
	;; [unrolled: 1-line block ×4, first 2 shown]
	v_sub_f32_e32 v34, v6, v80
	v_mul_f32_e32 v2, v70, v2
	v_sub_f32_e32 v34, v71, v34
	v_add_f32_e32 v2, v34, v2
	v_add_f32_e32 v34, v6, v2
	v_mul_f32_e32 v37, v34, v34
	v_mov_b32_e32 v36, 0x3ecc95a3
	v_fmac_f32_e32 v36, 0x3e9b6dac, v37
	v_mov_b32_e32 v35, 0x3f2aaada
	v_fmac_f32_e32 v35, v37, v36
	v_cvt_f32_i32_e32 v36, v15
	v_sub_f32_e32 v6, v34, v6
	v_ldexp_f32 v51, v34, 1
	v_mul_f32_e32 v37, v34, v37
	v_mov_b32_e32 v34, 0x3f317218
	s_mov_b32 s9, 0x3f317218
	v_pk_mul_f32 v[34:35], v[36:37], v[34:35]
	v_fma_f32 v50, v36, s9, -v34
	v_fmac_f32_e32 v50, 0xb102e308, v36
	v_pk_add_f32 v[36:37], v[34:35], v[50:51]
	v_sub_f32_e32 v2, v2, v6
	v_sub_f32_e32 v6, v37, v51
	v_ldexp_f32 v2, v2, 1
	v_sub_f32_e32 v6, v35, v6
	v_add_f32_e32 v69, v2, v6
	v_mov_b32_e32 v68, v34
	v_pk_add_f32 v[34:35], v[36:37], v[34:35] neg_lo:[0,1] neg_hi:[0,1]
	v_pk_add_f32 v[70:71], v[36:37], v[68:69]
	v_mov_b32_e32 v35, v71
	v_mov_b32_e32 v51, v36
	v_pk_add_f32 v[80:81], v[50:51], v[34:35] neg_lo:[0,1] neg_hi:[0,1]
	v_pk_add_f32 v[34:35], v[50:51], v[34:35]
	v_mov_b32_e32 v2, v35
	v_pk_add_f32 v[50:51], v[2:3], v[36:37] neg_lo:[0,1] neg_hi:[0,1]
	v_mov_b32_e32 v15, v50
	v_pk_add_f32 v[82:83], v[70:71], v[14:15] neg_lo:[0,1] neg_hi:[0,1]
	v_mov_b32_e32 v34, v71
	v_mov_b32_e32 v70, v37
	;; [unrolled: 1-line block ×4, first 2 shown]
	v_pk_add_f32 v[34:35], v[34:35], v[70:71] neg_lo:[0,1] neg_hi:[0,1]
	v_mov_b32_e32 v50, v69
	v_mov_b32_e32 v51, v36
	v_pk_add_f32 v[34:35], v[50:51], v[34:35] neg_lo:[0,1] neg_hi:[0,1]
	v_mov_b32_e32 v82, v80
	v_pk_add_f32 v[36:37], v[82:83], v[34:35]
	v_mov_b32_e32 v6, v37
	v_pk_add_f32 v[50:51], v[36:37], v[6:7]
	v_pk_add_f32 v[68:69], v[2:3], v[50:51]
	v_mov_b32_e32 v37, v68
	v_pk_add_f32 v[70:71], v[36:37], v[80:81] neg_lo:[0,1] neg_hi:[0,1]
	v_mov_b32_e32 v35, v50
	v_sub_f32_e32 v2, v36, v70
	v_pk_add_f32 v[34:35], v[34:35], v[70:71] neg_lo:[0,1] neg_hi:[0,1]
	v_sub_f32_e32 v2, v80, v2
	s_mov_b32 s10, 0x7f800000
	v_add_f32_e32 v2, v34, v2
	s_mov_b32 s9, 0x33800000
	v_add_f32_e32 v2, v2, v35
	v_cmp_eq_f32_e32 vcc, s10, v33
	v_cmp_lt_f32_e64 s[10:11], |v33|, s9
	v_add_f32_e32 v2, v68, v2
	s_or_b64 vcc, vcc, s[10:11]
	v_cndmask_b32_e32 v2, v2, v33, vcc
	v_add_f32_e32 v2, v3, v2
	v_cvt_f16_f32_e32 v15, v2
	v_cvt_f32_f16_e32 v2, v15
	v_mov_b32_e32 v33, v15
.LBB421_338:
	s_or_b64 exec, exec, s[6:7]
	v_max_f32_e32 v3, v7, v7
	v_max_f32_e32 v34, v2, v2
	v_min_f32_e32 v6, v34, v3
	v_cmp_u_f16_e32 vcc, v15, v15
	v_max_f32_e32 v3, v34, v3
	v_cndmask_b32_e32 v6, v6, v2, vcc
	v_cndmask_b32_e32 v3, v3, v2, vcc
	v_cndmask_b32_e64 v6, v6, v7, s[12:13]
	v_cndmask_b32_e64 v3, v3, v7, s[12:13]
	v_cmp_neq_f32_e32 vcc, v6, v3
	v_cmp_class_f32_e64 s[6:7], v6, s8
	s_or_b64 s[8:9], vcc, s[6:7]
	v_mov_b32_e32 v34, v33
	s_and_saveexec_b64 s[6:7], s[8:9]
	s_cbranch_execz .LBB421_340
; %bb.339:
	v_sub_f32_e32 v2, v6, v3
	s_mov_b32 s8, 0x3fb8aa3b
	v_mul_f32_e32 v6, 0x3fb8aa3b, v2
	v_fma_f32 v7, v2, s8, -v6
	v_rndne_f32_e32 v15, v6
	v_fmac_f32_e32 v7, 0x32a5705f, v2
	v_sub_f32_e32 v6, v6, v15
	v_add_f32_e32 v6, v6, v7
	v_exp_f32_e32 v6, v6
	v_cvt_i32_f32_e32 v7, v15
	s_mov_b32 s8, 0xc2ce8ed0
	v_cmp_ngt_f32_e32 vcc, s8, v2
	s_mov_b32 s8, 0x42b17218
	v_ldexp_f32 v6, v6, v7
	v_cndmask_b32_e32 v6, 0, v6, vcc
	v_mov_b32_e32 v7, 0x7f800000
	v_cmp_nlt_f32_e32 vcc, s8, v2
	v_cndmask_b32_e32 v82, v7, v6, vcc
	v_add_f32_e32 v2, 1.0, v82
	v_add_f32_e32 v6, -1.0, v2
	v_sub_f32_e32 v7, v6, v2
	v_add_f32_e32 v7, 1.0, v7
	v_sub_f32_e32 v6, v82, v6
	v_add_f32_e32 v15, v6, v7
	v_frexp_mant_f32_e32 v34, v2
	s_mov_b32 s8, 0x3f2aaaab
	v_cvt_f64_f32_e32 v[6:7], v2
	v_frexp_exp_i32_f64_e32 v6, v[6:7]
	v_cmp_gt_f32_e32 vcc, s8, v34
	v_subbrev_co_u32_e32 v68, vcc, 0, v6, vcc
	v_sub_u32_e32 v6, 0, v68
	v_ldexp_f32 v2, v2, v6
	v_ldexp_f32 v6, v15, v6
	v_add_f32_e32 v15, -1.0, v2
	v_add_f32_e32 v7, 1.0, v15
	v_sub_f32_e32 v7, v2, v7
	v_add_f32_e32 v34, v6, v7
	v_add_f32_e32 v7, 1.0, v2
	v_add_f32_e32 v35, -1.0, v7
	v_sub_f32_e32 v2, v2, v35
	v_add_f32_e32 v2, v6, v2
	v_add_f32_e32 v69, v7, v2
	v_rcp_f32_e32 v70, v69
	v_sub_f32_e32 v6, v7, v69
	v_add_f32_e32 v7, v15, v34
	v_add_f32_e32 v2, v2, v6
	v_sub_f32_e32 v6, v15, v7
	v_mul_f32_e32 v71, v7, v70
	v_add_f32_e32 v15, v34, v6
	v_mul_f32_e32 v34, v69, v71
	v_fma_f32 v36, v71, v69, -v34
	v_fmac_f32_e32 v36, v71, v2
	v_add_f32_e32 v6, v34, v36
	v_sub_f32_e32 v35, v7, v6
	v_pk_add_f32 v[50:51], v[6:7], v[34:35] neg_lo:[0,1] neg_hi:[0,1]
	v_mov_b32_e32 v37, v6
	v_pk_add_f32 v[6:7], v[50:51], v[36:37] neg_lo:[0,1] neg_hi:[0,1]
	v_add_f32_e32 v7, v15, v7
	v_add_f32_e32 v6, v6, v7
	;; [unrolled: 1-line block ×3, first 2 shown]
	v_mul_f32_e32 v15, v70, v7
	v_mul_f32_e32 v34, v69, v15
	v_fma_f32 v36, v15, v69, -v34
	v_fmac_f32_e32 v36, v15, v2
	v_sub_f32_e32 v2, v35, v7
	v_add_f32_e32 v2, v6, v2
	v_add_f32_e32 v6, v34, v36
	v_sub_f32_e32 v35, v7, v6
	v_pk_add_f32 v[50:51], v[6:7], v[34:35] neg_lo:[0,1] neg_hi:[0,1]
	v_mov_b32_e32 v37, v6
	v_pk_add_f32 v[6:7], v[50:51], v[36:37] neg_lo:[0,1] neg_hi:[0,1]
	v_add_f32_e32 v2, v2, v7
	v_add_f32_e32 v2, v6, v2
	;; [unrolled: 1-line block ×4, first 2 shown]
	v_sub_f32_e32 v7, v6, v71
	v_mul_f32_e32 v2, v70, v2
	v_sub_f32_e32 v7, v15, v7
	v_add_f32_e32 v2, v7, v2
	v_add_f32_e32 v15, v6, v2
	v_mul_f32_e32 v35, v15, v15
	v_mov_b32_e32 v34, 0x3ecc95a3
	v_fmac_f32_e32 v34, 0x3e9b6dac, v35
	v_mov_b32_e32 v7, 0x3f2aaada
	v_fmac_f32_e32 v7, v35, v34
	v_cvt_f32_i32_e32 v34, v68
	v_sub_f32_e32 v6, v15, v6
	v_sub_f32_e32 v2, v2, v6
	v_mul_f32_e32 v35, v15, v35
	v_mov_b32_e32 v6, 0x3f317218
	s_mov_b32 s8, 0x3f317218
	v_pk_mul_f32 v[6:7], v[34:35], v[6:7]
	v_fma_f32 v36, v34, s8, -v6
	v_ldexp_f32 v37, v15, 1
	v_fmac_f32_e32 v36, 0xb102e308, v34
	v_pk_add_f32 v[34:35], v[6:7], v[36:37]
	v_sub_f32_e32 v15, v35, v37
	v_ldexp_f32 v2, v2, 1
	v_sub_f32_e32 v15, v7, v15
	v_add_f32_e32 v51, v2, v15
	v_mov_b32_e32 v50, v6
	v_pk_add_f32 v[6:7], v[34:35], v[6:7] neg_lo:[0,1] neg_hi:[0,1]
	v_pk_add_f32 v[68:69], v[34:35], v[50:51]
	v_mov_b32_e32 v7, v69
	v_mov_b32_e32 v37, v34
	v_pk_add_f32 v[70:71], v[36:37], v[6:7] neg_lo:[0,1] neg_hi:[0,1]
	v_pk_add_f32 v[6:7], v[36:37], v[6:7]
	v_mov_b32_e32 v2, v7
	v_pk_add_f32 v[36:37], v[2:3], v[34:35] neg_lo:[0,1] neg_hi:[0,1]
	v_mov_b32_e32 v15, v36
	v_pk_add_f32 v[80:81], v[68:69], v[14:15] neg_lo:[0,1] neg_hi:[0,1]
	v_mov_b32_e32 v6, v69
	v_mov_b32_e32 v68, v35
	;; [unrolled: 1-line block ×4, first 2 shown]
	v_pk_add_f32 v[6:7], v[6:7], v[68:69] neg_lo:[0,1] neg_hi:[0,1]
	v_mov_b32_e32 v36, v51
	v_mov_b32_e32 v37, v34
	v_pk_add_f32 v[6:7], v[36:37], v[6:7] neg_lo:[0,1] neg_hi:[0,1]
	v_mov_b32_e32 v80, v70
	v_pk_add_f32 v[34:35], v[80:81], v[6:7]
	v_mov_b32_e32 v36, v35
	v_pk_add_f32 v[36:37], v[34:35], v[36:37]
	v_pk_add_f32 v[50:51], v[2:3], v[36:37]
	v_mov_b32_e32 v35, v50
	v_pk_add_f32 v[68:69], v[34:35], v[70:71] neg_lo:[0,1] neg_hi:[0,1]
	v_mov_b32_e32 v7, v36
	v_sub_f32_e32 v2, v34, v68
	v_pk_add_f32 v[6:7], v[6:7], v[68:69] neg_lo:[0,1] neg_hi:[0,1]
	v_sub_f32_e32 v2, v70, v2
	s_mov_b32 s9, 0x7f800000
	v_add_f32_e32 v2, v6, v2
	s_mov_b32 s8, 0x33800000
	v_add_f32_e32 v2, v2, v7
	v_cmp_eq_f32_e32 vcc, s9, v82
	v_cmp_lt_f32_e64 s[8:9], |v82|, s8
	v_add_f32_e32 v2, v50, v2
	s_or_b64 vcc, vcc, s[8:9]
	v_cndmask_b32_e32 v2, v2, v82, vcc
	v_add_f32_e32 v2, v3, v2
	v_cvt_f16_f32_e32 v15, v2
	v_cvt_f32_f16_e32 v2, v15
	v_mov_b32_e32 v34, v15
.LBB421_340:
	s_or_b64 exec, exec, s[6:7]
	v_max_f32_e32 v3, v20, v20
	v_max_f32_e32 v7, v2, v2
	v_min_f32_e32 v6, v7, v3
	v_cmp_u_f16_e32 vcc, v15, v15
	v_max_f32_e32 v3, v7, v3
	v_cndmask_b32_e32 v6, v6, v2, vcc
	v_cndmask_b32_e32 v3, v3, v2, vcc
	v_cndmask_b32_e64 v6, v6, v20, s[14:15]
	v_cndmask_b32_e64 v3, v3, v20, s[14:15]
	s_movk_i32 s8, 0x1f8
	v_cmp_neq_f32_e32 vcc, v6, v3
	v_cmp_class_f32_e64 s[6:7], v6, s8
	s_or_b64 s[10:11], vcc, s[6:7]
	v_mov_b32_e32 v35, v34
	s_and_saveexec_b64 s[6:7], s[10:11]
	s_cbranch_execz .LBB421_342
; %bb.341:
	v_sub_f32_e32 v2, v6, v3
	s_mov_b32 s9, 0x3fb8aa3b
	v_mul_f32_e32 v6, 0x3fb8aa3b, v2
	v_fma_f32 v7, v2, s9, -v6
	v_rndne_f32_e32 v15, v6
	v_fmac_f32_e32 v7, 0x32a5705f, v2
	v_sub_f32_e32 v6, v6, v15
	v_add_f32_e32 v6, v6, v7
	v_exp_f32_e32 v6, v6
	v_cvt_i32_f32_e32 v7, v15
	s_mov_b32 s9, 0xc2ce8ed0
	v_cmp_ngt_f32_e32 vcc, s9, v2
	s_mov_b32 s9, 0x42b17218
	v_ldexp_f32 v6, v6, v7
	v_cndmask_b32_e32 v6, 0, v6, vcc
	v_mov_b32_e32 v7, 0x7f800000
	v_cmp_nlt_f32_e32 vcc, s9, v2
	v_cndmask_b32_e32 v35, v7, v6, vcc
	v_add_f32_e32 v2, 1.0, v35
	v_add_f32_e32 v6, -1.0, v2
	v_sub_f32_e32 v7, v6, v2
	v_add_f32_e32 v7, 1.0, v7
	v_sub_f32_e32 v6, v35, v6
	v_add_f32_e32 v15, v6, v7
	v_frexp_mant_f32_e32 v20, v2
	s_mov_b32 s9, 0x3f2aaaab
	v_cvt_f64_f32_e32 v[6:7], v2
	v_frexp_exp_i32_f64_e32 v6, v[6:7]
	v_cmp_gt_f32_e32 vcc, s9, v20
	v_subbrev_co_u32_e32 v20, vcc, 0, v6, vcc
	v_sub_u32_e32 v6, 0, v20
	v_ldexp_f32 v2, v2, v6
	v_ldexp_f32 v6, v15, v6
	v_add_f32_e32 v15, -1.0, v2
	v_add_f32_e32 v7, 1.0, v15
	v_sub_f32_e32 v7, v2, v7
	v_add_f32_e32 v36, v6, v7
	v_add_f32_e32 v7, 1.0, v2
	v_add_f32_e32 v37, -1.0, v7
	v_sub_f32_e32 v2, v2, v37
	v_add_f32_e32 v2, v6, v2
	v_add_f32_e32 v70, v7, v2
	v_rcp_f32_e32 v71, v70
	v_sub_f32_e32 v6, v7, v70
	v_add_f32_e32 v7, v15, v36
	v_add_f32_e32 v2, v2, v6
	v_sub_f32_e32 v6, v15, v7
	v_mul_f32_e32 v80, v7, v71
	v_add_f32_e32 v15, v36, v6
	v_mul_f32_e32 v36, v70, v80
	v_fma_f32 v50, v80, v70, -v36
	v_fmac_f32_e32 v50, v80, v2
	v_add_f32_e32 v6, v36, v50
	v_sub_f32_e32 v37, v7, v6
	v_pk_add_f32 v[68:69], v[6:7], v[36:37] neg_lo:[0,1] neg_hi:[0,1]
	v_mov_b32_e32 v51, v6
	v_pk_add_f32 v[6:7], v[68:69], v[50:51] neg_lo:[0,1] neg_hi:[0,1]
	v_add_f32_e32 v7, v15, v7
	v_add_f32_e32 v6, v6, v7
	;; [unrolled: 1-line block ×3, first 2 shown]
	v_mul_f32_e32 v15, v71, v7
	v_mul_f32_e32 v36, v70, v15
	v_fma_f32 v50, v15, v70, -v36
	v_fmac_f32_e32 v50, v15, v2
	v_sub_f32_e32 v2, v37, v7
	v_add_f32_e32 v2, v6, v2
	v_add_f32_e32 v6, v36, v50
	v_sub_f32_e32 v37, v7, v6
	v_pk_add_f32 v[68:69], v[6:7], v[36:37] neg_lo:[0,1] neg_hi:[0,1]
	v_mov_b32_e32 v51, v6
	v_pk_add_f32 v[6:7], v[68:69], v[50:51] neg_lo:[0,1] neg_hi:[0,1]
	v_add_f32_e32 v2, v2, v7
	v_add_f32_e32 v2, v6, v2
	;; [unrolled: 1-line block ×4, first 2 shown]
	v_sub_f32_e32 v7, v6, v80
	v_mul_f32_e32 v2, v71, v2
	v_sub_f32_e32 v7, v15, v7
	v_add_f32_e32 v2, v7, v2
	v_add_f32_e32 v15, v6, v2
	v_mul_f32_e32 v37, v15, v15
	v_mov_b32_e32 v36, 0x3ecc95a3
	v_fmac_f32_e32 v36, 0x3e9b6dac, v37
	v_mov_b32_e32 v7, 0x3f2aaada
	v_fmac_f32_e32 v7, v37, v36
	v_cvt_f32_i32_e32 v36, v20
	v_sub_f32_e32 v6, v15, v6
	v_sub_f32_e32 v2, v2, v6
	v_mul_f32_e32 v37, v15, v37
	v_mov_b32_e32 v6, 0x3f317218
	s_mov_b32 s9, 0x3f317218
	v_pk_mul_f32 v[6:7], v[36:37], v[6:7]
	v_fma_f32 v50, v36, s9, -v6
	v_ldexp_f32 v51, v15, 1
	v_fmac_f32_e32 v50, 0xb102e308, v36
	v_pk_add_f32 v[36:37], v[6:7], v[50:51]
	v_sub_f32_e32 v15, v37, v51
	v_ldexp_f32 v2, v2, 1
	v_sub_f32_e32 v15, v7, v15
	v_add_f32_e32 v69, v2, v15
	v_mov_b32_e32 v68, v6
	v_pk_add_f32 v[6:7], v[36:37], v[6:7] neg_lo:[0,1] neg_hi:[0,1]
	v_pk_add_f32 v[70:71], v[36:37], v[68:69]
	v_mov_b32_e32 v7, v71
	v_mov_b32_e32 v51, v36
	v_pk_add_f32 v[80:81], v[50:51], v[6:7] neg_lo:[0,1] neg_hi:[0,1]
	v_pk_add_f32 v[6:7], v[50:51], v[6:7]
	v_mov_b32_e32 v2, v7
	v_pk_add_f32 v[50:51], v[2:3], v[36:37] neg_lo:[0,1] neg_hi:[0,1]
	v_mov_b32_e32 v15, v50
	v_pk_add_f32 v[82:83], v[70:71], v[14:15] neg_lo:[0,1] neg_hi:[0,1]
	v_mov_b32_e32 v6, v71
	v_mov_b32_e32 v70, v37
	v_mov_b32_e32 v71, v50
	v_mov_b32_e32 v81, v7
	v_pk_add_f32 v[6:7], v[6:7], v[70:71] neg_lo:[0,1] neg_hi:[0,1]
	v_mov_b32_e32 v50, v69
	v_mov_b32_e32 v51, v36
	v_pk_add_f32 v[6:7], v[50:51], v[6:7] neg_lo:[0,1] neg_hi:[0,1]
	v_mov_b32_e32 v82, v80
	v_pk_add_f32 v[36:37], v[82:83], v[6:7]
	v_mov_b32_e32 v20, v37
	v_pk_add_f32 v[50:51], v[36:37], v[20:21]
	v_pk_add_f32 v[68:69], v[2:3], v[50:51]
	v_mov_b32_e32 v37, v68
	v_pk_add_f32 v[70:71], v[36:37], v[80:81] neg_lo:[0,1] neg_hi:[0,1]
	v_mov_b32_e32 v7, v50
	v_sub_f32_e32 v2, v36, v70
	v_pk_add_f32 v[6:7], v[6:7], v[70:71] neg_lo:[0,1] neg_hi:[0,1]
	v_sub_f32_e32 v2, v80, v2
	s_mov_b32 s10, 0x7f800000
	v_add_f32_e32 v2, v6, v2
	s_mov_b32 s9, 0x33800000
	v_add_f32_e32 v2, v2, v7
	v_cmp_eq_f32_e32 vcc, s10, v35
	v_cmp_lt_f32_e64 s[10:11], |v35|, s9
	v_add_f32_e32 v2, v68, v2
	s_or_b64 vcc, vcc, s[10:11]
	v_cndmask_b32_e32 v2, v2, v35, vcc
	v_add_f32_e32 v2, v3, v2
	v_cvt_f16_f32_e32 v15, v2
	v_cvt_f32_f16_e32 v2, v15
	v_mov_b32_e32 v35, v15
.LBB421_342:
	s_or_b64 exec, exec, s[6:7]
	v_max_f32_e32 v3, v21, v21
	v_max_f32_e32 v7, v2, v2
	v_min_f32_e32 v6, v7, v3
	v_cmp_u_f16_e32 vcc, v15, v15
	v_max_f32_e32 v3, v7, v3
	v_cndmask_b32_e32 v6, v6, v2, vcc
	v_cndmask_b32_e32 v3, v3, v2, vcc
	v_cndmask_b32_e64 v6, v6, v21, s[16:17]
	v_cndmask_b32_e64 v3, v3, v21, s[16:17]
	v_cmp_neq_f32_e32 vcc, v6, v3
	v_cmp_class_f32_e64 s[6:7], v6, s8
	s_or_b64 s[8:9], vcc, s[6:7]
	v_mov_b32_e32 v36, v35
	s_and_saveexec_b64 s[6:7], s[8:9]
	s_cbranch_execz .LBB421_344
; %bb.343:
	v_sub_f32_e32 v2, v6, v3
	s_mov_b32 s8, 0x3fb8aa3b
	v_mul_f32_e32 v6, 0x3fb8aa3b, v2
	v_fma_f32 v7, v2, s8, -v6
	v_rndne_f32_e32 v15, v6
	v_fmac_f32_e32 v7, 0x32a5705f, v2
	v_sub_f32_e32 v6, v6, v15
	v_add_f32_e32 v6, v6, v7
	v_exp_f32_e32 v6, v6
	v_cvt_i32_f32_e32 v7, v15
	s_mov_b32 s8, 0xc2ce8ed0
	v_cmp_ngt_f32_e32 vcc, s8, v2
	s_mov_b32 s8, 0x42b17218
	v_ldexp_f32 v6, v6, v7
	v_cndmask_b32_e32 v6, 0, v6, vcc
	v_mov_b32_e32 v7, 0x7f800000
	v_cmp_nlt_f32_e32 vcc, s8, v2
	v_cndmask_b32_e32 v82, v7, v6, vcc
	v_add_f32_e32 v2, 1.0, v82
	v_add_f32_e32 v6, -1.0, v2
	v_sub_f32_e32 v7, v6, v2
	v_add_f32_e32 v7, 1.0, v7
	v_sub_f32_e32 v6, v82, v6
	v_add_f32_e32 v15, v6, v7
	v_frexp_mant_f32_e32 v20, v2
	s_mov_b32 s8, 0x3f2aaaab
	v_cvt_f64_f32_e32 v[6:7], v2
	v_frexp_exp_i32_f64_e32 v6, v[6:7]
	v_cmp_gt_f32_e32 vcc, s8, v20
	v_subbrev_co_u32_e32 v68, vcc, 0, v6, vcc
	v_sub_u32_e32 v6, 0, v68
	v_ldexp_f32 v2, v2, v6
	v_ldexp_f32 v6, v15, v6
	v_add_f32_e32 v15, -1.0, v2
	v_add_f32_e32 v7, 1.0, v15
	v_sub_f32_e32 v7, v2, v7
	v_add_f32_e32 v20, v6, v7
	v_add_f32_e32 v7, 1.0, v2
	v_add_f32_e32 v21, -1.0, v7
	v_sub_f32_e32 v2, v2, v21
	v_add_f32_e32 v2, v6, v2
	v_add_f32_e32 v69, v7, v2
	v_rcp_f32_e32 v70, v69
	v_sub_f32_e32 v6, v7, v69
	v_add_f32_e32 v7, v15, v20
	v_add_f32_e32 v2, v2, v6
	v_sub_f32_e32 v6, v15, v7
	v_mul_f32_e32 v71, v7, v70
	v_add_f32_e32 v15, v20, v6
	v_mul_f32_e32 v20, v69, v71
	v_fma_f32 v36, v71, v69, -v20
	v_fmac_f32_e32 v36, v71, v2
	v_add_f32_e32 v6, v20, v36
	v_sub_f32_e32 v21, v7, v6
	v_pk_add_f32 v[50:51], v[6:7], v[20:21] neg_lo:[0,1] neg_hi:[0,1]
	v_mov_b32_e32 v37, v6
	v_pk_add_f32 v[6:7], v[50:51], v[36:37] neg_lo:[0,1] neg_hi:[0,1]
	v_add_f32_e32 v7, v15, v7
	v_add_f32_e32 v6, v6, v7
	;; [unrolled: 1-line block ×3, first 2 shown]
	v_mul_f32_e32 v15, v70, v7
	v_mul_f32_e32 v20, v69, v15
	v_fma_f32 v36, v15, v69, -v20
	v_fmac_f32_e32 v36, v15, v2
	v_sub_f32_e32 v2, v21, v7
	v_add_f32_e32 v2, v6, v2
	v_add_f32_e32 v6, v20, v36
	v_sub_f32_e32 v21, v7, v6
	v_pk_add_f32 v[50:51], v[6:7], v[20:21] neg_lo:[0,1] neg_hi:[0,1]
	v_mov_b32_e32 v37, v6
	v_pk_add_f32 v[6:7], v[50:51], v[36:37] neg_lo:[0,1] neg_hi:[0,1]
	v_add_f32_e32 v2, v2, v7
	v_add_f32_e32 v2, v6, v2
	v_add_f32_e32 v6, v71, v15
	v_add_f32_e32 v2, v21, v2
	v_sub_f32_e32 v7, v6, v71
	v_mul_f32_e32 v2, v70, v2
	v_sub_f32_e32 v7, v15, v7
	v_add_f32_e32 v2, v7, v2
	v_add_f32_e32 v15, v6, v2
	v_mul_f32_e32 v21, v15, v15
	v_mov_b32_e32 v20, 0x3ecc95a3
	v_fmac_f32_e32 v20, 0x3e9b6dac, v21
	v_mov_b32_e32 v7, 0x3f2aaada
	v_fmac_f32_e32 v7, v21, v20
	v_cvt_f32_i32_e32 v20, v68
	v_sub_f32_e32 v6, v15, v6
	v_sub_f32_e32 v2, v2, v6
	v_mul_f32_e32 v21, v15, v21
	v_mov_b32_e32 v6, 0x3f317218
	s_mov_b32 s8, 0x3f317218
	v_pk_mul_f32 v[6:7], v[20:21], v[6:7]
	v_fma_f32 v36, v20, s8, -v6
	v_ldexp_f32 v37, v15, 1
	v_fmac_f32_e32 v36, 0xb102e308, v20
	v_pk_add_f32 v[20:21], v[6:7], v[36:37]
	v_sub_f32_e32 v15, v21, v37
	v_ldexp_f32 v2, v2, 1
	v_sub_f32_e32 v15, v7, v15
	v_add_f32_e32 v51, v2, v15
	v_mov_b32_e32 v50, v6
	v_pk_add_f32 v[6:7], v[20:21], v[6:7] neg_lo:[0,1] neg_hi:[0,1]
	v_pk_add_f32 v[68:69], v[20:21], v[50:51]
	v_mov_b32_e32 v7, v69
	v_mov_b32_e32 v37, v20
	v_pk_add_f32 v[70:71], v[36:37], v[6:7] neg_lo:[0,1] neg_hi:[0,1]
	v_pk_add_f32 v[6:7], v[36:37], v[6:7]
	v_mov_b32_e32 v2, v7
	v_pk_add_f32 v[36:37], v[2:3], v[20:21] neg_lo:[0,1] neg_hi:[0,1]
	v_mov_b32_e32 v15, v36
	v_pk_add_f32 v[80:81], v[68:69], v[14:15] neg_lo:[0,1] neg_hi:[0,1]
	v_mov_b32_e32 v6, v69
	v_mov_b32_e32 v68, v21
	;; [unrolled: 1-line block ×4, first 2 shown]
	v_pk_add_f32 v[6:7], v[6:7], v[68:69] neg_lo:[0,1] neg_hi:[0,1]
	v_mov_b32_e32 v36, v51
	v_mov_b32_e32 v37, v20
	v_pk_add_f32 v[6:7], v[36:37], v[6:7] neg_lo:[0,1] neg_hi:[0,1]
	v_mov_b32_e32 v80, v70
	v_pk_add_f32 v[20:21], v[80:81], v[6:7]
	v_mov_b32_e32 v36, v21
	v_pk_add_f32 v[36:37], v[20:21], v[36:37]
	v_pk_add_f32 v[50:51], v[2:3], v[36:37]
	v_mov_b32_e32 v21, v50
	v_pk_add_f32 v[68:69], v[20:21], v[70:71] neg_lo:[0,1] neg_hi:[0,1]
	v_mov_b32_e32 v7, v36
	v_sub_f32_e32 v2, v20, v68
	v_pk_add_f32 v[6:7], v[6:7], v[68:69] neg_lo:[0,1] neg_hi:[0,1]
	v_sub_f32_e32 v2, v70, v2
	s_mov_b32 s9, 0x7f800000
	v_add_f32_e32 v2, v6, v2
	s_mov_b32 s8, 0x33800000
	v_add_f32_e32 v2, v2, v7
	v_cmp_eq_f32_e32 vcc, s9, v82
	v_cmp_lt_f32_e64 s[8:9], |v82|, s8
	v_add_f32_e32 v2, v50, v2
	s_or_b64 vcc, vcc, s[8:9]
	v_cndmask_b32_e32 v2, v2, v82, vcc
	v_add_f32_e32 v2, v3, v2
	v_cvt_f16_f32_e32 v15, v2
	v_cvt_f32_f16_e32 v2, v15
	v_mov_b32_e32 v36, v15
.LBB421_344:
	s_or_b64 exec, exec, s[6:7]
	v_max_f32_e32 v3, v22, v22
	v_max_f32_e32 v7, v2, v2
	v_min_f32_e32 v6, v7, v3
	v_cmp_u_f16_e32 vcc, v15, v15
	v_max_f32_e32 v3, v7, v3
	v_cndmask_b32_e32 v6, v6, v2, vcc
	v_cndmask_b32_e32 v3, v3, v2, vcc
	v_cndmask_b32_e64 v6, v6, v22, s[18:19]
	v_cndmask_b32_e64 v3, v3, v22, s[18:19]
	s_movk_i32 s8, 0x1f8
	v_cmp_neq_f32_e32 vcc, v6, v3
	v_cmp_class_f32_e64 s[6:7], v6, s8
	s_or_b64 s[10:11], vcc, s[6:7]
	v_mov_b32_e32 v37, v36
	s_and_saveexec_b64 s[6:7], s[10:11]
	s_cbranch_execz .LBB421_346
; %bb.345:
	v_sub_f32_e32 v2, v6, v3
	s_mov_b32 s9, 0x3fb8aa3b
	v_mul_f32_e32 v6, 0x3fb8aa3b, v2
	v_fma_f32 v7, v2, s9, -v6
	v_rndne_f32_e32 v15, v6
	v_fmac_f32_e32 v7, 0x32a5705f, v2
	v_sub_f32_e32 v6, v6, v15
	v_add_f32_e32 v6, v6, v7
	v_exp_f32_e32 v6, v6
	v_cvt_i32_f32_e32 v7, v15
	s_mov_b32 s9, 0xc2ce8ed0
	v_cmp_ngt_f32_e32 vcc, s9, v2
	s_mov_b32 s9, 0x42b17218
	v_ldexp_f32 v6, v6, v7
	v_cndmask_b32_e32 v6, 0, v6, vcc
	v_mov_b32_e32 v7, 0x7f800000
	v_cmp_nlt_f32_e32 vcc, s9, v2
	v_cndmask_b32_e32 v37, v7, v6, vcc
	v_add_f32_e32 v2, 1.0, v37
	v_add_f32_e32 v6, -1.0, v2
	v_sub_f32_e32 v7, v6, v2
	v_add_f32_e32 v7, 1.0, v7
	v_sub_f32_e32 v6, v37, v6
	v_add_f32_e32 v15, v6, v7
	v_frexp_mant_f32_e32 v20, v2
	s_mov_b32 s9, 0x3f2aaaab
	v_cvt_f64_f32_e32 v[6:7], v2
	v_frexp_exp_i32_f64_e32 v6, v[6:7]
	v_cmp_gt_f32_e32 vcc, s9, v20
	v_subbrev_co_u32_e32 v22, vcc, 0, v6, vcc
	v_sub_u32_e32 v6, 0, v22
	v_ldexp_f32 v2, v2, v6
	v_ldexp_f32 v6, v15, v6
	v_add_f32_e32 v15, -1.0, v2
	v_add_f32_e32 v7, 1.0, v15
	v_sub_f32_e32 v7, v2, v7
	v_add_f32_e32 v20, v6, v7
	v_add_f32_e32 v7, 1.0, v2
	v_add_f32_e32 v21, -1.0, v7
	v_sub_f32_e32 v2, v2, v21
	v_add_f32_e32 v2, v6, v2
	v_add_f32_e32 v70, v7, v2
	v_rcp_f32_e32 v71, v70
	v_sub_f32_e32 v6, v7, v70
	v_add_f32_e32 v7, v15, v20
	v_add_f32_e32 v2, v2, v6
	v_sub_f32_e32 v6, v15, v7
	v_mul_f32_e32 v80, v7, v71
	v_add_f32_e32 v15, v20, v6
	v_mul_f32_e32 v20, v70, v80
	v_fma_f32 v50, v80, v70, -v20
	v_fmac_f32_e32 v50, v80, v2
	v_add_f32_e32 v6, v20, v50
	v_sub_f32_e32 v21, v7, v6
	v_pk_add_f32 v[68:69], v[6:7], v[20:21] neg_lo:[0,1] neg_hi:[0,1]
	v_mov_b32_e32 v51, v6
	v_pk_add_f32 v[6:7], v[68:69], v[50:51] neg_lo:[0,1] neg_hi:[0,1]
	v_add_f32_e32 v7, v15, v7
	v_add_f32_e32 v6, v6, v7
	;; [unrolled: 1-line block ×3, first 2 shown]
	v_mul_f32_e32 v15, v71, v7
	v_mul_f32_e32 v20, v70, v15
	v_fma_f32 v50, v15, v70, -v20
	v_fmac_f32_e32 v50, v15, v2
	v_sub_f32_e32 v2, v21, v7
	v_add_f32_e32 v2, v6, v2
	v_add_f32_e32 v6, v20, v50
	v_sub_f32_e32 v21, v7, v6
	v_pk_add_f32 v[68:69], v[6:7], v[20:21] neg_lo:[0,1] neg_hi:[0,1]
	v_mov_b32_e32 v51, v6
	v_pk_add_f32 v[6:7], v[68:69], v[50:51] neg_lo:[0,1] neg_hi:[0,1]
	v_add_f32_e32 v2, v2, v7
	v_add_f32_e32 v2, v6, v2
	v_add_f32_e32 v6, v80, v15
	v_add_f32_e32 v2, v21, v2
	v_sub_f32_e32 v7, v6, v80
	v_mul_f32_e32 v2, v71, v2
	v_sub_f32_e32 v7, v15, v7
	v_add_f32_e32 v2, v7, v2
	v_add_f32_e32 v15, v6, v2
	v_mul_f32_e32 v21, v15, v15
	v_mov_b32_e32 v20, 0x3ecc95a3
	v_fmac_f32_e32 v20, 0x3e9b6dac, v21
	v_mov_b32_e32 v7, 0x3f2aaada
	v_fmac_f32_e32 v7, v21, v20
	v_cvt_f32_i32_e32 v20, v22
	v_sub_f32_e32 v6, v15, v6
	v_sub_f32_e32 v2, v2, v6
	v_mul_f32_e32 v21, v15, v21
	v_mov_b32_e32 v6, 0x3f317218
	s_mov_b32 s9, 0x3f317218
	v_pk_mul_f32 v[6:7], v[20:21], v[6:7]
	v_fma_f32 v50, v20, s9, -v6
	v_ldexp_f32 v51, v15, 1
	v_fmac_f32_e32 v50, 0xb102e308, v20
	v_pk_add_f32 v[20:21], v[6:7], v[50:51]
	v_sub_f32_e32 v15, v21, v51
	v_ldexp_f32 v2, v2, 1
	v_sub_f32_e32 v15, v7, v15
	v_add_f32_e32 v69, v2, v15
	v_mov_b32_e32 v68, v6
	v_pk_add_f32 v[6:7], v[20:21], v[6:7] neg_lo:[0,1] neg_hi:[0,1]
	v_pk_add_f32 v[70:71], v[20:21], v[68:69]
	v_mov_b32_e32 v7, v71
	v_mov_b32_e32 v51, v20
	v_pk_add_f32 v[80:81], v[50:51], v[6:7] neg_lo:[0,1] neg_hi:[0,1]
	v_pk_add_f32 v[6:7], v[50:51], v[6:7]
	v_mov_b32_e32 v2, v7
	v_pk_add_f32 v[50:51], v[2:3], v[20:21] neg_lo:[0,1] neg_hi:[0,1]
	v_mov_b32_e32 v15, v50
	v_pk_add_f32 v[82:83], v[70:71], v[14:15] neg_lo:[0,1] neg_hi:[0,1]
	v_mov_b32_e32 v6, v71
	v_mov_b32_e32 v70, v21
	;; [unrolled: 1-line block ×4, first 2 shown]
	v_pk_add_f32 v[6:7], v[6:7], v[70:71] neg_lo:[0,1] neg_hi:[0,1]
	v_mov_b32_e32 v50, v69
	v_mov_b32_e32 v51, v20
	v_pk_add_f32 v[6:7], v[50:51], v[6:7] neg_lo:[0,1] neg_hi:[0,1]
	v_mov_b32_e32 v82, v80
	v_pk_add_f32 v[20:21], v[82:83], v[6:7]
	v_mov_b32_e32 v22, v21
	v_pk_add_f32 v[50:51], v[20:21], v[22:23]
	v_pk_add_f32 v[68:69], v[2:3], v[50:51]
	v_mov_b32_e32 v21, v68
	v_pk_add_f32 v[70:71], v[20:21], v[80:81] neg_lo:[0,1] neg_hi:[0,1]
	v_mov_b32_e32 v7, v50
	v_sub_f32_e32 v2, v20, v70
	v_pk_add_f32 v[6:7], v[6:7], v[70:71] neg_lo:[0,1] neg_hi:[0,1]
	v_sub_f32_e32 v2, v80, v2
	s_mov_b32 s10, 0x7f800000
	v_add_f32_e32 v2, v6, v2
	s_mov_b32 s9, 0x33800000
	v_add_f32_e32 v2, v2, v7
	v_cmp_eq_f32_e32 vcc, s10, v37
	v_cmp_lt_f32_e64 s[10:11], |v37|, s9
	v_add_f32_e32 v2, v68, v2
	s_or_b64 vcc, vcc, s[10:11]
	v_cndmask_b32_e32 v2, v2, v37, vcc
	v_add_f32_e32 v2, v3, v2
	v_cvt_f16_f32_e32 v15, v2
	v_cvt_f32_f16_e32 v2, v15
	v_mov_b32_e32 v37, v15
.LBB421_346:
	s_or_b64 exec, exec, s[6:7]
	v_max_f32_e32 v3, v23, v23
	v_max_f32_e32 v7, v2, v2
	v_min_f32_e32 v6, v7, v3
	v_cmp_u_f16_e32 vcc, v15, v15
	v_max_f32_e32 v3, v7, v3
	v_cndmask_b32_e32 v6, v6, v2, vcc
	v_cndmask_b32_e32 v3, v3, v2, vcc
	v_cndmask_b32_e64 v6, v6, v23, s[20:21]
	v_cndmask_b32_e64 v3, v3, v23, s[20:21]
	v_cmp_neq_f32_e32 vcc, v6, v3
	v_cmp_class_f32_e64 s[6:7], v6, s8
	s_or_b64 s[8:9], vcc, s[6:7]
	v_mov_b32_e32 v51, v37
	s_and_saveexec_b64 s[6:7], s[8:9]
	s_cbranch_execz .LBB421_348
; %bb.347:
	v_sub_f32_e32 v2, v6, v3
	s_mov_b32 s8, 0x3fb8aa3b
	v_mul_f32_e32 v6, 0x3fb8aa3b, v2
	v_fma_f32 v7, v2, s8, -v6
	v_rndne_f32_e32 v15, v6
	v_fmac_f32_e32 v7, 0x32a5705f, v2
	v_sub_f32_e32 v6, v6, v15
	v_add_f32_e32 v6, v6, v7
	v_exp_f32_e32 v6, v6
	v_cvt_i32_f32_e32 v7, v15
	s_mov_b32 s8, 0xc2ce8ed0
	v_cmp_ngt_f32_e32 vcc, s8, v2
	s_mov_b32 s8, 0x42b17218
	v_ldexp_f32 v6, v6, v7
	v_cndmask_b32_e32 v6, 0, v6, vcc
	v_mov_b32_e32 v7, 0x7f800000
	v_cmp_nlt_f32_e32 vcc, s8, v2
	v_cndmask_b32_e32 v82, v7, v6, vcc
	v_add_f32_e32 v2, 1.0, v82
	v_add_f32_e32 v6, -1.0, v2
	v_sub_f32_e32 v7, v6, v2
	v_add_f32_e32 v7, 1.0, v7
	v_sub_f32_e32 v6, v82, v6
	v_add_f32_e32 v15, v6, v7
	v_frexp_mant_f32_e32 v20, v2
	s_mov_b32 s8, 0x3f2aaaab
	v_cvt_f64_f32_e32 v[6:7], v2
	v_frexp_exp_i32_f64_e32 v6, v[6:7]
	v_cmp_gt_f32_e32 vcc, s8, v20
	v_subbrev_co_u32_e32 v68, vcc, 0, v6, vcc
	v_sub_u32_e32 v6, 0, v68
	v_ldexp_f32 v2, v2, v6
	v_ldexp_f32 v6, v15, v6
	v_add_f32_e32 v15, -1.0, v2
	v_add_f32_e32 v7, 1.0, v15
	v_sub_f32_e32 v7, v2, v7
	v_add_f32_e32 v20, v6, v7
	v_add_f32_e32 v7, 1.0, v2
	v_add_f32_e32 v21, -1.0, v7
	v_sub_f32_e32 v2, v2, v21
	v_add_f32_e32 v2, v6, v2
	v_add_f32_e32 v69, v7, v2
	v_rcp_f32_e32 v70, v69
	v_sub_f32_e32 v6, v7, v69
	v_add_f32_e32 v7, v15, v20
	v_add_f32_e32 v2, v2, v6
	v_sub_f32_e32 v6, v15, v7
	v_mul_f32_e32 v71, v7, v70
	v_add_f32_e32 v15, v20, v6
	v_mul_f32_e32 v20, v69, v71
	v_fma_f32 v22, v71, v69, -v20
	v_fmac_f32_e32 v22, v71, v2
	v_add_f32_e32 v6, v20, v22
	v_sub_f32_e32 v21, v7, v6
	v_pk_add_f32 v[50:51], v[6:7], v[20:21] neg_lo:[0,1] neg_hi:[0,1]
	v_mov_b32_e32 v23, v6
	v_pk_add_f32 v[6:7], v[50:51], v[22:23] neg_lo:[0,1] neg_hi:[0,1]
	v_add_f32_e32 v7, v15, v7
	v_add_f32_e32 v6, v6, v7
	v_add_f32_e32 v7, v21, v6
	v_mul_f32_e32 v15, v70, v7
	v_mul_f32_e32 v20, v69, v15
	v_fma_f32 v22, v15, v69, -v20
	v_fmac_f32_e32 v22, v15, v2
	v_sub_f32_e32 v2, v21, v7
	v_add_f32_e32 v2, v6, v2
	v_add_f32_e32 v6, v20, v22
	v_sub_f32_e32 v21, v7, v6
	v_pk_add_f32 v[50:51], v[6:7], v[20:21] neg_lo:[0,1] neg_hi:[0,1]
	v_mov_b32_e32 v23, v6
	v_pk_add_f32 v[6:7], v[50:51], v[22:23] neg_lo:[0,1] neg_hi:[0,1]
	v_add_f32_e32 v2, v2, v7
	v_add_f32_e32 v2, v6, v2
	;; [unrolled: 1-line block ×4, first 2 shown]
	v_sub_f32_e32 v7, v6, v71
	v_mul_f32_e32 v2, v70, v2
	v_sub_f32_e32 v7, v15, v7
	v_add_f32_e32 v2, v7, v2
	v_add_f32_e32 v15, v6, v2
	v_mul_f32_e32 v21, v15, v15
	v_mov_b32_e32 v20, 0x3ecc95a3
	v_fmac_f32_e32 v20, 0x3e9b6dac, v21
	v_mov_b32_e32 v7, 0x3f2aaada
	v_fmac_f32_e32 v7, v21, v20
	v_cvt_f32_i32_e32 v20, v68
	v_sub_f32_e32 v6, v15, v6
	v_sub_f32_e32 v2, v2, v6
	v_mul_f32_e32 v21, v15, v21
	v_mov_b32_e32 v6, 0x3f317218
	s_mov_b32 s8, 0x3f317218
	v_pk_mul_f32 v[6:7], v[20:21], v[6:7]
	v_fma_f32 v22, v20, s8, -v6
	v_ldexp_f32 v23, v15, 1
	v_fmac_f32_e32 v22, 0xb102e308, v20
	v_pk_add_f32 v[20:21], v[6:7], v[22:23]
	v_sub_f32_e32 v15, v21, v23
	v_ldexp_f32 v2, v2, 1
	v_sub_f32_e32 v15, v7, v15
	v_add_f32_e32 v51, v2, v15
	v_mov_b32_e32 v50, v6
	v_pk_add_f32 v[6:7], v[20:21], v[6:7] neg_lo:[0,1] neg_hi:[0,1]
	v_pk_add_f32 v[68:69], v[20:21], v[50:51]
	v_mov_b32_e32 v7, v69
	v_mov_b32_e32 v23, v20
	v_pk_add_f32 v[70:71], v[22:23], v[6:7] neg_lo:[0,1] neg_hi:[0,1]
	v_pk_add_f32 v[6:7], v[22:23], v[6:7]
	v_mov_b32_e32 v2, v7
	v_pk_add_f32 v[22:23], v[2:3], v[20:21] neg_lo:[0,1] neg_hi:[0,1]
	v_mov_b32_e32 v15, v22
	v_pk_add_f32 v[80:81], v[68:69], v[14:15] neg_lo:[0,1] neg_hi:[0,1]
	v_mov_b32_e32 v6, v69
	v_mov_b32_e32 v68, v21
	;; [unrolled: 1-line block ×4, first 2 shown]
	v_pk_add_f32 v[6:7], v[6:7], v[68:69] neg_lo:[0,1] neg_hi:[0,1]
	v_mov_b32_e32 v22, v51
	v_mov_b32_e32 v23, v20
	v_pk_add_f32 v[6:7], v[22:23], v[6:7] neg_lo:[0,1] neg_hi:[0,1]
	v_mov_b32_e32 v80, v70
	v_pk_add_f32 v[20:21], v[80:81], v[6:7]
	v_mov_b32_e32 v22, v21
	v_pk_add_f32 v[22:23], v[20:21], v[22:23]
	v_pk_add_f32 v[50:51], v[2:3], v[22:23]
	v_mov_b32_e32 v21, v50
	v_pk_add_f32 v[68:69], v[20:21], v[70:71] neg_lo:[0,1] neg_hi:[0,1]
	v_mov_b32_e32 v7, v22
	v_sub_f32_e32 v2, v20, v68
	v_pk_add_f32 v[6:7], v[6:7], v[68:69] neg_lo:[0,1] neg_hi:[0,1]
	v_sub_f32_e32 v2, v70, v2
	s_mov_b32 s9, 0x7f800000
	v_add_f32_e32 v2, v6, v2
	s_mov_b32 s8, 0x33800000
	v_add_f32_e32 v2, v2, v7
	v_cmp_eq_f32_e32 vcc, s9, v82
	v_cmp_lt_f32_e64 s[8:9], |v82|, s8
	v_add_f32_e32 v2, v50, v2
	s_or_b64 vcc, vcc, s[8:9]
	v_cndmask_b32_e32 v2, v2, v82, vcc
	v_add_f32_e32 v2, v3, v2
	v_cvt_f16_f32_e32 v15, v2
	v_cvt_f32_f16_e32 v2, v15
	v_mov_b32_e32 v51, v15
.LBB421_348:
	s_or_b64 exec, exec, s[6:7]
	v_max_f32_e32 v3, v52, v52
	v_max_f32_e32 v7, v2, v2
	v_min_f32_e32 v6, v7, v3
	v_cmp_u_f16_e32 vcc, v15, v15
	v_max_f32_e32 v3, v7, v3
	v_cndmask_b32_e32 v6, v6, v2, vcc
	v_cndmask_b32_e32 v3, v3, v2, vcc
	v_cndmask_b32_e64 v6, v6, v52, s[22:23]
	v_cndmask_b32_e64 v3, v3, v52, s[22:23]
	s_movk_i32 s8, 0x1f8
	v_cmp_neq_f32_e32 vcc, v6, v3
	v_cmp_class_f32_e64 s[6:7], v6, s8
	s_or_b64 s[10:11], vcc, s[6:7]
	v_mov_b32_e32 v52, v51
	s_and_saveexec_b64 s[6:7], s[10:11]
	s_cbranch_execz .LBB421_350
; %bb.349:
	v_sub_f32_e32 v2, v6, v3
	s_mov_b32 s9, 0x3fb8aa3b
	v_mul_f32_e32 v6, 0x3fb8aa3b, v2
	v_fma_f32 v7, v2, s9, -v6
	v_rndne_f32_e32 v15, v6
	v_fmac_f32_e32 v7, 0x32a5705f, v2
	v_sub_f32_e32 v6, v6, v15
	v_add_f32_e32 v6, v6, v7
	v_exp_f32_e32 v6, v6
	v_cvt_i32_f32_e32 v7, v15
	s_mov_b32 s9, 0xc2ce8ed0
	v_cmp_ngt_f32_e32 vcc, s9, v2
	s_mov_b32 s9, 0x42b17218
	v_ldexp_f32 v6, v6, v7
	v_cndmask_b32_e32 v6, 0, v6, vcc
	v_mov_b32_e32 v7, 0x7f800000
	v_cmp_nlt_f32_e32 vcc, s9, v2
	v_cndmask_b32_e32 v50, v7, v6, vcc
	v_add_f32_e32 v2, 1.0, v50
	v_add_f32_e32 v6, -1.0, v2
	v_sub_f32_e32 v7, v6, v2
	v_add_f32_e32 v7, 1.0, v7
	v_sub_f32_e32 v6, v50, v6
	v_add_f32_e32 v15, v6, v7
	v_frexp_mant_f32_e32 v20, v2
	s_mov_b32 s9, 0x3f2aaaab
	v_cvt_f64_f32_e32 v[6:7], v2
	v_frexp_exp_i32_f64_e32 v6, v[6:7]
	v_cmp_gt_f32_e32 vcc, s9, v20
	v_subbrev_co_u32_e32 v52, vcc, 0, v6, vcc
	v_sub_u32_e32 v6, 0, v52
	v_ldexp_f32 v2, v2, v6
	v_ldexp_f32 v6, v15, v6
	v_add_f32_e32 v15, -1.0, v2
	v_add_f32_e32 v7, 1.0, v15
	v_sub_f32_e32 v7, v2, v7
	v_add_f32_e32 v20, v6, v7
	v_add_f32_e32 v7, 1.0, v2
	v_add_f32_e32 v21, -1.0, v7
	v_sub_f32_e32 v2, v2, v21
	v_add_f32_e32 v2, v6, v2
	v_add_f32_e32 v70, v7, v2
	v_rcp_f32_e32 v71, v70
	v_sub_f32_e32 v6, v7, v70
	v_add_f32_e32 v7, v15, v20
	v_add_f32_e32 v2, v2, v6
	v_sub_f32_e32 v6, v15, v7
	v_mul_f32_e32 v80, v7, v71
	v_add_f32_e32 v15, v20, v6
	v_mul_f32_e32 v20, v70, v80
	v_fma_f32 v22, v80, v70, -v20
	v_fmac_f32_e32 v22, v80, v2
	v_add_f32_e32 v6, v20, v22
	v_sub_f32_e32 v21, v7, v6
	v_pk_add_f32 v[68:69], v[6:7], v[20:21] neg_lo:[0,1] neg_hi:[0,1]
	v_mov_b32_e32 v23, v6
	v_pk_add_f32 v[6:7], v[68:69], v[22:23] neg_lo:[0,1] neg_hi:[0,1]
	v_add_f32_e32 v7, v15, v7
	v_add_f32_e32 v6, v6, v7
	;; [unrolled: 1-line block ×3, first 2 shown]
	v_mul_f32_e32 v15, v71, v7
	v_mul_f32_e32 v20, v70, v15
	v_fma_f32 v22, v15, v70, -v20
	v_fmac_f32_e32 v22, v15, v2
	v_sub_f32_e32 v2, v21, v7
	v_add_f32_e32 v2, v6, v2
	v_add_f32_e32 v6, v20, v22
	v_sub_f32_e32 v21, v7, v6
	v_pk_add_f32 v[68:69], v[6:7], v[20:21] neg_lo:[0,1] neg_hi:[0,1]
	v_mov_b32_e32 v23, v6
	v_pk_add_f32 v[6:7], v[68:69], v[22:23] neg_lo:[0,1] neg_hi:[0,1]
	v_add_f32_e32 v2, v2, v7
	v_add_f32_e32 v2, v6, v2
	v_add_f32_e32 v6, v80, v15
	v_add_f32_e32 v2, v21, v2
	v_sub_f32_e32 v7, v6, v80
	v_mul_f32_e32 v2, v71, v2
	v_sub_f32_e32 v7, v15, v7
	v_add_f32_e32 v2, v7, v2
	v_add_f32_e32 v15, v6, v2
	v_mul_f32_e32 v21, v15, v15
	v_mov_b32_e32 v20, 0x3ecc95a3
	v_fmac_f32_e32 v20, 0x3e9b6dac, v21
	v_mov_b32_e32 v7, 0x3f2aaada
	v_fmac_f32_e32 v7, v21, v20
	v_cvt_f32_i32_e32 v20, v52
	v_sub_f32_e32 v6, v15, v6
	v_sub_f32_e32 v2, v2, v6
	v_mul_f32_e32 v21, v15, v21
	v_mov_b32_e32 v6, 0x3f317218
	s_mov_b32 s9, 0x3f317218
	v_pk_mul_f32 v[6:7], v[20:21], v[6:7]
	v_fma_f32 v22, v20, s9, -v6
	v_ldexp_f32 v23, v15, 1
	v_fmac_f32_e32 v22, 0xb102e308, v20
	v_pk_add_f32 v[20:21], v[6:7], v[22:23]
	v_sub_f32_e32 v15, v21, v23
	v_ldexp_f32 v2, v2, 1
	v_sub_f32_e32 v15, v7, v15
	v_add_f32_e32 v69, v2, v15
	v_mov_b32_e32 v68, v6
	v_pk_add_f32 v[6:7], v[20:21], v[6:7] neg_lo:[0,1] neg_hi:[0,1]
	v_pk_add_f32 v[70:71], v[20:21], v[68:69]
	v_mov_b32_e32 v7, v71
	v_mov_b32_e32 v23, v20
	v_pk_add_f32 v[80:81], v[22:23], v[6:7] neg_lo:[0,1] neg_hi:[0,1]
	v_pk_add_f32 v[6:7], v[22:23], v[6:7]
	v_mov_b32_e32 v2, v7
	v_pk_add_f32 v[22:23], v[2:3], v[20:21] neg_lo:[0,1] neg_hi:[0,1]
	v_mov_b32_e32 v15, v22
	v_pk_add_f32 v[82:83], v[70:71], v[14:15] neg_lo:[0,1] neg_hi:[0,1]
	v_mov_b32_e32 v6, v71
	v_mov_b32_e32 v70, v21
	;; [unrolled: 1-line block ×4, first 2 shown]
	v_pk_add_f32 v[6:7], v[6:7], v[70:71] neg_lo:[0,1] neg_hi:[0,1]
	v_mov_b32_e32 v22, v69
	v_mov_b32_e32 v23, v20
	v_pk_add_f32 v[6:7], v[22:23], v[6:7] neg_lo:[0,1] neg_hi:[0,1]
	v_mov_b32_e32 v82, v80
	v_pk_add_f32 v[20:21], v[82:83], v[6:7]
	v_mov_b32_e32 v22, v21
	v_pk_add_f32 v[22:23], v[20:21], v[22:23]
	v_pk_add_f32 v[68:69], v[2:3], v[22:23]
	v_mov_b32_e32 v21, v68
	v_pk_add_f32 v[70:71], v[20:21], v[80:81] neg_lo:[0,1] neg_hi:[0,1]
	v_mov_b32_e32 v7, v22
	v_sub_f32_e32 v2, v20, v70
	v_pk_add_f32 v[6:7], v[6:7], v[70:71] neg_lo:[0,1] neg_hi:[0,1]
	v_sub_f32_e32 v2, v80, v2
	s_mov_b32 s10, 0x7f800000
	v_add_f32_e32 v2, v6, v2
	s_mov_b32 s9, 0x33800000
	v_add_f32_e32 v2, v2, v7
	v_cmp_eq_f32_e32 vcc, s10, v50
	v_cmp_lt_f32_e64 s[10:11], |v50|, s9
	v_add_f32_e32 v2, v68, v2
	s_or_b64 vcc, vcc, s[10:11]
	v_cndmask_b32_e32 v2, v2, v50, vcc
	v_add_f32_e32 v2, v3, v2
	v_cvt_f16_f32_e32 v15, v2
	v_cvt_f32_f16_e32 v2, v15
	v_mov_b32_e32 v52, v15
.LBB421_350:
	s_or_b64 exec, exec, s[6:7]
	v_max_f32_e32 v3, v16, v16
	v_max_f32_e32 v7, v2, v2
	v_min_f32_e32 v6, v7, v3
	v_cmp_u_f16_e32 vcc, v15, v15
	v_max_f32_e32 v3, v7, v3
	v_cndmask_b32_e32 v6, v6, v2, vcc
	v_cndmask_b32_e32 v3, v3, v2, vcc
	v_cndmask_b32_e64 v6, v6, v16, s[24:25]
	v_cndmask_b32_e64 v3, v3, v16, s[24:25]
	v_cmp_neq_f32_e32 vcc, v6, v3
	v_cmp_class_f32_e64 s[6:7], v6, s8
	s_or_b64 s[8:9], vcc, s[6:7]
	v_mov_b32_e32 v97, v52
	s_and_saveexec_b64 s[6:7], s[8:9]
	s_cbranch_execz .LBB421_352
; %bb.351:
	v_sub_f32_e32 v2, v6, v3
	s_mov_b32 s8, 0x3fb8aa3b
	v_mul_f32_e32 v6, 0x3fb8aa3b, v2
	v_fma_f32 v7, v2, s8, -v6
	v_rndne_f32_e32 v15, v6
	v_fmac_f32_e32 v7, 0x32a5705f, v2
	v_sub_f32_e32 v6, v6, v15
	v_add_f32_e32 v6, v6, v7
	v_exp_f32_e32 v6, v6
	v_cvt_i32_f32_e32 v7, v15
	s_mov_b32 s8, 0xc2ce8ed0
	v_cmp_ngt_f32_e32 vcc, s8, v2
	s_mov_b32 s8, 0x42b17218
	v_ldexp_f32 v6, v6, v7
	v_cndmask_b32_e32 v6, 0, v6, vcc
	v_mov_b32_e32 v7, 0x7f800000
	v_cmp_nlt_f32_e32 vcc, s8, v2
	v_cndmask_b32_e32 v50, v7, v6, vcc
	v_add_f32_e32 v2, 1.0, v50
	v_add_f32_e32 v6, -1.0, v2
	v_sub_f32_e32 v7, v6, v2
	v_add_f32_e32 v7, 1.0, v7
	v_sub_f32_e32 v6, v50, v6
	v_add_f32_e32 v15, v6, v7
	v_frexp_mant_f32_e32 v16, v2
	s_mov_b32 s8, 0x3f2aaaab
	v_cvt_f64_f32_e32 v[6:7], v2
	v_frexp_exp_i32_f64_e32 v6, v[6:7]
	v_cmp_gt_f32_e32 vcc, s8, v16
	v_subbrev_co_u32_e32 v16, vcc, 0, v6, vcc
	v_sub_u32_e32 v6, 0, v16
	v_ldexp_f32 v2, v2, v6
	v_ldexp_f32 v6, v15, v6
	v_add_f32_e32 v15, -1.0, v2
	v_add_f32_e32 v7, 1.0, v15
	v_sub_f32_e32 v7, v2, v7
	v_add_f32_e32 v20, v6, v7
	v_add_f32_e32 v7, 1.0, v2
	v_add_f32_e32 v21, -1.0, v7
	v_sub_f32_e32 v2, v2, v21
	v_add_f32_e32 v2, v6, v2
	v_add_f32_e32 v70, v7, v2
	v_rcp_f32_e32 v71, v70
	v_sub_f32_e32 v6, v7, v70
	v_add_f32_e32 v7, v15, v20
	v_add_f32_e32 v2, v2, v6
	v_sub_f32_e32 v6, v15, v7
	v_mul_f32_e32 v80, v7, v71
	v_add_f32_e32 v15, v20, v6
	v_mul_f32_e32 v20, v70, v80
	v_fma_f32 v22, v80, v70, -v20
	v_fmac_f32_e32 v22, v80, v2
	v_add_f32_e32 v6, v20, v22
	v_sub_f32_e32 v21, v7, v6
	v_pk_add_f32 v[68:69], v[6:7], v[20:21] neg_lo:[0,1] neg_hi:[0,1]
	v_mov_b32_e32 v23, v6
	v_pk_add_f32 v[6:7], v[68:69], v[22:23] neg_lo:[0,1] neg_hi:[0,1]
	v_add_f32_e32 v7, v15, v7
	v_add_f32_e32 v6, v6, v7
	;; [unrolled: 1-line block ×3, first 2 shown]
	v_mul_f32_e32 v15, v71, v7
	v_mul_f32_e32 v20, v70, v15
	v_fma_f32 v22, v15, v70, -v20
	v_fmac_f32_e32 v22, v15, v2
	v_sub_f32_e32 v2, v21, v7
	v_add_f32_e32 v2, v6, v2
	v_add_f32_e32 v6, v20, v22
	v_sub_f32_e32 v21, v7, v6
	v_pk_add_f32 v[68:69], v[6:7], v[20:21] neg_lo:[0,1] neg_hi:[0,1]
	v_mov_b32_e32 v23, v6
	v_pk_add_f32 v[6:7], v[68:69], v[22:23] neg_lo:[0,1] neg_hi:[0,1]
	v_add_f32_e32 v2, v2, v7
	v_add_f32_e32 v2, v6, v2
	;; [unrolled: 1-line block ×4, first 2 shown]
	v_sub_f32_e32 v7, v6, v80
	v_mul_f32_e32 v2, v71, v2
	v_sub_f32_e32 v7, v15, v7
	v_add_f32_e32 v2, v7, v2
	v_add_f32_e32 v15, v6, v2
	v_mul_f32_e32 v21, v15, v15
	v_mov_b32_e32 v20, 0x3ecc95a3
	v_fmac_f32_e32 v20, 0x3e9b6dac, v21
	v_mov_b32_e32 v7, 0x3f2aaada
	v_fmac_f32_e32 v7, v21, v20
	v_cvt_f32_i32_e32 v20, v16
	v_sub_f32_e32 v6, v15, v6
	v_sub_f32_e32 v2, v2, v6
	v_mul_f32_e32 v21, v15, v21
	v_mov_b32_e32 v6, 0x3f317218
	s_mov_b32 s8, 0x3f317218
	v_pk_mul_f32 v[6:7], v[20:21], v[6:7]
	v_fma_f32 v22, v20, s8, -v6
	v_ldexp_f32 v23, v15, 1
	v_fmac_f32_e32 v22, 0xb102e308, v20
	v_pk_add_f32 v[20:21], v[6:7], v[22:23]
	v_sub_f32_e32 v15, v21, v23
	v_ldexp_f32 v2, v2, 1
	v_sub_f32_e32 v15, v7, v15
	v_add_f32_e32 v69, v2, v15
	v_mov_b32_e32 v68, v6
	v_pk_add_f32 v[6:7], v[20:21], v[6:7] neg_lo:[0,1] neg_hi:[0,1]
	v_pk_add_f32 v[70:71], v[20:21], v[68:69]
	v_mov_b32_e32 v7, v71
	v_mov_b32_e32 v23, v20
	v_pk_add_f32 v[80:81], v[22:23], v[6:7] neg_lo:[0,1] neg_hi:[0,1]
	v_pk_add_f32 v[6:7], v[22:23], v[6:7]
	v_mov_b32_e32 v2, v7
	v_pk_add_f32 v[22:23], v[2:3], v[20:21] neg_lo:[0,1] neg_hi:[0,1]
	v_mov_b32_e32 v15, v22
	v_pk_add_f32 v[82:83], v[70:71], v[14:15] neg_lo:[0,1] neg_hi:[0,1]
	v_mov_b32_e32 v6, v71
	v_mov_b32_e32 v70, v21
	;; [unrolled: 1-line block ×4, first 2 shown]
	v_pk_add_f32 v[6:7], v[6:7], v[70:71] neg_lo:[0,1] neg_hi:[0,1]
	v_mov_b32_e32 v22, v69
	v_mov_b32_e32 v23, v20
	v_pk_add_f32 v[6:7], v[22:23], v[6:7] neg_lo:[0,1] neg_hi:[0,1]
	v_mov_b32_e32 v82, v80
	v_pk_add_f32 v[20:21], v[82:83], v[6:7]
	v_mov_b32_e32 v16, v21
	v_pk_add_f32 v[22:23], v[20:21], v[16:17]
	v_pk_add_f32 v[68:69], v[2:3], v[22:23]
	v_mov_b32_e32 v21, v68
	v_pk_add_f32 v[70:71], v[20:21], v[80:81] neg_lo:[0,1] neg_hi:[0,1]
	v_mov_b32_e32 v7, v22
	v_sub_f32_e32 v2, v20, v70
	v_pk_add_f32 v[6:7], v[6:7], v[70:71] neg_lo:[0,1] neg_hi:[0,1]
	v_sub_f32_e32 v2, v80, v2
	s_mov_b32 s9, 0x7f800000
	v_add_f32_e32 v2, v6, v2
	s_mov_b32 s8, 0x33800000
	v_add_f32_e32 v2, v2, v7
	v_cmp_eq_f32_e32 vcc, s9, v50
	v_cmp_lt_f32_e64 s[8:9], |v50|, s8
	v_add_f32_e32 v2, v68, v2
	s_or_b64 vcc, vcc, s[8:9]
	v_cndmask_b32_e32 v2, v2, v50, vcc
	v_add_f32_e32 v2, v3, v2
	v_cvt_f16_f32_e32 v15, v2
	v_cvt_f32_f16_e32 v2, v15
	v_mov_b32_e32 v97, v15
.LBB421_352:
	s_or_b64 exec, exec, s[6:7]
	v_max_f32_e32 v3, v53, v53
	v_max_f32_e32 v7, v2, v2
	v_min_f32_e32 v6, v7, v3
	v_cmp_u_f16_e32 vcc, v15, v15
	v_max_f32_e32 v3, v7, v3
	v_cndmask_b32_e32 v6, v6, v2, vcc
	v_cndmask_b32_e32 v3, v3, v2, vcc
	v_cndmask_b32_e64 v6, v6, v53, s[26:27]
	v_cndmask_b32_e64 v3, v3, v53, s[26:27]
	s_movk_i32 s8, 0x1f8
	v_cmp_neq_f32_e32 vcc, v6, v3
	v_cmp_class_f32_e64 s[6:7], v6, s8
	s_or_b64 s[10:11], vcc, s[6:7]
	v_mov_b32_e32 v53, v97
	s_and_saveexec_b64 s[6:7], s[10:11]
	s_cbranch_execz .LBB421_354
; %bb.353:
	v_sub_f32_e32 v2, v6, v3
	s_mov_b32 s9, 0x3fb8aa3b
	v_mul_f32_e32 v6, 0x3fb8aa3b, v2
	v_fma_f32 v7, v2, s9, -v6
	v_rndne_f32_e32 v15, v6
	v_fmac_f32_e32 v7, 0x32a5705f, v2
	v_sub_f32_e32 v6, v6, v15
	v_add_f32_e32 v6, v6, v7
	v_exp_f32_e32 v6, v6
	v_cvt_i32_f32_e32 v7, v15
	s_mov_b32 s9, 0xc2ce8ed0
	v_cmp_ngt_f32_e32 vcc, s9, v2
	s_mov_b32 s9, 0x42b17218
	v_ldexp_f32 v6, v6, v7
	v_cndmask_b32_e32 v6, 0, v6, vcc
	v_mov_b32_e32 v7, 0x7f800000
	v_cmp_nlt_f32_e32 vcc, s9, v2
	v_cndmask_b32_e32 v50, v7, v6, vcc
	v_add_f32_e32 v2, 1.0, v50
	v_add_f32_e32 v6, -1.0, v2
	v_sub_f32_e32 v7, v6, v2
	v_add_f32_e32 v7, 1.0, v7
	v_sub_f32_e32 v6, v50, v6
	v_add_f32_e32 v15, v6, v7
	v_frexp_mant_f32_e32 v16, v2
	s_mov_b32 s9, 0x3f2aaaab
	v_cvt_f64_f32_e32 v[6:7], v2
	v_frexp_exp_i32_f64_e32 v6, v[6:7]
	v_cmp_gt_f32_e32 vcc, s9, v16
	v_subbrev_co_u32_e32 v16, vcc, 0, v6, vcc
	v_sub_u32_e32 v6, 0, v16
	v_ldexp_f32 v2, v2, v6
	v_ldexp_f32 v6, v15, v6
	v_add_f32_e32 v15, -1.0, v2
	v_add_f32_e32 v7, 1.0, v15
	v_sub_f32_e32 v7, v2, v7
	v_add_f32_e32 v20, v6, v7
	v_add_f32_e32 v7, 1.0, v2
	v_add_f32_e32 v21, -1.0, v7
	v_sub_f32_e32 v2, v2, v21
	v_add_f32_e32 v2, v6, v2
	v_add_f32_e32 v53, v7, v2
	v_rcp_f32_e32 v70, v53
	v_sub_f32_e32 v6, v7, v53
	v_add_f32_e32 v7, v15, v20
	v_add_f32_e32 v2, v2, v6
	v_sub_f32_e32 v6, v15, v7
	v_mul_f32_e32 v71, v7, v70
	v_add_f32_e32 v15, v20, v6
	v_mul_f32_e32 v20, v53, v71
	v_fma_f32 v22, v71, v53, -v20
	v_fmac_f32_e32 v22, v71, v2
	v_add_f32_e32 v6, v20, v22
	v_sub_f32_e32 v21, v7, v6
	v_pk_add_f32 v[68:69], v[6:7], v[20:21] neg_lo:[0,1] neg_hi:[0,1]
	v_mov_b32_e32 v23, v6
	v_pk_add_f32 v[6:7], v[68:69], v[22:23] neg_lo:[0,1] neg_hi:[0,1]
	v_add_f32_e32 v7, v15, v7
	v_add_f32_e32 v6, v6, v7
	;; [unrolled: 1-line block ×3, first 2 shown]
	v_mul_f32_e32 v15, v70, v7
	v_mul_f32_e32 v20, v53, v15
	v_fma_f32 v22, v15, v53, -v20
	v_fmac_f32_e32 v22, v15, v2
	v_sub_f32_e32 v2, v21, v7
	v_add_f32_e32 v2, v6, v2
	v_add_f32_e32 v6, v20, v22
	v_sub_f32_e32 v21, v7, v6
	v_pk_add_f32 v[68:69], v[6:7], v[20:21] neg_lo:[0,1] neg_hi:[0,1]
	v_mov_b32_e32 v23, v6
	v_pk_add_f32 v[6:7], v[68:69], v[22:23] neg_lo:[0,1] neg_hi:[0,1]
	v_add_f32_e32 v2, v2, v7
	v_add_f32_e32 v2, v6, v2
	;; [unrolled: 1-line block ×4, first 2 shown]
	v_sub_f32_e32 v7, v6, v71
	v_mul_f32_e32 v2, v70, v2
	v_sub_f32_e32 v7, v15, v7
	v_add_f32_e32 v2, v7, v2
	v_add_f32_e32 v15, v6, v2
	v_mul_f32_e32 v21, v15, v15
	v_mov_b32_e32 v20, 0x3ecc95a3
	v_fmac_f32_e32 v20, 0x3e9b6dac, v21
	v_mov_b32_e32 v7, 0x3f2aaada
	v_fmac_f32_e32 v7, v21, v20
	v_cvt_f32_i32_e32 v20, v16
	v_sub_f32_e32 v6, v15, v6
	v_sub_f32_e32 v2, v2, v6
	v_mul_f32_e32 v21, v15, v21
	v_mov_b32_e32 v6, 0x3f317218
	s_mov_b32 s9, 0x3f317218
	v_pk_mul_f32 v[6:7], v[20:21], v[6:7]
	v_fma_f32 v22, v20, s9, -v6
	v_ldexp_f32 v23, v15, 1
	v_fmac_f32_e32 v22, 0xb102e308, v20
	v_pk_add_f32 v[20:21], v[6:7], v[22:23]
	v_sub_f32_e32 v15, v21, v23
	v_ldexp_f32 v2, v2, 1
	v_sub_f32_e32 v15, v7, v15
	v_add_f32_e32 v69, v2, v15
	v_mov_b32_e32 v68, v6
	v_pk_add_f32 v[6:7], v[20:21], v[6:7] neg_lo:[0,1] neg_hi:[0,1]
	v_pk_add_f32 v[70:71], v[20:21], v[68:69]
	v_mov_b32_e32 v7, v71
	v_mov_b32_e32 v23, v20
	v_pk_add_f32 v[80:81], v[22:23], v[6:7] neg_lo:[0,1] neg_hi:[0,1]
	v_pk_add_f32 v[6:7], v[22:23], v[6:7]
	v_mov_b32_e32 v2, v7
	v_pk_add_f32 v[22:23], v[2:3], v[20:21] neg_lo:[0,1] neg_hi:[0,1]
	v_mov_b32_e32 v15, v22
	v_pk_add_f32 v[82:83], v[70:71], v[14:15] neg_lo:[0,1] neg_hi:[0,1]
	v_mov_b32_e32 v6, v71
	v_mov_b32_e32 v70, v21
	;; [unrolled: 1-line block ×4, first 2 shown]
	v_pk_add_f32 v[6:7], v[6:7], v[70:71] neg_lo:[0,1] neg_hi:[0,1]
	v_mov_b32_e32 v22, v69
	v_mov_b32_e32 v23, v20
	v_pk_add_f32 v[6:7], v[22:23], v[6:7] neg_lo:[0,1] neg_hi:[0,1]
	v_mov_b32_e32 v82, v80
	v_pk_add_f32 v[20:21], v[82:83], v[6:7]
	v_mov_b32_e32 v16, v21
	v_pk_add_f32 v[22:23], v[20:21], v[16:17]
	v_pk_add_f32 v[68:69], v[2:3], v[22:23]
	v_mov_b32_e32 v21, v68
	v_pk_add_f32 v[70:71], v[20:21], v[80:81] neg_lo:[0,1] neg_hi:[0,1]
	v_mov_b32_e32 v7, v22
	v_sub_f32_e32 v2, v20, v70
	v_pk_add_f32 v[6:7], v[6:7], v[70:71] neg_lo:[0,1] neg_hi:[0,1]
	v_sub_f32_e32 v2, v80, v2
	s_mov_b32 s10, 0x7f800000
	v_add_f32_e32 v2, v6, v2
	s_mov_b32 s9, 0x33800000
	v_add_f32_e32 v2, v2, v7
	v_cmp_eq_f32_e32 vcc, s10, v50
	v_cmp_lt_f32_e64 s[10:11], |v50|, s9
	v_add_f32_e32 v2, v68, v2
	s_or_b64 vcc, vcc, s[10:11]
	v_cndmask_b32_e32 v2, v2, v50, vcc
	v_add_f32_e32 v2, v3, v2
	v_cvt_f16_f32_e32 v15, v2
	v_cvt_f32_f16_e32 v2, v15
	v_mov_b32_e32 v53, v15
.LBB421_354:
	s_or_b64 exec, exec, s[6:7]
	v_max_f32_e32 v3, v17, v17
	v_max_f32_e32 v7, v2, v2
	v_min_f32_e32 v6, v7, v3
	v_cmp_u_f16_e32 vcc, v15, v15
	v_max_f32_e32 v3, v7, v3
	v_cndmask_b32_e32 v6, v6, v2, vcc
	v_cndmask_b32_e32 v3, v3, v2, vcc
	v_cndmask_b32_e64 v6, v6, v17, s[28:29]
	v_cndmask_b32_e64 v3, v3, v17, s[28:29]
	v_cmp_neq_f32_e32 vcc, v6, v3
	v_cmp_class_f32_e64 s[6:7], v6, s8
	s_or_b64 s[8:9], vcc, s[6:7]
	v_mov_b32_e32 v68, v53
	s_and_saveexec_b64 s[6:7], s[8:9]
	s_cbranch_execz .LBB421_356
; %bb.355:
	v_sub_f32_e32 v2, v6, v3
	s_mov_b32 s8, 0x3fb8aa3b
	v_mul_f32_e32 v6, 0x3fb8aa3b, v2
	v_fma_f32 v7, v2, s8, -v6
	v_rndne_f32_e32 v15, v6
	v_fmac_f32_e32 v7, 0x32a5705f, v2
	v_sub_f32_e32 v6, v6, v15
	v_add_f32_e32 v6, v6, v7
	v_exp_f32_e32 v6, v6
	v_cvt_i32_f32_e32 v7, v15
	s_mov_b32 s8, 0xc2ce8ed0
	v_cmp_ngt_f32_e32 vcc, s8, v2
	s_mov_b32 s8, 0x42b17218
	v_ldexp_f32 v6, v6, v7
	v_cndmask_b32_e32 v6, 0, v6, vcc
	v_mov_b32_e32 v7, 0x7f800000
	v_cmp_nlt_f32_e32 vcc, s8, v2
	v_cndmask_b32_e32 v50, v7, v6, vcc
	v_add_f32_e32 v2, 1.0, v50
	v_add_f32_e32 v6, -1.0, v2
	v_sub_f32_e32 v7, v6, v2
	v_add_f32_e32 v7, 1.0, v7
	v_sub_f32_e32 v6, v50, v6
	v_add_f32_e32 v15, v6, v7
	v_frexp_mant_f32_e32 v16, v2
	s_mov_b32 s8, 0x3f2aaaab
	v_cvt_f64_f32_e32 v[6:7], v2
	v_frexp_exp_i32_f64_e32 v6, v[6:7]
	v_cmp_gt_f32_e32 vcc, s8, v16
	v_subbrev_co_u32_e32 v68, vcc, 0, v6, vcc
	v_sub_u32_e32 v6, 0, v68
	v_ldexp_f32 v2, v2, v6
	v_ldexp_f32 v6, v15, v6
	v_add_f32_e32 v15, -1.0, v2
	v_add_f32_e32 v7, 1.0, v15
	v_sub_f32_e32 v7, v2, v7
	v_add_f32_e32 v16, v6, v7
	v_add_f32_e32 v7, 1.0, v2
	v_add_f32_e32 v17, -1.0, v7
	v_sub_f32_e32 v2, v2, v17
	v_add_f32_e32 v2, v6, v2
	v_add_f32_e32 v69, v7, v2
	v_rcp_f32_e32 v70, v69
	v_sub_f32_e32 v6, v7, v69
	v_add_f32_e32 v7, v15, v16
	v_add_f32_e32 v2, v2, v6
	v_sub_f32_e32 v6, v15, v7
	v_mul_f32_e32 v71, v7, v70
	v_add_f32_e32 v15, v16, v6
	v_mul_f32_e32 v16, v69, v71
	v_fma_f32 v20, v71, v69, -v16
	v_fmac_f32_e32 v20, v71, v2
	v_add_f32_e32 v6, v16, v20
	v_sub_f32_e32 v17, v7, v6
	v_pk_add_f32 v[22:23], v[6:7], v[16:17] neg_lo:[0,1] neg_hi:[0,1]
	v_mov_b32_e32 v21, v6
	v_pk_add_f32 v[6:7], v[22:23], v[20:21] neg_lo:[0,1] neg_hi:[0,1]
	v_add_f32_e32 v7, v15, v7
	v_add_f32_e32 v6, v6, v7
	;; [unrolled: 1-line block ×3, first 2 shown]
	v_mul_f32_e32 v15, v70, v7
	v_mul_f32_e32 v16, v69, v15
	v_fma_f32 v20, v15, v69, -v16
	v_fmac_f32_e32 v20, v15, v2
	v_sub_f32_e32 v2, v17, v7
	v_add_f32_e32 v2, v6, v2
	v_add_f32_e32 v6, v16, v20
	v_sub_f32_e32 v17, v7, v6
	v_pk_add_f32 v[22:23], v[6:7], v[16:17] neg_lo:[0,1] neg_hi:[0,1]
	v_mov_b32_e32 v21, v6
	v_pk_add_f32 v[6:7], v[22:23], v[20:21] neg_lo:[0,1] neg_hi:[0,1]
	v_add_f32_e32 v2, v2, v7
	v_add_f32_e32 v2, v6, v2
	;; [unrolled: 1-line block ×4, first 2 shown]
	v_sub_f32_e32 v7, v6, v71
	v_mul_f32_e32 v2, v70, v2
	v_sub_f32_e32 v7, v15, v7
	v_add_f32_e32 v2, v7, v2
	v_add_f32_e32 v15, v6, v2
	v_mul_f32_e32 v17, v15, v15
	v_mov_b32_e32 v16, 0x3ecc95a3
	v_fmac_f32_e32 v16, 0x3e9b6dac, v17
	v_mov_b32_e32 v7, 0x3f2aaada
	v_fmac_f32_e32 v7, v17, v16
	v_cvt_f32_i32_e32 v16, v68
	v_sub_f32_e32 v6, v15, v6
	v_sub_f32_e32 v2, v2, v6
	v_mul_f32_e32 v17, v15, v17
	v_mov_b32_e32 v6, 0x3f317218
	s_mov_b32 s8, 0x3f317218
	v_pk_mul_f32 v[6:7], v[16:17], v[6:7]
	v_fma_f32 v20, v16, s8, -v6
	v_ldexp_f32 v21, v15, 1
	v_fmac_f32_e32 v20, 0xb102e308, v16
	v_pk_add_f32 v[16:17], v[6:7], v[20:21]
	v_sub_f32_e32 v15, v17, v21
	v_ldexp_f32 v2, v2, 1
	v_sub_f32_e32 v15, v7, v15
	v_add_f32_e32 v23, v2, v15
	v_mov_b32_e32 v22, v6
	v_pk_add_f32 v[6:7], v[16:17], v[6:7] neg_lo:[0,1] neg_hi:[0,1]
	v_pk_add_f32 v[68:69], v[16:17], v[22:23]
	v_mov_b32_e32 v7, v69
	v_mov_b32_e32 v21, v16
	v_pk_add_f32 v[70:71], v[20:21], v[6:7] neg_lo:[0,1] neg_hi:[0,1]
	v_pk_add_f32 v[6:7], v[20:21], v[6:7]
	v_mov_b32_e32 v2, v7
	v_pk_add_f32 v[20:21], v[2:3], v[16:17] neg_lo:[0,1] neg_hi:[0,1]
	v_mov_b32_e32 v15, v20
	v_pk_add_f32 v[80:81], v[68:69], v[14:15] neg_lo:[0,1] neg_hi:[0,1]
	v_mov_b32_e32 v6, v69
	v_mov_b32_e32 v68, v17
	;; [unrolled: 1-line block ×4, first 2 shown]
	v_pk_add_f32 v[6:7], v[6:7], v[68:69] neg_lo:[0,1] neg_hi:[0,1]
	v_mov_b32_e32 v20, v23
	v_mov_b32_e32 v21, v16
	v_pk_add_f32 v[6:7], v[20:21], v[6:7] neg_lo:[0,1] neg_hi:[0,1]
	v_mov_b32_e32 v80, v70
	v_pk_add_f32 v[16:17], v[80:81], v[6:7]
	v_mov_b32_e32 v20, v17
	v_pk_add_f32 v[20:21], v[16:17], v[20:21]
	v_pk_add_f32 v[22:23], v[2:3], v[20:21]
	v_mov_b32_e32 v17, v22
	v_pk_add_f32 v[68:69], v[16:17], v[70:71] neg_lo:[0,1] neg_hi:[0,1]
	v_mov_b32_e32 v7, v20
	v_sub_f32_e32 v2, v16, v68
	v_pk_add_f32 v[6:7], v[6:7], v[68:69] neg_lo:[0,1] neg_hi:[0,1]
	v_sub_f32_e32 v2, v70, v2
	s_mov_b32 s9, 0x7f800000
	v_add_f32_e32 v2, v6, v2
	s_mov_b32 s8, 0x33800000
	v_add_f32_e32 v2, v2, v7
	v_cmp_eq_f32_e32 vcc, s9, v50
	v_cmp_lt_f32_e64 s[8:9], |v50|, s8
	v_add_f32_e32 v2, v22, v2
	s_or_b64 vcc, vcc, s[8:9]
	v_cndmask_b32_e32 v2, v2, v50, vcc
	v_add_f32_e32 v2, v3, v2
	v_cvt_f16_f32_e32 v15, v2
	v_cvt_f32_f16_e32 v2, v15
	v_mov_b32_e32 v68, v15
.LBB421_356:
	s_or_b64 exec, exec, s[6:7]
	v_max_f32_e32 v3, v54, v54
	v_max_f32_e32 v7, v2, v2
	v_min_f32_e32 v6, v7, v3
	v_cmp_u_f16_e32 vcc, v15, v15
	v_max_f32_e32 v3, v7, v3
	v_cndmask_b32_e32 v6, v6, v2, vcc
	v_cndmask_b32_e32 v3, v3, v2, vcc
	v_cndmask_b32_e64 v6, v6, v54, s[30:31]
	v_cndmask_b32_e64 v3, v3, v54, s[30:31]
	s_movk_i32 s8, 0x1f8
	v_cmp_neq_f32_e32 vcc, v6, v3
	v_cmp_class_f32_e64 s[6:7], v6, s8
	s_or_b64 s[10:11], vcc, s[6:7]
	v_mov_b32_e32 v54, v68
	s_and_saveexec_b64 s[6:7], s[10:11]
	s_cbranch_execz .LBB421_358
; %bb.357:
	v_sub_f32_e32 v2, v6, v3
	s_mov_b32 s9, 0x3fb8aa3b
	v_mul_f32_e32 v6, 0x3fb8aa3b, v2
	v_fma_f32 v7, v2, s9, -v6
	v_rndne_f32_e32 v15, v6
	v_fmac_f32_e32 v7, 0x32a5705f, v2
	v_sub_f32_e32 v6, v6, v15
	v_add_f32_e32 v6, v6, v7
	v_exp_f32_e32 v6, v6
	v_cvt_i32_f32_e32 v7, v15
	s_mov_b32 s9, 0xc2ce8ed0
	v_cmp_ngt_f32_e32 vcc, s9, v2
	s_mov_b32 s9, 0x42b17218
	v_ldexp_f32 v6, v6, v7
	v_cndmask_b32_e32 v6, 0, v6, vcc
	v_mov_b32_e32 v7, 0x7f800000
	v_cmp_nlt_f32_e32 vcc, s9, v2
	v_cndmask_b32_e32 v50, v7, v6, vcc
	v_add_f32_e32 v2, 1.0, v50
	v_add_f32_e32 v6, -1.0, v2
	v_sub_f32_e32 v7, v6, v2
	v_add_f32_e32 v7, 1.0, v7
	v_sub_f32_e32 v6, v50, v6
	v_add_f32_e32 v15, v6, v7
	v_frexp_mant_f32_e32 v16, v2
	s_mov_b32 s9, 0x3f2aaaab
	v_cvt_f64_f32_e32 v[6:7], v2
	v_frexp_exp_i32_f64_e32 v6, v[6:7]
	v_cmp_gt_f32_e32 vcc, s9, v16
	v_subbrev_co_u32_e32 v54, vcc, 0, v6, vcc
	v_sub_u32_e32 v6, 0, v54
	v_ldexp_f32 v2, v2, v6
	v_ldexp_f32 v6, v15, v6
	v_add_f32_e32 v15, -1.0, v2
	v_add_f32_e32 v7, 1.0, v15
	v_sub_f32_e32 v7, v2, v7
	v_add_f32_e32 v16, v6, v7
	v_add_f32_e32 v7, 1.0, v2
	v_add_f32_e32 v17, -1.0, v7
	v_sub_f32_e32 v2, v2, v17
	v_add_f32_e32 v2, v6, v2
	v_add_f32_e32 v69, v7, v2
	v_rcp_f32_e32 v70, v69
	v_sub_f32_e32 v6, v7, v69
	v_add_f32_e32 v7, v15, v16
	v_add_f32_e32 v2, v2, v6
	v_sub_f32_e32 v6, v15, v7
	v_mul_f32_e32 v71, v7, v70
	v_add_f32_e32 v15, v16, v6
	v_mul_f32_e32 v16, v69, v71
	v_fma_f32 v20, v71, v69, -v16
	v_fmac_f32_e32 v20, v71, v2
	v_add_f32_e32 v6, v16, v20
	v_sub_f32_e32 v17, v7, v6
	v_pk_add_f32 v[22:23], v[6:7], v[16:17] neg_lo:[0,1] neg_hi:[0,1]
	v_mov_b32_e32 v21, v6
	v_pk_add_f32 v[6:7], v[22:23], v[20:21] neg_lo:[0,1] neg_hi:[0,1]
	v_add_f32_e32 v7, v15, v7
	v_add_f32_e32 v6, v6, v7
	;; [unrolled: 1-line block ×3, first 2 shown]
	v_mul_f32_e32 v15, v70, v7
	v_mul_f32_e32 v16, v69, v15
	v_fma_f32 v20, v15, v69, -v16
	v_fmac_f32_e32 v20, v15, v2
	v_sub_f32_e32 v2, v17, v7
	v_add_f32_e32 v2, v6, v2
	v_add_f32_e32 v6, v16, v20
	v_sub_f32_e32 v17, v7, v6
	v_pk_add_f32 v[22:23], v[6:7], v[16:17] neg_lo:[0,1] neg_hi:[0,1]
	v_mov_b32_e32 v21, v6
	v_pk_add_f32 v[6:7], v[22:23], v[20:21] neg_lo:[0,1] neg_hi:[0,1]
	v_add_f32_e32 v2, v2, v7
	v_add_f32_e32 v2, v6, v2
	;; [unrolled: 1-line block ×4, first 2 shown]
	v_sub_f32_e32 v7, v6, v71
	v_mul_f32_e32 v2, v70, v2
	v_sub_f32_e32 v7, v15, v7
	v_add_f32_e32 v2, v7, v2
	v_add_f32_e32 v15, v6, v2
	v_mul_f32_e32 v17, v15, v15
	v_mov_b32_e32 v16, 0x3ecc95a3
	v_fmac_f32_e32 v16, 0x3e9b6dac, v17
	v_mov_b32_e32 v7, 0x3f2aaada
	v_fmac_f32_e32 v7, v17, v16
	v_cvt_f32_i32_e32 v16, v54
	v_sub_f32_e32 v6, v15, v6
	v_sub_f32_e32 v2, v2, v6
	v_mul_f32_e32 v17, v15, v17
	v_mov_b32_e32 v6, 0x3f317218
	s_mov_b32 s9, 0x3f317218
	v_pk_mul_f32 v[6:7], v[16:17], v[6:7]
	v_fma_f32 v20, v16, s9, -v6
	v_ldexp_f32 v21, v15, 1
	v_fmac_f32_e32 v20, 0xb102e308, v16
	v_pk_add_f32 v[16:17], v[6:7], v[20:21]
	v_sub_f32_e32 v15, v17, v21
	v_ldexp_f32 v2, v2, 1
	v_sub_f32_e32 v15, v7, v15
	v_add_f32_e32 v23, v2, v15
	v_mov_b32_e32 v22, v6
	v_pk_add_f32 v[6:7], v[16:17], v[6:7] neg_lo:[0,1] neg_hi:[0,1]
	v_pk_add_f32 v[70:71], v[16:17], v[22:23]
	v_mov_b32_e32 v7, v71
	v_mov_b32_e32 v21, v16
	v_pk_add_f32 v[80:81], v[20:21], v[6:7] neg_lo:[0,1] neg_hi:[0,1]
	v_pk_add_f32 v[6:7], v[20:21], v[6:7]
	v_mov_b32_e32 v2, v7
	v_pk_add_f32 v[20:21], v[2:3], v[16:17] neg_lo:[0,1] neg_hi:[0,1]
	v_mov_b32_e32 v15, v20
	v_pk_add_f32 v[82:83], v[70:71], v[14:15] neg_lo:[0,1] neg_hi:[0,1]
	v_mov_b32_e32 v6, v71
	v_mov_b32_e32 v70, v17
	;; [unrolled: 1-line block ×4, first 2 shown]
	v_pk_add_f32 v[6:7], v[6:7], v[70:71] neg_lo:[0,1] neg_hi:[0,1]
	v_mov_b32_e32 v20, v23
	v_mov_b32_e32 v21, v16
	v_pk_add_f32 v[6:7], v[20:21], v[6:7] neg_lo:[0,1] neg_hi:[0,1]
	v_mov_b32_e32 v82, v80
	v_pk_add_f32 v[16:17], v[82:83], v[6:7]
	v_mov_b32_e32 v20, v17
	v_pk_add_f32 v[20:21], v[16:17], v[20:21]
	v_pk_add_f32 v[22:23], v[2:3], v[20:21]
	v_mov_b32_e32 v17, v22
	v_pk_add_f32 v[70:71], v[16:17], v[80:81] neg_lo:[0,1] neg_hi:[0,1]
	v_mov_b32_e32 v7, v20
	v_sub_f32_e32 v2, v16, v70
	v_pk_add_f32 v[6:7], v[6:7], v[70:71] neg_lo:[0,1] neg_hi:[0,1]
	v_sub_f32_e32 v2, v80, v2
	s_mov_b32 s10, 0x7f800000
	v_add_f32_e32 v2, v6, v2
	s_mov_b32 s9, 0x33800000
	v_add_f32_e32 v2, v2, v7
	v_cmp_eq_f32_e32 vcc, s10, v50
	v_cmp_lt_f32_e64 s[10:11], |v50|, s9
	v_add_f32_e32 v2, v22, v2
	s_or_b64 vcc, vcc, s[10:11]
	v_cndmask_b32_e32 v2, v2, v50, vcc
	v_add_f32_e32 v2, v3, v2
	v_cvt_f16_f32_e32 v15, v2
	v_cvt_f32_f16_e32 v2, v15
	v_mov_b32_e32 v54, v15
.LBB421_358:
	s_or_b64 exec, exec, s[6:7]
	v_max_f32_e32 v3, v18, v18
	v_max_f32_e32 v7, v2, v2
	v_min_f32_e32 v6, v7, v3
	v_cmp_u_f16_e32 vcc, v15, v15
	v_max_f32_e32 v3, v7, v3
	v_cndmask_b32_e32 v6, v6, v2, vcc
	v_cndmask_b32_e32 v3, v3, v2, vcc
	v_cndmask_b32_e64 v6, v6, v18, s[34:35]
	v_cndmask_b32_e64 v3, v3, v18, s[34:35]
	v_cmp_neq_f32_e32 vcc, v6, v3
	v_cmp_class_f32_e64 s[6:7], v6, s8
	s_or_b64 s[8:9], vcc, s[6:7]
	v_mov_b32_e32 v69, v54
	s_and_saveexec_b64 s[6:7], s[8:9]
	s_cbranch_execz .LBB421_360
; %bb.359:
	v_sub_f32_e32 v2, v6, v3
	s_mov_b32 s8, 0x3fb8aa3b
	v_mul_f32_e32 v6, 0x3fb8aa3b, v2
	v_fma_f32 v7, v2, s8, -v6
	v_rndne_f32_e32 v15, v6
	v_fmac_f32_e32 v7, 0x32a5705f, v2
	v_sub_f32_e32 v6, v6, v15
	v_add_f32_e32 v6, v6, v7
	v_exp_f32_e32 v6, v6
	v_cvt_i32_f32_e32 v7, v15
	s_mov_b32 s8, 0xc2ce8ed0
	v_cmp_ngt_f32_e32 vcc, s8, v2
	s_mov_b32 s8, 0x42b17218
	v_ldexp_f32 v6, v6, v7
	v_cndmask_b32_e32 v6, 0, v6, vcc
	v_mov_b32_e32 v7, 0x7f800000
	v_cmp_nlt_f32_e32 vcc, s8, v2
	v_cndmask_b32_e32 v50, v7, v6, vcc
	v_add_f32_e32 v2, 1.0, v50
	v_add_f32_e32 v6, -1.0, v2
	v_sub_f32_e32 v7, v6, v2
	v_add_f32_e32 v7, 1.0, v7
	v_sub_f32_e32 v6, v50, v6
	v_add_f32_e32 v15, v6, v7
	v_frexp_mant_f32_e32 v16, v2
	s_mov_b32 s8, 0x3f2aaaab
	v_cvt_f64_f32_e32 v[6:7], v2
	v_frexp_exp_i32_f64_e32 v6, v[6:7]
	v_cmp_gt_f32_e32 vcc, s8, v16
	v_subbrev_co_u32_e32 v18, vcc, 0, v6, vcc
	v_sub_u32_e32 v6, 0, v18
	v_ldexp_f32 v2, v2, v6
	v_ldexp_f32 v6, v15, v6
	v_add_f32_e32 v15, -1.0, v2
	v_add_f32_e32 v7, 1.0, v15
	v_sub_f32_e32 v7, v2, v7
	v_add_f32_e32 v16, v6, v7
	v_add_f32_e32 v7, 1.0, v2
	v_add_f32_e32 v17, -1.0, v7
	v_sub_f32_e32 v2, v2, v17
	v_add_f32_e32 v2, v6, v2
	v_add_f32_e32 v69, v7, v2
	v_rcp_f32_e32 v70, v69
	v_sub_f32_e32 v6, v7, v69
	v_add_f32_e32 v7, v15, v16
	v_add_f32_e32 v2, v2, v6
	v_sub_f32_e32 v6, v15, v7
	v_mul_f32_e32 v71, v7, v70
	v_add_f32_e32 v15, v16, v6
	v_mul_f32_e32 v16, v69, v71
	v_fma_f32 v20, v71, v69, -v16
	v_fmac_f32_e32 v20, v71, v2
	v_add_f32_e32 v6, v16, v20
	v_sub_f32_e32 v17, v7, v6
	v_pk_add_f32 v[22:23], v[6:7], v[16:17] neg_lo:[0,1] neg_hi:[0,1]
	v_mov_b32_e32 v21, v6
	v_pk_add_f32 v[6:7], v[22:23], v[20:21] neg_lo:[0,1] neg_hi:[0,1]
	v_add_f32_e32 v7, v15, v7
	v_add_f32_e32 v6, v6, v7
	;; [unrolled: 1-line block ×3, first 2 shown]
	v_mul_f32_e32 v15, v70, v7
	v_mul_f32_e32 v16, v69, v15
	v_fma_f32 v20, v15, v69, -v16
	v_fmac_f32_e32 v20, v15, v2
	v_sub_f32_e32 v2, v17, v7
	v_add_f32_e32 v2, v6, v2
	v_add_f32_e32 v6, v16, v20
	v_sub_f32_e32 v17, v7, v6
	v_pk_add_f32 v[22:23], v[6:7], v[16:17] neg_lo:[0,1] neg_hi:[0,1]
	v_mov_b32_e32 v21, v6
	v_pk_add_f32 v[6:7], v[22:23], v[20:21] neg_lo:[0,1] neg_hi:[0,1]
	v_add_f32_e32 v2, v2, v7
	v_add_f32_e32 v2, v6, v2
	;; [unrolled: 1-line block ×4, first 2 shown]
	v_sub_f32_e32 v7, v6, v71
	v_mul_f32_e32 v2, v70, v2
	v_sub_f32_e32 v7, v15, v7
	v_add_f32_e32 v2, v7, v2
	v_add_f32_e32 v15, v6, v2
	v_mul_f32_e32 v17, v15, v15
	v_mov_b32_e32 v16, 0x3ecc95a3
	v_fmac_f32_e32 v16, 0x3e9b6dac, v17
	v_mov_b32_e32 v7, 0x3f2aaada
	v_fmac_f32_e32 v7, v17, v16
	v_cvt_f32_i32_e32 v16, v18
	v_sub_f32_e32 v6, v15, v6
	v_sub_f32_e32 v2, v2, v6
	v_mul_f32_e32 v17, v15, v17
	v_mov_b32_e32 v6, 0x3f317218
	s_mov_b32 s8, 0x3f317218
	v_pk_mul_f32 v[6:7], v[16:17], v[6:7]
	v_fma_f32 v20, v16, s8, -v6
	v_ldexp_f32 v21, v15, 1
	v_fmac_f32_e32 v20, 0xb102e308, v16
	v_pk_add_f32 v[16:17], v[6:7], v[20:21]
	v_sub_f32_e32 v15, v17, v21
	v_ldexp_f32 v2, v2, 1
	v_sub_f32_e32 v15, v7, v15
	v_add_f32_e32 v23, v2, v15
	v_mov_b32_e32 v22, v6
	v_pk_add_f32 v[6:7], v[16:17], v[6:7] neg_lo:[0,1] neg_hi:[0,1]
	v_pk_add_f32 v[70:71], v[16:17], v[22:23]
	v_mov_b32_e32 v7, v71
	v_mov_b32_e32 v21, v16
	v_pk_add_f32 v[80:81], v[20:21], v[6:7] neg_lo:[0,1] neg_hi:[0,1]
	v_pk_add_f32 v[6:7], v[20:21], v[6:7]
	v_mov_b32_e32 v2, v7
	v_pk_add_f32 v[20:21], v[2:3], v[16:17] neg_lo:[0,1] neg_hi:[0,1]
	v_mov_b32_e32 v15, v20
	v_pk_add_f32 v[82:83], v[70:71], v[14:15] neg_lo:[0,1] neg_hi:[0,1]
	v_mov_b32_e32 v6, v71
	v_mov_b32_e32 v70, v17
	;; [unrolled: 1-line block ×4, first 2 shown]
	v_pk_add_f32 v[6:7], v[6:7], v[70:71] neg_lo:[0,1] neg_hi:[0,1]
	v_mov_b32_e32 v20, v23
	v_mov_b32_e32 v21, v16
	v_pk_add_f32 v[6:7], v[20:21], v[6:7] neg_lo:[0,1] neg_hi:[0,1]
	v_mov_b32_e32 v82, v80
	v_pk_add_f32 v[16:17], v[82:83], v[6:7]
	v_mov_b32_e32 v18, v17
	v_pk_add_f32 v[20:21], v[16:17], v[18:19]
	v_pk_add_f32 v[22:23], v[2:3], v[20:21]
	v_mov_b32_e32 v17, v22
	v_pk_add_f32 v[70:71], v[16:17], v[80:81] neg_lo:[0,1] neg_hi:[0,1]
	v_mov_b32_e32 v7, v20
	v_sub_f32_e32 v2, v16, v70
	v_pk_add_f32 v[6:7], v[6:7], v[70:71] neg_lo:[0,1] neg_hi:[0,1]
	v_sub_f32_e32 v2, v80, v2
	s_mov_b32 s9, 0x7f800000
	v_add_f32_e32 v2, v6, v2
	s_mov_b32 s8, 0x33800000
	v_add_f32_e32 v2, v2, v7
	v_cmp_eq_f32_e32 vcc, s9, v50
	v_cmp_lt_f32_e64 s[8:9], |v50|, s8
	v_add_f32_e32 v2, v22, v2
	s_or_b64 vcc, vcc, s[8:9]
	v_cndmask_b32_e32 v2, v2, v50, vcc
	v_add_f32_e32 v2, v3, v2
	v_cvt_f16_f32_e32 v15, v2
	v_cvt_f32_f16_e32 v2, v15
	v_mov_b32_e32 v69, v15
.LBB421_360:
	s_or_b64 exec, exec, s[6:7]
	v_max_f32_e32 v3, v55, v55
	v_max_f32_e32 v7, v2, v2
	v_min_f32_e32 v6, v7, v3
	v_cmp_u_f16_e32 vcc, v15, v15
	v_max_f32_e32 v3, v7, v3
	v_cndmask_b32_e32 v6, v6, v2, vcc
	v_cndmask_b32_e32 v3, v3, v2, vcc
	v_cndmask_b32_e64 v6, v6, v55, s[36:37]
	v_cndmask_b32_e64 v3, v3, v55, s[36:37]
	s_movk_i32 s8, 0x1f8
	v_cmp_neq_f32_e32 vcc, v6, v3
	v_cmp_class_f32_e64 s[6:7], v6, s8
	s_or_b64 s[10:11], vcc, s[6:7]
	v_mov_b32_e32 v55, v69
	s_and_saveexec_b64 s[6:7], s[10:11]
	s_cbranch_execz .LBB421_362
; %bb.361:
	v_sub_f32_e32 v2, v6, v3
	s_mov_b32 s9, 0x3fb8aa3b
	v_mul_f32_e32 v6, 0x3fb8aa3b, v2
	v_fma_f32 v7, v2, s9, -v6
	v_rndne_f32_e32 v15, v6
	v_fmac_f32_e32 v7, 0x32a5705f, v2
	v_sub_f32_e32 v6, v6, v15
	v_add_f32_e32 v6, v6, v7
	v_exp_f32_e32 v6, v6
	v_cvt_i32_f32_e32 v7, v15
	s_mov_b32 s9, 0xc2ce8ed0
	v_cmp_ngt_f32_e32 vcc, s9, v2
	s_mov_b32 s9, 0x42b17218
	v_ldexp_f32 v6, v6, v7
	v_cndmask_b32_e32 v6, 0, v6, vcc
	v_mov_b32_e32 v7, 0x7f800000
	v_cmp_nlt_f32_e32 vcc, s9, v2
	v_cndmask_b32_e32 v50, v7, v6, vcc
	v_add_f32_e32 v2, 1.0, v50
	v_add_f32_e32 v6, -1.0, v2
	v_sub_f32_e32 v7, v6, v2
	v_add_f32_e32 v7, 1.0, v7
	v_sub_f32_e32 v6, v50, v6
	v_add_f32_e32 v15, v6, v7
	v_frexp_mant_f32_e32 v16, v2
	s_mov_b32 s9, 0x3f2aaaab
	v_cvt_f64_f32_e32 v[6:7], v2
	v_frexp_exp_i32_f64_e32 v6, v[6:7]
	v_cmp_gt_f32_e32 vcc, s9, v16
	v_subbrev_co_u32_e32 v18, vcc, 0, v6, vcc
	v_sub_u32_e32 v6, 0, v18
	v_ldexp_f32 v2, v2, v6
	v_ldexp_f32 v6, v15, v6
	v_add_f32_e32 v15, -1.0, v2
	v_add_f32_e32 v7, 1.0, v15
	v_sub_f32_e32 v7, v2, v7
	v_add_f32_e32 v16, v6, v7
	v_add_f32_e32 v7, 1.0, v2
	v_add_f32_e32 v17, -1.0, v7
	v_sub_f32_e32 v2, v2, v17
	v_add_f32_e32 v2, v6, v2
	v_add_f32_e32 v55, v7, v2
	v_rcp_f32_e32 v70, v55
	v_sub_f32_e32 v6, v7, v55
	v_add_f32_e32 v7, v15, v16
	v_add_f32_e32 v2, v2, v6
	v_sub_f32_e32 v6, v15, v7
	v_mul_f32_e32 v71, v7, v70
	v_add_f32_e32 v15, v16, v6
	v_mul_f32_e32 v16, v55, v71
	v_fma_f32 v20, v71, v55, -v16
	v_fmac_f32_e32 v20, v71, v2
	v_add_f32_e32 v6, v16, v20
	v_sub_f32_e32 v17, v7, v6
	v_pk_add_f32 v[22:23], v[6:7], v[16:17] neg_lo:[0,1] neg_hi:[0,1]
	v_mov_b32_e32 v21, v6
	v_pk_add_f32 v[6:7], v[22:23], v[20:21] neg_lo:[0,1] neg_hi:[0,1]
	v_add_f32_e32 v7, v15, v7
	v_add_f32_e32 v6, v6, v7
	;; [unrolled: 1-line block ×3, first 2 shown]
	v_mul_f32_e32 v15, v70, v7
	v_mul_f32_e32 v16, v55, v15
	v_fma_f32 v20, v15, v55, -v16
	v_fmac_f32_e32 v20, v15, v2
	v_sub_f32_e32 v2, v17, v7
	v_add_f32_e32 v2, v6, v2
	v_add_f32_e32 v6, v16, v20
	v_sub_f32_e32 v17, v7, v6
	v_pk_add_f32 v[22:23], v[6:7], v[16:17] neg_lo:[0,1] neg_hi:[0,1]
	v_mov_b32_e32 v21, v6
	v_pk_add_f32 v[6:7], v[22:23], v[20:21] neg_lo:[0,1] neg_hi:[0,1]
	v_add_f32_e32 v2, v2, v7
	v_add_f32_e32 v2, v6, v2
	;; [unrolled: 1-line block ×4, first 2 shown]
	v_sub_f32_e32 v7, v6, v71
	v_mul_f32_e32 v2, v70, v2
	v_sub_f32_e32 v7, v15, v7
	v_add_f32_e32 v2, v7, v2
	v_add_f32_e32 v15, v6, v2
	v_mul_f32_e32 v17, v15, v15
	v_mov_b32_e32 v16, 0x3ecc95a3
	v_fmac_f32_e32 v16, 0x3e9b6dac, v17
	v_mov_b32_e32 v7, 0x3f2aaada
	v_fmac_f32_e32 v7, v17, v16
	v_cvt_f32_i32_e32 v16, v18
	v_sub_f32_e32 v6, v15, v6
	v_sub_f32_e32 v2, v2, v6
	v_mul_f32_e32 v17, v15, v17
	v_mov_b32_e32 v6, 0x3f317218
	s_mov_b32 s9, 0x3f317218
	v_pk_mul_f32 v[6:7], v[16:17], v[6:7]
	v_fma_f32 v20, v16, s9, -v6
	v_ldexp_f32 v21, v15, 1
	v_fmac_f32_e32 v20, 0xb102e308, v16
	v_pk_add_f32 v[16:17], v[6:7], v[20:21]
	v_sub_f32_e32 v15, v17, v21
	v_ldexp_f32 v2, v2, 1
	v_sub_f32_e32 v15, v7, v15
	v_add_f32_e32 v23, v2, v15
	v_mov_b32_e32 v22, v6
	v_pk_add_f32 v[6:7], v[16:17], v[6:7] neg_lo:[0,1] neg_hi:[0,1]
	v_pk_add_f32 v[70:71], v[16:17], v[22:23]
	v_mov_b32_e32 v7, v71
	v_mov_b32_e32 v21, v16
	v_pk_add_f32 v[80:81], v[20:21], v[6:7] neg_lo:[0,1] neg_hi:[0,1]
	v_pk_add_f32 v[6:7], v[20:21], v[6:7]
	v_mov_b32_e32 v2, v7
	v_pk_add_f32 v[20:21], v[2:3], v[16:17] neg_lo:[0,1] neg_hi:[0,1]
	v_mov_b32_e32 v15, v20
	v_pk_add_f32 v[82:83], v[70:71], v[14:15] neg_lo:[0,1] neg_hi:[0,1]
	v_mov_b32_e32 v6, v71
	v_mov_b32_e32 v70, v17
	;; [unrolled: 1-line block ×4, first 2 shown]
	v_pk_add_f32 v[6:7], v[6:7], v[70:71] neg_lo:[0,1] neg_hi:[0,1]
	v_mov_b32_e32 v20, v23
	v_mov_b32_e32 v21, v16
	v_pk_add_f32 v[6:7], v[20:21], v[6:7] neg_lo:[0,1] neg_hi:[0,1]
	v_mov_b32_e32 v82, v80
	v_pk_add_f32 v[16:17], v[82:83], v[6:7]
	v_mov_b32_e32 v18, v17
	v_pk_add_f32 v[20:21], v[16:17], v[18:19]
	v_pk_add_f32 v[22:23], v[2:3], v[20:21]
	v_mov_b32_e32 v17, v22
	v_pk_add_f32 v[70:71], v[16:17], v[80:81] neg_lo:[0,1] neg_hi:[0,1]
	v_mov_b32_e32 v7, v20
	v_sub_f32_e32 v2, v16, v70
	v_pk_add_f32 v[6:7], v[6:7], v[70:71] neg_lo:[0,1] neg_hi:[0,1]
	v_sub_f32_e32 v2, v80, v2
	s_mov_b32 s10, 0x7f800000
	v_add_f32_e32 v2, v6, v2
	s_mov_b32 s9, 0x33800000
	v_add_f32_e32 v2, v2, v7
	v_cmp_eq_f32_e32 vcc, s10, v50
	v_cmp_lt_f32_e64 s[10:11], |v50|, s9
	v_add_f32_e32 v2, v22, v2
	s_or_b64 vcc, vcc, s[10:11]
	v_cndmask_b32_e32 v2, v2, v50, vcc
	v_add_f32_e32 v2, v3, v2
	v_cvt_f16_f32_e32 v15, v2
	v_cvt_f32_f16_e32 v2, v15
	v_mov_b32_e32 v55, v15
.LBB421_362:
	s_or_b64 exec, exec, s[6:7]
	v_max_f32_e32 v3, v19, v19
	v_max_f32_e32 v7, v2, v2
	v_min_f32_e32 v6, v7, v3
	v_cmp_u_f16_e32 vcc, v15, v15
	v_max_f32_e32 v3, v7, v3
	v_cndmask_b32_e32 v6, v6, v2, vcc
	v_cndmask_b32_e32 v3, v3, v2, vcc
	v_cndmask_b32_e64 v6, v6, v19, s[38:39]
	v_cndmask_b32_e64 v3, v3, v19, s[38:39]
	v_cmp_neq_f32_e32 vcc, v6, v3
	v_cmp_class_f32_e64 s[6:7], v6, s8
	s_or_b64 s[8:9], vcc, s[6:7]
	v_mov_b32_e32 v70, v55
	s_and_saveexec_b64 s[6:7], s[8:9]
	s_cbranch_execz .LBB421_364
; %bb.363:
	v_sub_f32_e32 v2, v6, v3
	s_mov_b32 s8, 0x3fb8aa3b
	v_mul_f32_e32 v6, 0x3fb8aa3b, v2
	v_fma_f32 v7, v2, s8, -v6
	v_rndne_f32_e32 v15, v6
	v_fmac_f32_e32 v7, 0x32a5705f, v2
	v_sub_f32_e32 v6, v6, v15
	v_add_f32_e32 v6, v6, v7
	v_exp_f32_e32 v6, v6
	v_cvt_i32_f32_e32 v7, v15
	s_mov_b32 s8, 0xc2ce8ed0
	v_cmp_ngt_f32_e32 vcc, s8, v2
	s_mov_b32 s8, 0x42b17218
	v_ldexp_f32 v6, v6, v7
	v_cndmask_b32_e32 v6, 0, v6, vcc
	v_mov_b32_e32 v7, 0x7f800000
	v_cmp_nlt_f32_e32 vcc, s8, v2
	v_cndmask_b32_e32 v50, v7, v6, vcc
	v_add_f32_e32 v2, 1.0, v50
	v_add_f32_e32 v6, -1.0, v2
	v_sub_f32_e32 v7, v6, v2
	v_add_f32_e32 v7, 1.0, v7
	v_sub_f32_e32 v6, v50, v6
	v_add_f32_e32 v15, v6, v7
	v_frexp_mant_f32_e32 v16, v2
	s_mov_b32 s8, 0x3f2aaaab
	v_cvt_f64_f32_e32 v[6:7], v2
	v_frexp_exp_i32_f64_e32 v6, v[6:7]
	v_cmp_gt_f32_e32 vcc, s8, v16
	v_subbrev_co_u32_e32 v22, vcc, 0, v6, vcc
	v_sub_u32_e32 v6, 0, v22
	v_ldexp_f32 v2, v2, v6
	v_ldexp_f32 v6, v15, v6
	v_add_f32_e32 v15, -1.0, v2
	v_add_f32_e32 v7, 1.0, v15
	v_sub_f32_e32 v7, v2, v7
	v_add_f32_e32 v16, v6, v7
	v_add_f32_e32 v7, 1.0, v2
	v_add_f32_e32 v17, -1.0, v7
	v_sub_f32_e32 v2, v2, v17
	v_add_f32_e32 v2, v6, v2
	v_add_f32_e32 v23, v7, v2
	v_rcp_f32_e32 v70, v23
	v_sub_f32_e32 v6, v7, v23
	v_add_f32_e32 v7, v15, v16
	v_add_f32_e32 v2, v2, v6
	v_sub_f32_e32 v6, v15, v7
	v_mul_f32_e32 v71, v7, v70
	v_add_f32_e32 v15, v16, v6
	v_mul_f32_e32 v16, v23, v71
	v_fma_f32 v18, v71, v23, -v16
	v_fmac_f32_e32 v18, v71, v2
	v_add_f32_e32 v6, v16, v18
	v_sub_f32_e32 v17, v7, v6
	v_pk_add_f32 v[20:21], v[6:7], v[16:17] neg_lo:[0,1] neg_hi:[0,1]
	v_mov_b32_e32 v19, v6
	v_pk_add_f32 v[6:7], v[20:21], v[18:19] neg_lo:[0,1] neg_hi:[0,1]
	v_add_f32_e32 v7, v15, v7
	v_add_f32_e32 v6, v6, v7
	;; [unrolled: 1-line block ×3, first 2 shown]
	v_mul_f32_e32 v15, v70, v7
	v_mul_f32_e32 v16, v23, v15
	v_fma_f32 v18, v15, v23, -v16
	v_fmac_f32_e32 v18, v15, v2
	v_sub_f32_e32 v2, v17, v7
	v_add_f32_e32 v2, v6, v2
	v_add_f32_e32 v6, v16, v18
	v_sub_f32_e32 v17, v7, v6
	v_pk_add_f32 v[20:21], v[6:7], v[16:17] neg_lo:[0,1] neg_hi:[0,1]
	v_mov_b32_e32 v19, v6
	v_pk_add_f32 v[6:7], v[20:21], v[18:19] neg_lo:[0,1] neg_hi:[0,1]
	v_add_f32_e32 v2, v2, v7
	v_add_f32_e32 v2, v6, v2
	;; [unrolled: 1-line block ×4, first 2 shown]
	v_sub_f32_e32 v7, v6, v71
	v_mul_f32_e32 v2, v70, v2
	v_sub_f32_e32 v7, v15, v7
	v_add_f32_e32 v2, v7, v2
	v_add_f32_e32 v15, v6, v2
	v_mul_f32_e32 v17, v15, v15
	v_mov_b32_e32 v16, 0x3ecc95a3
	v_fmac_f32_e32 v16, 0x3e9b6dac, v17
	v_mov_b32_e32 v7, 0x3f2aaada
	v_fmac_f32_e32 v7, v17, v16
	v_cvt_f32_i32_e32 v16, v22
	v_sub_f32_e32 v6, v15, v6
	v_sub_f32_e32 v2, v2, v6
	v_mul_f32_e32 v17, v15, v17
	v_mov_b32_e32 v6, 0x3f317218
	s_mov_b32 s8, 0x3f317218
	v_pk_mul_f32 v[6:7], v[16:17], v[6:7]
	v_fma_f32 v18, v16, s8, -v6
	v_ldexp_f32 v19, v15, 1
	v_fmac_f32_e32 v18, 0xb102e308, v16
	v_pk_add_f32 v[16:17], v[6:7], v[18:19]
	v_sub_f32_e32 v15, v17, v19
	v_ldexp_f32 v2, v2, 1
	v_sub_f32_e32 v15, v7, v15
	v_add_f32_e32 v21, v2, v15
	v_mov_b32_e32 v20, v6
	v_pk_add_f32 v[6:7], v[16:17], v[6:7] neg_lo:[0,1] neg_hi:[0,1]
	v_pk_add_f32 v[22:23], v[16:17], v[20:21]
	v_mov_b32_e32 v7, v23
	v_mov_b32_e32 v19, v16
	v_pk_add_f32 v[70:71], v[18:19], v[6:7] neg_lo:[0,1] neg_hi:[0,1]
	v_pk_add_f32 v[6:7], v[18:19], v[6:7]
	v_mov_b32_e32 v2, v7
	v_pk_add_f32 v[18:19], v[2:3], v[16:17] neg_lo:[0,1] neg_hi:[0,1]
	v_mov_b32_e32 v15, v18
	v_pk_add_f32 v[80:81], v[22:23], v[14:15] neg_lo:[0,1] neg_hi:[0,1]
	v_mov_b32_e32 v6, v23
	v_mov_b32_e32 v22, v17
	;; [unrolled: 1-line block ×4, first 2 shown]
	v_pk_add_f32 v[6:7], v[6:7], v[22:23] neg_lo:[0,1] neg_hi:[0,1]
	v_mov_b32_e32 v18, v21
	v_mov_b32_e32 v19, v16
	v_pk_add_f32 v[6:7], v[18:19], v[6:7] neg_lo:[0,1] neg_hi:[0,1]
	v_mov_b32_e32 v80, v70
	v_pk_add_f32 v[16:17], v[80:81], v[6:7]
	v_mov_b32_e32 v18, v17
	v_pk_add_f32 v[18:19], v[16:17], v[18:19]
	v_pk_add_f32 v[20:21], v[2:3], v[18:19]
	v_mov_b32_e32 v17, v20
	v_pk_add_f32 v[22:23], v[16:17], v[70:71] neg_lo:[0,1] neg_hi:[0,1]
	v_mov_b32_e32 v7, v18
	v_sub_f32_e32 v2, v16, v22
	v_pk_add_f32 v[6:7], v[6:7], v[22:23] neg_lo:[0,1] neg_hi:[0,1]
	v_sub_f32_e32 v2, v70, v2
	s_mov_b32 s9, 0x7f800000
	v_add_f32_e32 v2, v6, v2
	s_mov_b32 s8, 0x33800000
	v_add_f32_e32 v2, v2, v7
	v_cmp_eq_f32_e32 vcc, s9, v50
	v_cmp_lt_f32_e64 s[8:9], |v50|, s8
	v_add_f32_e32 v2, v20, v2
	s_or_b64 vcc, vcc, s[8:9]
	v_cndmask_b32_e32 v2, v2, v50, vcc
	v_add_f32_e32 v2, v3, v2
	v_cvt_f16_f32_e32 v15, v2
	v_cvt_f32_f16_e32 v2, v15
	v_mov_b32_e32 v70, v15
.LBB421_364:
	s_or_b64 exec, exec, s[6:7]
	v_max_f32_e32 v3, v64, v64
	v_max_f32_e32 v7, v2, v2
	v_min_f32_e32 v6, v7, v3
	v_cmp_u_f16_e32 vcc, v15, v15
	v_max_f32_e32 v3, v7, v3
	v_cndmask_b32_e32 v6, v6, v2, vcc
	v_cndmask_b32_e32 v3, v3, v2, vcc
	v_cndmask_b32_e64 v6, v6, v64, s[40:41]
	v_cndmask_b32_e64 v3, v3, v64, s[40:41]
	s_movk_i32 s8, 0x1f8
	v_cmp_neq_f32_e32 vcc, v6, v3
	v_cmp_class_f32_e64 s[6:7], v6, s8
	s_or_b64 s[10:11], vcc, s[6:7]
	v_mov_b32_e32 v64, v70
	s_and_saveexec_b64 s[6:7], s[10:11]
	s_cbranch_execz .LBB421_366
; %bb.365:
	v_sub_f32_e32 v2, v6, v3
	s_mov_b32 s9, 0x3fb8aa3b
	v_mul_f32_e32 v6, 0x3fb8aa3b, v2
	v_fma_f32 v7, v2, s9, -v6
	v_rndne_f32_e32 v15, v6
	v_fmac_f32_e32 v7, 0x32a5705f, v2
	v_sub_f32_e32 v6, v6, v15
	v_add_f32_e32 v6, v6, v7
	v_exp_f32_e32 v6, v6
	v_cvt_i32_f32_e32 v7, v15
	s_mov_b32 s9, 0xc2ce8ed0
	v_cmp_ngt_f32_e32 vcc, s9, v2
	s_mov_b32 s9, 0x42b17218
	v_ldexp_f32 v6, v6, v7
	v_cndmask_b32_e32 v6, 0, v6, vcc
	v_mov_b32_e32 v7, 0x7f800000
	v_cmp_nlt_f32_e32 vcc, s9, v2
	v_cndmask_b32_e32 v50, v7, v6, vcc
	v_add_f32_e32 v2, 1.0, v50
	v_add_f32_e32 v6, -1.0, v2
	v_sub_f32_e32 v7, v6, v2
	v_add_f32_e32 v7, 1.0, v7
	v_sub_f32_e32 v6, v50, v6
	v_add_f32_e32 v15, v6, v7
	v_frexp_mant_f32_e32 v16, v2
	s_mov_b32 s9, 0x3f2aaaab
	v_cvt_f64_f32_e32 v[6:7], v2
	v_frexp_exp_i32_f64_e32 v6, v[6:7]
	v_cmp_gt_f32_e32 vcc, s9, v16
	v_subbrev_co_u32_e32 v22, vcc, 0, v6, vcc
	v_sub_u32_e32 v6, 0, v22
	v_ldexp_f32 v2, v2, v6
	v_ldexp_f32 v6, v15, v6
	v_add_f32_e32 v15, -1.0, v2
	v_add_f32_e32 v7, 1.0, v15
	v_sub_f32_e32 v7, v2, v7
	v_add_f32_e32 v16, v6, v7
	v_add_f32_e32 v7, 1.0, v2
	v_add_f32_e32 v17, -1.0, v7
	v_sub_f32_e32 v2, v2, v17
	v_add_f32_e32 v2, v6, v2
	v_add_f32_e32 v23, v7, v2
	v_rcp_f32_e32 v64, v23
	v_sub_f32_e32 v6, v7, v23
	v_add_f32_e32 v7, v15, v16
	v_add_f32_e32 v2, v2, v6
	v_sub_f32_e32 v6, v15, v7
	v_mul_f32_e32 v71, v7, v64
	v_add_f32_e32 v15, v16, v6
	v_mul_f32_e32 v16, v23, v71
	v_fma_f32 v18, v71, v23, -v16
	v_fmac_f32_e32 v18, v71, v2
	v_add_f32_e32 v6, v16, v18
	v_sub_f32_e32 v17, v7, v6
	v_pk_add_f32 v[20:21], v[6:7], v[16:17] neg_lo:[0,1] neg_hi:[0,1]
	v_mov_b32_e32 v19, v6
	v_pk_add_f32 v[6:7], v[20:21], v[18:19] neg_lo:[0,1] neg_hi:[0,1]
	v_add_f32_e32 v7, v15, v7
	v_add_f32_e32 v6, v6, v7
	;; [unrolled: 1-line block ×3, first 2 shown]
	v_mul_f32_e32 v15, v64, v7
	v_mul_f32_e32 v16, v23, v15
	v_fma_f32 v18, v15, v23, -v16
	v_fmac_f32_e32 v18, v15, v2
	v_sub_f32_e32 v2, v17, v7
	v_add_f32_e32 v2, v6, v2
	v_add_f32_e32 v6, v16, v18
	v_sub_f32_e32 v17, v7, v6
	v_pk_add_f32 v[20:21], v[6:7], v[16:17] neg_lo:[0,1] neg_hi:[0,1]
	v_mov_b32_e32 v19, v6
	v_pk_add_f32 v[6:7], v[20:21], v[18:19] neg_lo:[0,1] neg_hi:[0,1]
	v_add_f32_e32 v2, v2, v7
	v_add_f32_e32 v2, v6, v2
	;; [unrolled: 1-line block ×4, first 2 shown]
	v_sub_f32_e32 v7, v6, v71
	v_mul_f32_e32 v2, v64, v2
	v_sub_f32_e32 v7, v15, v7
	v_add_f32_e32 v2, v7, v2
	v_add_f32_e32 v15, v6, v2
	v_mul_f32_e32 v17, v15, v15
	v_mov_b32_e32 v16, 0x3ecc95a3
	v_fmac_f32_e32 v16, 0x3e9b6dac, v17
	v_mov_b32_e32 v7, 0x3f2aaada
	v_fmac_f32_e32 v7, v17, v16
	v_cvt_f32_i32_e32 v16, v22
	v_sub_f32_e32 v6, v15, v6
	v_sub_f32_e32 v2, v2, v6
	v_mul_f32_e32 v17, v15, v17
	v_mov_b32_e32 v6, 0x3f317218
	s_mov_b32 s9, 0x3f317218
	v_pk_mul_f32 v[6:7], v[16:17], v[6:7]
	v_fma_f32 v18, v16, s9, -v6
	v_ldexp_f32 v19, v15, 1
	v_fmac_f32_e32 v18, 0xb102e308, v16
	v_pk_add_f32 v[16:17], v[6:7], v[18:19]
	v_sub_f32_e32 v15, v17, v19
	v_ldexp_f32 v2, v2, 1
	v_sub_f32_e32 v15, v7, v15
	v_add_f32_e32 v21, v2, v15
	v_mov_b32_e32 v20, v6
	v_pk_add_f32 v[6:7], v[16:17], v[6:7] neg_lo:[0,1] neg_hi:[0,1]
	v_pk_add_f32 v[22:23], v[16:17], v[20:21]
	v_mov_b32_e32 v7, v23
	v_mov_b32_e32 v19, v16
	v_pk_add_f32 v[80:81], v[18:19], v[6:7] neg_lo:[0,1] neg_hi:[0,1]
	v_pk_add_f32 v[6:7], v[18:19], v[6:7]
	v_mov_b32_e32 v2, v7
	v_pk_add_f32 v[18:19], v[2:3], v[16:17] neg_lo:[0,1] neg_hi:[0,1]
	v_mov_b32_e32 v15, v18
	v_pk_add_f32 v[82:83], v[22:23], v[14:15] neg_lo:[0,1] neg_hi:[0,1]
	v_mov_b32_e32 v6, v23
	v_mov_b32_e32 v22, v17
	;; [unrolled: 1-line block ×4, first 2 shown]
	v_pk_add_f32 v[6:7], v[6:7], v[22:23] neg_lo:[0,1] neg_hi:[0,1]
	v_mov_b32_e32 v18, v21
	v_mov_b32_e32 v19, v16
	v_pk_add_f32 v[6:7], v[18:19], v[6:7] neg_lo:[0,1] neg_hi:[0,1]
	v_mov_b32_e32 v82, v80
	v_pk_add_f32 v[16:17], v[82:83], v[6:7]
	v_mov_b32_e32 v18, v17
	v_pk_add_f32 v[18:19], v[16:17], v[18:19]
	v_pk_add_f32 v[20:21], v[2:3], v[18:19]
	v_mov_b32_e32 v17, v20
	v_pk_add_f32 v[22:23], v[16:17], v[80:81] neg_lo:[0,1] neg_hi:[0,1]
	v_mov_b32_e32 v7, v18
	v_sub_f32_e32 v2, v16, v22
	v_pk_add_f32 v[6:7], v[6:7], v[22:23] neg_lo:[0,1] neg_hi:[0,1]
	v_sub_f32_e32 v2, v80, v2
	s_mov_b32 s10, 0x7f800000
	v_add_f32_e32 v2, v6, v2
	s_mov_b32 s9, 0x33800000
	v_add_f32_e32 v2, v2, v7
	v_cmp_eq_f32_e32 vcc, s10, v50
	v_cmp_lt_f32_e64 s[10:11], |v50|, s9
	v_add_f32_e32 v2, v20, v2
	s_or_b64 vcc, vcc, s[10:11]
	v_cndmask_b32_e32 v2, v2, v50, vcc
	v_add_f32_e32 v2, v3, v2
	v_cvt_f16_f32_e32 v15, v2
	v_cvt_f32_f16_e32 v2, v15
	v_mov_b32_e32 v64, v15
.LBB421_366:
	s_or_b64 exec, exec, s[6:7]
	v_max_f32_e32 v3, v12, v12
	v_max_f32_e32 v7, v2, v2
	v_min_f32_e32 v6, v7, v3
	v_cmp_u_f16_e32 vcc, v15, v15
	v_max_f32_e32 v3, v7, v3
	v_cndmask_b32_e32 v6, v6, v2, vcc
	v_cndmask_b32_e32 v3, v3, v2, vcc
	v_cndmask_b32_e64 v6, v6, v12, s[42:43]
	v_cndmask_b32_e64 v3, v3, v12, s[42:43]
	v_cmp_neq_f32_e32 vcc, v6, v3
	v_cmp_class_f32_e64 s[6:7], v6, s8
	s_or_b64 s[8:9], vcc, s[6:7]
	v_mov_b32_e32 v71, v64
	s_and_saveexec_b64 s[6:7], s[8:9]
	s_cbranch_execz .LBB421_368
; %bb.367:
	v_sub_f32_e32 v2, v6, v3
	s_mov_b32 s8, 0x3fb8aa3b
	v_mul_f32_e32 v6, 0x3fb8aa3b, v2
	v_fma_f32 v7, v2, s8, -v6
	v_rndne_f32_e32 v12, v6
	v_fmac_f32_e32 v7, 0x32a5705f, v2
	v_sub_f32_e32 v6, v6, v12
	v_add_f32_e32 v6, v6, v7
	v_exp_f32_e32 v6, v6
	v_cvt_i32_f32_e32 v7, v12
	s_mov_b32 s8, 0xc2ce8ed0
	v_cmp_ngt_f32_e32 vcc, s8, v2
	s_mov_b32 s8, 0x42b17218
	v_ldexp_f32 v6, v6, v7
	v_cndmask_b32_e32 v6, 0, v6, vcc
	v_mov_b32_e32 v7, 0x7f800000
	v_cmp_nlt_f32_e32 vcc, s8, v2
	v_cndmask_b32_e32 v50, v7, v6, vcc
	v_add_f32_e32 v2, 1.0, v50
	v_add_f32_e32 v6, -1.0, v2
	v_sub_f32_e32 v7, v6, v2
	v_add_f32_e32 v7, 1.0, v7
	v_sub_f32_e32 v6, v50, v6
	v_add_f32_e32 v12, v6, v7
	v_frexp_mant_f32_e32 v15, v2
	s_mov_b32 s8, 0x3f2aaaab
	v_cvt_f64_f32_e32 v[6:7], v2
	v_frexp_exp_i32_f64_e32 v6, v[6:7]
	v_cmp_gt_f32_e32 vcc, s8, v15
	v_subbrev_co_u32_e32 v15, vcc, 0, v6, vcc
	v_sub_u32_e32 v6, 0, v15
	v_ldexp_f32 v2, v2, v6
	v_ldexp_f32 v6, v12, v6
	v_add_f32_e32 v12, -1.0, v2
	v_add_f32_e32 v7, 1.0, v12
	v_sub_f32_e32 v7, v2, v7
	v_add_f32_e32 v16, v6, v7
	v_add_f32_e32 v7, 1.0, v2
	v_add_f32_e32 v17, -1.0, v7
	v_sub_f32_e32 v2, v2, v17
	v_add_f32_e32 v2, v6, v2
	v_add_f32_e32 v22, v7, v2
	v_rcp_f32_e32 v23, v22
	v_sub_f32_e32 v6, v7, v22
	v_add_f32_e32 v7, v12, v16
	v_add_f32_e32 v2, v2, v6
	v_sub_f32_e32 v6, v12, v7
	v_mul_f32_e32 v71, v7, v23
	v_add_f32_e32 v12, v16, v6
	v_mul_f32_e32 v16, v22, v71
	v_fma_f32 v18, v71, v22, -v16
	v_fmac_f32_e32 v18, v71, v2
	v_add_f32_e32 v6, v16, v18
	v_sub_f32_e32 v17, v7, v6
	v_pk_add_f32 v[20:21], v[6:7], v[16:17] neg_lo:[0,1] neg_hi:[0,1]
	v_mov_b32_e32 v19, v6
	v_pk_add_f32 v[6:7], v[20:21], v[18:19] neg_lo:[0,1] neg_hi:[0,1]
	v_add_f32_e32 v7, v12, v7
	v_add_f32_e32 v6, v6, v7
	v_add_f32_e32 v7, v17, v6
	v_mul_f32_e32 v12, v23, v7
	v_mul_f32_e32 v16, v22, v12
	v_fma_f32 v18, v12, v22, -v16
	v_fmac_f32_e32 v18, v12, v2
	v_sub_f32_e32 v2, v17, v7
	v_add_f32_e32 v2, v6, v2
	v_add_f32_e32 v6, v16, v18
	v_sub_f32_e32 v17, v7, v6
	v_pk_add_f32 v[20:21], v[6:7], v[16:17] neg_lo:[0,1] neg_hi:[0,1]
	v_mov_b32_e32 v19, v6
	v_pk_add_f32 v[6:7], v[20:21], v[18:19] neg_lo:[0,1] neg_hi:[0,1]
	v_add_f32_e32 v2, v2, v7
	v_add_f32_e32 v2, v6, v2
	;; [unrolled: 1-line block ×4, first 2 shown]
	v_sub_f32_e32 v7, v6, v71
	v_mul_f32_e32 v2, v23, v2
	v_sub_f32_e32 v7, v12, v7
	v_add_f32_e32 v2, v7, v2
	v_add_f32_e32 v12, v6, v2
	v_mul_f32_e32 v17, v12, v12
	v_mov_b32_e32 v16, 0x3ecc95a3
	v_fmac_f32_e32 v16, 0x3e9b6dac, v17
	v_mov_b32_e32 v7, 0x3f2aaada
	v_fmac_f32_e32 v7, v17, v16
	v_cvt_f32_i32_e32 v16, v15
	v_sub_f32_e32 v6, v12, v6
	v_sub_f32_e32 v2, v2, v6
	v_mul_f32_e32 v17, v12, v17
	v_mov_b32_e32 v6, 0x3f317218
	s_mov_b32 s8, 0x3f317218
	v_pk_mul_f32 v[6:7], v[16:17], v[6:7]
	v_fma_f32 v18, v16, s8, -v6
	v_ldexp_f32 v19, v12, 1
	v_fmac_f32_e32 v18, 0xb102e308, v16
	v_pk_add_f32 v[16:17], v[6:7], v[18:19]
	v_sub_f32_e32 v12, v17, v19
	v_ldexp_f32 v2, v2, 1
	v_sub_f32_e32 v12, v7, v12
	v_add_f32_e32 v21, v2, v12
	v_mov_b32_e32 v20, v6
	v_pk_add_f32 v[6:7], v[16:17], v[6:7] neg_lo:[0,1] neg_hi:[0,1]
	v_pk_add_f32 v[22:23], v[16:17], v[20:21]
	v_mov_b32_e32 v7, v23
	v_mov_b32_e32 v19, v16
	v_pk_add_f32 v[80:81], v[18:19], v[6:7] neg_lo:[0,1] neg_hi:[0,1]
	v_pk_add_f32 v[6:7], v[18:19], v[6:7]
	v_mov_b32_e32 v2, v7
	v_pk_add_f32 v[18:19], v[2:3], v[16:17] neg_lo:[0,1] neg_hi:[0,1]
	v_mov_b32_e32 v15, v18
	v_pk_add_f32 v[82:83], v[22:23], v[14:15] neg_lo:[0,1] neg_hi:[0,1]
	v_mov_b32_e32 v6, v23
	v_mov_b32_e32 v22, v17
	;; [unrolled: 1-line block ×4, first 2 shown]
	v_pk_add_f32 v[6:7], v[6:7], v[22:23] neg_lo:[0,1] neg_hi:[0,1]
	v_mov_b32_e32 v18, v21
	v_mov_b32_e32 v19, v16
	v_pk_add_f32 v[6:7], v[18:19], v[6:7] neg_lo:[0,1] neg_hi:[0,1]
	v_mov_b32_e32 v82, v80
	v_pk_add_f32 v[16:17], v[82:83], v[6:7]
	v_mov_b32_e32 v12, v17
	v_pk_add_f32 v[18:19], v[16:17], v[12:13]
	v_pk_add_f32 v[20:21], v[2:3], v[18:19]
	v_mov_b32_e32 v17, v20
	v_pk_add_f32 v[22:23], v[16:17], v[80:81] neg_lo:[0,1] neg_hi:[0,1]
	v_mov_b32_e32 v7, v18
	v_sub_f32_e32 v2, v16, v22
	v_pk_add_f32 v[6:7], v[6:7], v[22:23] neg_lo:[0,1] neg_hi:[0,1]
	v_sub_f32_e32 v2, v80, v2
	s_mov_b32 s9, 0x7f800000
	v_add_f32_e32 v2, v6, v2
	s_mov_b32 s8, 0x33800000
	v_add_f32_e32 v2, v2, v7
	v_cmp_eq_f32_e32 vcc, s9, v50
	v_cmp_lt_f32_e64 s[8:9], |v50|, s8
	v_add_f32_e32 v2, v20, v2
	s_or_b64 vcc, vcc, s[8:9]
	v_cndmask_b32_e32 v2, v2, v50, vcc
	v_add_f32_e32 v2, v3, v2
	v_cvt_f16_f32_e32 v15, v2
	v_cvt_f32_f16_e32 v2, v15
	v_mov_b32_e32 v71, v15
.LBB421_368:
	s_or_b64 exec, exec, s[6:7]
	v_max_f32_e32 v3, v65, v65
	v_max_f32_e32 v7, v2, v2
	v_min_f32_e32 v6, v7, v3
	v_cmp_u_f16_e32 vcc, v15, v15
	v_max_f32_e32 v3, v7, v3
	v_cndmask_b32_e32 v6, v6, v2, vcc
	v_cndmask_b32_e32 v3, v3, v2, vcc
	v_cndmask_b32_e64 v6, v6, v65, s[44:45]
	v_cndmask_b32_e64 v3, v3, v65, s[44:45]
	s_movk_i32 s8, 0x1f8
	v_cmp_neq_f32_e32 vcc, v6, v3
	v_cmp_class_f32_e64 s[6:7], v6, s8
	s_or_b64 s[10:11], vcc, s[6:7]
	v_mov_b32_e32 v65, v71
	s_and_saveexec_b64 s[6:7], s[10:11]
	s_cbranch_execz .LBB421_370
; %bb.369:
	v_sub_f32_e32 v2, v6, v3
	s_mov_b32 s9, 0x3fb8aa3b
	v_mul_f32_e32 v6, 0x3fb8aa3b, v2
	v_fma_f32 v7, v2, s9, -v6
	v_rndne_f32_e32 v12, v6
	v_fmac_f32_e32 v7, 0x32a5705f, v2
	v_sub_f32_e32 v6, v6, v12
	v_add_f32_e32 v6, v6, v7
	v_exp_f32_e32 v6, v6
	v_cvt_i32_f32_e32 v7, v12
	s_mov_b32 s9, 0xc2ce8ed0
	v_cmp_ngt_f32_e32 vcc, s9, v2
	s_mov_b32 s9, 0x42b17218
	v_ldexp_f32 v6, v6, v7
	v_cndmask_b32_e32 v6, 0, v6, vcc
	v_mov_b32_e32 v7, 0x7f800000
	v_cmp_nlt_f32_e32 vcc, s9, v2
	v_cndmask_b32_e32 v50, v7, v6, vcc
	v_add_f32_e32 v2, 1.0, v50
	v_add_f32_e32 v6, -1.0, v2
	v_sub_f32_e32 v7, v6, v2
	v_add_f32_e32 v7, 1.0, v7
	v_sub_f32_e32 v6, v50, v6
	v_add_f32_e32 v12, v6, v7
	v_frexp_mant_f32_e32 v15, v2
	s_mov_b32 s9, 0x3f2aaaab
	v_cvt_f64_f32_e32 v[6:7], v2
	v_frexp_exp_i32_f64_e32 v6, v[6:7]
	v_cmp_gt_f32_e32 vcc, s9, v15
	v_subbrev_co_u32_e32 v15, vcc, 0, v6, vcc
	v_sub_u32_e32 v6, 0, v15
	v_ldexp_f32 v2, v2, v6
	v_ldexp_f32 v6, v12, v6
	v_add_f32_e32 v12, -1.0, v2
	v_add_f32_e32 v7, 1.0, v12
	v_sub_f32_e32 v7, v2, v7
	v_add_f32_e32 v16, v6, v7
	v_add_f32_e32 v7, 1.0, v2
	v_add_f32_e32 v17, -1.0, v7
	v_sub_f32_e32 v2, v2, v17
	v_add_f32_e32 v2, v6, v2
	v_add_f32_e32 v22, v7, v2
	v_rcp_f32_e32 v23, v22
	v_sub_f32_e32 v6, v7, v22
	v_add_f32_e32 v7, v12, v16
	v_add_f32_e32 v2, v2, v6
	v_sub_f32_e32 v6, v12, v7
	v_mul_f32_e32 v65, v7, v23
	v_add_f32_e32 v12, v16, v6
	v_mul_f32_e32 v16, v22, v65
	v_fma_f32 v18, v65, v22, -v16
	v_fmac_f32_e32 v18, v65, v2
	v_add_f32_e32 v6, v16, v18
	v_sub_f32_e32 v17, v7, v6
	v_pk_add_f32 v[20:21], v[6:7], v[16:17] neg_lo:[0,1] neg_hi:[0,1]
	v_mov_b32_e32 v19, v6
	v_pk_add_f32 v[6:7], v[20:21], v[18:19] neg_lo:[0,1] neg_hi:[0,1]
	v_add_f32_e32 v7, v12, v7
	v_add_f32_e32 v6, v6, v7
	;; [unrolled: 1-line block ×3, first 2 shown]
	v_mul_f32_e32 v12, v23, v7
	v_mul_f32_e32 v16, v22, v12
	v_fma_f32 v18, v12, v22, -v16
	v_fmac_f32_e32 v18, v12, v2
	v_sub_f32_e32 v2, v17, v7
	v_add_f32_e32 v2, v6, v2
	v_add_f32_e32 v6, v16, v18
	v_sub_f32_e32 v17, v7, v6
	v_pk_add_f32 v[20:21], v[6:7], v[16:17] neg_lo:[0,1] neg_hi:[0,1]
	v_mov_b32_e32 v19, v6
	v_pk_add_f32 v[6:7], v[20:21], v[18:19] neg_lo:[0,1] neg_hi:[0,1]
	v_add_f32_e32 v2, v2, v7
	v_add_f32_e32 v2, v6, v2
	;; [unrolled: 1-line block ×4, first 2 shown]
	v_sub_f32_e32 v7, v6, v65
	v_mul_f32_e32 v2, v23, v2
	v_sub_f32_e32 v7, v12, v7
	v_add_f32_e32 v2, v7, v2
	v_add_f32_e32 v12, v6, v2
	v_mul_f32_e32 v17, v12, v12
	v_mov_b32_e32 v16, 0x3ecc95a3
	v_fmac_f32_e32 v16, 0x3e9b6dac, v17
	v_mov_b32_e32 v7, 0x3f2aaada
	v_fmac_f32_e32 v7, v17, v16
	v_cvt_f32_i32_e32 v16, v15
	v_sub_f32_e32 v6, v12, v6
	v_sub_f32_e32 v2, v2, v6
	v_mul_f32_e32 v17, v12, v17
	v_mov_b32_e32 v6, 0x3f317218
	s_mov_b32 s9, 0x3f317218
	v_pk_mul_f32 v[6:7], v[16:17], v[6:7]
	v_fma_f32 v18, v16, s9, -v6
	v_ldexp_f32 v19, v12, 1
	v_fmac_f32_e32 v18, 0xb102e308, v16
	v_pk_add_f32 v[16:17], v[6:7], v[18:19]
	v_sub_f32_e32 v12, v17, v19
	v_ldexp_f32 v2, v2, 1
	v_sub_f32_e32 v12, v7, v12
	v_add_f32_e32 v21, v2, v12
	v_mov_b32_e32 v20, v6
	v_pk_add_f32 v[6:7], v[16:17], v[6:7] neg_lo:[0,1] neg_hi:[0,1]
	v_pk_add_f32 v[22:23], v[16:17], v[20:21]
	v_mov_b32_e32 v7, v23
	v_mov_b32_e32 v19, v16
	v_pk_add_f32 v[80:81], v[18:19], v[6:7] neg_lo:[0,1] neg_hi:[0,1]
	v_pk_add_f32 v[6:7], v[18:19], v[6:7]
	v_mov_b32_e32 v2, v7
	v_pk_add_f32 v[18:19], v[2:3], v[16:17] neg_lo:[0,1] neg_hi:[0,1]
	v_mov_b32_e32 v15, v18
	v_pk_add_f32 v[82:83], v[22:23], v[14:15] neg_lo:[0,1] neg_hi:[0,1]
	v_mov_b32_e32 v6, v23
	v_mov_b32_e32 v22, v17
	;; [unrolled: 1-line block ×4, first 2 shown]
	v_pk_add_f32 v[6:7], v[6:7], v[22:23] neg_lo:[0,1] neg_hi:[0,1]
	v_mov_b32_e32 v18, v21
	v_mov_b32_e32 v19, v16
	v_pk_add_f32 v[6:7], v[18:19], v[6:7] neg_lo:[0,1] neg_hi:[0,1]
	v_mov_b32_e32 v82, v80
	v_pk_add_f32 v[16:17], v[82:83], v[6:7]
	v_mov_b32_e32 v12, v17
	v_pk_add_f32 v[18:19], v[16:17], v[12:13]
	v_pk_add_f32 v[20:21], v[2:3], v[18:19]
	v_mov_b32_e32 v17, v20
	v_pk_add_f32 v[22:23], v[16:17], v[80:81] neg_lo:[0,1] neg_hi:[0,1]
	v_mov_b32_e32 v7, v18
	v_sub_f32_e32 v2, v16, v22
	v_pk_add_f32 v[6:7], v[6:7], v[22:23] neg_lo:[0,1] neg_hi:[0,1]
	v_sub_f32_e32 v2, v80, v2
	s_mov_b32 s10, 0x7f800000
	v_add_f32_e32 v2, v6, v2
	s_mov_b32 s9, 0x33800000
	v_add_f32_e32 v2, v2, v7
	v_cmp_eq_f32_e32 vcc, s10, v50
	v_cmp_lt_f32_e64 s[10:11], |v50|, s9
	v_add_f32_e32 v2, v20, v2
	s_or_b64 vcc, vcc, s[10:11]
	v_cndmask_b32_e32 v2, v2, v50, vcc
	v_add_f32_e32 v2, v3, v2
	v_cvt_f16_f32_e32 v15, v2
	v_cvt_f32_f16_e32 v2, v15
	v_mov_b32_e32 v65, v15
.LBB421_370:
	s_or_b64 exec, exec, s[6:7]
	v_max_f32_e32 v3, v13, v13
	v_max_f32_e32 v7, v2, v2
	v_min_f32_e32 v6, v7, v3
	v_cmp_u_f16_e32 vcc, v15, v15
	v_max_f32_e32 v3, v7, v3
	v_cndmask_b32_e32 v6, v6, v2, vcc
	v_cndmask_b32_e32 v3, v3, v2, vcc
	v_cndmask_b32_e64 v6, v6, v13, s[46:47]
	v_cndmask_b32_e64 v3, v3, v13, s[46:47]
	v_cmp_neq_f32_e32 vcc, v6, v3
	v_cmp_class_f32_e64 s[6:7], v6, s8
	s_or_b64 s[8:9], vcc, s[6:7]
	v_mov_b32_e32 v80, v65
	s_and_saveexec_b64 s[6:7], s[8:9]
	s_cbranch_execz .LBB421_372
; %bb.371:
	v_sub_f32_e32 v2, v6, v3
	s_mov_b32 s8, 0x3fb8aa3b
	v_mul_f32_e32 v6, 0x3fb8aa3b, v2
	v_fma_f32 v7, v2, s8, -v6
	v_rndne_f32_e32 v12, v6
	v_fmac_f32_e32 v7, 0x32a5705f, v2
	v_sub_f32_e32 v6, v6, v12
	v_add_f32_e32 v6, v6, v7
	v_exp_f32_e32 v6, v6
	v_cvt_i32_f32_e32 v7, v12
	s_mov_b32 s8, 0xc2ce8ed0
	v_cmp_ngt_f32_e32 vcc, s8, v2
	s_mov_b32 s8, 0x42b17218
	v_ldexp_f32 v6, v6, v7
	v_cndmask_b32_e32 v6, 0, v6, vcc
	v_mov_b32_e32 v7, 0x7f800000
	v_cmp_nlt_f32_e32 vcc, s8, v2
	v_cndmask_b32_e32 v50, v7, v6, vcc
	v_add_f32_e32 v2, 1.0, v50
	v_add_f32_e32 v6, -1.0, v2
	v_sub_f32_e32 v7, v6, v2
	v_add_f32_e32 v7, 1.0, v7
	v_sub_f32_e32 v6, v50, v6
	v_add_f32_e32 v12, v6, v7
	v_frexp_mant_f32_e32 v13, v2
	s_mov_b32 s8, 0x3f2aaaab
	v_cvt_f64_f32_e32 v[6:7], v2
	v_frexp_exp_i32_f64_e32 v6, v[6:7]
	v_cmp_gt_f32_e32 vcc, s8, v13
	v_subbrev_co_u32_e32 v15, vcc, 0, v6, vcc
	v_sub_u32_e32 v6, 0, v15
	v_ldexp_f32 v2, v2, v6
	v_ldexp_f32 v6, v12, v6
	v_add_f32_e32 v12, -1.0, v2
	v_add_f32_e32 v7, 1.0, v12
	v_sub_f32_e32 v7, v2, v7
	v_add_f32_e32 v13, v6, v7
	v_add_f32_e32 v7, 1.0, v2
	v_add_f32_e32 v16, -1.0, v7
	v_sub_f32_e32 v2, v2, v16
	v_add_f32_e32 v2, v6, v2
	v_add_f32_e32 v20, v7, v2
	v_rcp_f32_e32 v21, v20
	v_sub_f32_e32 v6, v7, v20
	v_add_f32_e32 v7, v12, v13
	v_add_f32_e32 v2, v2, v6
	v_mul_f32_e32 v23, v7, v21
	v_sub_f32_e32 v6, v12, v7
	v_mul_f32_e32 v12, v20, v23
	v_fma_f32 v16, v23, v20, -v12
	v_fmac_f32_e32 v16, v23, v2
	v_add_f32_e32 v22, v13, v6
	v_add_f32_e32 v6, v12, v16
	v_sub_f32_e32 v13, v7, v6
	v_pk_add_f32 v[18:19], v[6:7], v[12:13] neg_lo:[0,1] neg_hi:[0,1]
	v_mov_b32_e32 v17, v6
	v_pk_add_f32 v[6:7], v[18:19], v[16:17] neg_lo:[0,1] neg_hi:[0,1]
	v_add_f32_e32 v7, v22, v7
	v_add_f32_e32 v6, v6, v7
	;; [unrolled: 1-line block ×3, first 2 shown]
	v_mul_f32_e32 v22, v21, v7
	v_mul_f32_e32 v12, v20, v22
	v_fma_f32 v16, v22, v20, -v12
	v_fmac_f32_e32 v16, v22, v2
	v_sub_f32_e32 v2, v13, v7
	v_add_f32_e32 v2, v6, v2
	v_add_f32_e32 v6, v12, v16
	v_sub_f32_e32 v13, v7, v6
	v_pk_add_f32 v[18:19], v[6:7], v[12:13] neg_lo:[0,1] neg_hi:[0,1]
	v_mov_b32_e32 v17, v6
	v_pk_add_f32 v[6:7], v[18:19], v[16:17] neg_lo:[0,1] neg_hi:[0,1]
	v_add_f32_e32 v2, v2, v7
	v_add_f32_e32 v2, v6, v2
	;; [unrolled: 1-line block ×4, first 2 shown]
	v_sub_f32_e32 v7, v6, v23
	v_mul_f32_e32 v2, v21, v2
	v_sub_f32_e32 v7, v22, v7
	v_add_f32_e32 v2, v7, v2
	v_add_f32_e32 v13, v6, v2
	v_mul_f32_e32 v16, v13, v13
	v_mov_b32_e32 v12, 0x3ecc95a3
	v_fmac_f32_e32 v12, 0x3e9b6dac, v16
	v_mov_b32_e32 v7, 0x3f2aaada
	v_fmac_f32_e32 v7, v16, v12
	v_cvt_f32_i32_e32 v12, v15
	v_sub_f32_e32 v6, v13, v6
	v_sub_f32_e32 v2, v2, v6
	v_ldexp_f32 v17, v13, 1
	v_mul_f32_e32 v13, v13, v16
	v_mov_b32_e32 v6, 0x3f317218
	s_mov_b32 s8, 0x3f317218
	v_pk_mul_f32 v[6:7], v[12:13], v[6:7]
	v_fma_f32 v16, v12, s8, -v6
	v_fmac_f32_e32 v16, 0xb102e308, v12
	v_pk_add_f32 v[12:13], v[6:7], v[16:17]
	v_sub_f32_e32 v15, v13, v17
	v_ldexp_f32 v2, v2, 1
	v_sub_f32_e32 v15, v7, v15
	v_add_f32_e32 v19, v2, v15
	v_mov_b32_e32 v18, v6
	v_pk_add_f32 v[6:7], v[12:13], v[6:7] neg_lo:[0,1] neg_hi:[0,1]
	v_pk_add_f32 v[20:21], v[12:13], v[18:19]
	v_mov_b32_e32 v7, v21
	v_mov_b32_e32 v17, v12
	v_pk_add_f32 v[22:23], v[16:17], v[6:7] neg_lo:[0,1] neg_hi:[0,1]
	v_pk_add_f32 v[6:7], v[16:17], v[6:7]
	v_mov_b32_e32 v2, v7
	v_pk_add_f32 v[16:17], v[2:3], v[12:13] neg_lo:[0,1] neg_hi:[0,1]
	v_mov_b32_e32 v15, v16
	v_pk_add_f32 v[80:81], v[20:21], v[14:15] neg_lo:[0,1] neg_hi:[0,1]
	v_mov_b32_e32 v6, v21
	v_mov_b32_e32 v20, v13
	;; [unrolled: 1-line block ×4, first 2 shown]
	v_pk_add_f32 v[6:7], v[6:7], v[20:21] neg_lo:[0,1] neg_hi:[0,1]
	v_mov_b32_e32 v16, v19
	v_mov_b32_e32 v17, v12
	v_pk_add_f32 v[6:7], v[16:17], v[6:7] neg_lo:[0,1] neg_hi:[0,1]
	v_mov_b32_e32 v80, v22
	v_pk_add_f32 v[12:13], v[80:81], v[6:7]
	v_mov_b32_e32 v16, v13
	v_pk_add_f32 v[16:17], v[12:13], v[16:17]
	v_pk_add_f32 v[18:19], v[2:3], v[16:17]
	v_mov_b32_e32 v13, v18
	v_pk_add_f32 v[20:21], v[12:13], v[22:23] neg_lo:[0,1] neg_hi:[0,1]
	v_mov_b32_e32 v7, v16
	v_sub_f32_e32 v2, v12, v20
	v_pk_add_f32 v[6:7], v[6:7], v[20:21] neg_lo:[0,1] neg_hi:[0,1]
	v_sub_f32_e32 v2, v22, v2
	s_mov_b32 s9, 0x7f800000
	v_add_f32_e32 v2, v6, v2
	s_mov_b32 s8, 0x33800000
	v_add_f32_e32 v2, v2, v7
	v_cmp_eq_f32_e32 vcc, s9, v50
	v_cmp_lt_f32_e64 s[8:9], |v50|, s8
	v_add_f32_e32 v2, v18, v2
	s_or_b64 vcc, vcc, s[8:9]
	v_cndmask_b32_e32 v2, v2, v50, vcc
	v_add_f32_e32 v2, v3, v2
	v_cvt_f16_f32_e32 v15, v2
	v_cvt_f32_f16_e32 v2, v15
	v_mov_b32_e32 v80, v15
.LBB421_372:
	s_or_b64 exec, exec, s[6:7]
	v_max_f32_e32 v3, v66, v66
	v_max_f32_e32 v7, v2, v2
	v_min_f32_e32 v6, v7, v3
	v_cmp_u_f16_e32 vcc, v15, v15
	v_max_f32_e32 v3, v7, v3
	v_cndmask_b32_e32 v6, v6, v2, vcc
	v_cndmask_b32_e32 v3, v3, v2, vcc
	v_cndmask_b32_e64 v6, v6, v66, s[48:49]
	v_cndmask_b32_e64 v3, v3, v66, s[48:49]
	s_movk_i32 s8, 0x1f8
	v_cmp_neq_f32_e32 vcc, v6, v3
	v_cmp_class_f32_e64 s[6:7], v6, s8
	s_or_b64 s[10:11], vcc, s[6:7]
	v_mov_b32_e32 v66, v80
	s_and_saveexec_b64 s[6:7], s[10:11]
	s_cbranch_execz .LBB421_374
; %bb.373:
	v_sub_f32_e32 v2, v6, v3
	s_mov_b32 s9, 0x3fb8aa3b
	v_mul_f32_e32 v6, 0x3fb8aa3b, v2
	v_fma_f32 v7, v2, s9, -v6
	v_rndne_f32_e32 v12, v6
	v_fmac_f32_e32 v7, 0x32a5705f, v2
	v_sub_f32_e32 v6, v6, v12
	v_add_f32_e32 v6, v6, v7
	v_exp_f32_e32 v6, v6
	v_cvt_i32_f32_e32 v7, v12
	s_mov_b32 s9, 0xc2ce8ed0
	v_cmp_ngt_f32_e32 vcc, s9, v2
	s_mov_b32 s9, 0x42b17218
	v_ldexp_f32 v6, v6, v7
	v_cndmask_b32_e32 v6, 0, v6, vcc
	v_mov_b32_e32 v7, 0x7f800000
	v_cmp_nlt_f32_e32 vcc, s9, v2
	v_cndmask_b32_e32 v50, v7, v6, vcc
	v_add_f32_e32 v2, 1.0, v50
	v_add_f32_e32 v6, -1.0, v2
	v_sub_f32_e32 v7, v6, v2
	v_add_f32_e32 v7, 1.0, v7
	v_sub_f32_e32 v6, v50, v6
	v_add_f32_e32 v12, v6, v7
	v_frexp_mant_f32_e32 v13, v2
	s_mov_b32 s9, 0x3f2aaaab
	v_cvt_f64_f32_e32 v[6:7], v2
	v_frexp_exp_i32_f64_e32 v6, v[6:7]
	v_cmp_gt_f32_e32 vcc, s9, v13
	v_subbrev_co_u32_e32 v15, vcc, 0, v6, vcc
	v_sub_u32_e32 v6, 0, v15
	v_ldexp_f32 v2, v2, v6
	v_ldexp_f32 v6, v12, v6
	v_add_f32_e32 v12, -1.0, v2
	v_add_f32_e32 v7, 1.0, v12
	v_sub_f32_e32 v7, v2, v7
	v_add_f32_e32 v13, v6, v7
	v_add_f32_e32 v7, 1.0, v2
	v_add_f32_e32 v16, -1.0, v7
	v_sub_f32_e32 v2, v2, v16
	v_add_f32_e32 v2, v6, v2
	v_add_f32_e32 v20, v7, v2
	v_rcp_f32_e32 v21, v20
	v_sub_f32_e32 v6, v7, v20
	v_add_f32_e32 v7, v12, v13
	v_add_f32_e32 v2, v2, v6
	v_mul_f32_e32 v23, v7, v21
	v_sub_f32_e32 v6, v12, v7
	v_mul_f32_e32 v12, v20, v23
	v_fma_f32 v16, v23, v20, -v12
	v_fmac_f32_e32 v16, v23, v2
	v_add_f32_e32 v22, v13, v6
	v_add_f32_e32 v6, v12, v16
	v_sub_f32_e32 v13, v7, v6
	v_pk_add_f32 v[18:19], v[6:7], v[12:13] neg_lo:[0,1] neg_hi:[0,1]
	v_mov_b32_e32 v17, v6
	v_pk_add_f32 v[6:7], v[18:19], v[16:17] neg_lo:[0,1] neg_hi:[0,1]
	v_add_f32_e32 v7, v22, v7
	v_add_f32_e32 v6, v6, v7
	;; [unrolled: 1-line block ×3, first 2 shown]
	v_mul_f32_e32 v22, v21, v7
	v_mul_f32_e32 v12, v20, v22
	v_fma_f32 v16, v22, v20, -v12
	v_fmac_f32_e32 v16, v22, v2
	v_sub_f32_e32 v2, v13, v7
	v_add_f32_e32 v2, v6, v2
	v_add_f32_e32 v6, v12, v16
	v_sub_f32_e32 v13, v7, v6
	v_pk_add_f32 v[18:19], v[6:7], v[12:13] neg_lo:[0,1] neg_hi:[0,1]
	v_mov_b32_e32 v17, v6
	v_pk_add_f32 v[6:7], v[18:19], v[16:17] neg_lo:[0,1] neg_hi:[0,1]
	v_add_f32_e32 v2, v2, v7
	v_add_f32_e32 v2, v6, v2
	;; [unrolled: 1-line block ×4, first 2 shown]
	v_sub_f32_e32 v7, v6, v23
	v_mul_f32_e32 v2, v21, v2
	v_sub_f32_e32 v7, v22, v7
	v_add_f32_e32 v2, v7, v2
	v_add_f32_e32 v13, v6, v2
	v_mul_f32_e32 v16, v13, v13
	v_mov_b32_e32 v12, 0x3ecc95a3
	v_fmac_f32_e32 v12, 0x3e9b6dac, v16
	v_mov_b32_e32 v7, 0x3f2aaada
	v_fmac_f32_e32 v7, v16, v12
	v_cvt_f32_i32_e32 v12, v15
	v_sub_f32_e32 v6, v13, v6
	v_sub_f32_e32 v2, v2, v6
	v_ldexp_f32 v17, v13, 1
	v_mul_f32_e32 v13, v13, v16
	v_mov_b32_e32 v6, 0x3f317218
	s_mov_b32 s9, 0x3f317218
	v_pk_mul_f32 v[6:7], v[12:13], v[6:7]
	v_fma_f32 v16, v12, s9, -v6
	v_fmac_f32_e32 v16, 0xb102e308, v12
	v_pk_add_f32 v[12:13], v[6:7], v[16:17]
	v_sub_f32_e32 v15, v13, v17
	v_ldexp_f32 v2, v2, 1
	v_sub_f32_e32 v15, v7, v15
	v_add_f32_e32 v19, v2, v15
	v_mov_b32_e32 v18, v6
	v_pk_add_f32 v[6:7], v[12:13], v[6:7] neg_lo:[0,1] neg_hi:[0,1]
	v_pk_add_f32 v[20:21], v[12:13], v[18:19]
	v_mov_b32_e32 v7, v21
	v_mov_b32_e32 v17, v12
	v_pk_add_f32 v[22:23], v[16:17], v[6:7] neg_lo:[0,1] neg_hi:[0,1]
	v_pk_add_f32 v[6:7], v[16:17], v[6:7]
	v_mov_b32_e32 v2, v7
	v_pk_add_f32 v[16:17], v[2:3], v[12:13] neg_lo:[0,1] neg_hi:[0,1]
	v_mov_b32_e32 v15, v16
	v_pk_add_f32 v[82:83], v[20:21], v[14:15] neg_lo:[0,1] neg_hi:[0,1]
	v_mov_b32_e32 v6, v21
	v_mov_b32_e32 v20, v13
	;; [unrolled: 1-line block ×4, first 2 shown]
	v_pk_add_f32 v[6:7], v[6:7], v[20:21] neg_lo:[0,1] neg_hi:[0,1]
	v_mov_b32_e32 v16, v19
	v_mov_b32_e32 v17, v12
	v_pk_add_f32 v[6:7], v[16:17], v[6:7] neg_lo:[0,1] neg_hi:[0,1]
	v_mov_b32_e32 v82, v22
	v_pk_add_f32 v[12:13], v[82:83], v[6:7]
	v_mov_b32_e32 v16, v13
	v_pk_add_f32 v[16:17], v[12:13], v[16:17]
	v_pk_add_f32 v[18:19], v[2:3], v[16:17]
	v_mov_b32_e32 v13, v18
	v_pk_add_f32 v[20:21], v[12:13], v[22:23] neg_lo:[0,1] neg_hi:[0,1]
	v_mov_b32_e32 v7, v16
	v_sub_f32_e32 v2, v12, v20
	v_pk_add_f32 v[6:7], v[6:7], v[20:21] neg_lo:[0,1] neg_hi:[0,1]
	v_sub_f32_e32 v2, v22, v2
	s_mov_b32 s10, 0x7f800000
	v_add_f32_e32 v2, v6, v2
	s_mov_b32 s9, 0x33800000
	v_add_f32_e32 v2, v2, v7
	v_cmp_eq_f32_e32 vcc, s10, v50
	v_cmp_lt_f32_e64 s[10:11], |v50|, s9
	v_add_f32_e32 v2, v18, v2
	s_or_b64 vcc, vcc, s[10:11]
	v_cndmask_b32_e32 v2, v2, v50, vcc
	v_add_f32_e32 v2, v3, v2
	v_cvt_f16_f32_e32 v15, v2
	v_cvt_f32_f16_e32 v2, v15
	v_mov_b32_e32 v66, v15
.LBB421_374:
	s_or_b64 exec, exec, s[6:7]
	v_max_f32_e32 v3, v14, v14
	v_max_f32_e32 v7, v2, v2
	v_min_f32_e32 v6, v7, v3
	v_cmp_u_f16_e32 vcc, v15, v15
	v_max_f32_e32 v3, v7, v3
	v_cndmask_b32_e32 v6, v6, v2, vcc
	v_cndmask_b32_e32 v3, v3, v2, vcc
	v_cndmask_b32_e64 v6, v6, v14, s[50:51]
	v_cndmask_b32_e64 v3, v3, v14, s[50:51]
	v_cmp_neq_f32_e32 vcc, v6, v3
	v_cmp_class_f32_e64 s[6:7], v6, s8
	s_or_b64 s[8:9], vcc, s[6:7]
	v_mov_b32_e32 v81, v66
	s_and_saveexec_b64 s[6:7], s[8:9]
	s_cbranch_execz .LBB421_376
; %bb.375:
	v_sub_f32_e32 v2, v6, v3
	s_mov_b32 s8, 0x3fb8aa3b
	v_mul_f32_e32 v6, 0x3fb8aa3b, v2
	v_fma_f32 v7, v2, s8, -v6
	v_rndne_f32_e32 v12, v6
	v_fmac_f32_e32 v7, 0x32a5705f, v2
	v_sub_f32_e32 v6, v6, v12
	v_add_f32_e32 v6, v6, v7
	v_exp_f32_e32 v6, v6
	v_cvt_i32_f32_e32 v7, v12
	s_mov_b32 s8, 0xc2ce8ed0
	v_cmp_ngt_f32_e32 vcc, s8, v2
	s_mov_b32 s8, 0x42b17218
	v_ldexp_f32 v6, v6, v7
	v_cndmask_b32_e32 v6, 0, v6, vcc
	v_mov_b32_e32 v7, 0x7f800000
	v_cmp_nlt_f32_e32 vcc, s8, v2
	v_cndmask_b32_e32 v50, v7, v6, vcc
	v_add_f32_e32 v2, 1.0, v50
	v_add_f32_e32 v6, -1.0, v2
	v_sub_f32_e32 v7, v6, v2
	v_add_f32_e32 v7, 1.0, v7
	v_sub_f32_e32 v6, v50, v6
	v_add_f32_e32 v12, v6, v7
	v_frexp_mant_f32_e32 v13, v2
	s_mov_b32 s8, 0x3f2aaaab
	v_cvt_f64_f32_e32 v[6:7], v2
	v_frexp_exp_i32_f64_e32 v6, v[6:7]
	v_cmp_gt_f32_e32 vcc, s8, v13
	v_subbrev_co_u32_e32 v18, vcc, 0, v6, vcc
	v_sub_u32_e32 v6, 0, v18
	v_ldexp_f32 v2, v2, v6
	v_ldexp_f32 v6, v12, v6
	v_add_f32_e32 v12, -1.0, v2
	v_add_f32_e32 v7, 1.0, v12
	v_sub_f32_e32 v7, v2, v7
	v_add_f32_e32 v13, v6, v7
	v_add_f32_e32 v7, 1.0, v2
	v_add_f32_e32 v14, -1.0, v7
	v_sub_f32_e32 v2, v2, v14
	v_add_f32_e32 v2, v6, v2
	v_add_f32_e32 v19, v7, v2
	v_rcp_f32_e32 v20, v19
	v_sub_f32_e32 v6, v7, v19
	v_add_f32_e32 v7, v12, v13
	v_add_f32_e32 v2, v2, v6
	v_mul_f32_e32 v22, v7, v20
	v_sub_f32_e32 v6, v12, v7
	v_mul_f32_e32 v12, v19, v22
	v_fma_f32 v14, v22, v19, -v12
	v_fmac_f32_e32 v14, v22, v2
	v_add_f32_e32 v21, v13, v6
	v_add_f32_e32 v6, v12, v14
	v_sub_f32_e32 v13, v7, v6
	v_pk_add_f32 v[16:17], v[6:7], v[12:13] neg_lo:[0,1] neg_hi:[0,1]
	v_mov_b32_e32 v15, v6
	v_pk_add_f32 v[6:7], v[16:17], v[14:15] neg_lo:[0,1] neg_hi:[0,1]
	v_add_f32_e32 v7, v21, v7
	v_add_f32_e32 v6, v6, v7
	;; [unrolled: 1-line block ×3, first 2 shown]
	v_mul_f32_e32 v21, v20, v7
	v_mul_f32_e32 v12, v19, v21
	v_fma_f32 v14, v21, v19, -v12
	v_fmac_f32_e32 v14, v21, v2
	v_sub_f32_e32 v2, v13, v7
	v_add_f32_e32 v2, v6, v2
	v_add_f32_e32 v6, v12, v14
	v_sub_f32_e32 v13, v7, v6
	v_pk_add_f32 v[16:17], v[6:7], v[12:13] neg_lo:[0,1] neg_hi:[0,1]
	v_mov_b32_e32 v15, v6
	v_pk_add_f32 v[6:7], v[16:17], v[14:15] neg_lo:[0,1] neg_hi:[0,1]
	v_add_f32_e32 v2, v2, v7
	v_add_f32_e32 v2, v6, v2
	;; [unrolled: 1-line block ×4, first 2 shown]
	v_sub_f32_e32 v7, v6, v22
	v_mul_f32_e32 v2, v20, v2
	v_sub_f32_e32 v7, v21, v7
	v_add_f32_e32 v2, v7, v2
	v_add_f32_e32 v13, v6, v2
	v_mul_f32_e32 v14, v13, v13
	v_mov_b32_e32 v12, 0x3ecc95a3
	v_fmac_f32_e32 v12, 0x3e9b6dac, v14
	v_mov_b32_e32 v7, 0x3f2aaada
	v_fmac_f32_e32 v7, v14, v12
	v_cvt_f32_i32_e32 v12, v18
	v_sub_f32_e32 v6, v13, v6
	v_sub_f32_e32 v2, v2, v6
	v_ldexp_f32 v15, v13, 1
	v_mul_f32_e32 v13, v13, v14
	v_mov_b32_e32 v6, 0x3f317218
	s_mov_b32 s8, 0x3f317218
	v_pk_mul_f32 v[6:7], v[12:13], v[6:7]
	v_fma_f32 v14, v12, s8, -v6
	v_fmac_f32_e32 v14, 0xb102e308, v12
	v_pk_add_f32 v[12:13], v[6:7], v[14:15]
	v_sub_f32_e32 v15, v13, v15
	v_ldexp_f32 v2, v2, 1
	v_sub_f32_e32 v15, v7, v15
	v_add_f32_e32 v17, v2, v15
	v_mov_b32_e32 v16, v6
	v_pk_add_f32 v[6:7], v[12:13], v[6:7] neg_lo:[0,1] neg_hi:[0,1]
	v_pk_add_f32 v[18:19], v[12:13], v[16:17]
	v_mov_b32_e32 v7, v19
	v_mov_b32_e32 v15, v12
	v_pk_add_f32 v[20:21], v[14:15], v[6:7] neg_lo:[0,1] neg_hi:[0,1]
	v_pk_add_f32 v[6:7], v[14:15], v[6:7]
	v_mov_b32_e32 v2, v7
	v_pk_add_f32 v[14:15], v[2:3], v[12:13] neg_lo:[0,1] neg_hi:[0,1]
	v_mov_b32_e32 v15, v14
	v_pk_add_f32 v[22:23], v[18:19], v[14:15] neg_lo:[0,1] neg_hi:[0,1]
	v_mov_b32_e32 v6, v19
	v_mov_b32_e32 v18, v13
	;; [unrolled: 1-line block ×4, first 2 shown]
	v_pk_add_f32 v[6:7], v[6:7], v[18:19] neg_lo:[0,1] neg_hi:[0,1]
	v_mov_b32_e32 v14, v17
	v_mov_b32_e32 v15, v12
	v_pk_add_f32 v[6:7], v[14:15], v[6:7] neg_lo:[0,1] neg_hi:[0,1]
	v_mov_b32_e32 v22, v20
	v_pk_add_f32 v[12:13], v[22:23], v[6:7]
	v_mov_b32_e32 v14, v13
	v_pk_add_f32 v[14:15], v[12:13], v[14:15]
	v_pk_add_f32 v[16:17], v[2:3], v[14:15]
	v_mov_b32_e32 v13, v16
	v_pk_add_f32 v[18:19], v[12:13], v[20:21] neg_lo:[0,1] neg_hi:[0,1]
	v_mov_b32_e32 v7, v14
	v_sub_f32_e32 v2, v12, v18
	v_pk_add_f32 v[6:7], v[6:7], v[18:19] neg_lo:[0,1] neg_hi:[0,1]
	v_sub_f32_e32 v2, v20, v2
	s_mov_b32 s9, 0x7f800000
	v_add_f32_e32 v2, v6, v2
	s_mov_b32 s8, 0x33800000
	v_add_f32_e32 v2, v2, v7
	v_cmp_eq_f32_e32 vcc, s9, v50
	v_cmp_lt_f32_e64 s[8:9], |v50|, s8
	v_add_f32_e32 v2, v16, v2
	s_or_b64 vcc, vcc, s[8:9]
	v_cndmask_b32_e32 v2, v2, v50, vcc
	v_add_f32_e32 v2, v3, v2
	v_cvt_f16_f32_e32 v15, v2
	v_cvt_f32_f16_e32 v2, v15
	v_mov_b32_e32 v81, v15
.LBB421_376:
	s_or_b64 exec, exec, s[6:7]
	v_max_f32_e32 v6, v67, v67
	v_max_f32_e32 v7, v2, v2
	v_min_f32_e32 v3, v7, v6
	v_cmp_u_f16_e32 vcc, v15, v15
	v_max_f32_e32 v6, v7, v6
	v_cndmask_b32_e32 v3, v3, v2, vcc
	v_cndmask_b32_e32 v2, v6, v2, vcc
	v_cndmask_b32_e64 v3, v3, v67, s[52:53]
	v_cndmask_b32_e64 v2, v2, v67, s[52:53]
	s_movk_i32 s6, 0x1f8
	v_cmp_neq_f32_e32 vcc, v3, v2
	v_cmp_class_f32_e64 s[6:7], v3, s6
	s_or_b64 s[8:9], vcc, s[6:7]
	v_mov_b32_e32 v67, v81
	s_and_saveexec_b64 s[6:7], s[8:9]
	s_cbranch_execz .LBB421_378
; %bb.377:
	v_sub_f32_e32 v3, v3, v2
	s_mov_b32 s8, 0x3fb8aa3b
	v_mul_f32_e32 v6, 0x3fb8aa3b, v3
	v_fma_f32 v7, v3, s8, -v6
	v_rndne_f32_e32 v12, v6
	v_fmac_f32_e32 v7, 0x32a5705f, v3
	v_sub_f32_e32 v6, v6, v12
	v_add_f32_e32 v6, v6, v7
	v_exp_f32_e32 v6, v6
	v_cvt_i32_f32_e32 v7, v12
	s_mov_b32 s8, 0xc2ce8ed0
	v_cmp_ngt_f32_e32 vcc, s8, v3
	s_mov_b32 s8, 0x42b17218
	v_ldexp_f32 v6, v6, v7
	v_cndmask_b32_e32 v6, 0, v6, vcc
	v_mov_b32_e32 v7, 0x7f800000
	v_cmp_nlt_f32_e32 vcc, s8, v3
	v_cndmask_b32_e32 v50, v7, v6, vcc
	v_add_f32_e32 v3, 1.0, v50
	v_add_f32_e32 v6, -1.0, v3
	v_sub_f32_e32 v7, v6, v3
	v_add_f32_e32 v7, 1.0, v7
	v_sub_f32_e32 v6, v50, v6
	v_add_f32_e32 v12, v6, v7
	v_frexp_mant_f32_e32 v13, v3
	s_mov_b32 s8, 0x3f2aaaab
	v_cvt_f64_f32_e32 v[6:7], v3
	v_frexp_exp_i32_f64_e32 v6, v[6:7]
	v_cmp_gt_f32_e32 vcc, s8, v13
	v_subbrev_co_u32_e32 v18, vcc, 0, v6, vcc
	v_sub_u32_e32 v6, 0, v18
	v_ldexp_f32 v3, v3, v6
	v_ldexp_f32 v6, v12, v6
	v_add_f32_e32 v12, -1.0, v3
	v_add_f32_e32 v7, 1.0, v12
	v_sub_f32_e32 v7, v3, v7
	v_add_f32_e32 v13, v6, v7
	v_add_f32_e32 v7, 1.0, v3
	v_add_f32_e32 v14, -1.0, v7
	v_sub_f32_e32 v3, v3, v14
	v_add_f32_e32 v3, v6, v3
	v_add_f32_e32 v19, v7, v3
	v_rcp_f32_e32 v20, v19
	v_sub_f32_e32 v6, v7, v19
	v_add_f32_e32 v7, v12, v13
	v_add_f32_e32 v3, v3, v6
	v_mul_f32_e32 v22, v7, v20
	v_sub_f32_e32 v6, v12, v7
	v_mul_f32_e32 v12, v19, v22
	v_fma_f32 v14, v22, v19, -v12
	v_fmac_f32_e32 v14, v22, v3
	v_add_f32_e32 v21, v13, v6
	v_add_f32_e32 v6, v12, v14
	v_sub_f32_e32 v13, v7, v6
	v_pk_add_f32 v[16:17], v[6:7], v[12:13] neg_lo:[0,1] neg_hi:[0,1]
	v_mov_b32_e32 v15, v6
	v_pk_add_f32 v[6:7], v[16:17], v[14:15] neg_lo:[0,1] neg_hi:[0,1]
	v_add_f32_e32 v7, v21, v7
	v_add_f32_e32 v6, v6, v7
	;; [unrolled: 1-line block ×3, first 2 shown]
	v_mul_f32_e32 v21, v20, v7
	v_mul_f32_e32 v12, v19, v21
	v_fma_f32 v14, v21, v19, -v12
	v_fmac_f32_e32 v14, v21, v3
	v_sub_f32_e32 v3, v13, v7
	v_add_f32_e32 v3, v6, v3
	v_add_f32_e32 v6, v12, v14
	v_sub_f32_e32 v13, v7, v6
	v_pk_add_f32 v[16:17], v[6:7], v[12:13] neg_lo:[0,1] neg_hi:[0,1]
	v_mov_b32_e32 v15, v6
	v_pk_add_f32 v[6:7], v[16:17], v[14:15] neg_lo:[0,1] neg_hi:[0,1]
	v_add_f32_e32 v3, v3, v7
	v_add_f32_e32 v3, v6, v3
	;; [unrolled: 1-line block ×4, first 2 shown]
	v_sub_f32_e32 v7, v6, v22
	v_mul_f32_e32 v3, v20, v3
	v_sub_f32_e32 v7, v21, v7
	v_add_f32_e32 v3, v7, v3
	v_add_f32_e32 v13, v6, v3
	v_mul_f32_e32 v14, v13, v13
	v_mov_b32_e32 v12, 0x3ecc95a3
	v_fmac_f32_e32 v12, 0x3e9b6dac, v14
	v_mov_b32_e32 v7, 0x3f2aaada
	v_fmac_f32_e32 v7, v14, v12
	v_cvt_f32_i32_e32 v12, v18
	v_sub_f32_e32 v6, v13, v6
	v_sub_f32_e32 v3, v3, v6
	v_ldexp_f32 v15, v13, 1
	v_mul_f32_e32 v13, v13, v14
	v_mov_b32_e32 v6, 0x3f317218
	s_mov_b32 s8, 0x3f317218
	v_pk_mul_f32 v[6:7], v[12:13], v[6:7]
	v_fma_f32 v14, v12, s8, -v6
	v_fmac_f32_e32 v14, 0xb102e308, v12
	v_pk_add_f32 v[12:13], v[6:7], v[14:15]
	v_sub_f32_e32 v15, v13, v15
	v_ldexp_f32 v3, v3, 1
	v_sub_f32_e32 v15, v7, v15
	v_add_f32_e32 v17, v3, v15
	v_mov_b32_e32 v16, v6
	v_pk_add_f32 v[6:7], v[12:13], v[6:7] neg_lo:[0,1] neg_hi:[0,1]
	v_pk_add_f32 v[18:19], v[12:13], v[16:17]
	v_mov_b32_e32 v7, v19
	v_mov_b32_e32 v15, v12
	v_pk_add_f32 v[20:21], v[14:15], v[6:7] neg_lo:[0,1] neg_hi:[0,1]
	v_pk_add_f32 v[6:7], v[14:15], v[6:7]
	v_mov_b32_e32 v14, v7
	v_pk_add_f32 v[22:23], v[14:15], v[12:13] neg_lo:[0,1] neg_hi:[0,1]
	v_mov_b32_e32 v3, v22
	v_pk_add_f32 v[82:83], v[18:19], v[2:3] neg_lo:[0,1] neg_hi:[0,1]
	v_mov_b32_e32 v6, v19
	v_mov_b32_e32 v18, v13
	;; [unrolled: 1-line block ×4, first 2 shown]
	v_pk_add_f32 v[6:7], v[6:7], v[18:19] neg_lo:[0,1] neg_hi:[0,1]
	v_mov_b32_e32 v16, v17
	v_mov_b32_e32 v17, v12
	v_pk_add_f32 v[6:7], v[16:17], v[6:7] neg_lo:[0,1] neg_hi:[0,1]
	v_mov_b32_e32 v82, v20
	v_pk_add_f32 v[12:13], v[82:83], v[6:7]
	v_mov_b32_e32 v16, v13
	v_pk_add_f32 v[16:17], v[12:13], v[16:17]
	v_pk_add_f32 v[14:15], v[14:15], v[16:17]
	v_mov_b32_e32 v13, v14
	v_pk_add_f32 v[18:19], v[12:13], v[20:21] neg_lo:[0,1] neg_hi:[0,1]
	v_mov_b32_e32 v7, v16
	v_sub_f32_e32 v3, v12, v18
	v_pk_add_f32 v[6:7], v[6:7], v[18:19] neg_lo:[0,1] neg_hi:[0,1]
	v_sub_f32_e32 v3, v20, v3
	s_mov_b32 s9, 0x7f800000
	v_add_f32_e32 v3, v6, v3
	s_mov_b32 s8, 0x33800000
	v_add_f32_e32 v3, v3, v7
	v_cmp_eq_f32_e32 vcc, s9, v50
	v_cmp_lt_f32_e64 s[8:9], |v50|, s8
	v_add_f32_e32 v3, v14, v3
	s_or_b64 vcc, vcc, s[8:9]
	v_cndmask_b32_e32 v3, v3, v50, vcc
	v_add_f32_e32 v2, v2, v3
	v_cvt_f16_f32_e32 v67, v2
.LBB421_378:
	s_or_b64 exec, exec, s[6:7]
	s_and_saveexec_b64 s[6:7], s[56:57]
	s_cbranch_execz .LBB421_380
; %bb.379:
	s_mov_b32 s8, 0x20000
	v_or_b32_sdwa v2, v67, s8 dst_sel:DWORD dst_unused:UNUSED_PAD src0_sel:WORD_0 src1_sel:DWORD
	flat_store_dword v[24:25], v2 offset:256
.LBB421_380:
	s_or_b64 exec, exec, s[6:7]
.LBB421_381:
	v_add_co_u32_e32 v0, vcc, v10, v0
	v_addc_co_u32_e32 v1, vcc, v11, v1, vcc
	v_add_co_u32_e32 v0, vcc, v0, v26
	v_addc_co_u32_e32 v1, vcc, v1, v27, vcc
	s_waitcnt lgkmcnt(0)
	; wave barrier
	s_waitcnt lgkmcnt(0)
	s_and_saveexec_b64 s[6:7], s[4:5]
	s_xor_b64 s[4:5], exec, s[6:7]
	s_cbranch_execz .LBB421_383
; %bb.382:
	s_mov_b32 s6, 0x5040100
	v_perm_b32 v5, v37, v36, s6
	v_perm_b32 v4, v35, v34, s6
	;; [unrolled: 1-line block ×4, first 2 shown]
	ds_write_b128 v29, v[2:5]
	v_perm_b32 v5, v55, v69, s6
	v_perm_b32 v4, v54, v68, s6
	;; [unrolled: 1-line block ×4, first 2 shown]
	ds_write_b128 v29, v[2:5] offset:16
	v_perm_b32 v5, v67, v81, s6
	v_perm_b32 v4, v66, v80, s6
	;; [unrolled: 1-line block ×4, first 2 shown]
	ds_write_b128 v29, v[2:5] offset:32
	s_waitcnt lgkmcnt(0)
	; wave barrier
	s_waitcnt lgkmcnt(0)
	ds_read_u16 v2, v48
	ds_read_u16 v3, v48 offset:128
	ds_read_u16 v4, v48 offset:256
	;; [unrolled: 1-line block ×23, first 2 shown]
	v_add_co_u32_e32 v0, vcc, v0, v48
	v_addc_co_u32_e32 v1, vcc, 0, v1, vcc
	s_waitcnt lgkmcnt(0)
	flat_store_short v[0:1], v2
	flat_store_short v[0:1], v3 offset:128
	flat_store_short v[0:1], v4 offset:256
	;; [unrolled: 1-line block ×23, first 2 shown]
                                        ; implicit-def: $vgpr2_vgpr3_vgpr4_vgpr5
                                        ; implicit-def: $vgpr6_vgpr7_vgpr8_vgpr9
                                        ; implicit-def: $vgpr28
                                        ; implicit-def: $vgpr29
                                        ; implicit-def: $vgpr30
                                        ; implicit-def: $vgpr31
                                        ; implicit-def: $vgpr32
                                        ; implicit-def: $vgpr33
                                        ; implicit-def: $vgpr34
                                        ; implicit-def: $vgpr35
                                        ; implicit-def: $vgpr36
                                        ; implicit-def: $vgpr37
                                        ; implicit-def: $vgpr51
                                        ; implicit-def: $vgpr52
                                        ; implicit-def: $vgpr97
                                        ; implicit-def: $vgpr53
                                        ; implicit-def: $vgpr68
                                        ; implicit-def: $vgpr54
                                        ; implicit-def: $vgpr69
                                        ; implicit-def: $vgpr55
                                        ; implicit-def: $vgpr70
                                        ; implicit-def: $vgpr64
                                        ; implicit-def: $vgpr71
                                        ; implicit-def: $vgpr65
                                        ; implicit-def: $vgpr80
                                        ; implicit-def: $vgpr66
                                        ; implicit-def: $vgpr81
                                        ; implicit-def: $vgpr67
                                        ; implicit-def: $vgpr49
                                        ; implicit-def: $vgpr38
                                        ; implicit-def: $vgpr39
                                        ; implicit-def: $vgpr0
                                        ; implicit-def: $vgpr1
                                        ; implicit-def: $vgpr48
.LBB421_383:
	s_andn2_saveexec_b64 s[6:7], s[4:5]
	s_cbranch_execz .LBB421_524
; %bb.384:
	s_mov_b32 s4, 0x5040100
	v_perm_b32 v13, v37, v36, s4
	v_perm_b32 v12, v35, v34, s4
	;; [unrolled: 1-line block ×4, first 2 shown]
	ds_write_b128 v29, v[10:13]
	v_perm_b32 v13, v55, v69, s4
	v_perm_b32 v12, v54, v68, s4
	;; [unrolled: 1-line block ×4, first 2 shown]
	ds_write_b128 v29, v[10:13] offset:16
	v_perm_b32 v13, v67, v81, s4
	v_perm_b32 v12, v66, v80, s4
	;; [unrolled: 1-line block ×4, first 2 shown]
	ds_write_b128 v29, v[10:13] offset:32
	s_waitcnt lgkmcnt(0)
	; wave barrier
	s_waitcnt lgkmcnt(0)
	ds_read_u16 v3, v48
	ds_read_u16 v2, v48 offset:128
	ds_read_u16 v7, v48 offset:256
	;; [unrolled: 1-line block ×23, first 2 shown]
	v_add_co_u32_e32 v0, vcc, v0, v48
	v_addc_co_u32_e32 v1, vcc, 0, v1, vcc
	v_mov_b32_e32 v29, 0
	v_cmp_lt_u32_e32 vcc, v28, v38
	s_and_saveexec_b64 s[4:5], vcc
	s_cbranch_execz .LBB421_386
; %bb.385:
	s_waitcnt lgkmcnt(0)
	flat_store_short v[0:1], v3
.LBB421_386:
	s_or_b64 exec, exec, s[4:5]
	v_add_u32_e32 v32, 64, v28
	v_cmp_lt_u32_e32 vcc, v32, v38
	s_and_saveexec_b64 s[4:5], vcc
	s_cbranch_execz .LBB421_388
; %bb.387:
	s_waitcnt lgkmcnt(0)
	flat_store_short v[0:1], v2 offset:128
.LBB421_388:
	s_or_b64 exec, exec, s[4:5]
	v_add_u32_e32 v32, 0x80, v28
	v_cmp_lt_u32_e32 vcc, v32, v38
	s_and_saveexec_b64 s[4:5], vcc
	s_cbranch_execz .LBB421_390
; %bb.389:
	s_waitcnt lgkmcnt(0)
	flat_store_short v[0:1], v7 offset:256
.LBB421_390:
	;; [unrolled: 9-line block ×15, first 2 shown]
	s_or_b64 exec, exec, s[4:5]
	v_or_b32_e32 v32, 0x400, v28
	v_cmp_lt_u32_e32 vcc, v32, v38
	s_and_saveexec_b64 s[4:5], vcc
	s_cbranch_execz .LBB421_418
; %bb.417:
	s_waitcnt lgkmcnt(0)
	flat_store_short v[0:1], v24 offset:2048
.LBB421_418:
	s_or_b64 exec, exec, s[4:5]
	v_add_u32_e32 v32, 0x440, v28
	v_cmp_lt_u32_e32 vcc, v32, v38
	s_and_saveexec_b64 s[4:5], vcc
	s_cbranch_execz .LBB421_420
; %bb.419:
	s_waitcnt lgkmcnt(0)
	flat_store_short v[0:1], v30 offset:2176
.LBB421_420:
	s_or_b64 exec, exec, s[4:5]
	v_add_u32_e32 v32, 0x480, v28
	;; [unrolled: 9-line block ×7, first 2 shown]
	v_cmp_lt_u32_e32 vcc, v32, v38
	s_and_saveexec_b64 s[4:5], vcc
	s_cbranch_execz .LBB421_432
; %bb.431:
	s_waitcnt lgkmcnt(0)
	flat_store_short v[0:1], v31 offset:2944
.LBB421_432:
	s_or_b64 exec, exec, s[4:5]
	v_cmp_lt_u64_e32 vcc, 1, v[8:9]
	s_and_saveexec_b64 s[8:9], vcc
	s_cbranch_execz .LBB421_523
; %bb.433:
	s_add_u32 s4, 0, 0xaaaa0000
	s_addc_u32 s5, 0, 42
	s_add_i32 s5, s5, 0xaaaaa80
	s_mul_hi_u32 s13, s4, 0xffffffe8
	s_sub_i32 s13, s13, s4
	s_mul_i32 s14, s5, 0xffffffe8
	s_mul_i32 s10, s4, 0xffffffe8
	s_add_i32 s13, s13, s14
	s_mul_hi_u32 s11, s5, s10
	s_mul_i32 s12, s5, s10
	s_mul_i32 s15, s4, s13
	s_mul_hi_u32 s10, s4, s10
	s_mul_hi_u32 s14, s4, s13
	s_add_u32 s10, s10, s15
	s_addc_u32 s14, 0, s14
	s_add_u32 s10, s10, s12
	s_mul_hi_u32 s15, s5, s13
	s_addc_u32 s10, s14, s11
	s_addc_u32 s11, s15, 0
	s_mul_i32 s12, s5, s13
	v_add_co_u32_e32 v0, vcc, -1, v38
	s_add_u32 s10, s10, s12
	v_addc_co_u32_e32 v1, vcc, -1, v39, vcc
	v_mov_b32_e32 v8, s10
	s_addc_u32 s11, 0, s11
	v_add_co_u32_e32 v32, vcc, s4, v8
	s_cmp_lg_u64 vcc, 0
	s_addc_u32 s10, s5, s11
	v_mad_u64_u32 v[8:9], s[4:5], v0, s10, 0
	v_mul_hi_u32 v33, v0, v32
	v_add_co_u32_e32 v34, vcc, v33, v8
	v_addc_co_u32_e32 v35, vcc, 0, v9, vcc
	v_mad_u64_u32 v[32:33], s[4:5], v1, v32, 0
	v_add_co_u32_e32 v32, vcc, v34, v32
	v_mad_u64_u32 v[8:9], s[4:5], v1, s10, 0
	v_addc_co_u32_e32 v32, vcc, v35, v33, vcc
	v_addc_co_u32_e32 v9, vcc, 0, v9, vcc
	v_add_co_u32_e32 v34, vcc, v32, v8
	v_addc_co_u32_e32 v35, vcc, 0, v9, vcc
	v_mad_u64_u32 v[8:9], s[4:5], v34, 24, 0
	v_mov_b32_e32 v32, v9
	v_mad_u64_u32 v[32:33], s[4:5], v35, 24, v[32:33]
	v_sub_co_u32_e32 v8, vcc, v0, v8
	v_subb_co_u32_e32 v9, vcc, v1, v32, vcc
	v_subrev_co_u32_e32 v32, vcc, 24, v8
	v_subbrev_co_u32_e32 v33, vcc, 0, v9, vcc
	v_cmp_lt_u32_e32 vcc, 23, v32
	v_cndmask_b32_e64 v32, 0, -1, vcc
	v_cmp_eq_u32_e32 vcc, 0, v33
	v_cndmask_b32_e32 v32, -1, v32, vcc
	v_add_co_u32_e32 v33, vcc, 2, v34
	v_addc_co_u32_e32 v36, vcc, 0, v35, vcc
	v_add_co_u32_e32 v37, vcc, 1, v34
	v_cmp_lt_u32_e64 s[4:5], 23, v8
	v_addc_co_u32_e32 v38, vcc, 0, v35, vcc
	v_cndmask_b32_e64 v8, 0, -1, s[4:5]
	v_cmp_eq_u32_e64 s[4:5], 0, v9
	v_cmp_ne_u32_e32 vcc, 0, v32
	v_cndmask_b32_e64 v8, -1, v8, s[4:5]
	v_cndmask_b32_e32 v32, v38, v36, vcc
	v_cmp_ne_u32_e64 s[4:5], 0, v8
	v_cndmask_b32_e32 v8, v37, v33, vcc
	v_cndmask_b32_e64 v9, v35, v32, s[4:5]
	v_cndmask_b32_e64 v8, v34, v8, s[4:5]
	v_cmp_eq_u64_e32 vcc, v[8:9], v[28:29]
	s_and_b64 exec, exec, vcc
	s_cbranch_execz .LBB421_523
; %bb.434:
	v_mul_hi_u32_u24_e32 v8, 24, v28
	v_sub_co_u32_e32 v0, vcc, v0, v49
	v_subb_co_u32_e32 v1, vcc, v1, v8, vcc
	v_cmp_lt_i64_e32 vcc, 11, v[0:1]
	s_mov_b64 s[4:5], 0
	s_mov_b64 s[16:17], 0
	;; [unrolled: 1-line block ×4, first 2 shown]
	s_and_saveexec_b64 s[10:11], vcc
	s_xor_b64 s[10:11], exec, s[10:11]
	s_cbranch_execnz .LBB421_440
; %bb.435:
	s_andn2_saveexec_b64 s[10:11], s[10:11]
	s_cbranch_execnz .LBB421_485
.LBB421_436:
	s_or_b64 exec, exec, s[10:11]
	s_and_saveexec_b64 s[10:11], s[16:17]
	s_cbranch_execnz .LBB421_502
.LBB421_437:
	s_or_b64 exec, exec, s[10:11]
	s_and_saveexec_b64 s[10:11], s[14:15]
	s_cbranch_execnz .LBB421_503
.LBB421_438:
	s_or_b64 exec, exec, s[10:11]
	s_and_saveexec_b64 s[10:11], s[12:13]
	s_xor_b64 s[10:11], exec, s[10:11]
	s_cbranch_execnz .LBB421_504
.LBB421_439:
	s_or_b64 exec, exec, s[10:11]
	s_and_b64 exec, exec, s[4:5]
	s_cbranch_execnz .LBB421_505
	s_branch .LBB421_523
.LBB421_440:
	v_cmp_lt_i64_e32 vcc, 17, v[0:1]
	s_and_saveexec_b64 s[18:19], vcc
	s_xor_b64 s[18:19], exec, s[18:19]
	s_cbranch_execz .LBB421_462
; %bb.441:
	v_cmp_lt_i64_e32 vcc, 20, v[0:1]
                                        ; implicit-def: $vgpr12
	s_and_saveexec_b64 s[20:21], vcc
	s_xor_b64 s[20:21], exec, s[20:21]
	s_cbranch_execz .LBB421_451
; %bb.442:
	v_cmp_lt_i64_e32 vcc, 21, v[0:1]
	s_mov_b64 s[22:23], 0
                                        ; implicit-def: $vgpr12
	s_and_saveexec_b64 s[12:13], vcc
	s_xor_b64 s[12:13], exec, s[12:13]
	s_cbranch_execz .LBB421_448
; %bb.443:
	v_cmp_lt_i64_e32 vcc, 22, v[0:1]
	s_and_saveexec_b64 s[22:23], vcc
	s_xor_b64 s[22:23], exec, s[22:23]
	s_cbranch_execz .LBB421_445
; %bb.444:
	s_waitcnt lgkmcnt(0)
	flat_store_short v[4:5], v31
                                        ; implicit-def: $vgpr27
.LBB421_445:
	s_or_saveexec_b64 s[22:23], s[22:23]
	s_mov_b64 s[24:25], 0
	s_xor_b64 exec, exec, s[22:23]
; %bb.446:
	s_mov_b64 s[24:25], exec
; %bb.447:
	s_or_b64 exec, exec, s[22:23]
	s_and_b64 s[22:23], s[24:25], exec
	s_waitcnt lgkmcnt(0)
	v_mov_b32_e32 v12, v27
                                        ; implicit-def: $vgpr13
.LBB421_448:
	s_andn2_saveexec_b64 s[12:13], s[12:13]
; %bb.449:
	s_mov_b64 s[14:15], exec
                                        ; implicit-def: $vgpr12
; %bb.450:
	s_or_b64 exec, exec, s[12:13]
	s_and_b64 s[12:13], s[22:23], exec
	s_and_b64 s[14:15], s[14:15], exec
                                        ; implicit-def: $vgpr26
                                        ; implicit-def: $vgpr14
                                        ; implicit-def: $vgpr23
.LBB421_451:
	s_andn2_saveexec_b64 s[20:21], s[20:21]
	s_cbranch_execz .LBB421_461
; %bb.452:
	v_cmp_lt_i64_e32 vcc, 18, v[0:1]
	s_mov_b64 s[22:23], 0
	s_and_saveexec_b64 s[16:17], vcc
	s_xor_b64 s[16:17], exec, s[16:17]
	s_cbranch_execz .LBB421_458
; %bb.453:
	v_cmp_lt_i64_e32 vcc, 19, v[0:1]
	s_and_saveexec_b64 s[24:25], vcc
	s_xor_b64 s[24:25], exec, s[24:25]
; %bb.454:
	s_mov_b64 s[22:23], exec
                                        ; implicit-def: $vgpr23
; %bb.455:
	s_andn2_saveexec_b64 s[24:25], s[24:25]
	s_cbranch_execz .LBB421_457
; %bb.456:
	s_waitcnt lgkmcnt(0)
	flat_store_short v[4:5], v23
                                        ; implicit-def: $vgpr14
.LBB421_457:
	s_or_b64 exec, exec, s[24:25]
	s_and_b64 s[22:23], s[22:23], exec
                                        ; implicit-def: $vgpr26
.LBB421_458:
	s_andn2_saveexec_b64 s[16:17], s[16:17]
	s_cbranch_execz .LBB421_460
; %bb.459:
	s_waitcnt lgkmcnt(0)
	flat_store_short v[4:5], v26
                                        ; implicit-def: $vgpr14
.LBB421_460:
	s_or_b64 exec, exec, s[16:17]
	s_and_b64 s[16:17], s[22:23], exec
                                        ; implicit-def: $vgpr12
                                        ; implicit-def: $vgpr13
.LBB421_461:
	s_or_b64 exec, exec, s[20:21]
	s_and_b64 s[12:13], s[12:13], exec
	s_and_b64 s[14:15], s[14:15], exec
	;; [unrolled: 1-line block ×3, first 2 shown]
                                        ; implicit-def: $vgpr20
                                        ; implicit-def: $vgpr15
                                        ; implicit-def: $vgpr16
                                        ; implicit-def: $vgpr24
                                        ; implicit-def: $vgpr30
.LBB421_462:
	s_andn2_saveexec_b64 s[18:19], s[18:19]
	s_cbranch_execz .LBB421_484
; %bb.463:
	v_cmp_lt_i64_e32 vcc, 14, v[0:1]
	s_mov_b64 s[20:21], s[12:13]
	s_and_saveexec_b64 s[22:23], vcc
	s_xor_b64 s[22:23], exec, s[22:23]
	s_cbranch_execz .LBB421_473
; %bb.464:
	v_cmp_lt_i64_e32 vcc, 15, v[0:1]
	s_and_saveexec_b64 s[20:21], vcc
	s_xor_b64 s[20:21], exec, s[20:21]
	s_cbranch_execz .LBB421_470
; %bb.465:
	v_cmp_lt_i64_e32 vcc, 16, v[0:1]
	s_and_saveexec_b64 s[24:25], vcc
	s_xor_b64 s[24:25], exec, s[24:25]
	s_cbranch_execz .LBB421_467
; %bb.466:
	s_waitcnt lgkmcnt(0)
	flat_store_short v[4:5], v30
                                        ; implicit-def: $vgpr24
.LBB421_467:
	s_andn2_saveexec_b64 s[24:25], s[24:25]
	s_cbranch_execz .LBB421_469
; %bb.468:
	s_waitcnt lgkmcnt(0)
	flat_store_short v[4:5], v24
.LBB421_469:
	s_or_b64 exec, exec, s[24:25]
                                        ; implicit-def: $vgpr12
.LBB421_470:
	s_or_saveexec_b64 s[20:21], s[20:21]
	s_mov_b64 s[24:25], s[12:13]
	s_xor_b64 exec, exec, s[20:21]
; %bb.471:
	s_or_b64 s[24:25], s[12:13], exec
; %bb.472:
	s_or_b64 exec, exec, s[20:21]
	s_andn2_b64 s[20:21], s[12:13], exec
	s_and_b64 s[24:25], s[24:25], exec
	s_or_b64 s[20:21], s[20:21], s[24:25]
                                        ; implicit-def: $vgpr20
                                        ; implicit-def: $vgpr15
                                        ; implicit-def: $vgpr16
.LBB421_473:
	s_or_saveexec_b64 s[22:23], s[22:23]
	s_mov_b64 s[24:25], s[14:15]
                                        ; implicit-def: $vgpr13
	s_xor_b64 exec, exec, s[22:23]
	s_cbranch_execz .LBB421_483
; %bb.474:
	v_cmp_lt_i64_e32 vcc, 12, v[0:1]
	s_mov_b64 s[26:27], s[14:15]
	s_mov_b64 s[28:29], s[20:21]
                                        ; implicit-def: $vgpr12
                                        ; implicit-def: $vgpr13
	s_and_saveexec_b64 s[24:25], vcc
	s_xor_b64 s[24:25], exec, s[24:25]
	s_cbranch_execz .LBB421_480
; %bb.475:
	v_cmp_lt_i64_e32 vcc, 13, v[0:1]
	s_mov_b64 s[26:27], s[20:21]
	s_and_saveexec_b64 s[28:29], vcc
	s_xor_b64 s[28:29], exec, s[28:29]
; %bb.476:
	s_or_b64 s[26:27], s[20:21], exec
                                        ; implicit-def: $vgpr15
; %bb.477:
	s_or_saveexec_b64 s[28:29], s[28:29]
	s_mov_b64 vcc, s[14:15]
	s_xor_b64 exec, exec, s[28:29]
; %bb.478:
	s_or_b64 vcc, s[14:15], exec
                                        ; implicit-def: $vgpr16
; %bb.479:
	s_or_b64 exec, exec, s[28:29]
	s_andn2_b64 s[28:29], s[20:21], exec
	s_and_b64 s[26:27], s[26:27], exec
	s_or_b64 s[28:29], s[28:29], s[26:27]
	s_andn2_b64 s[26:27], s[14:15], exec
	s_and_b64 vcc, vcc, exec
	s_or_b64 s[26:27], s[26:27], vcc
	s_waitcnt lgkmcnt(0)
	v_mov_b32_e32 v12, v16
	v_mov_b32_e32 v13, v15
                                        ; implicit-def: $vgpr20
.LBB421_480:
	s_andn2_saveexec_b64 s[24:25], s[24:25]
	s_cbranch_execz .LBB421_482
; %bb.481:
	s_or_b64 s[26:27], s[26:27], exec
                                        ; implicit-def: $vgpr12
	s_waitcnt lgkmcnt(0)
	v_mov_b32_e32 v13, v20
.LBB421_482:
	s_or_b64 exec, exec, s[24:25]
	s_andn2_b64 s[20:21], s[20:21], exec
	s_and_b64 s[24:25], s[28:29], exec
	s_or_b64 s[20:21], s[20:21], s[24:25]
	s_andn2_b64 s[24:25], s[14:15], exec
	s_and_b64 s[26:27], s[26:27], exec
	s_or_b64 s[24:25], s[24:25], s[26:27]
.LBB421_483:
	s_or_b64 exec, exec, s[22:23]
	s_andn2_b64 s[12:13], s[12:13], exec
	s_and_b64 s[20:21], s[20:21], exec
	s_or_b64 s[12:13], s[12:13], s[20:21]
	s_andn2_b64 s[14:15], s[14:15], exec
	s_and_b64 s[20:21], s[24:25], exec
	s_or_b64 s[14:15], s[14:15], s[20:21]
                                        ; implicit-def: $vgpr14
.LBB421_484:
	s_or_b64 exec, exec, s[18:19]
	s_and_b64 s[12:13], s[12:13], exec
	s_and_b64 s[14:15], s[14:15], exec
	;; [unrolled: 1-line block ×3, first 2 shown]
                                        ; implicit-def: $vgpr19
                                        ; implicit-def: $vgpr17
                                        ; implicit-def: $vgpr18
                                        ; implicit-def: $vgpr25
                                        ; implicit-def: $vgpr22
                                        ; implicit-def: $vgpr21
	s_andn2_saveexec_b64 s[10:11], s[10:11]
	s_cbranch_execz .LBB421_436
.LBB421_485:
	v_cmp_lt_i64_e32 vcc, 5, v[0:1]
	s_mov_b64 s[20:21], -1
	s_mov_b64 s[18:19], s[16:17]
	s_mov_b64 s[22:23], s[14:15]
	s_mov_b64 s[24:25], s[12:13]
                                        ; implicit-def: $vgpr12
                                        ; implicit-def: $vgpr13
                                        ; implicit-def: $vgpr14
	s_and_saveexec_b64 s[4:5], vcc
	s_cbranch_execz .LBB421_501
; %bb.486:
	v_cmp_lt_i64_e32 vcc, 8, v[0:1]
	s_mov_b64 s[18:19], s[16:17]
                                        ; implicit-def: $vgpr14
	s_and_saveexec_b64 s[20:21], vcc
	s_xor_b64 s[20:21], exec, s[20:21]
	s_cbranch_execz .LBB421_496
; %bb.487:
	v_cmp_lt_i64_e32 vcc, 9, v[0:1]
	s_and_saveexec_b64 s[18:19], vcc
	s_xor_b64 s[18:19], exec, s[18:19]
	s_cbranch_execz .LBB421_493
; %bb.488:
	v_cmp_lt_i64_e32 vcc, 10, v[0:1]
	s_and_saveexec_b64 s[22:23], vcc
	s_xor_b64 s[22:23], exec, s[22:23]
; %bb.489:
                                        ; implicit-def: $vgpr22
; %bb.490:
	s_andn2_saveexec_b64 s[22:23], s[22:23]
	s_cbranch_execz .LBB421_492
; %bb.491:
	s_waitcnt lgkmcnt(0)
	v_mov_b32_e32 v21, v22
.LBB421_492:
	s_or_b64 exec, exec, s[22:23]
                                        ; implicit-def: $vgpr25
.LBB421_493:
	s_andn2_saveexec_b64 s[18:19], s[18:19]
	s_cbranch_execz .LBB421_495
; %bb.494:
	s_waitcnt lgkmcnt(0)
	v_mov_b32_e32 v21, v25
.LBB421_495:
	s_or_b64 exec, exec, s[18:19]
	s_or_b64 s[18:19], s[16:17], exec
	s_waitcnt lgkmcnt(0)
	v_mov_b32_e32 v14, v21
                                        ; implicit-def: $vgpr19
                                        ; implicit-def: $vgpr17
                                        ; implicit-def: $vgpr18
.LBB421_496:
	s_or_saveexec_b64 s[20:21], s[20:21]
	s_mov_b64 s[22:23], s[14:15]
	s_mov_b64 s[26:27], s[12:13]
                                        ; implicit-def: $vgpr12
                                        ; implicit-def: $vgpr13
	s_xor_b64 exec, exec, s[20:21]
	s_cbranch_execz .LBB421_500
; %bb.497:
	v_cmp_lt_i64_e32 vcc, 6, v[0:1]
	s_mov_b64 s[26:27], -1
	s_mov_b64 s[24:25], s[18:19]
	s_mov_b64 s[22:23], s[14:15]
	s_and_saveexec_b64 s[28:29], vcc
; %bb.498:
	v_cmp_lt_i64_e32 vcc, 7, v[0:1]
	s_andn2_b64 s[24:25], s[18:19], exec
	s_and_b64 vcc, vcc, exec
	s_xor_b64 s[26:27], exec, -1
	s_or_b64 s[22:23], s[14:15], exec
	s_or_b64 s[24:25], s[24:25], vcc
                                        ; implicit-def: $vgpr19
; %bb.499:
	s_or_b64 exec, exec, s[28:29]
	s_andn2_b64 s[28:29], s[12:13], exec
	s_and_b64 s[26:27], s[26:27], exec
	s_or_b64 s[26:27], s[28:29], s[26:27]
	s_andn2_b64 s[28:29], s[14:15], exec
	s_and_b64 s[22:23], s[22:23], exec
	s_andn2_b64 s[18:19], s[18:19], exec
	s_and_b64 s[24:25], s[24:25], exec
	s_or_b64 s[22:23], s[28:29], s[22:23]
	s_or_b64 s[18:19], s[18:19], s[24:25]
	s_waitcnt lgkmcnt(0)
	v_mov_b32_e32 v12, v19
	v_mov_b32_e32 v13, v17
	;; [unrolled: 1-line block ×3, first 2 shown]
.LBB421_500:
	s_or_b64 exec, exec, s[20:21]
	s_andn2_b64 s[24:25], s[12:13], exec
	s_and_b64 s[26:27], s[26:27], exec
	s_or_b64 s[24:25], s[24:25], s[26:27]
	s_andn2_b64 s[26:27], s[14:15], exec
	s_and_b64 s[22:23], s[22:23], exec
	s_or_b64 s[22:23], s[26:27], s[22:23]
	s_andn2_b64 s[26:27], s[16:17], exec
	s_and_b64 s[18:19], s[18:19], exec
	s_xor_b64 s[20:21], exec, -1
	s_or_b64 s[18:19], s[26:27], s[18:19]
.LBB421_501:
	s_or_b64 exec, exec, s[4:5]
	s_and_b64 s[4:5], s[20:21], exec
	s_andn2_b64 s[12:13], s[12:13], exec
	s_and_b64 s[20:21], s[24:25], exec
	s_or_b64 s[12:13], s[12:13], s[20:21]
	s_andn2_b64 s[14:15], s[14:15], exec
	s_and_b64 s[20:21], s[22:23], exec
	s_andn2_b64 s[16:17], s[16:17], exec
	s_and_b64 s[18:19], s[18:19], exec
	s_or_b64 s[14:15], s[14:15], s[20:21]
	s_or_b64 s[16:17], s[16:17], s[18:19]
	s_or_b64 exec, exec, s[10:11]
	s_and_saveexec_b64 s[10:11], s[16:17]
	s_cbranch_execz .LBB421_437
.LBB421_502:
	s_andn2_b64 s[14:15], s[14:15], exec
	s_waitcnt lgkmcnt(0)
	flat_store_short v[4:5], v14
                                        ; implicit-def: $vgpr12
                                        ; implicit-def: $vgpr13
	s_or_b64 exec, exec, s[10:11]
	s_and_saveexec_b64 s[10:11], s[14:15]
	s_cbranch_execz .LBB421_438
.LBB421_503:
	s_waitcnt lgkmcnt(0)
	flat_store_short v[4:5], v13
                                        ; implicit-def: $vgpr12
	s_or_b64 exec, exec, s[10:11]
	s_and_saveexec_b64 s[10:11], s[12:13]
	s_xor_b64 s[10:11], exec, s[10:11]
	s_cbranch_execz .LBB421_439
.LBB421_504:
	s_waitcnt lgkmcnt(0)
	flat_store_short v[4:5], v12
	s_or_b64 exec, exec, s[10:11]
	s_and_b64 exec, exec, s[4:5]
	s_cbranch_execz .LBB421_523
.LBB421_505:
	v_cmp_lt_i64_e32 vcc, 2, v[0:1]
	s_and_saveexec_b64 s[4:5], vcc
	s_xor_b64 s[4:5], exec, s[4:5]
	s_cbranch_execz .LBB421_515
; %bb.506:
	v_cmp_lt_i64_e32 vcc, 3, v[0:1]
	s_and_saveexec_b64 s[10:11], vcc
	s_xor_b64 s[10:11], exec, s[10:11]
	s_cbranch_execz .LBB421_512
; %bb.507:
	;; [unrolled: 5-line block ×3, first 2 shown]
	s_waitcnt lgkmcnt(0)
	flat_store_short v[4:5], v11
                                        ; implicit-def: $vgpr4_vgpr5
                                        ; implicit-def: $vgpr6
.LBB421_509:
	s_andn2_saveexec_b64 s[12:13], s[12:13]
	s_cbranch_execz .LBB421_511
; %bb.510:
	s_waitcnt lgkmcnt(0)
	flat_store_short v[4:5], v6
.LBB421_511:
	s_or_b64 exec, exec, s[12:13]
                                        ; implicit-def: $vgpr4_vgpr5
                                        ; implicit-def: $vgpr10
.LBB421_512:
	s_andn2_saveexec_b64 s[10:11], s[10:11]
	s_cbranch_execz .LBB421_514
; %bb.513:
	s_waitcnt lgkmcnt(0)
	flat_store_short v[4:5], v10
.LBB421_514:
	s_or_b64 exec, exec, s[10:11]
                                        ; implicit-def: $vgpr0_vgpr1
                                        ; implicit-def: $vgpr4_vgpr5
                                        ; implicit-def: $vgpr7
                                        ; implicit-def: $vgpr2
                                        ; implicit-def: $vgpr3
.LBB421_515:
	s_andn2_saveexec_b64 s[4:5], s[4:5]
	s_cbranch_execz .LBB421_523
; %bb.516:
	v_cmp_lt_i64_e32 vcc, 1, v[0:1]
	s_and_saveexec_b64 s[4:5], vcc
	s_xor_b64 s[4:5], exec, s[4:5]
	s_cbranch_execz .LBB421_518
; %bb.517:
	s_waitcnt lgkmcnt(0)
	flat_store_short v[4:5], v7
                                        ; implicit-def: $vgpr4_vgpr5
                                        ; implicit-def: $vgpr2
                                        ; implicit-def: $vgpr0_vgpr1
                                        ; implicit-def: $vgpr3
.LBB421_518:
	s_andn2_saveexec_b64 s[4:5], s[4:5]
	s_cbranch_execz .LBB421_523
; %bb.519:
	v_cmp_ne_u64_e32 vcc, 1, v[0:1]
	s_and_saveexec_b64 s[4:5], vcc
	s_xor_b64 s[4:5], exec, s[4:5]
	s_cbranch_execz .LBB421_521
; %bb.520:
	s_waitcnt lgkmcnt(0)
	flat_store_short v[4:5], v3
                                        ; implicit-def: $vgpr4_vgpr5
                                        ; implicit-def: $vgpr2
.LBB421_521:
	s_andn2_saveexec_b64 s[4:5], s[4:5]
	s_cbranch_execz .LBB421_523
; %bb.522:
	s_waitcnt lgkmcnt(0)
	flat_store_short v[4:5], v2
.LBB421_523:
	s_or_b64 exec, exec, s[8:9]
.LBB421_524:
	s_or_b64 exec, exec, s[6:7]
	v_readlane_b32 s30, v40, 0
	v_readlane_b32 s31, v40, 1
	s_or_saveexec_b64 s[4:5], -1
	buffer_load_dword v40, off, s[0:3], s32 ; 4-byte Folded Reload
	s_mov_b64 exec, s[4:5]
	s_waitcnt vmcnt(0) lgkmcnt(0)
	s_setpc_b64 s[30:31]
.Lfunc_end421:
	.size	_ZZZN7rocprim17ROCPRIM_400000_NS6detail9scan_implILNS1_25lookback_scan_determinismE0ELb0ELb0ENS0_14default_configEPKN3c104HalfEPS6_S6_ZZZN2at6native31launch_logcumsumexp_cuda_kernelERKNSA_10TensorBaseESE_lENKUlvE_clEvENKUlvE3_clEvEUlS6_S6_E_S6_EEDaPvRmT3_T4_T5_mT6_P12ihipStream_tbENKUlT_T0_E_clISt17integral_constantIbLb0EESU_IbLb1EEEEDaSQ_SR_ENKUlSQ_E_clINS1_13target_configIS4_NS1_20scan_config_selectorIS6_EENS1_11comp_targetILNS1_3genE4ELNS1_11target_archE910ELNS1_3gpuE8ELNS1_3repE0EEELNS0_4arch9wavefront6targetE1EEEEEDaSQ_, .Lfunc_end421-_ZZZN7rocprim17ROCPRIM_400000_NS6detail9scan_implILNS1_25lookback_scan_determinismE0ELb0ELb0ENS0_14default_configEPKN3c104HalfEPS6_S6_ZZZN2at6native31launch_logcumsumexp_cuda_kernelERKNSA_10TensorBaseESE_lENKUlvE_clEvENKUlvE3_clEvEUlS6_S6_E_S6_EEDaPvRmT3_T4_T5_mT6_P12ihipStream_tbENKUlT_T0_E_clISt17integral_constantIbLb0EESU_IbLb1EEEEDaSQ_SR_ENKUlSQ_E_clINS1_13target_configIS4_NS1_20scan_config_selectorIS6_EENS1_11comp_targetILNS1_3genE4ELNS1_11target_archE910ELNS1_3gpuE8ELNS1_3repE0EEELNS0_4arch9wavefront6targetE1EEEEEDaSQ_
                                        ; -- End function
	.section	.AMDGPU.csdata,"",@progbits
; Function info:
; codeLenInByte = 109364
; NumSgprs: 84
; NumVgprs: 166
; NumAgprs: 0
; TotalNumVgprs: 166
; ScratchSize: 8
; MemoryBound: 0
	.section	.text._ZN7rocprim17ROCPRIM_400000_NS6detail17trampoline_kernelINS0_14default_configENS1_20scan_config_selectorIN3c104HalfEEEZZNS1_9scan_implILNS1_25lookback_scan_determinismE0ELb0ELb0ES3_PKS6_PS6_S6_ZZZN2at6native31launch_logcumsumexp_cuda_kernelERKNSD_10TensorBaseESH_lENKUlvE_clEvENKUlvE3_clEvEUlS6_S6_E_S6_EEDaPvRmT3_T4_T5_mT6_P12ihipStream_tbENKUlT_T0_E_clISt17integral_constantIbLb0EESX_IbLb1EEEEDaST_SU_EUlST_E_NS1_11comp_targetILNS1_3genE4ELNS1_11target_archE910ELNS1_3gpuE8ELNS1_3repE0EEENS1_30default_config_static_selectorELNS0_4arch9wavefront6targetE1EEEvT1_,"axG",@progbits,_ZN7rocprim17ROCPRIM_400000_NS6detail17trampoline_kernelINS0_14default_configENS1_20scan_config_selectorIN3c104HalfEEEZZNS1_9scan_implILNS1_25lookback_scan_determinismE0ELb0ELb0ES3_PKS6_PS6_S6_ZZZN2at6native31launch_logcumsumexp_cuda_kernelERKNSD_10TensorBaseESH_lENKUlvE_clEvENKUlvE3_clEvEUlS6_S6_E_S6_EEDaPvRmT3_T4_T5_mT6_P12ihipStream_tbENKUlT_T0_E_clISt17integral_constantIbLb0EESX_IbLb1EEEEDaST_SU_EUlST_E_NS1_11comp_targetILNS1_3genE4ELNS1_11target_archE910ELNS1_3gpuE8ELNS1_3repE0EEENS1_30default_config_static_selectorELNS0_4arch9wavefront6targetE1EEEvT1_,comdat
	.globl	_ZN7rocprim17ROCPRIM_400000_NS6detail17trampoline_kernelINS0_14default_configENS1_20scan_config_selectorIN3c104HalfEEEZZNS1_9scan_implILNS1_25lookback_scan_determinismE0ELb0ELb0ES3_PKS6_PS6_S6_ZZZN2at6native31launch_logcumsumexp_cuda_kernelERKNSD_10TensorBaseESH_lENKUlvE_clEvENKUlvE3_clEvEUlS6_S6_E_S6_EEDaPvRmT3_T4_T5_mT6_P12ihipStream_tbENKUlT_T0_E_clISt17integral_constantIbLb0EESX_IbLb1EEEEDaST_SU_EUlST_E_NS1_11comp_targetILNS1_3genE4ELNS1_11target_archE910ELNS1_3gpuE8ELNS1_3repE0EEENS1_30default_config_static_selectorELNS0_4arch9wavefront6targetE1EEEvT1_ ; -- Begin function _ZN7rocprim17ROCPRIM_400000_NS6detail17trampoline_kernelINS0_14default_configENS1_20scan_config_selectorIN3c104HalfEEEZZNS1_9scan_implILNS1_25lookback_scan_determinismE0ELb0ELb0ES3_PKS6_PS6_S6_ZZZN2at6native31launch_logcumsumexp_cuda_kernelERKNSD_10TensorBaseESH_lENKUlvE_clEvENKUlvE3_clEvEUlS6_S6_E_S6_EEDaPvRmT3_T4_T5_mT6_P12ihipStream_tbENKUlT_T0_E_clISt17integral_constantIbLb0EESX_IbLb1EEEEDaST_SU_EUlST_E_NS1_11comp_targetILNS1_3genE4ELNS1_11target_archE910ELNS1_3gpuE8ELNS1_3repE0EEENS1_30default_config_static_selectorELNS0_4arch9wavefront6targetE1EEEvT1_
	.p2align	8
	.type	_ZN7rocprim17ROCPRIM_400000_NS6detail17trampoline_kernelINS0_14default_configENS1_20scan_config_selectorIN3c104HalfEEEZZNS1_9scan_implILNS1_25lookback_scan_determinismE0ELb0ELb0ES3_PKS6_PS6_S6_ZZZN2at6native31launch_logcumsumexp_cuda_kernelERKNSD_10TensorBaseESH_lENKUlvE_clEvENKUlvE3_clEvEUlS6_S6_E_S6_EEDaPvRmT3_T4_T5_mT6_P12ihipStream_tbENKUlT_T0_E_clISt17integral_constantIbLb0EESX_IbLb1EEEEDaST_SU_EUlST_E_NS1_11comp_targetILNS1_3genE4ELNS1_11target_archE910ELNS1_3gpuE8ELNS1_3repE0EEENS1_30default_config_static_selectorELNS0_4arch9wavefront6targetE1EEEvT1_,@function
_ZN7rocprim17ROCPRIM_400000_NS6detail17trampoline_kernelINS0_14default_configENS1_20scan_config_selectorIN3c104HalfEEEZZNS1_9scan_implILNS1_25lookback_scan_determinismE0ELb0ELb0ES3_PKS6_PS6_S6_ZZZN2at6native31launch_logcumsumexp_cuda_kernelERKNSD_10TensorBaseESH_lENKUlvE_clEvENKUlvE3_clEvEUlS6_S6_E_S6_EEDaPvRmT3_T4_T5_mT6_P12ihipStream_tbENKUlT_T0_E_clISt17integral_constantIbLb0EESX_IbLb1EEEEDaST_SU_EUlST_E_NS1_11comp_targetILNS1_3genE4ELNS1_11target_archE910ELNS1_3gpuE8ELNS1_3repE0EEENS1_30default_config_static_selectorELNS0_4arch9wavefront6targetE1EEEvT1_: ; @_ZN7rocprim17ROCPRIM_400000_NS6detail17trampoline_kernelINS0_14default_configENS1_20scan_config_selectorIN3c104HalfEEEZZNS1_9scan_implILNS1_25lookback_scan_determinismE0ELb0ELb0ES3_PKS6_PS6_S6_ZZZN2at6native31launch_logcumsumexp_cuda_kernelERKNSD_10TensorBaseESH_lENKUlvE_clEvENKUlvE3_clEvEUlS6_S6_E_S6_EEDaPvRmT3_T4_T5_mT6_P12ihipStream_tbENKUlT_T0_E_clISt17integral_constantIbLb0EESX_IbLb1EEEEDaST_SU_EUlST_E_NS1_11comp_targetILNS1_3genE4ELNS1_11target_archE910ELNS1_3gpuE8ELNS1_3repE0EEENS1_30default_config_static_selectorELNS0_4arch9wavefront6targetE1EEEvT1_
; %bb.0:
	s_add_u32 flat_scratch_lo, s6, s9
	s_addc_u32 flat_scratch_hi, s7, 0
	s_add_u32 s0, s0, s9
	s_load_dwordx8 s[8:15], s[4:5], 0x0
	s_addc_u32 s1, s1, 0
	s_load_dwordx8 s[16:23], s[4:5], 0x20
	s_mov_b64 s[6:7], src_private_base
	v_mov_b32_e32 v31, v0
	s_waitcnt lgkmcnt(0)
	v_mov_b32_e32 v1, s11
	v_mov_b32_e32 v2, s10
	buffer_store_dword v1, off, s[0:3], 0 offset:12
	buffer_store_dword v2, off, s[0:3], 0 offset:8
	v_mov_b32_e32 v1, s9
	buffer_store_dword v1, off, s[0:3], 0 offset:4
	v_mov_b32_e32 v1, s8
	buffer_store_dword v1, off, s[0:3], 0
	v_mov_b32_e32 v1, s15
	buffer_store_dword v1, off, s[0:3], 0 offset:28
	v_mov_b32_e32 v1, s14
	buffer_store_dword v1, off, s[0:3], 0 offset:24
	;; [unrolled: 2-line block ×7, first 2 shown]
	v_mov_b32_e32 v1, s16
	s_load_dwordx8 s[8:15], s[4:5], 0x40
	buffer_store_dword v1, off, s[0:3], 0 offset:32
	v_mov_b32_e32 v1, s23
	buffer_store_dword v1, off, s[0:3], 0 offset:60
	v_mov_b32_e32 v1, s22
	;; [unrolled: 2-line block ×4, first 2 shown]
	buffer_store_dword v1, off, s[0:3], 0 offset:48
	s_waitcnt lgkmcnt(0)
	v_mov_b32_e32 v1, s11
	buffer_store_dword v1, off, s[0:3], 0 offset:76
	v_mov_b32_e32 v1, s10
	buffer_store_dword v1, off, s[0:3], 0 offset:72
	;; [unrolled: 2-line block ×7, first 2 shown]
	v_mov_b32_e32 v1, s12
	s_add_u32 s8, s4, 0x60
	buffer_store_dword v1, off, s[0:3], 0 offset:80
	s_addc_u32 s9, s5, 0
	v_mov_b32_e32 v0, 0
	v_mov_b32_e32 v1, s7
	s_movk_i32 s32, 0x1c00
	s_getpc_b64 s[4:5]
	s_add_u32 s4, s4, _ZZZN7rocprim17ROCPRIM_400000_NS6detail9scan_implILNS1_25lookback_scan_determinismE0ELb0ELb0ENS0_14default_configEPKN3c104HalfEPS6_S6_ZZZN2at6native31launch_logcumsumexp_cuda_kernelERKNSA_10TensorBaseESE_lENKUlvE_clEvENKUlvE3_clEvEUlS6_S6_E_S6_EEDaPvRmT3_T4_T5_mT6_P12ihipStream_tbENKUlT_T0_E_clISt17integral_constantIbLb0EESU_IbLb1EEEEDaSQ_SR_ENKUlSQ_E_clINS1_13target_configIS4_NS1_20scan_config_selectorIS6_EENS1_11comp_targetILNS1_3genE4ELNS1_11target_archE910ELNS1_3gpuE8ELNS1_3repE0EEELNS0_4arch9wavefront6targetE1EEEEEDaSQ_@rel32@lo+4
	s_addc_u32 s5, s5, _ZZZN7rocprim17ROCPRIM_400000_NS6detail9scan_implILNS1_25lookback_scan_determinismE0ELb0ELb0ENS0_14default_configEPKN3c104HalfEPS6_S6_ZZZN2at6native31launch_logcumsumexp_cuda_kernelERKNSA_10TensorBaseESE_lENKUlvE_clEvENKUlvE3_clEvEUlS6_S6_E_S6_EEDaPvRmT3_T4_T5_mT6_P12ihipStream_tbENKUlT_T0_E_clISt17integral_constantIbLb0EESU_IbLb1EEEEDaSQ_SR_ENKUlSQ_E_clINS1_13target_configIS4_NS1_20scan_config_selectorIS6_EENS1_11comp_targetILNS1_3genE4ELNS1_11target_archE910ELNS1_3gpuE8ELNS1_3repE0EEELNS0_4arch9wavefront6targetE1EEEEEDaSQ_@rel32@hi+12
	s_swappc_b64 s[30:31], s[4:5]
	s_endpgm
	.section	.rodata,"a",@progbits
	.p2align	6, 0x0
	.amdhsa_kernel _ZN7rocprim17ROCPRIM_400000_NS6detail17trampoline_kernelINS0_14default_configENS1_20scan_config_selectorIN3c104HalfEEEZZNS1_9scan_implILNS1_25lookback_scan_determinismE0ELb0ELb0ES3_PKS6_PS6_S6_ZZZN2at6native31launch_logcumsumexp_cuda_kernelERKNSD_10TensorBaseESH_lENKUlvE_clEvENKUlvE3_clEvEUlS6_S6_E_S6_EEDaPvRmT3_T4_T5_mT6_P12ihipStream_tbENKUlT_T0_E_clISt17integral_constantIbLb0EESX_IbLb1EEEEDaST_SU_EUlST_E_NS1_11comp_targetILNS1_3genE4ELNS1_11target_archE910ELNS1_3gpuE8ELNS1_3repE0EEENS1_30default_config_static_selectorELNS0_4arch9wavefront6targetE1EEEvT1_
		.amdhsa_group_segment_fixed_size 3072
		.amdhsa_private_segment_fixed_size 120
		.amdhsa_kernarg_size 352
		.amdhsa_user_sgpr_count 8
		.amdhsa_user_sgpr_private_segment_buffer 1
		.amdhsa_user_sgpr_dispatch_ptr 0
		.amdhsa_user_sgpr_queue_ptr 0
		.amdhsa_user_sgpr_kernarg_segment_ptr 1
		.amdhsa_user_sgpr_dispatch_id 0
		.amdhsa_user_sgpr_flat_scratch_init 1
		.amdhsa_user_sgpr_kernarg_preload_length 0
		.amdhsa_user_sgpr_kernarg_preload_offset 0
		.amdhsa_user_sgpr_private_segment_size 0
		.amdhsa_uses_dynamic_stack 0
		.amdhsa_system_sgpr_private_segment_wavefront_offset 1
		.amdhsa_system_sgpr_workgroup_id_x 1
		.amdhsa_system_sgpr_workgroup_id_y 0
		.amdhsa_system_sgpr_workgroup_id_z 0
		.amdhsa_system_sgpr_workgroup_info 0
		.amdhsa_system_vgpr_workitem_id 0
		.amdhsa_next_free_vgpr 166
		.amdhsa_next_free_sgpr 80
		.amdhsa_accum_offset 168
		.amdhsa_reserve_vcc 1
		.amdhsa_reserve_flat_scratch 1
		.amdhsa_float_round_mode_32 0
		.amdhsa_float_round_mode_16_64 0
		.amdhsa_float_denorm_mode_32 3
		.amdhsa_float_denorm_mode_16_64 3
		.amdhsa_dx10_clamp 1
		.amdhsa_ieee_mode 1
		.amdhsa_fp16_overflow 0
		.amdhsa_tg_split 0
		.amdhsa_exception_fp_ieee_invalid_op 0
		.amdhsa_exception_fp_denorm_src 0
		.amdhsa_exception_fp_ieee_div_zero 0
		.amdhsa_exception_fp_ieee_overflow 0
		.amdhsa_exception_fp_ieee_underflow 0
		.amdhsa_exception_fp_ieee_inexact 0
		.amdhsa_exception_int_div_zero 0
	.end_amdhsa_kernel
	.section	.text._ZN7rocprim17ROCPRIM_400000_NS6detail17trampoline_kernelINS0_14default_configENS1_20scan_config_selectorIN3c104HalfEEEZZNS1_9scan_implILNS1_25lookback_scan_determinismE0ELb0ELb0ES3_PKS6_PS6_S6_ZZZN2at6native31launch_logcumsumexp_cuda_kernelERKNSD_10TensorBaseESH_lENKUlvE_clEvENKUlvE3_clEvEUlS6_S6_E_S6_EEDaPvRmT3_T4_T5_mT6_P12ihipStream_tbENKUlT_T0_E_clISt17integral_constantIbLb0EESX_IbLb1EEEEDaST_SU_EUlST_E_NS1_11comp_targetILNS1_3genE4ELNS1_11target_archE910ELNS1_3gpuE8ELNS1_3repE0EEENS1_30default_config_static_selectorELNS0_4arch9wavefront6targetE1EEEvT1_,"axG",@progbits,_ZN7rocprim17ROCPRIM_400000_NS6detail17trampoline_kernelINS0_14default_configENS1_20scan_config_selectorIN3c104HalfEEEZZNS1_9scan_implILNS1_25lookback_scan_determinismE0ELb0ELb0ES3_PKS6_PS6_S6_ZZZN2at6native31launch_logcumsumexp_cuda_kernelERKNSD_10TensorBaseESH_lENKUlvE_clEvENKUlvE3_clEvEUlS6_S6_E_S6_EEDaPvRmT3_T4_T5_mT6_P12ihipStream_tbENKUlT_T0_E_clISt17integral_constantIbLb0EESX_IbLb1EEEEDaST_SU_EUlST_E_NS1_11comp_targetILNS1_3genE4ELNS1_11target_archE910ELNS1_3gpuE8ELNS1_3repE0EEENS1_30default_config_static_selectorELNS0_4arch9wavefront6targetE1EEEvT1_,comdat
.Lfunc_end422:
	.size	_ZN7rocprim17ROCPRIM_400000_NS6detail17trampoline_kernelINS0_14default_configENS1_20scan_config_selectorIN3c104HalfEEEZZNS1_9scan_implILNS1_25lookback_scan_determinismE0ELb0ELb0ES3_PKS6_PS6_S6_ZZZN2at6native31launch_logcumsumexp_cuda_kernelERKNSD_10TensorBaseESH_lENKUlvE_clEvENKUlvE3_clEvEUlS6_S6_E_S6_EEDaPvRmT3_T4_T5_mT6_P12ihipStream_tbENKUlT_T0_E_clISt17integral_constantIbLb0EESX_IbLb1EEEEDaST_SU_EUlST_E_NS1_11comp_targetILNS1_3genE4ELNS1_11target_archE910ELNS1_3gpuE8ELNS1_3repE0EEENS1_30default_config_static_selectorELNS0_4arch9wavefront6targetE1EEEvT1_, .Lfunc_end422-_ZN7rocprim17ROCPRIM_400000_NS6detail17trampoline_kernelINS0_14default_configENS1_20scan_config_selectorIN3c104HalfEEEZZNS1_9scan_implILNS1_25lookback_scan_determinismE0ELb0ELb0ES3_PKS6_PS6_S6_ZZZN2at6native31launch_logcumsumexp_cuda_kernelERKNSD_10TensorBaseESH_lENKUlvE_clEvENKUlvE3_clEvEUlS6_S6_E_S6_EEDaPvRmT3_T4_T5_mT6_P12ihipStream_tbENKUlT_T0_E_clISt17integral_constantIbLb0EESX_IbLb1EEEEDaST_SU_EUlST_E_NS1_11comp_targetILNS1_3genE4ELNS1_11target_archE910ELNS1_3gpuE8ELNS1_3repE0EEENS1_30default_config_static_selectorELNS0_4arch9wavefront6targetE1EEEvT1_
                                        ; -- End function
	.section	.AMDGPU.csdata,"",@progbits
; Kernel info:
; codeLenInByte = 396
; NumSgprs: 86
; NumVgprs: 166
; NumAgprs: 0
; TotalNumVgprs: 166
; ScratchSize: 120
; MemoryBound: 0
; FloatMode: 240
; IeeeMode: 1
; LDSByteSize: 3072 bytes/workgroup (compile time only)
; SGPRBlocks: 10
; VGPRBlocks: 20
; NumSGPRsForWavesPerEU: 86
; NumVGPRsForWavesPerEU: 166
; AccumOffset: 168
; Occupancy: 3
; WaveLimiterHint : 1
; COMPUTE_PGM_RSRC2:SCRATCH_EN: 1
; COMPUTE_PGM_RSRC2:USER_SGPR: 8
; COMPUTE_PGM_RSRC2:TRAP_HANDLER: 0
; COMPUTE_PGM_RSRC2:TGID_X_EN: 1
; COMPUTE_PGM_RSRC2:TGID_Y_EN: 0
; COMPUTE_PGM_RSRC2:TGID_Z_EN: 0
; COMPUTE_PGM_RSRC2:TIDIG_COMP_CNT: 0
; COMPUTE_PGM_RSRC3_GFX90A:ACCUM_OFFSET: 41
; COMPUTE_PGM_RSRC3_GFX90A:TG_SPLIT: 0
	.section	.text._ZN7rocprim17ROCPRIM_400000_NS6detail17trampoline_kernelINS0_14default_configENS1_20scan_config_selectorIN3c104HalfEEEZZNS1_9scan_implILNS1_25lookback_scan_determinismE0ELb0ELb0ES3_PKS6_PS6_S6_ZZZN2at6native31launch_logcumsumexp_cuda_kernelERKNSD_10TensorBaseESH_lENKUlvE_clEvENKUlvE3_clEvEUlS6_S6_E_S6_EEDaPvRmT3_T4_T5_mT6_P12ihipStream_tbENKUlT_T0_E_clISt17integral_constantIbLb0EESX_IbLb1EEEEDaST_SU_EUlST_E_NS1_11comp_targetILNS1_3genE3ELNS1_11target_archE908ELNS1_3gpuE7ELNS1_3repE0EEENS1_30default_config_static_selectorELNS0_4arch9wavefront6targetE1EEEvT1_,"axG",@progbits,_ZN7rocprim17ROCPRIM_400000_NS6detail17trampoline_kernelINS0_14default_configENS1_20scan_config_selectorIN3c104HalfEEEZZNS1_9scan_implILNS1_25lookback_scan_determinismE0ELb0ELb0ES3_PKS6_PS6_S6_ZZZN2at6native31launch_logcumsumexp_cuda_kernelERKNSD_10TensorBaseESH_lENKUlvE_clEvENKUlvE3_clEvEUlS6_S6_E_S6_EEDaPvRmT3_T4_T5_mT6_P12ihipStream_tbENKUlT_T0_E_clISt17integral_constantIbLb0EESX_IbLb1EEEEDaST_SU_EUlST_E_NS1_11comp_targetILNS1_3genE3ELNS1_11target_archE908ELNS1_3gpuE7ELNS1_3repE0EEENS1_30default_config_static_selectorELNS0_4arch9wavefront6targetE1EEEvT1_,comdat
	.globl	_ZN7rocprim17ROCPRIM_400000_NS6detail17trampoline_kernelINS0_14default_configENS1_20scan_config_selectorIN3c104HalfEEEZZNS1_9scan_implILNS1_25lookback_scan_determinismE0ELb0ELb0ES3_PKS6_PS6_S6_ZZZN2at6native31launch_logcumsumexp_cuda_kernelERKNSD_10TensorBaseESH_lENKUlvE_clEvENKUlvE3_clEvEUlS6_S6_E_S6_EEDaPvRmT3_T4_T5_mT6_P12ihipStream_tbENKUlT_T0_E_clISt17integral_constantIbLb0EESX_IbLb1EEEEDaST_SU_EUlST_E_NS1_11comp_targetILNS1_3genE3ELNS1_11target_archE908ELNS1_3gpuE7ELNS1_3repE0EEENS1_30default_config_static_selectorELNS0_4arch9wavefront6targetE1EEEvT1_ ; -- Begin function _ZN7rocprim17ROCPRIM_400000_NS6detail17trampoline_kernelINS0_14default_configENS1_20scan_config_selectorIN3c104HalfEEEZZNS1_9scan_implILNS1_25lookback_scan_determinismE0ELb0ELb0ES3_PKS6_PS6_S6_ZZZN2at6native31launch_logcumsumexp_cuda_kernelERKNSD_10TensorBaseESH_lENKUlvE_clEvENKUlvE3_clEvEUlS6_S6_E_S6_EEDaPvRmT3_T4_T5_mT6_P12ihipStream_tbENKUlT_T0_E_clISt17integral_constantIbLb0EESX_IbLb1EEEEDaST_SU_EUlST_E_NS1_11comp_targetILNS1_3genE3ELNS1_11target_archE908ELNS1_3gpuE7ELNS1_3repE0EEENS1_30default_config_static_selectorELNS0_4arch9wavefront6targetE1EEEvT1_
	.p2align	8
	.type	_ZN7rocprim17ROCPRIM_400000_NS6detail17trampoline_kernelINS0_14default_configENS1_20scan_config_selectorIN3c104HalfEEEZZNS1_9scan_implILNS1_25lookback_scan_determinismE0ELb0ELb0ES3_PKS6_PS6_S6_ZZZN2at6native31launch_logcumsumexp_cuda_kernelERKNSD_10TensorBaseESH_lENKUlvE_clEvENKUlvE3_clEvEUlS6_S6_E_S6_EEDaPvRmT3_T4_T5_mT6_P12ihipStream_tbENKUlT_T0_E_clISt17integral_constantIbLb0EESX_IbLb1EEEEDaST_SU_EUlST_E_NS1_11comp_targetILNS1_3genE3ELNS1_11target_archE908ELNS1_3gpuE7ELNS1_3repE0EEENS1_30default_config_static_selectorELNS0_4arch9wavefront6targetE1EEEvT1_,@function
_ZN7rocprim17ROCPRIM_400000_NS6detail17trampoline_kernelINS0_14default_configENS1_20scan_config_selectorIN3c104HalfEEEZZNS1_9scan_implILNS1_25lookback_scan_determinismE0ELb0ELb0ES3_PKS6_PS6_S6_ZZZN2at6native31launch_logcumsumexp_cuda_kernelERKNSD_10TensorBaseESH_lENKUlvE_clEvENKUlvE3_clEvEUlS6_S6_E_S6_EEDaPvRmT3_T4_T5_mT6_P12ihipStream_tbENKUlT_T0_E_clISt17integral_constantIbLb0EESX_IbLb1EEEEDaST_SU_EUlST_E_NS1_11comp_targetILNS1_3genE3ELNS1_11target_archE908ELNS1_3gpuE7ELNS1_3repE0EEENS1_30default_config_static_selectorELNS0_4arch9wavefront6targetE1EEEvT1_: ; @_ZN7rocprim17ROCPRIM_400000_NS6detail17trampoline_kernelINS0_14default_configENS1_20scan_config_selectorIN3c104HalfEEEZZNS1_9scan_implILNS1_25lookback_scan_determinismE0ELb0ELb0ES3_PKS6_PS6_S6_ZZZN2at6native31launch_logcumsumexp_cuda_kernelERKNSD_10TensorBaseESH_lENKUlvE_clEvENKUlvE3_clEvEUlS6_S6_E_S6_EEDaPvRmT3_T4_T5_mT6_P12ihipStream_tbENKUlT_T0_E_clISt17integral_constantIbLb0EESX_IbLb1EEEEDaST_SU_EUlST_E_NS1_11comp_targetILNS1_3genE3ELNS1_11target_archE908ELNS1_3gpuE7ELNS1_3repE0EEENS1_30default_config_static_selectorELNS0_4arch9wavefront6targetE1EEEvT1_
; %bb.0:
	.section	.rodata,"a",@progbits
	.p2align	6, 0x0
	.amdhsa_kernel _ZN7rocprim17ROCPRIM_400000_NS6detail17trampoline_kernelINS0_14default_configENS1_20scan_config_selectorIN3c104HalfEEEZZNS1_9scan_implILNS1_25lookback_scan_determinismE0ELb0ELb0ES3_PKS6_PS6_S6_ZZZN2at6native31launch_logcumsumexp_cuda_kernelERKNSD_10TensorBaseESH_lENKUlvE_clEvENKUlvE3_clEvEUlS6_S6_E_S6_EEDaPvRmT3_T4_T5_mT6_P12ihipStream_tbENKUlT_T0_E_clISt17integral_constantIbLb0EESX_IbLb1EEEEDaST_SU_EUlST_E_NS1_11comp_targetILNS1_3genE3ELNS1_11target_archE908ELNS1_3gpuE7ELNS1_3repE0EEENS1_30default_config_static_selectorELNS0_4arch9wavefront6targetE1EEEvT1_
		.amdhsa_group_segment_fixed_size 0
		.amdhsa_private_segment_fixed_size 0
		.amdhsa_kernarg_size 96
		.amdhsa_user_sgpr_count 6
		.amdhsa_user_sgpr_private_segment_buffer 1
		.amdhsa_user_sgpr_dispatch_ptr 0
		.amdhsa_user_sgpr_queue_ptr 0
		.amdhsa_user_sgpr_kernarg_segment_ptr 1
		.amdhsa_user_sgpr_dispatch_id 0
		.amdhsa_user_sgpr_flat_scratch_init 0
		.amdhsa_user_sgpr_kernarg_preload_length 0
		.amdhsa_user_sgpr_kernarg_preload_offset 0
		.amdhsa_user_sgpr_private_segment_size 0
		.amdhsa_uses_dynamic_stack 0
		.amdhsa_system_sgpr_private_segment_wavefront_offset 0
		.amdhsa_system_sgpr_workgroup_id_x 1
		.amdhsa_system_sgpr_workgroup_id_y 0
		.amdhsa_system_sgpr_workgroup_id_z 0
		.amdhsa_system_sgpr_workgroup_info 0
		.amdhsa_system_vgpr_workitem_id 0
		.amdhsa_next_free_vgpr 1
		.amdhsa_next_free_sgpr 0
		.amdhsa_accum_offset 4
		.amdhsa_reserve_vcc 0
		.amdhsa_reserve_flat_scratch 0
		.amdhsa_float_round_mode_32 0
		.amdhsa_float_round_mode_16_64 0
		.amdhsa_float_denorm_mode_32 3
		.amdhsa_float_denorm_mode_16_64 3
		.amdhsa_dx10_clamp 1
		.amdhsa_ieee_mode 1
		.amdhsa_fp16_overflow 0
		.amdhsa_tg_split 0
		.amdhsa_exception_fp_ieee_invalid_op 0
		.amdhsa_exception_fp_denorm_src 0
		.amdhsa_exception_fp_ieee_div_zero 0
		.amdhsa_exception_fp_ieee_overflow 0
		.amdhsa_exception_fp_ieee_underflow 0
		.amdhsa_exception_fp_ieee_inexact 0
		.amdhsa_exception_int_div_zero 0
	.end_amdhsa_kernel
	.section	.text._ZN7rocprim17ROCPRIM_400000_NS6detail17trampoline_kernelINS0_14default_configENS1_20scan_config_selectorIN3c104HalfEEEZZNS1_9scan_implILNS1_25lookback_scan_determinismE0ELb0ELb0ES3_PKS6_PS6_S6_ZZZN2at6native31launch_logcumsumexp_cuda_kernelERKNSD_10TensorBaseESH_lENKUlvE_clEvENKUlvE3_clEvEUlS6_S6_E_S6_EEDaPvRmT3_T4_T5_mT6_P12ihipStream_tbENKUlT_T0_E_clISt17integral_constantIbLb0EESX_IbLb1EEEEDaST_SU_EUlST_E_NS1_11comp_targetILNS1_3genE3ELNS1_11target_archE908ELNS1_3gpuE7ELNS1_3repE0EEENS1_30default_config_static_selectorELNS0_4arch9wavefront6targetE1EEEvT1_,"axG",@progbits,_ZN7rocprim17ROCPRIM_400000_NS6detail17trampoline_kernelINS0_14default_configENS1_20scan_config_selectorIN3c104HalfEEEZZNS1_9scan_implILNS1_25lookback_scan_determinismE0ELb0ELb0ES3_PKS6_PS6_S6_ZZZN2at6native31launch_logcumsumexp_cuda_kernelERKNSD_10TensorBaseESH_lENKUlvE_clEvENKUlvE3_clEvEUlS6_S6_E_S6_EEDaPvRmT3_T4_T5_mT6_P12ihipStream_tbENKUlT_T0_E_clISt17integral_constantIbLb0EESX_IbLb1EEEEDaST_SU_EUlST_E_NS1_11comp_targetILNS1_3genE3ELNS1_11target_archE908ELNS1_3gpuE7ELNS1_3repE0EEENS1_30default_config_static_selectorELNS0_4arch9wavefront6targetE1EEEvT1_,comdat
.Lfunc_end423:
	.size	_ZN7rocprim17ROCPRIM_400000_NS6detail17trampoline_kernelINS0_14default_configENS1_20scan_config_selectorIN3c104HalfEEEZZNS1_9scan_implILNS1_25lookback_scan_determinismE0ELb0ELb0ES3_PKS6_PS6_S6_ZZZN2at6native31launch_logcumsumexp_cuda_kernelERKNSD_10TensorBaseESH_lENKUlvE_clEvENKUlvE3_clEvEUlS6_S6_E_S6_EEDaPvRmT3_T4_T5_mT6_P12ihipStream_tbENKUlT_T0_E_clISt17integral_constantIbLb0EESX_IbLb1EEEEDaST_SU_EUlST_E_NS1_11comp_targetILNS1_3genE3ELNS1_11target_archE908ELNS1_3gpuE7ELNS1_3repE0EEENS1_30default_config_static_selectorELNS0_4arch9wavefront6targetE1EEEvT1_, .Lfunc_end423-_ZN7rocprim17ROCPRIM_400000_NS6detail17trampoline_kernelINS0_14default_configENS1_20scan_config_selectorIN3c104HalfEEEZZNS1_9scan_implILNS1_25lookback_scan_determinismE0ELb0ELb0ES3_PKS6_PS6_S6_ZZZN2at6native31launch_logcumsumexp_cuda_kernelERKNSD_10TensorBaseESH_lENKUlvE_clEvENKUlvE3_clEvEUlS6_S6_E_S6_EEDaPvRmT3_T4_T5_mT6_P12ihipStream_tbENKUlT_T0_E_clISt17integral_constantIbLb0EESX_IbLb1EEEEDaST_SU_EUlST_E_NS1_11comp_targetILNS1_3genE3ELNS1_11target_archE908ELNS1_3gpuE7ELNS1_3repE0EEENS1_30default_config_static_selectorELNS0_4arch9wavefront6targetE1EEEvT1_
                                        ; -- End function
	.section	.AMDGPU.csdata,"",@progbits
; Kernel info:
; codeLenInByte = 0
; NumSgprs: 4
; NumVgprs: 0
; NumAgprs: 0
; TotalNumVgprs: 0
; ScratchSize: 0
; MemoryBound: 0
; FloatMode: 240
; IeeeMode: 1
; LDSByteSize: 0 bytes/workgroup (compile time only)
; SGPRBlocks: 0
; VGPRBlocks: 0
; NumSGPRsForWavesPerEU: 4
; NumVGPRsForWavesPerEU: 1
; AccumOffset: 4
; Occupancy: 8
; WaveLimiterHint : 0
; COMPUTE_PGM_RSRC2:SCRATCH_EN: 0
; COMPUTE_PGM_RSRC2:USER_SGPR: 6
; COMPUTE_PGM_RSRC2:TRAP_HANDLER: 0
; COMPUTE_PGM_RSRC2:TGID_X_EN: 1
; COMPUTE_PGM_RSRC2:TGID_Y_EN: 0
; COMPUTE_PGM_RSRC2:TGID_Z_EN: 0
; COMPUTE_PGM_RSRC2:TIDIG_COMP_CNT: 0
; COMPUTE_PGM_RSRC3_GFX90A:ACCUM_OFFSET: 0
; COMPUTE_PGM_RSRC3_GFX90A:TG_SPLIT: 0
	.section	.text._ZN7rocprim17ROCPRIM_400000_NS6detail17trampoline_kernelINS0_14default_configENS1_20scan_config_selectorIN3c104HalfEEEZZNS1_9scan_implILNS1_25lookback_scan_determinismE0ELb0ELb0ES3_PKS6_PS6_S6_ZZZN2at6native31launch_logcumsumexp_cuda_kernelERKNSD_10TensorBaseESH_lENKUlvE_clEvENKUlvE3_clEvEUlS6_S6_E_S6_EEDaPvRmT3_T4_T5_mT6_P12ihipStream_tbENKUlT_T0_E_clISt17integral_constantIbLb0EESX_IbLb1EEEEDaST_SU_EUlST_E_NS1_11comp_targetILNS1_3genE2ELNS1_11target_archE906ELNS1_3gpuE6ELNS1_3repE0EEENS1_30default_config_static_selectorELNS0_4arch9wavefront6targetE1EEEvT1_,"axG",@progbits,_ZN7rocprim17ROCPRIM_400000_NS6detail17trampoline_kernelINS0_14default_configENS1_20scan_config_selectorIN3c104HalfEEEZZNS1_9scan_implILNS1_25lookback_scan_determinismE0ELb0ELb0ES3_PKS6_PS6_S6_ZZZN2at6native31launch_logcumsumexp_cuda_kernelERKNSD_10TensorBaseESH_lENKUlvE_clEvENKUlvE3_clEvEUlS6_S6_E_S6_EEDaPvRmT3_T4_T5_mT6_P12ihipStream_tbENKUlT_T0_E_clISt17integral_constantIbLb0EESX_IbLb1EEEEDaST_SU_EUlST_E_NS1_11comp_targetILNS1_3genE2ELNS1_11target_archE906ELNS1_3gpuE6ELNS1_3repE0EEENS1_30default_config_static_selectorELNS0_4arch9wavefront6targetE1EEEvT1_,comdat
	.globl	_ZN7rocprim17ROCPRIM_400000_NS6detail17trampoline_kernelINS0_14default_configENS1_20scan_config_selectorIN3c104HalfEEEZZNS1_9scan_implILNS1_25lookback_scan_determinismE0ELb0ELb0ES3_PKS6_PS6_S6_ZZZN2at6native31launch_logcumsumexp_cuda_kernelERKNSD_10TensorBaseESH_lENKUlvE_clEvENKUlvE3_clEvEUlS6_S6_E_S6_EEDaPvRmT3_T4_T5_mT6_P12ihipStream_tbENKUlT_T0_E_clISt17integral_constantIbLb0EESX_IbLb1EEEEDaST_SU_EUlST_E_NS1_11comp_targetILNS1_3genE2ELNS1_11target_archE906ELNS1_3gpuE6ELNS1_3repE0EEENS1_30default_config_static_selectorELNS0_4arch9wavefront6targetE1EEEvT1_ ; -- Begin function _ZN7rocprim17ROCPRIM_400000_NS6detail17trampoline_kernelINS0_14default_configENS1_20scan_config_selectorIN3c104HalfEEEZZNS1_9scan_implILNS1_25lookback_scan_determinismE0ELb0ELb0ES3_PKS6_PS6_S6_ZZZN2at6native31launch_logcumsumexp_cuda_kernelERKNSD_10TensorBaseESH_lENKUlvE_clEvENKUlvE3_clEvEUlS6_S6_E_S6_EEDaPvRmT3_T4_T5_mT6_P12ihipStream_tbENKUlT_T0_E_clISt17integral_constantIbLb0EESX_IbLb1EEEEDaST_SU_EUlST_E_NS1_11comp_targetILNS1_3genE2ELNS1_11target_archE906ELNS1_3gpuE6ELNS1_3repE0EEENS1_30default_config_static_selectorELNS0_4arch9wavefront6targetE1EEEvT1_
	.p2align	8
	.type	_ZN7rocprim17ROCPRIM_400000_NS6detail17trampoline_kernelINS0_14default_configENS1_20scan_config_selectorIN3c104HalfEEEZZNS1_9scan_implILNS1_25lookback_scan_determinismE0ELb0ELb0ES3_PKS6_PS6_S6_ZZZN2at6native31launch_logcumsumexp_cuda_kernelERKNSD_10TensorBaseESH_lENKUlvE_clEvENKUlvE3_clEvEUlS6_S6_E_S6_EEDaPvRmT3_T4_T5_mT6_P12ihipStream_tbENKUlT_T0_E_clISt17integral_constantIbLb0EESX_IbLb1EEEEDaST_SU_EUlST_E_NS1_11comp_targetILNS1_3genE2ELNS1_11target_archE906ELNS1_3gpuE6ELNS1_3repE0EEENS1_30default_config_static_selectorELNS0_4arch9wavefront6targetE1EEEvT1_,@function
_ZN7rocprim17ROCPRIM_400000_NS6detail17trampoline_kernelINS0_14default_configENS1_20scan_config_selectorIN3c104HalfEEEZZNS1_9scan_implILNS1_25lookback_scan_determinismE0ELb0ELb0ES3_PKS6_PS6_S6_ZZZN2at6native31launch_logcumsumexp_cuda_kernelERKNSD_10TensorBaseESH_lENKUlvE_clEvENKUlvE3_clEvEUlS6_S6_E_S6_EEDaPvRmT3_T4_T5_mT6_P12ihipStream_tbENKUlT_T0_E_clISt17integral_constantIbLb0EESX_IbLb1EEEEDaST_SU_EUlST_E_NS1_11comp_targetILNS1_3genE2ELNS1_11target_archE906ELNS1_3gpuE6ELNS1_3repE0EEENS1_30default_config_static_selectorELNS0_4arch9wavefront6targetE1EEEvT1_: ; @_ZN7rocprim17ROCPRIM_400000_NS6detail17trampoline_kernelINS0_14default_configENS1_20scan_config_selectorIN3c104HalfEEEZZNS1_9scan_implILNS1_25lookback_scan_determinismE0ELb0ELb0ES3_PKS6_PS6_S6_ZZZN2at6native31launch_logcumsumexp_cuda_kernelERKNSD_10TensorBaseESH_lENKUlvE_clEvENKUlvE3_clEvEUlS6_S6_E_S6_EEDaPvRmT3_T4_T5_mT6_P12ihipStream_tbENKUlT_T0_E_clISt17integral_constantIbLb0EESX_IbLb1EEEEDaST_SU_EUlST_E_NS1_11comp_targetILNS1_3genE2ELNS1_11target_archE906ELNS1_3gpuE6ELNS1_3repE0EEENS1_30default_config_static_selectorELNS0_4arch9wavefront6targetE1EEEvT1_
; %bb.0:
	.section	.rodata,"a",@progbits
	.p2align	6, 0x0
	.amdhsa_kernel _ZN7rocprim17ROCPRIM_400000_NS6detail17trampoline_kernelINS0_14default_configENS1_20scan_config_selectorIN3c104HalfEEEZZNS1_9scan_implILNS1_25lookback_scan_determinismE0ELb0ELb0ES3_PKS6_PS6_S6_ZZZN2at6native31launch_logcumsumexp_cuda_kernelERKNSD_10TensorBaseESH_lENKUlvE_clEvENKUlvE3_clEvEUlS6_S6_E_S6_EEDaPvRmT3_T4_T5_mT6_P12ihipStream_tbENKUlT_T0_E_clISt17integral_constantIbLb0EESX_IbLb1EEEEDaST_SU_EUlST_E_NS1_11comp_targetILNS1_3genE2ELNS1_11target_archE906ELNS1_3gpuE6ELNS1_3repE0EEENS1_30default_config_static_selectorELNS0_4arch9wavefront6targetE1EEEvT1_
		.amdhsa_group_segment_fixed_size 0
		.amdhsa_private_segment_fixed_size 0
		.amdhsa_kernarg_size 96
		.amdhsa_user_sgpr_count 6
		.amdhsa_user_sgpr_private_segment_buffer 1
		.amdhsa_user_sgpr_dispatch_ptr 0
		.amdhsa_user_sgpr_queue_ptr 0
		.amdhsa_user_sgpr_kernarg_segment_ptr 1
		.amdhsa_user_sgpr_dispatch_id 0
		.amdhsa_user_sgpr_flat_scratch_init 0
		.amdhsa_user_sgpr_kernarg_preload_length 0
		.amdhsa_user_sgpr_kernarg_preload_offset 0
		.amdhsa_user_sgpr_private_segment_size 0
		.amdhsa_uses_dynamic_stack 0
		.amdhsa_system_sgpr_private_segment_wavefront_offset 0
		.amdhsa_system_sgpr_workgroup_id_x 1
		.amdhsa_system_sgpr_workgroup_id_y 0
		.amdhsa_system_sgpr_workgroup_id_z 0
		.amdhsa_system_sgpr_workgroup_info 0
		.amdhsa_system_vgpr_workitem_id 0
		.amdhsa_next_free_vgpr 1
		.amdhsa_next_free_sgpr 0
		.amdhsa_accum_offset 4
		.amdhsa_reserve_vcc 0
		.amdhsa_reserve_flat_scratch 0
		.amdhsa_float_round_mode_32 0
		.amdhsa_float_round_mode_16_64 0
		.amdhsa_float_denorm_mode_32 3
		.amdhsa_float_denorm_mode_16_64 3
		.amdhsa_dx10_clamp 1
		.amdhsa_ieee_mode 1
		.amdhsa_fp16_overflow 0
		.amdhsa_tg_split 0
		.amdhsa_exception_fp_ieee_invalid_op 0
		.amdhsa_exception_fp_denorm_src 0
		.amdhsa_exception_fp_ieee_div_zero 0
		.amdhsa_exception_fp_ieee_overflow 0
		.amdhsa_exception_fp_ieee_underflow 0
		.amdhsa_exception_fp_ieee_inexact 0
		.amdhsa_exception_int_div_zero 0
	.end_amdhsa_kernel
	.section	.text._ZN7rocprim17ROCPRIM_400000_NS6detail17trampoline_kernelINS0_14default_configENS1_20scan_config_selectorIN3c104HalfEEEZZNS1_9scan_implILNS1_25lookback_scan_determinismE0ELb0ELb0ES3_PKS6_PS6_S6_ZZZN2at6native31launch_logcumsumexp_cuda_kernelERKNSD_10TensorBaseESH_lENKUlvE_clEvENKUlvE3_clEvEUlS6_S6_E_S6_EEDaPvRmT3_T4_T5_mT6_P12ihipStream_tbENKUlT_T0_E_clISt17integral_constantIbLb0EESX_IbLb1EEEEDaST_SU_EUlST_E_NS1_11comp_targetILNS1_3genE2ELNS1_11target_archE906ELNS1_3gpuE6ELNS1_3repE0EEENS1_30default_config_static_selectorELNS0_4arch9wavefront6targetE1EEEvT1_,"axG",@progbits,_ZN7rocprim17ROCPRIM_400000_NS6detail17trampoline_kernelINS0_14default_configENS1_20scan_config_selectorIN3c104HalfEEEZZNS1_9scan_implILNS1_25lookback_scan_determinismE0ELb0ELb0ES3_PKS6_PS6_S6_ZZZN2at6native31launch_logcumsumexp_cuda_kernelERKNSD_10TensorBaseESH_lENKUlvE_clEvENKUlvE3_clEvEUlS6_S6_E_S6_EEDaPvRmT3_T4_T5_mT6_P12ihipStream_tbENKUlT_T0_E_clISt17integral_constantIbLb0EESX_IbLb1EEEEDaST_SU_EUlST_E_NS1_11comp_targetILNS1_3genE2ELNS1_11target_archE906ELNS1_3gpuE6ELNS1_3repE0EEENS1_30default_config_static_selectorELNS0_4arch9wavefront6targetE1EEEvT1_,comdat
.Lfunc_end424:
	.size	_ZN7rocprim17ROCPRIM_400000_NS6detail17trampoline_kernelINS0_14default_configENS1_20scan_config_selectorIN3c104HalfEEEZZNS1_9scan_implILNS1_25lookback_scan_determinismE0ELb0ELb0ES3_PKS6_PS6_S6_ZZZN2at6native31launch_logcumsumexp_cuda_kernelERKNSD_10TensorBaseESH_lENKUlvE_clEvENKUlvE3_clEvEUlS6_S6_E_S6_EEDaPvRmT3_T4_T5_mT6_P12ihipStream_tbENKUlT_T0_E_clISt17integral_constantIbLb0EESX_IbLb1EEEEDaST_SU_EUlST_E_NS1_11comp_targetILNS1_3genE2ELNS1_11target_archE906ELNS1_3gpuE6ELNS1_3repE0EEENS1_30default_config_static_selectorELNS0_4arch9wavefront6targetE1EEEvT1_, .Lfunc_end424-_ZN7rocprim17ROCPRIM_400000_NS6detail17trampoline_kernelINS0_14default_configENS1_20scan_config_selectorIN3c104HalfEEEZZNS1_9scan_implILNS1_25lookback_scan_determinismE0ELb0ELb0ES3_PKS6_PS6_S6_ZZZN2at6native31launch_logcumsumexp_cuda_kernelERKNSD_10TensorBaseESH_lENKUlvE_clEvENKUlvE3_clEvEUlS6_S6_E_S6_EEDaPvRmT3_T4_T5_mT6_P12ihipStream_tbENKUlT_T0_E_clISt17integral_constantIbLb0EESX_IbLb1EEEEDaST_SU_EUlST_E_NS1_11comp_targetILNS1_3genE2ELNS1_11target_archE906ELNS1_3gpuE6ELNS1_3repE0EEENS1_30default_config_static_selectorELNS0_4arch9wavefront6targetE1EEEvT1_
                                        ; -- End function
	.section	.AMDGPU.csdata,"",@progbits
; Kernel info:
; codeLenInByte = 0
; NumSgprs: 4
; NumVgprs: 0
; NumAgprs: 0
; TotalNumVgprs: 0
; ScratchSize: 0
; MemoryBound: 0
; FloatMode: 240
; IeeeMode: 1
; LDSByteSize: 0 bytes/workgroup (compile time only)
; SGPRBlocks: 0
; VGPRBlocks: 0
; NumSGPRsForWavesPerEU: 4
; NumVGPRsForWavesPerEU: 1
; AccumOffset: 4
; Occupancy: 8
; WaveLimiterHint : 0
; COMPUTE_PGM_RSRC2:SCRATCH_EN: 0
; COMPUTE_PGM_RSRC2:USER_SGPR: 6
; COMPUTE_PGM_RSRC2:TRAP_HANDLER: 0
; COMPUTE_PGM_RSRC2:TGID_X_EN: 1
; COMPUTE_PGM_RSRC2:TGID_Y_EN: 0
; COMPUTE_PGM_RSRC2:TGID_Z_EN: 0
; COMPUTE_PGM_RSRC2:TIDIG_COMP_CNT: 0
; COMPUTE_PGM_RSRC3_GFX90A:ACCUM_OFFSET: 0
; COMPUTE_PGM_RSRC3_GFX90A:TG_SPLIT: 0
	.section	.text._ZN7rocprim17ROCPRIM_400000_NS6detail17trampoline_kernelINS0_14default_configENS1_20scan_config_selectorIN3c104HalfEEEZZNS1_9scan_implILNS1_25lookback_scan_determinismE0ELb0ELb0ES3_PKS6_PS6_S6_ZZZN2at6native31launch_logcumsumexp_cuda_kernelERKNSD_10TensorBaseESH_lENKUlvE_clEvENKUlvE3_clEvEUlS6_S6_E_S6_EEDaPvRmT3_T4_T5_mT6_P12ihipStream_tbENKUlT_T0_E_clISt17integral_constantIbLb0EESX_IbLb1EEEEDaST_SU_EUlST_E_NS1_11comp_targetILNS1_3genE10ELNS1_11target_archE1201ELNS1_3gpuE5ELNS1_3repE0EEENS1_30default_config_static_selectorELNS0_4arch9wavefront6targetE1EEEvT1_,"axG",@progbits,_ZN7rocprim17ROCPRIM_400000_NS6detail17trampoline_kernelINS0_14default_configENS1_20scan_config_selectorIN3c104HalfEEEZZNS1_9scan_implILNS1_25lookback_scan_determinismE0ELb0ELb0ES3_PKS6_PS6_S6_ZZZN2at6native31launch_logcumsumexp_cuda_kernelERKNSD_10TensorBaseESH_lENKUlvE_clEvENKUlvE3_clEvEUlS6_S6_E_S6_EEDaPvRmT3_T4_T5_mT6_P12ihipStream_tbENKUlT_T0_E_clISt17integral_constantIbLb0EESX_IbLb1EEEEDaST_SU_EUlST_E_NS1_11comp_targetILNS1_3genE10ELNS1_11target_archE1201ELNS1_3gpuE5ELNS1_3repE0EEENS1_30default_config_static_selectorELNS0_4arch9wavefront6targetE1EEEvT1_,comdat
	.globl	_ZN7rocprim17ROCPRIM_400000_NS6detail17trampoline_kernelINS0_14default_configENS1_20scan_config_selectorIN3c104HalfEEEZZNS1_9scan_implILNS1_25lookback_scan_determinismE0ELb0ELb0ES3_PKS6_PS6_S6_ZZZN2at6native31launch_logcumsumexp_cuda_kernelERKNSD_10TensorBaseESH_lENKUlvE_clEvENKUlvE3_clEvEUlS6_S6_E_S6_EEDaPvRmT3_T4_T5_mT6_P12ihipStream_tbENKUlT_T0_E_clISt17integral_constantIbLb0EESX_IbLb1EEEEDaST_SU_EUlST_E_NS1_11comp_targetILNS1_3genE10ELNS1_11target_archE1201ELNS1_3gpuE5ELNS1_3repE0EEENS1_30default_config_static_selectorELNS0_4arch9wavefront6targetE1EEEvT1_ ; -- Begin function _ZN7rocprim17ROCPRIM_400000_NS6detail17trampoline_kernelINS0_14default_configENS1_20scan_config_selectorIN3c104HalfEEEZZNS1_9scan_implILNS1_25lookback_scan_determinismE0ELb0ELb0ES3_PKS6_PS6_S6_ZZZN2at6native31launch_logcumsumexp_cuda_kernelERKNSD_10TensorBaseESH_lENKUlvE_clEvENKUlvE3_clEvEUlS6_S6_E_S6_EEDaPvRmT3_T4_T5_mT6_P12ihipStream_tbENKUlT_T0_E_clISt17integral_constantIbLb0EESX_IbLb1EEEEDaST_SU_EUlST_E_NS1_11comp_targetILNS1_3genE10ELNS1_11target_archE1201ELNS1_3gpuE5ELNS1_3repE0EEENS1_30default_config_static_selectorELNS0_4arch9wavefront6targetE1EEEvT1_
	.p2align	8
	.type	_ZN7rocprim17ROCPRIM_400000_NS6detail17trampoline_kernelINS0_14default_configENS1_20scan_config_selectorIN3c104HalfEEEZZNS1_9scan_implILNS1_25lookback_scan_determinismE0ELb0ELb0ES3_PKS6_PS6_S6_ZZZN2at6native31launch_logcumsumexp_cuda_kernelERKNSD_10TensorBaseESH_lENKUlvE_clEvENKUlvE3_clEvEUlS6_S6_E_S6_EEDaPvRmT3_T4_T5_mT6_P12ihipStream_tbENKUlT_T0_E_clISt17integral_constantIbLb0EESX_IbLb1EEEEDaST_SU_EUlST_E_NS1_11comp_targetILNS1_3genE10ELNS1_11target_archE1201ELNS1_3gpuE5ELNS1_3repE0EEENS1_30default_config_static_selectorELNS0_4arch9wavefront6targetE1EEEvT1_,@function
_ZN7rocprim17ROCPRIM_400000_NS6detail17trampoline_kernelINS0_14default_configENS1_20scan_config_selectorIN3c104HalfEEEZZNS1_9scan_implILNS1_25lookback_scan_determinismE0ELb0ELb0ES3_PKS6_PS6_S6_ZZZN2at6native31launch_logcumsumexp_cuda_kernelERKNSD_10TensorBaseESH_lENKUlvE_clEvENKUlvE3_clEvEUlS6_S6_E_S6_EEDaPvRmT3_T4_T5_mT6_P12ihipStream_tbENKUlT_T0_E_clISt17integral_constantIbLb0EESX_IbLb1EEEEDaST_SU_EUlST_E_NS1_11comp_targetILNS1_3genE10ELNS1_11target_archE1201ELNS1_3gpuE5ELNS1_3repE0EEENS1_30default_config_static_selectorELNS0_4arch9wavefront6targetE1EEEvT1_: ; @_ZN7rocprim17ROCPRIM_400000_NS6detail17trampoline_kernelINS0_14default_configENS1_20scan_config_selectorIN3c104HalfEEEZZNS1_9scan_implILNS1_25lookback_scan_determinismE0ELb0ELb0ES3_PKS6_PS6_S6_ZZZN2at6native31launch_logcumsumexp_cuda_kernelERKNSD_10TensorBaseESH_lENKUlvE_clEvENKUlvE3_clEvEUlS6_S6_E_S6_EEDaPvRmT3_T4_T5_mT6_P12ihipStream_tbENKUlT_T0_E_clISt17integral_constantIbLb0EESX_IbLb1EEEEDaST_SU_EUlST_E_NS1_11comp_targetILNS1_3genE10ELNS1_11target_archE1201ELNS1_3gpuE5ELNS1_3repE0EEENS1_30default_config_static_selectorELNS0_4arch9wavefront6targetE1EEEvT1_
; %bb.0:
	.section	.rodata,"a",@progbits
	.p2align	6, 0x0
	.amdhsa_kernel _ZN7rocprim17ROCPRIM_400000_NS6detail17trampoline_kernelINS0_14default_configENS1_20scan_config_selectorIN3c104HalfEEEZZNS1_9scan_implILNS1_25lookback_scan_determinismE0ELb0ELb0ES3_PKS6_PS6_S6_ZZZN2at6native31launch_logcumsumexp_cuda_kernelERKNSD_10TensorBaseESH_lENKUlvE_clEvENKUlvE3_clEvEUlS6_S6_E_S6_EEDaPvRmT3_T4_T5_mT6_P12ihipStream_tbENKUlT_T0_E_clISt17integral_constantIbLb0EESX_IbLb1EEEEDaST_SU_EUlST_E_NS1_11comp_targetILNS1_3genE10ELNS1_11target_archE1201ELNS1_3gpuE5ELNS1_3repE0EEENS1_30default_config_static_selectorELNS0_4arch9wavefront6targetE1EEEvT1_
		.amdhsa_group_segment_fixed_size 0
		.amdhsa_private_segment_fixed_size 0
		.amdhsa_kernarg_size 96
		.amdhsa_user_sgpr_count 6
		.amdhsa_user_sgpr_private_segment_buffer 1
		.amdhsa_user_sgpr_dispatch_ptr 0
		.amdhsa_user_sgpr_queue_ptr 0
		.amdhsa_user_sgpr_kernarg_segment_ptr 1
		.amdhsa_user_sgpr_dispatch_id 0
		.amdhsa_user_sgpr_flat_scratch_init 0
		.amdhsa_user_sgpr_kernarg_preload_length 0
		.amdhsa_user_sgpr_kernarg_preload_offset 0
		.amdhsa_user_sgpr_private_segment_size 0
		.amdhsa_uses_dynamic_stack 0
		.amdhsa_system_sgpr_private_segment_wavefront_offset 0
		.amdhsa_system_sgpr_workgroup_id_x 1
		.amdhsa_system_sgpr_workgroup_id_y 0
		.amdhsa_system_sgpr_workgroup_id_z 0
		.amdhsa_system_sgpr_workgroup_info 0
		.amdhsa_system_vgpr_workitem_id 0
		.amdhsa_next_free_vgpr 1
		.amdhsa_next_free_sgpr 0
		.amdhsa_accum_offset 4
		.amdhsa_reserve_vcc 0
		.amdhsa_reserve_flat_scratch 0
		.amdhsa_float_round_mode_32 0
		.amdhsa_float_round_mode_16_64 0
		.amdhsa_float_denorm_mode_32 3
		.amdhsa_float_denorm_mode_16_64 3
		.amdhsa_dx10_clamp 1
		.amdhsa_ieee_mode 1
		.amdhsa_fp16_overflow 0
		.amdhsa_tg_split 0
		.amdhsa_exception_fp_ieee_invalid_op 0
		.amdhsa_exception_fp_denorm_src 0
		.amdhsa_exception_fp_ieee_div_zero 0
		.amdhsa_exception_fp_ieee_overflow 0
		.amdhsa_exception_fp_ieee_underflow 0
		.amdhsa_exception_fp_ieee_inexact 0
		.amdhsa_exception_int_div_zero 0
	.end_amdhsa_kernel
	.section	.text._ZN7rocprim17ROCPRIM_400000_NS6detail17trampoline_kernelINS0_14default_configENS1_20scan_config_selectorIN3c104HalfEEEZZNS1_9scan_implILNS1_25lookback_scan_determinismE0ELb0ELb0ES3_PKS6_PS6_S6_ZZZN2at6native31launch_logcumsumexp_cuda_kernelERKNSD_10TensorBaseESH_lENKUlvE_clEvENKUlvE3_clEvEUlS6_S6_E_S6_EEDaPvRmT3_T4_T5_mT6_P12ihipStream_tbENKUlT_T0_E_clISt17integral_constantIbLb0EESX_IbLb1EEEEDaST_SU_EUlST_E_NS1_11comp_targetILNS1_3genE10ELNS1_11target_archE1201ELNS1_3gpuE5ELNS1_3repE0EEENS1_30default_config_static_selectorELNS0_4arch9wavefront6targetE1EEEvT1_,"axG",@progbits,_ZN7rocprim17ROCPRIM_400000_NS6detail17trampoline_kernelINS0_14default_configENS1_20scan_config_selectorIN3c104HalfEEEZZNS1_9scan_implILNS1_25lookback_scan_determinismE0ELb0ELb0ES3_PKS6_PS6_S6_ZZZN2at6native31launch_logcumsumexp_cuda_kernelERKNSD_10TensorBaseESH_lENKUlvE_clEvENKUlvE3_clEvEUlS6_S6_E_S6_EEDaPvRmT3_T4_T5_mT6_P12ihipStream_tbENKUlT_T0_E_clISt17integral_constantIbLb0EESX_IbLb1EEEEDaST_SU_EUlST_E_NS1_11comp_targetILNS1_3genE10ELNS1_11target_archE1201ELNS1_3gpuE5ELNS1_3repE0EEENS1_30default_config_static_selectorELNS0_4arch9wavefront6targetE1EEEvT1_,comdat
.Lfunc_end425:
	.size	_ZN7rocprim17ROCPRIM_400000_NS6detail17trampoline_kernelINS0_14default_configENS1_20scan_config_selectorIN3c104HalfEEEZZNS1_9scan_implILNS1_25lookback_scan_determinismE0ELb0ELb0ES3_PKS6_PS6_S6_ZZZN2at6native31launch_logcumsumexp_cuda_kernelERKNSD_10TensorBaseESH_lENKUlvE_clEvENKUlvE3_clEvEUlS6_S6_E_S6_EEDaPvRmT3_T4_T5_mT6_P12ihipStream_tbENKUlT_T0_E_clISt17integral_constantIbLb0EESX_IbLb1EEEEDaST_SU_EUlST_E_NS1_11comp_targetILNS1_3genE10ELNS1_11target_archE1201ELNS1_3gpuE5ELNS1_3repE0EEENS1_30default_config_static_selectorELNS0_4arch9wavefront6targetE1EEEvT1_, .Lfunc_end425-_ZN7rocprim17ROCPRIM_400000_NS6detail17trampoline_kernelINS0_14default_configENS1_20scan_config_selectorIN3c104HalfEEEZZNS1_9scan_implILNS1_25lookback_scan_determinismE0ELb0ELb0ES3_PKS6_PS6_S6_ZZZN2at6native31launch_logcumsumexp_cuda_kernelERKNSD_10TensorBaseESH_lENKUlvE_clEvENKUlvE3_clEvEUlS6_S6_E_S6_EEDaPvRmT3_T4_T5_mT6_P12ihipStream_tbENKUlT_T0_E_clISt17integral_constantIbLb0EESX_IbLb1EEEEDaST_SU_EUlST_E_NS1_11comp_targetILNS1_3genE10ELNS1_11target_archE1201ELNS1_3gpuE5ELNS1_3repE0EEENS1_30default_config_static_selectorELNS0_4arch9wavefront6targetE1EEEvT1_
                                        ; -- End function
	.section	.AMDGPU.csdata,"",@progbits
; Kernel info:
; codeLenInByte = 0
; NumSgprs: 4
; NumVgprs: 0
; NumAgprs: 0
; TotalNumVgprs: 0
; ScratchSize: 0
; MemoryBound: 0
; FloatMode: 240
; IeeeMode: 1
; LDSByteSize: 0 bytes/workgroup (compile time only)
; SGPRBlocks: 0
; VGPRBlocks: 0
; NumSGPRsForWavesPerEU: 4
; NumVGPRsForWavesPerEU: 1
; AccumOffset: 4
; Occupancy: 8
; WaveLimiterHint : 0
; COMPUTE_PGM_RSRC2:SCRATCH_EN: 0
; COMPUTE_PGM_RSRC2:USER_SGPR: 6
; COMPUTE_PGM_RSRC2:TRAP_HANDLER: 0
; COMPUTE_PGM_RSRC2:TGID_X_EN: 1
; COMPUTE_PGM_RSRC2:TGID_Y_EN: 0
; COMPUTE_PGM_RSRC2:TGID_Z_EN: 0
; COMPUTE_PGM_RSRC2:TIDIG_COMP_CNT: 0
; COMPUTE_PGM_RSRC3_GFX90A:ACCUM_OFFSET: 0
; COMPUTE_PGM_RSRC3_GFX90A:TG_SPLIT: 0
	.section	.text._ZN7rocprim17ROCPRIM_400000_NS6detail17trampoline_kernelINS0_14default_configENS1_20scan_config_selectorIN3c104HalfEEEZZNS1_9scan_implILNS1_25lookback_scan_determinismE0ELb0ELb0ES3_PKS6_PS6_S6_ZZZN2at6native31launch_logcumsumexp_cuda_kernelERKNSD_10TensorBaseESH_lENKUlvE_clEvENKUlvE3_clEvEUlS6_S6_E_S6_EEDaPvRmT3_T4_T5_mT6_P12ihipStream_tbENKUlT_T0_E_clISt17integral_constantIbLb0EESX_IbLb1EEEEDaST_SU_EUlST_E_NS1_11comp_targetILNS1_3genE10ELNS1_11target_archE1200ELNS1_3gpuE4ELNS1_3repE0EEENS1_30default_config_static_selectorELNS0_4arch9wavefront6targetE1EEEvT1_,"axG",@progbits,_ZN7rocprim17ROCPRIM_400000_NS6detail17trampoline_kernelINS0_14default_configENS1_20scan_config_selectorIN3c104HalfEEEZZNS1_9scan_implILNS1_25lookback_scan_determinismE0ELb0ELb0ES3_PKS6_PS6_S6_ZZZN2at6native31launch_logcumsumexp_cuda_kernelERKNSD_10TensorBaseESH_lENKUlvE_clEvENKUlvE3_clEvEUlS6_S6_E_S6_EEDaPvRmT3_T4_T5_mT6_P12ihipStream_tbENKUlT_T0_E_clISt17integral_constantIbLb0EESX_IbLb1EEEEDaST_SU_EUlST_E_NS1_11comp_targetILNS1_3genE10ELNS1_11target_archE1200ELNS1_3gpuE4ELNS1_3repE0EEENS1_30default_config_static_selectorELNS0_4arch9wavefront6targetE1EEEvT1_,comdat
	.globl	_ZN7rocprim17ROCPRIM_400000_NS6detail17trampoline_kernelINS0_14default_configENS1_20scan_config_selectorIN3c104HalfEEEZZNS1_9scan_implILNS1_25lookback_scan_determinismE0ELb0ELb0ES3_PKS6_PS6_S6_ZZZN2at6native31launch_logcumsumexp_cuda_kernelERKNSD_10TensorBaseESH_lENKUlvE_clEvENKUlvE3_clEvEUlS6_S6_E_S6_EEDaPvRmT3_T4_T5_mT6_P12ihipStream_tbENKUlT_T0_E_clISt17integral_constantIbLb0EESX_IbLb1EEEEDaST_SU_EUlST_E_NS1_11comp_targetILNS1_3genE10ELNS1_11target_archE1200ELNS1_3gpuE4ELNS1_3repE0EEENS1_30default_config_static_selectorELNS0_4arch9wavefront6targetE1EEEvT1_ ; -- Begin function _ZN7rocprim17ROCPRIM_400000_NS6detail17trampoline_kernelINS0_14default_configENS1_20scan_config_selectorIN3c104HalfEEEZZNS1_9scan_implILNS1_25lookback_scan_determinismE0ELb0ELb0ES3_PKS6_PS6_S6_ZZZN2at6native31launch_logcumsumexp_cuda_kernelERKNSD_10TensorBaseESH_lENKUlvE_clEvENKUlvE3_clEvEUlS6_S6_E_S6_EEDaPvRmT3_T4_T5_mT6_P12ihipStream_tbENKUlT_T0_E_clISt17integral_constantIbLb0EESX_IbLb1EEEEDaST_SU_EUlST_E_NS1_11comp_targetILNS1_3genE10ELNS1_11target_archE1200ELNS1_3gpuE4ELNS1_3repE0EEENS1_30default_config_static_selectorELNS0_4arch9wavefront6targetE1EEEvT1_
	.p2align	8
	.type	_ZN7rocprim17ROCPRIM_400000_NS6detail17trampoline_kernelINS0_14default_configENS1_20scan_config_selectorIN3c104HalfEEEZZNS1_9scan_implILNS1_25lookback_scan_determinismE0ELb0ELb0ES3_PKS6_PS6_S6_ZZZN2at6native31launch_logcumsumexp_cuda_kernelERKNSD_10TensorBaseESH_lENKUlvE_clEvENKUlvE3_clEvEUlS6_S6_E_S6_EEDaPvRmT3_T4_T5_mT6_P12ihipStream_tbENKUlT_T0_E_clISt17integral_constantIbLb0EESX_IbLb1EEEEDaST_SU_EUlST_E_NS1_11comp_targetILNS1_3genE10ELNS1_11target_archE1200ELNS1_3gpuE4ELNS1_3repE0EEENS1_30default_config_static_selectorELNS0_4arch9wavefront6targetE1EEEvT1_,@function
_ZN7rocprim17ROCPRIM_400000_NS6detail17trampoline_kernelINS0_14default_configENS1_20scan_config_selectorIN3c104HalfEEEZZNS1_9scan_implILNS1_25lookback_scan_determinismE0ELb0ELb0ES3_PKS6_PS6_S6_ZZZN2at6native31launch_logcumsumexp_cuda_kernelERKNSD_10TensorBaseESH_lENKUlvE_clEvENKUlvE3_clEvEUlS6_S6_E_S6_EEDaPvRmT3_T4_T5_mT6_P12ihipStream_tbENKUlT_T0_E_clISt17integral_constantIbLb0EESX_IbLb1EEEEDaST_SU_EUlST_E_NS1_11comp_targetILNS1_3genE10ELNS1_11target_archE1200ELNS1_3gpuE4ELNS1_3repE0EEENS1_30default_config_static_selectorELNS0_4arch9wavefront6targetE1EEEvT1_: ; @_ZN7rocprim17ROCPRIM_400000_NS6detail17trampoline_kernelINS0_14default_configENS1_20scan_config_selectorIN3c104HalfEEEZZNS1_9scan_implILNS1_25lookback_scan_determinismE0ELb0ELb0ES3_PKS6_PS6_S6_ZZZN2at6native31launch_logcumsumexp_cuda_kernelERKNSD_10TensorBaseESH_lENKUlvE_clEvENKUlvE3_clEvEUlS6_S6_E_S6_EEDaPvRmT3_T4_T5_mT6_P12ihipStream_tbENKUlT_T0_E_clISt17integral_constantIbLb0EESX_IbLb1EEEEDaST_SU_EUlST_E_NS1_11comp_targetILNS1_3genE10ELNS1_11target_archE1200ELNS1_3gpuE4ELNS1_3repE0EEENS1_30default_config_static_selectorELNS0_4arch9wavefront6targetE1EEEvT1_
; %bb.0:
	.section	.rodata,"a",@progbits
	.p2align	6, 0x0
	.amdhsa_kernel _ZN7rocprim17ROCPRIM_400000_NS6detail17trampoline_kernelINS0_14default_configENS1_20scan_config_selectorIN3c104HalfEEEZZNS1_9scan_implILNS1_25lookback_scan_determinismE0ELb0ELb0ES3_PKS6_PS6_S6_ZZZN2at6native31launch_logcumsumexp_cuda_kernelERKNSD_10TensorBaseESH_lENKUlvE_clEvENKUlvE3_clEvEUlS6_S6_E_S6_EEDaPvRmT3_T4_T5_mT6_P12ihipStream_tbENKUlT_T0_E_clISt17integral_constantIbLb0EESX_IbLb1EEEEDaST_SU_EUlST_E_NS1_11comp_targetILNS1_3genE10ELNS1_11target_archE1200ELNS1_3gpuE4ELNS1_3repE0EEENS1_30default_config_static_selectorELNS0_4arch9wavefront6targetE1EEEvT1_
		.amdhsa_group_segment_fixed_size 0
		.amdhsa_private_segment_fixed_size 0
		.amdhsa_kernarg_size 96
		.amdhsa_user_sgpr_count 6
		.amdhsa_user_sgpr_private_segment_buffer 1
		.amdhsa_user_sgpr_dispatch_ptr 0
		.amdhsa_user_sgpr_queue_ptr 0
		.amdhsa_user_sgpr_kernarg_segment_ptr 1
		.amdhsa_user_sgpr_dispatch_id 0
		.amdhsa_user_sgpr_flat_scratch_init 0
		.amdhsa_user_sgpr_kernarg_preload_length 0
		.amdhsa_user_sgpr_kernarg_preload_offset 0
		.amdhsa_user_sgpr_private_segment_size 0
		.amdhsa_uses_dynamic_stack 0
		.amdhsa_system_sgpr_private_segment_wavefront_offset 0
		.amdhsa_system_sgpr_workgroup_id_x 1
		.amdhsa_system_sgpr_workgroup_id_y 0
		.amdhsa_system_sgpr_workgroup_id_z 0
		.amdhsa_system_sgpr_workgroup_info 0
		.amdhsa_system_vgpr_workitem_id 0
		.amdhsa_next_free_vgpr 1
		.amdhsa_next_free_sgpr 0
		.amdhsa_accum_offset 4
		.amdhsa_reserve_vcc 0
		.amdhsa_reserve_flat_scratch 0
		.amdhsa_float_round_mode_32 0
		.amdhsa_float_round_mode_16_64 0
		.amdhsa_float_denorm_mode_32 3
		.amdhsa_float_denorm_mode_16_64 3
		.amdhsa_dx10_clamp 1
		.amdhsa_ieee_mode 1
		.amdhsa_fp16_overflow 0
		.amdhsa_tg_split 0
		.amdhsa_exception_fp_ieee_invalid_op 0
		.amdhsa_exception_fp_denorm_src 0
		.amdhsa_exception_fp_ieee_div_zero 0
		.amdhsa_exception_fp_ieee_overflow 0
		.amdhsa_exception_fp_ieee_underflow 0
		.amdhsa_exception_fp_ieee_inexact 0
		.amdhsa_exception_int_div_zero 0
	.end_amdhsa_kernel
	.section	.text._ZN7rocprim17ROCPRIM_400000_NS6detail17trampoline_kernelINS0_14default_configENS1_20scan_config_selectorIN3c104HalfEEEZZNS1_9scan_implILNS1_25lookback_scan_determinismE0ELb0ELb0ES3_PKS6_PS6_S6_ZZZN2at6native31launch_logcumsumexp_cuda_kernelERKNSD_10TensorBaseESH_lENKUlvE_clEvENKUlvE3_clEvEUlS6_S6_E_S6_EEDaPvRmT3_T4_T5_mT6_P12ihipStream_tbENKUlT_T0_E_clISt17integral_constantIbLb0EESX_IbLb1EEEEDaST_SU_EUlST_E_NS1_11comp_targetILNS1_3genE10ELNS1_11target_archE1200ELNS1_3gpuE4ELNS1_3repE0EEENS1_30default_config_static_selectorELNS0_4arch9wavefront6targetE1EEEvT1_,"axG",@progbits,_ZN7rocprim17ROCPRIM_400000_NS6detail17trampoline_kernelINS0_14default_configENS1_20scan_config_selectorIN3c104HalfEEEZZNS1_9scan_implILNS1_25lookback_scan_determinismE0ELb0ELb0ES3_PKS6_PS6_S6_ZZZN2at6native31launch_logcumsumexp_cuda_kernelERKNSD_10TensorBaseESH_lENKUlvE_clEvENKUlvE3_clEvEUlS6_S6_E_S6_EEDaPvRmT3_T4_T5_mT6_P12ihipStream_tbENKUlT_T0_E_clISt17integral_constantIbLb0EESX_IbLb1EEEEDaST_SU_EUlST_E_NS1_11comp_targetILNS1_3genE10ELNS1_11target_archE1200ELNS1_3gpuE4ELNS1_3repE0EEENS1_30default_config_static_selectorELNS0_4arch9wavefront6targetE1EEEvT1_,comdat
.Lfunc_end426:
	.size	_ZN7rocprim17ROCPRIM_400000_NS6detail17trampoline_kernelINS0_14default_configENS1_20scan_config_selectorIN3c104HalfEEEZZNS1_9scan_implILNS1_25lookback_scan_determinismE0ELb0ELb0ES3_PKS6_PS6_S6_ZZZN2at6native31launch_logcumsumexp_cuda_kernelERKNSD_10TensorBaseESH_lENKUlvE_clEvENKUlvE3_clEvEUlS6_S6_E_S6_EEDaPvRmT3_T4_T5_mT6_P12ihipStream_tbENKUlT_T0_E_clISt17integral_constantIbLb0EESX_IbLb1EEEEDaST_SU_EUlST_E_NS1_11comp_targetILNS1_3genE10ELNS1_11target_archE1200ELNS1_3gpuE4ELNS1_3repE0EEENS1_30default_config_static_selectorELNS0_4arch9wavefront6targetE1EEEvT1_, .Lfunc_end426-_ZN7rocprim17ROCPRIM_400000_NS6detail17trampoline_kernelINS0_14default_configENS1_20scan_config_selectorIN3c104HalfEEEZZNS1_9scan_implILNS1_25lookback_scan_determinismE0ELb0ELb0ES3_PKS6_PS6_S6_ZZZN2at6native31launch_logcumsumexp_cuda_kernelERKNSD_10TensorBaseESH_lENKUlvE_clEvENKUlvE3_clEvEUlS6_S6_E_S6_EEDaPvRmT3_T4_T5_mT6_P12ihipStream_tbENKUlT_T0_E_clISt17integral_constantIbLb0EESX_IbLb1EEEEDaST_SU_EUlST_E_NS1_11comp_targetILNS1_3genE10ELNS1_11target_archE1200ELNS1_3gpuE4ELNS1_3repE0EEENS1_30default_config_static_selectorELNS0_4arch9wavefront6targetE1EEEvT1_
                                        ; -- End function
	.section	.AMDGPU.csdata,"",@progbits
; Kernel info:
; codeLenInByte = 0
; NumSgprs: 4
; NumVgprs: 0
; NumAgprs: 0
; TotalNumVgprs: 0
; ScratchSize: 0
; MemoryBound: 0
; FloatMode: 240
; IeeeMode: 1
; LDSByteSize: 0 bytes/workgroup (compile time only)
; SGPRBlocks: 0
; VGPRBlocks: 0
; NumSGPRsForWavesPerEU: 4
; NumVGPRsForWavesPerEU: 1
; AccumOffset: 4
; Occupancy: 8
; WaveLimiterHint : 0
; COMPUTE_PGM_RSRC2:SCRATCH_EN: 0
; COMPUTE_PGM_RSRC2:USER_SGPR: 6
; COMPUTE_PGM_RSRC2:TRAP_HANDLER: 0
; COMPUTE_PGM_RSRC2:TGID_X_EN: 1
; COMPUTE_PGM_RSRC2:TGID_Y_EN: 0
; COMPUTE_PGM_RSRC2:TGID_Z_EN: 0
; COMPUTE_PGM_RSRC2:TIDIG_COMP_CNT: 0
; COMPUTE_PGM_RSRC3_GFX90A:ACCUM_OFFSET: 0
; COMPUTE_PGM_RSRC3_GFX90A:TG_SPLIT: 0
	.section	.text._ZN7rocprim17ROCPRIM_400000_NS6detail17trampoline_kernelINS0_14default_configENS1_20scan_config_selectorIN3c104HalfEEEZZNS1_9scan_implILNS1_25lookback_scan_determinismE0ELb0ELb0ES3_PKS6_PS6_S6_ZZZN2at6native31launch_logcumsumexp_cuda_kernelERKNSD_10TensorBaseESH_lENKUlvE_clEvENKUlvE3_clEvEUlS6_S6_E_S6_EEDaPvRmT3_T4_T5_mT6_P12ihipStream_tbENKUlT_T0_E_clISt17integral_constantIbLb0EESX_IbLb1EEEEDaST_SU_EUlST_E_NS1_11comp_targetILNS1_3genE9ELNS1_11target_archE1100ELNS1_3gpuE3ELNS1_3repE0EEENS1_30default_config_static_selectorELNS0_4arch9wavefront6targetE1EEEvT1_,"axG",@progbits,_ZN7rocprim17ROCPRIM_400000_NS6detail17trampoline_kernelINS0_14default_configENS1_20scan_config_selectorIN3c104HalfEEEZZNS1_9scan_implILNS1_25lookback_scan_determinismE0ELb0ELb0ES3_PKS6_PS6_S6_ZZZN2at6native31launch_logcumsumexp_cuda_kernelERKNSD_10TensorBaseESH_lENKUlvE_clEvENKUlvE3_clEvEUlS6_S6_E_S6_EEDaPvRmT3_T4_T5_mT6_P12ihipStream_tbENKUlT_T0_E_clISt17integral_constantIbLb0EESX_IbLb1EEEEDaST_SU_EUlST_E_NS1_11comp_targetILNS1_3genE9ELNS1_11target_archE1100ELNS1_3gpuE3ELNS1_3repE0EEENS1_30default_config_static_selectorELNS0_4arch9wavefront6targetE1EEEvT1_,comdat
	.globl	_ZN7rocprim17ROCPRIM_400000_NS6detail17trampoline_kernelINS0_14default_configENS1_20scan_config_selectorIN3c104HalfEEEZZNS1_9scan_implILNS1_25lookback_scan_determinismE0ELb0ELb0ES3_PKS6_PS6_S6_ZZZN2at6native31launch_logcumsumexp_cuda_kernelERKNSD_10TensorBaseESH_lENKUlvE_clEvENKUlvE3_clEvEUlS6_S6_E_S6_EEDaPvRmT3_T4_T5_mT6_P12ihipStream_tbENKUlT_T0_E_clISt17integral_constantIbLb0EESX_IbLb1EEEEDaST_SU_EUlST_E_NS1_11comp_targetILNS1_3genE9ELNS1_11target_archE1100ELNS1_3gpuE3ELNS1_3repE0EEENS1_30default_config_static_selectorELNS0_4arch9wavefront6targetE1EEEvT1_ ; -- Begin function _ZN7rocprim17ROCPRIM_400000_NS6detail17trampoline_kernelINS0_14default_configENS1_20scan_config_selectorIN3c104HalfEEEZZNS1_9scan_implILNS1_25lookback_scan_determinismE0ELb0ELb0ES3_PKS6_PS6_S6_ZZZN2at6native31launch_logcumsumexp_cuda_kernelERKNSD_10TensorBaseESH_lENKUlvE_clEvENKUlvE3_clEvEUlS6_S6_E_S6_EEDaPvRmT3_T4_T5_mT6_P12ihipStream_tbENKUlT_T0_E_clISt17integral_constantIbLb0EESX_IbLb1EEEEDaST_SU_EUlST_E_NS1_11comp_targetILNS1_3genE9ELNS1_11target_archE1100ELNS1_3gpuE3ELNS1_3repE0EEENS1_30default_config_static_selectorELNS0_4arch9wavefront6targetE1EEEvT1_
	.p2align	8
	.type	_ZN7rocprim17ROCPRIM_400000_NS6detail17trampoline_kernelINS0_14default_configENS1_20scan_config_selectorIN3c104HalfEEEZZNS1_9scan_implILNS1_25lookback_scan_determinismE0ELb0ELb0ES3_PKS6_PS6_S6_ZZZN2at6native31launch_logcumsumexp_cuda_kernelERKNSD_10TensorBaseESH_lENKUlvE_clEvENKUlvE3_clEvEUlS6_S6_E_S6_EEDaPvRmT3_T4_T5_mT6_P12ihipStream_tbENKUlT_T0_E_clISt17integral_constantIbLb0EESX_IbLb1EEEEDaST_SU_EUlST_E_NS1_11comp_targetILNS1_3genE9ELNS1_11target_archE1100ELNS1_3gpuE3ELNS1_3repE0EEENS1_30default_config_static_selectorELNS0_4arch9wavefront6targetE1EEEvT1_,@function
_ZN7rocprim17ROCPRIM_400000_NS6detail17trampoline_kernelINS0_14default_configENS1_20scan_config_selectorIN3c104HalfEEEZZNS1_9scan_implILNS1_25lookback_scan_determinismE0ELb0ELb0ES3_PKS6_PS6_S6_ZZZN2at6native31launch_logcumsumexp_cuda_kernelERKNSD_10TensorBaseESH_lENKUlvE_clEvENKUlvE3_clEvEUlS6_S6_E_S6_EEDaPvRmT3_T4_T5_mT6_P12ihipStream_tbENKUlT_T0_E_clISt17integral_constantIbLb0EESX_IbLb1EEEEDaST_SU_EUlST_E_NS1_11comp_targetILNS1_3genE9ELNS1_11target_archE1100ELNS1_3gpuE3ELNS1_3repE0EEENS1_30default_config_static_selectorELNS0_4arch9wavefront6targetE1EEEvT1_: ; @_ZN7rocprim17ROCPRIM_400000_NS6detail17trampoline_kernelINS0_14default_configENS1_20scan_config_selectorIN3c104HalfEEEZZNS1_9scan_implILNS1_25lookback_scan_determinismE0ELb0ELb0ES3_PKS6_PS6_S6_ZZZN2at6native31launch_logcumsumexp_cuda_kernelERKNSD_10TensorBaseESH_lENKUlvE_clEvENKUlvE3_clEvEUlS6_S6_E_S6_EEDaPvRmT3_T4_T5_mT6_P12ihipStream_tbENKUlT_T0_E_clISt17integral_constantIbLb0EESX_IbLb1EEEEDaST_SU_EUlST_E_NS1_11comp_targetILNS1_3genE9ELNS1_11target_archE1100ELNS1_3gpuE3ELNS1_3repE0EEENS1_30default_config_static_selectorELNS0_4arch9wavefront6targetE1EEEvT1_
; %bb.0:
	.section	.rodata,"a",@progbits
	.p2align	6, 0x0
	.amdhsa_kernel _ZN7rocprim17ROCPRIM_400000_NS6detail17trampoline_kernelINS0_14default_configENS1_20scan_config_selectorIN3c104HalfEEEZZNS1_9scan_implILNS1_25lookback_scan_determinismE0ELb0ELb0ES3_PKS6_PS6_S6_ZZZN2at6native31launch_logcumsumexp_cuda_kernelERKNSD_10TensorBaseESH_lENKUlvE_clEvENKUlvE3_clEvEUlS6_S6_E_S6_EEDaPvRmT3_T4_T5_mT6_P12ihipStream_tbENKUlT_T0_E_clISt17integral_constantIbLb0EESX_IbLb1EEEEDaST_SU_EUlST_E_NS1_11comp_targetILNS1_3genE9ELNS1_11target_archE1100ELNS1_3gpuE3ELNS1_3repE0EEENS1_30default_config_static_selectorELNS0_4arch9wavefront6targetE1EEEvT1_
		.amdhsa_group_segment_fixed_size 0
		.amdhsa_private_segment_fixed_size 0
		.amdhsa_kernarg_size 96
		.amdhsa_user_sgpr_count 6
		.amdhsa_user_sgpr_private_segment_buffer 1
		.amdhsa_user_sgpr_dispatch_ptr 0
		.amdhsa_user_sgpr_queue_ptr 0
		.amdhsa_user_sgpr_kernarg_segment_ptr 1
		.amdhsa_user_sgpr_dispatch_id 0
		.amdhsa_user_sgpr_flat_scratch_init 0
		.amdhsa_user_sgpr_kernarg_preload_length 0
		.amdhsa_user_sgpr_kernarg_preload_offset 0
		.amdhsa_user_sgpr_private_segment_size 0
		.amdhsa_uses_dynamic_stack 0
		.amdhsa_system_sgpr_private_segment_wavefront_offset 0
		.amdhsa_system_sgpr_workgroup_id_x 1
		.amdhsa_system_sgpr_workgroup_id_y 0
		.amdhsa_system_sgpr_workgroup_id_z 0
		.amdhsa_system_sgpr_workgroup_info 0
		.amdhsa_system_vgpr_workitem_id 0
		.amdhsa_next_free_vgpr 1
		.amdhsa_next_free_sgpr 0
		.amdhsa_accum_offset 4
		.amdhsa_reserve_vcc 0
		.amdhsa_reserve_flat_scratch 0
		.amdhsa_float_round_mode_32 0
		.amdhsa_float_round_mode_16_64 0
		.amdhsa_float_denorm_mode_32 3
		.amdhsa_float_denorm_mode_16_64 3
		.amdhsa_dx10_clamp 1
		.amdhsa_ieee_mode 1
		.amdhsa_fp16_overflow 0
		.amdhsa_tg_split 0
		.amdhsa_exception_fp_ieee_invalid_op 0
		.amdhsa_exception_fp_denorm_src 0
		.amdhsa_exception_fp_ieee_div_zero 0
		.amdhsa_exception_fp_ieee_overflow 0
		.amdhsa_exception_fp_ieee_underflow 0
		.amdhsa_exception_fp_ieee_inexact 0
		.amdhsa_exception_int_div_zero 0
	.end_amdhsa_kernel
	.section	.text._ZN7rocprim17ROCPRIM_400000_NS6detail17trampoline_kernelINS0_14default_configENS1_20scan_config_selectorIN3c104HalfEEEZZNS1_9scan_implILNS1_25lookback_scan_determinismE0ELb0ELb0ES3_PKS6_PS6_S6_ZZZN2at6native31launch_logcumsumexp_cuda_kernelERKNSD_10TensorBaseESH_lENKUlvE_clEvENKUlvE3_clEvEUlS6_S6_E_S6_EEDaPvRmT3_T4_T5_mT6_P12ihipStream_tbENKUlT_T0_E_clISt17integral_constantIbLb0EESX_IbLb1EEEEDaST_SU_EUlST_E_NS1_11comp_targetILNS1_3genE9ELNS1_11target_archE1100ELNS1_3gpuE3ELNS1_3repE0EEENS1_30default_config_static_selectorELNS0_4arch9wavefront6targetE1EEEvT1_,"axG",@progbits,_ZN7rocprim17ROCPRIM_400000_NS6detail17trampoline_kernelINS0_14default_configENS1_20scan_config_selectorIN3c104HalfEEEZZNS1_9scan_implILNS1_25lookback_scan_determinismE0ELb0ELb0ES3_PKS6_PS6_S6_ZZZN2at6native31launch_logcumsumexp_cuda_kernelERKNSD_10TensorBaseESH_lENKUlvE_clEvENKUlvE3_clEvEUlS6_S6_E_S6_EEDaPvRmT3_T4_T5_mT6_P12ihipStream_tbENKUlT_T0_E_clISt17integral_constantIbLb0EESX_IbLb1EEEEDaST_SU_EUlST_E_NS1_11comp_targetILNS1_3genE9ELNS1_11target_archE1100ELNS1_3gpuE3ELNS1_3repE0EEENS1_30default_config_static_selectorELNS0_4arch9wavefront6targetE1EEEvT1_,comdat
.Lfunc_end427:
	.size	_ZN7rocprim17ROCPRIM_400000_NS6detail17trampoline_kernelINS0_14default_configENS1_20scan_config_selectorIN3c104HalfEEEZZNS1_9scan_implILNS1_25lookback_scan_determinismE0ELb0ELb0ES3_PKS6_PS6_S6_ZZZN2at6native31launch_logcumsumexp_cuda_kernelERKNSD_10TensorBaseESH_lENKUlvE_clEvENKUlvE3_clEvEUlS6_S6_E_S6_EEDaPvRmT3_T4_T5_mT6_P12ihipStream_tbENKUlT_T0_E_clISt17integral_constantIbLb0EESX_IbLb1EEEEDaST_SU_EUlST_E_NS1_11comp_targetILNS1_3genE9ELNS1_11target_archE1100ELNS1_3gpuE3ELNS1_3repE0EEENS1_30default_config_static_selectorELNS0_4arch9wavefront6targetE1EEEvT1_, .Lfunc_end427-_ZN7rocprim17ROCPRIM_400000_NS6detail17trampoline_kernelINS0_14default_configENS1_20scan_config_selectorIN3c104HalfEEEZZNS1_9scan_implILNS1_25lookback_scan_determinismE0ELb0ELb0ES3_PKS6_PS6_S6_ZZZN2at6native31launch_logcumsumexp_cuda_kernelERKNSD_10TensorBaseESH_lENKUlvE_clEvENKUlvE3_clEvEUlS6_S6_E_S6_EEDaPvRmT3_T4_T5_mT6_P12ihipStream_tbENKUlT_T0_E_clISt17integral_constantIbLb0EESX_IbLb1EEEEDaST_SU_EUlST_E_NS1_11comp_targetILNS1_3genE9ELNS1_11target_archE1100ELNS1_3gpuE3ELNS1_3repE0EEENS1_30default_config_static_selectorELNS0_4arch9wavefront6targetE1EEEvT1_
                                        ; -- End function
	.section	.AMDGPU.csdata,"",@progbits
; Kernel info:
; codeLenInByte = 0
; NumSgprs: 4
; NumVgprs: 0
; NumAgprs: 0
; TotalNumVgprs: 0
; ScratchSize: 0
; MemoryBound: 0
; FloatMode: 240
; IeeeMode: 1
; LDSByteSize: 0 bytes/workgroup (compile time only)
; SGPRBlocks: 0
; VGPRBlocks: 0
; NumSGPRsForWavesPerEU: 4
; NumVGPRsForWavesPerEU: 1
; AccumOffset: 4
; Occupancy: 8
; WaveLimiterHint : 0
; COMPUTE_PGM_RSRC2:SCRATCH_EN: 0
; COMPUTE_PGM_RSRC2:USER_SGPR: 6
; COMPUTE_PGM_RSRC2:TRAP_HANDLER: 0
; COMPUTE_PGM_RSRC2:TGID_X_EN: 1
; COMPUTE_PGM_RSRC2:TGID_Y_EN: 0
; COMPUTE_PGM_RSRC2:TGID_Z_EN: 0
; COMPUTE_PGM_RSRC2:TIDIG_COMP_CNT: 0
; COMPUTE_PGM_RSRC3_GFX90A:ACCUM_OFFSET: 0
; COMPUTE_PGM_RSRC3_GFX90A:TG_SPLIT: 0
	.section	.text._ZN7rocprim17ROCPRIM_400000_NS6detail17trampoline_kernelINS0_14default_configENS1_20scan_config_selectorIN3c104HalfEEEZZNS1_9scan_implILNS1_25lookback_scan_determinismE0ELb0ELb0ES3_PKS6_PS6_S6_ZZZN2at6native31launch_logcumsumexp_cuda_kernelERKNSD_10TensorBaseESH_lENKUlvE_clEvENKUlvE3_clEvEUlS6_S6_E_S6_EEDaPvRmT3_T4_T5_mT6_P12ihipStream_tbENKUlT_T0_E_clISt17integral_constantIbLb0EESX_IbLb1EEEEDaST_SU_EUlST_E_NS1_11comp_targetILNS1_3genE8ELNS1_11target_archE1030ELNS1_3gpuE2ELNS1_3repE0EEENS1_30default_config_static_selectorELNS0_4arch9wavefront6targetE1EEEvT1_,"axG",@progbits,_ZN7rocprim17ROCPRIM_400000_NS6detail17trampoline_kernelINS0_14default_configENS1_20scan_config_selectorIN3c104HalfEEEZZNS1_9scan_implILNS1_25lookback_scan_determinismE0ELb0ELb0ES3_PKS6_PS6_S6_ZZZN2at6native31launch_logcumsumexp_cuda_kernelERKNSD_10TensorBaseESH_lENKUlvE_clEvENKUlvE3_clEvEUlS6_S6_E_S6_EEDaPvRmT3_T4_T5_mT6_P12ihipStream_tbENKUlT_T0_E_clISt17integral_constantIbLb0EESX_IbLb1EEEEDaST_SU_EUlST_E_NS1_11comp_targetILNS1_3genE8ELNS1_11target_archE1030ELNS1_3gpuE2ELNS1_3repE0EEENS1_30default_config_static_selectorELNS0_4arch9wavefront6targetE1EEEvT1_,comdat
	.globl	_ZN7rocprim17ROCPRIM_400000_NS6detail17trampoline_kernelINS0_14default_configENS1_20scan_config_selectorIN3c104HalfEEEZZNS1_9scan_implILNS1_25lookback_scan_determinismE0ELb0ELb0ES3_PKS6_PS6_S6_ZZZN2at6native31launch_logcumsumexp_cuda_kernelERKNSD_10TensorBaseESH_lENKUlvE_clEvENKUlvE3_clEvEUlS6_S6_E_S6_EEDaPvRmT3_T4_T5_mT6_P12ihipStream_tbENKUlT_T0_E_clISt17integral_constantIbLb0EESX_IbLb1EEEEDaST_SU_EUlST_E_NS1_11comp_targetILNS1_3genE8ELNS1_11target_archE1030ELNS1_3gpuE2ELNS1_3repE0EEENS1_30default_config_static_selectorELNS0_4arch9wavefront6targetE1EEEvT1_ ; -- Begin function _ZN7rocprim17ROCPRIM_400000_NS6detail17trampoline_kernelINS0_14default_configENS1_20scan_config_selectorIN3c104HalfEEEZZNS1_9scan_implILNS1_25lookback_scan_determinismE0ELb0ELb0ES3_PKS6_PS6_S6_ZZZN2at6native31launch_logcumsumexp_cuda_kernelERKNSD_10TensorBaseESH_lENKUlvE_clEvENKUlvE3_clEvEUlS6_S6_E_S6_EEDaPvRmT3_T4_T5_mT6_P12ihipStream_tbENKUlT_T0_E_clISt17integral_constantIbLb0EESX_IbLb1EEEEDaST_SU_EUlST_E_NS1_11comp_targetILNS1_3genE8ELNS1_11target_archE1030ELNS1_3gpuE2ELNS1_3repE0EEENS1_30default_config_static_selectorELNS0_4arch9wavefront6targetE1EEEvT1_
	.p2align	8
	.type	_ZN7rocprim17ROCPRIM_400000_NS6detail17trampoline_kernelINS0_14default_configENS1_20scan_config_selectorIN3c104HalfEEEZZNS1_9scan_implILNS1_25lookback_scan_determinismE0ELb0ELb0ES3_PKS6_PS6_S6_ZZZN2at6native31launch_logcumsumexp_cuda_kernelERKNSD_10TensorBaseESH_lENKUlvE_clEvENKUlvE3_clEvEUlS6_S6_E_S6_EEDaPvRmT3_T4_T5_mT6_P12ihipStream_tbENKUlT_T0_E_clISt17integral_constantIbLb0EESX_IbLb1EEEEDaST_SU_EUlST_E_NS1_11comp_targetILNS1_3genE8ELNS1_11target_archE1030ELNS1_3gpuE2ELNS1_3repE0EEENS1_30default_config_static_selectorELNS0_4arch9wavefront6targetE1EEEvT1_,@function
_ZN7rocprim17ROCPRIM_400000_NS6detail17trampoline_kernelINS0_14default_configENS1_20scan_config_selectorIN3c104HalfEEEZZNS1_9scan_implILNS1_25lookback_scan_determinismE0ELb0ELb0ES3_PKS6_PS6_S6_ZZZN2at6native31launch_logcumsumexp_cuda_kernelERKNSD_10TensorBaseESH_lENKUlvE_clEvENKUlvE3_clEvEUlS6_S6_E_S6_EEDaPvRmT3_T4_T5_mT6_P12ihipStream_tbENKUlT_T0_E_clISt17integral_constantIbLb0EESX_IbLb1EEEEDaST_SU_EUlST_E_NS1_11comp_targetILNS1_3genE8ELNS1_11target_archE1030ELNS1_3gpuE2ELNS1_3repE0EEENS1_30default_config_static_selectorELNS0_4arch9wavefront6targetE1EEEvT1_: ; @_ZN7rocprim17ROCPRIM_400000_NS6detail17trampoline_kernelINS0_14default_configENS1_20scan_config_selectorIN3c104HalfEEEZZNS1_9scan_implILNS1_25lookback_scan_determinismE0ELb0ELb0ES3_PKS6_PS6_S6_ZZZN2at6native31launch_logcumsumexp_cuda_kernelERKNSD_10TensorBaseESH_lENKUlvE_clEvENKUlvE3_clEvEUlS6_S6_E_S6_EEDaPvRmT3_T4_T5_mT6_P12ihipStream_tbENKUlT_T0_E_clISt17integral_constantIbLb0EESX_IbLb1EEEEDaST_SU_EUlST_E_NS1_11comp_targetILNS1_3genE8ELNS1_11target_archE1030ELNS1_3gpuE2ELNS1_3repE0EEENS1_30default_config_static_selectorELNS0_4arch9wavefront6targetE1EEEvT1_
; %bb.0:
	.section	.rodata,"a",@progbits
	.p2align	6, 0x0
	.amdhsa_kernel _ZN7rocprim17ROCPRIM_400000_NS6detail17trampoline_kernelINS0_14default_configENS1_20scan_config_selectorIN3c104HalfEEEZZNS1_9scan_implILNS1_25lookback_scan_determinismE0ELb0ELb0ES3_PKS6_PS6_S6_ZZZN2at6native31launch_logcumsumexp_cuda_kernelERKNSD_10TensorBaseESH_lENKUlvE_clEvENKUlvE3_clEvEUlS6_S6_E_S6_EEDaPvRmT3_T4_T5_mT6_P12ihipStream_tbENKUlT_T0_E_clISt17integral_constantIbLb0EESX_IbLb1EEEEDaST_SU_EUlST_E_NS1_11comp_targetILNS1_3genE8ELNS1_11target_archE1030ELNS1_3gpuE2ELNS1_3repE0EEENS1_30default_config_static_selectorELNS0_4arch9wavefront6targetE1EEEvT1_
		.amdhsa_group_segment_fixed_size 0
		.amdhsa_private_segment_fixed_size 0
		.amdhsa_kernarg_size 96
		.amdhsa_user_sgpr_count 6
		.amdhsa_user_sgpr_private_segment_buffer 1
		.amdhsa_user_sgpr_dispatch_ptr 0
		.amdhsa_user_sgpr_queue_ptr 0
		.amdhsa_user_sgpr_kernarg_segment_ptr 1
		.amdhsa_user_sgpr_dispatch_id 0
		.amdhsa_user_sgpr_flat_scratch_init 0
		.amdhsa_user_sgpr_kernarg_preload_length 0
		.amdhsa_user_sgpr_kernarg_preload_offset 0
		.amdhsa_user_sgpr_private_segment_size 0
		.amdhsa_uses_dynamic_stack 0
		.amdhsa_system_sgpr_private_segment_wavefront_offset 0
		.amdhsa_system_sgpr_workgroup_id_x 1
		.amdhsa_system_sgpr_workgroup_id_y 0
		.amdhsa_system_sgpr_workgroup_id_z 0
		.amdhsa_system_sgpr_workgroup_info 0
		.amdhsa_system_vgpr_workitem_id 0
		.amdhsa_next_free_vgpr 1
		.amdhsa_next_free_sgpr 0
		.amdhsa_accum_offset 4
		.amdhsa_reserve_vcc 0
		.amdhsa_reserve_flat_scratch 0
		.amdhsa_float_round_mode_32 0
		.amdhsa_float_round_mode_16_64 0
		.amdhsa_float_denorm_mode_32 3
		.amdhsa_float_denorm_mode_16_64 3
		.amdhsa_dx10_clamp 1
		.amdhsa_ieee_mode 1
		.amdhsa_fp16_overflow 0
		.amdhsa_tg_split 0
		.amdhsa_exception_fp_ieee_invalid_op 0
		.amdhsa_exception_fp_denorm_src 0
		.amdhsa_exception_fp_ieee_div_zero 0
		.amdhsa_exception_fp_ieee_overflow 0
		.amdhsa_exception_fp_ieee_underflow 0
		.amdhsa_exception_fp_ieee_inexact 0
		.amdhsa_exception_int_div_zero 0
	.end_amdhsa_kernel
	.section	.text._ZN7rocprim17ROCPRIM_400000_NS6detail17trampoline_kernelINS0_14default_configENS1_20scan_config_selectorIN3c104HalfEEEZZNS1_9scan_implILNS1_25lookback_scan_determinismE0ELb0ELb0ES3_PKS6_PS6_S6_ZZZN2at6native31launch_logcumsumexp_cuda_kernelERKNSD_10TensorBaseESH_lENKUlvE_clEvENKUlvE3_clEvEUlS6_S6_E_S6_EEDaPvRmT3_T4_T5_mT6_P12ihipStream_tbENKUlT_T0_E_clISt17integral_constantIbLb0EESX_IbLb1EEEEDaST_SU_EUlST_E_NS1_11comp_targetILNS1_3genE8ELNS1_11target_archE1030ELNS1_3gpuE2ELNS1_3repE0EEENS1_30default_config_static_selectorELNS0_4arch9wavefront6targetE1EEEvT1_,"axG",@progbits,_ZN7rocprim17ROCPRIM_400000_NS6detail17trampoline_kernelINS0_14default_configENS1_20scan_config_selectorIN3c104HalfEEEZZNS1_9scan_implILNS1_25lookback_scan_determinismE0ELb0ELb0ES3_PKS6_PS6_S6_ZZZN2at6native31launch_logcumsumexp_cuda_kernelERKNSD_10TensorBaseESH_lENKUlvE_clEvENKUlvE3_clEvEUlS6_S6_E_S6_EEDaPvRmT3_T4_T5_mT6_P12ihipStream_tbENKUlT_T0_E_clISt17integral_constantIbLb0EESX_IbLb1EEEEDaST_SU_EUlST_E_NS1_11comp_targetILNS1_3genE8ELNS1_11target_archE1030ELNS1_3gpuE2ELNS1_3repE0EEENS1_30default_config_static_selectorELNS0_4arch9wavefront6targetE1EEEvT1_,comdat
.Lfunc_end428:
	.size	_ZN7rocprim17ROCPRIM_400000_NS6detail17trampoline_kernelINS0_14default_configENS1_20scan_config_selectorIN3c104HalfEEEZZNS1_9scan_implILNS1_25lookback_scan_determinismE0ELb0ELb0ES3_PKS6_PS6_S6_ZZZN2at6native31launch_logcumsumexp_cuda_kernelERKNSD_10TensorBaseESH_lENKUlvE_clEvENKUlvE3_clEvEUlS6_S6_E_S6_EEDaPvRmT3_T4_T5_mT6_P12ihipStream_tbENKUlT_T0_E_clISt17integral_constantIbLb0EESX_IbLb1EEEEDaST_SU_EUlST_E_NS1_11comp_targetILNS1_3genE8ELNS1_11target_archE1030ELNS1_3gpuE2ELNS1_3repE0EEENS1_30default_config_static_selectorELNS0_4arch9wavefront6targetE1EEEvT1_, .Lfunc_end428-_ZN7rocprim17ROCPRIM_400000_NS6detail17trampoline_kernelINS0_14default_configENS1_20scan_config_selectorIN3c104HalfEEEZZNS1_9scan_implILNS1_25lookback_scan_determinismE0ELb0ELb0ES3_PKS6_PS6_S6_ZZZN2at6native31launch_logcumsumexp_cuda_kernelERKNSD_10TensorBaseESH_lENKUlvE_clEvENKUlvE3_clEvEUlS6_S6_E_S6_EEDaPvRmT3_T4_T5_mT6_P12ihipStream_tbENKUlT_T0_E_clISt17integral_constantIbLb0EESX_IbLb1EEEEDaST_SU_EUlST_E_NS1_11comp_targetILNS1_3genE8ELNS1_11target_archE1030ELNS1_3gpuE2ELNS1_3repE0EEENS1_30default_config_static_selectorELNS0_4arch9wavefront6targetE1EEEvT1_
                                        ; -- End function
	.section	.AMDGPU.csdata,"",@progbits
; Kernel info:
; codeLenInByte = 0
; NumSgprs: 4
; NumVgprs: 0
; NumAgprs: 0
; TotalNumVgprs: 0
; ScratchSize: 0
; MemoryBound: 0
; FloatMode: 240
; IeeeMode: 1
; LDSByteSize: 0 bytes/workgroup (compile time only)
; SGPRBlocks: 0
; VGPRBlocks: 0
; NumSGPRsForWavesPerEU: 4
; NumVGPRsForWavesPerEU: 1
; AccumOffset: 4
; Occupancy: 8
; WaveLimiterHint : 0
; COMPUTE_PGM_RSRC2:SCRATCH_EN: 0
; COMPUTE_PGM_RSRC2:USER_SGPR: 6
; COMPUTE_PGM_RSRC2:TRAP_HANDLER: 0
; COMPUTE_PGM_RSRC2:TGID_X_EN: 1
; COMPUTE_PGM_RSRC2:TGID_Y_EN: 0
; COMPUTE_PGM_RSRC2:TGID_Z_EN: 0
; COMPUTE_PGM_RSRC2:TIDIG_COMP_CNT: 0
; COMPUTE_PGM_RSRC3_GFX90A:ACCUM_OFFSET: 0
; COMPUTE_PGM_RSRC3_GFX90A:TG_SPLIT: 0
	.section	.text._ZN7rocprim17ROCPRIM_400000_NS6detail17trampoline_kernelINS0_14default_configENS1_20scan_config_selectorIN3c104HalfEEEZZNS1_9scan_implILNS1_25lookback_scan_determinismE0ELb0ELb0ES3_PKS6_PS6_S6_ZZZN2at6native31launch_logcumsumexp_cuda_kernelERKNSD_10TensorBaseESH_lENKUlvE_clEvENKUlvE3_clEvEUlS6_S6_E_S6_EEDaPvRmT3_T4_T5_mT6_P12ihipStream_tbENKUlT_T0_E_clISt17integral_constantIbLb0EESX_IbLb1EEEEDaST_SU_EUlST_E0_NS1_11comp_targetILNS1_3genE0ELNS1_11target_archE4294967295ELNS1_3gpuE0ELNS1_3repE0EEENS1_30default_config_static_selectorELNS0_4arch9wavefront6targetE1EEEvT1_,"axG",@progbits,_ZN7rocprim17ROCPRIM_400000_NS6detail17trampoline_kernelINS0_14default_configENS1_20scan_config_selectorIN3c104HalfEEEZZNS1_9scan_implILNS1_25lookback_scan_determinismE0ELb0ELb0ES3_PKS6_PS6_S6_ZZZN2at6native31launch_logcumsumexp_cuda_kernelERKNSD_10TensorBaseESH_lENKUlvE_clEvENKUlvE3_clEvEUlS6_S6_E_S6_EEDaPvRmT3_T4_T5_mT6_P12ihipStream_tbENKUlT_T0_E_clISt17integral_constantIbLb0EESX_IbLb1EEEEDaST_SU_EUlST_E0_NS1_11comp_targetILNS1_3genE0ELNS1_11target_archE4294967295ELNS1_3gpuE0ELNS1_3repE0EEENS1_30default_config_static_selectorELNS0_4arch9wavefront6targetE1EEEvT1_,comdat
	.globl	_ZN7rocprim17ROCPRIM_400000_NS6detail17trampoline_kernelINS0_14default_configENS1_20scan_config_selectorIN3c104HalfEEEZZNS1_9scan_implILNS1_25lookback_scan_determinismE0ELb0ELb0ES3_PKS6_PS6_S6_ZZZN2at6native31launch_logcumsumexp_cuda_kernelERKNSD_10TensorBaseESH_lENKUlvE_clEvENKUlvE3_clEvEUlS6_S6_E_S6_EEDaPvRmT3_T4_T5_mT6_P12ihipStream_tbENKUlT_T0_E_clISt17integral_constantIbLb0EESX_IbLb1EEEEDaST_SU_EUlST_E0_NS1_11comp_targetILNS1_3genE0ELNS1_11target_archE4294967295ELNS1_3gpuE0ELNS1_3repE0EEENS1_30default_config_static_selectorELNS0_4arch9wavefront6targetE1EEEvT1_ ; -- Begin function _ZN7rocprim17ROCPRIM_400000_NS6detail17trampoline_kernelINS0_14default_configENS1_20scan_config_selectorIN3c104HalfEEEZZNS1_9scan_implILNS1_25lookback_scan_determinismE0ELb0ELb0ES3_PKS6_PS6_S6_ZZZN2at6native31launch_logcumsumexp_cuda_kernelERKNSD_10TensorBaseESH_lENKUlvE_clEvENKUlvE3_clEvEUlS6_S6_E_S6_EEDaPvRmT3_T4_T5_mT6_P12ihipStream_tbENKUlT_T0_E_clISt17integral_constantIbLb0EESX_IbLb1EEEEDaST_SU_EUlST_E0_NS1_11comp_targetILNS1_3genE0ELNS1_11target_archE4294967295ELNS1_3gpuE0ELNS1_3repE0EEENS1_30default_config_static_selectorELNS0_4arch9wavefront6targetE1EEEvT1_
	.p2align	8
	.type	_ZN7rocprim17ROCPRIM_400000_NS6detail17trampoline_kernelINS0_14default_configENS1_20scan_config_selectorIN3c104HalfEEEZZNS1_9scan_implILNS1_25lookback_scan_determinismE0ELb0ELb0ES3_PKS6_PS6_S6_ZZZN2at6native31launch_logcumsumexp_cuda_kernelERKNSD_10TensorBaseESH_lENKUlvE_clEvENKUlvE3_clEvEUlS6_S6_E_S6_EEDaPvRmT3_T4_T5_mT6_P12ihipStream_tbENKUlT_T0_E_clISt17integral_constantIbLb0EESX_IbLb1EEEEDaST_SU_EUlST_E0_NS1_11comp_targetILNS1_3genE0ELNS1_11target_archE4294967295ELNS1_3gpuE0ELNS1_3repE0EEENS1_30default_config_static_selectorELNS0_4arch9wavefront6targetE1EEEvT1_,@function
_ZN7rocprim17ROCPRIM_400000_NS6detail17trampoline_kernelINS0_14default_configENS1_20scan_config_selectorIN3c104HalfEEEZZNS1_9scan_implILNS1_25lookback_scan_determinismE0ELb0ELb0ES3_PKS6_PS6_S6_ZZZN2at6native31launch_logcumsumexp_cuda_kernelERKNSD_10TensorBaseESH_lENKUlvE_clEvENKUlvE3_clEvEUlS6_S6_E_S6_EEDaPvRmT3_T4_T5_mT6_P12ihipStream_tbENKUlT_T0_E_clISt17integral_constantIbLb0EESX_IbLb1EEEEDaST_SU_EUlST_E0_NS1_11comp_targetILNS1_3genE0ELNS1_11target_archE4294967295ELNS1_3gpuE0ELNS1_3repE0EEENS1_30default_config_static_selectorELNS0_4arch9wavefront6targetE1EEEvT1_: ; @_ZN7rocprim17ROCPRIM_400000_NS6detail17trampoline_kernelINS0_14default_configENS1_20scan_config_selectorIN3c104HalfEEEZZNS1_9scan_implILNS1_25lookback_scan_determinismE0ELb0ELb0ES3_PKS6_PS6_S6_ZZZN2at6native31launch_logcumsumexp_cuda_kernelERKNSD_10TensorBaseESH_lENKUlvE_clEvENKUlvE3_clEvEUlS6_S6_E_S6_EEDaPvRmT3_T4_T5_mT6_P12ihipStream_tbENKUlT_T0_E_clISt17integral_constantIbLb0EESX_IbLb1EEEEDaST_SU_EUlST_E0_NS1_11comp_targetILNS1_3genE0ELNS1_11target_archE4294967295ELNS1_3gpuE0ELNS1_3repE0EEENS1_30default_config_static_selectorELNS0_4arch9wavefront6targetE1EEEvT1_
; %bb.0:
	.section	.rodata,"a",@progbits
	.p2align	6, 0x0
	.amdhsa_kernel _ZN7rocprim17ROCPRIM_400000_NS6detail17trampoline_kernelINS0_14default_configENS1_20scan_config_selectorIN3c104HalfEEEZZNS1_9scan_implILNS1_25lookback_scan_determinismE0ELb0ELb0ES3_PKS6_PS6_S6_ZZZN2at6native31launch_logcumsumexp_cuda_kernelERKNSD_10TensorBaseESH_lENKUlvE_clEvENKUlvE3_clEvEUlS6_S6_E_S6_EEDaPvRmT3_T4_T5_mT6_P12ihipStream_tbENKUlT_T0_E_clISt17integral_constantIbLb0EESX_IbLb1EEEEDaST_SU_EUlST_E0_NS1_11comp_targetILNS1_3genE0ELNS1_11target_archE4294967295ELNS1_3gpuE0ELNS1_3repE0EEENS1_30default_config_static_selectorELNS0_4arch9wavefront6targetE1EEEvT1_
		.amdhsa_group_segment_fixed_size 0
		.amdhsa_private_segment_fixed_size 0
		.amdhsa_kernarg_size 32
		.amdhsa_user_sgpr_count 6
		.amdhsa_user_sgpr_private_segment_buffer 1
		.amdhsa_user_sgpr_dispatch_ptr 0
		.amdhsa_user_sgpr_queue_ptr 0
		.amdhsa_user_sgpr_kernarg_segment_ptr 1
		.amdhsa_user_sgpr_dispatch_id 0
		.amdhsa_user_sgpr_flat_scratch_init 0
		.amdhsa_user_sgpr_kernarg_preload_length 0
		.amdhsa_user_sgpr_kernarg_preload_offset 0
		.amdhsa_user_sgpr_private_segment_size 0
		.amdhsa_uses_dynamic_stack 0
		.amdhsa_system_sgpr_private_segment_wavefront_offset 0
		.amdhsa_system_sgpr_workgroup_id_x 1
		.amdhsa_system_sgpr_workgroup_id_y 0
		.amdhsa_system_sgpr_workgroup_id_z 0
		.amdhsa_system_sgpr_workgroup_info 0
		.amdhsa_system_vgpr_workitem_id 0
		.amdhsa_next_free_vgpr 1
		.amdhsa_next_free_sgpr 0
		.amdhsa_accum_offset 4
		.amdhsa_reserve_vcc 0
		.amdhsa_reserve_flat_scratch 0
		.amdhsa_float_round_mode_32 0
		.amdhsa_float_round_mode_16_64 0
		.amdhsa_float_denorm_mode_32 3
		.amdhsa_float_denorm_mode_16_64 3
		.amdhsa_dx10_clamp 1
		.amdhsa_ieee_mode 1
		.amdhsa_fp16_overflow 0
		.amdhsa_tg_split 0
		.amdhsa_exception_fp_ieee_invalid_op 0
		.amdhsa_exception_fp_denorm_src 0
		.amdhsa_exception_fp_ieee_div_zero 0
		.amdhsa_exception_fp_ieee_overflow 0
		.amdhsa_exception_fp_ieee_underflow 0
		.amdhsa_exception_fp_ieee_inexact 0
		.amdhsa_exception_int_div_zero 0
	.end_amdhsa_kernel
	.section	.text._ZN7rocprim17ROCPRIM_400000_NS6detail17trampoline_kernelINS0_14default_configENS1_20scan_config_selectorIN3c104HalfEEEZZNS1_9scan_implILNS1_25lookback_scan_determinismE0ELb0ELb0ES3_PKS6_PS6_S6_ZZZN2at6native31launch_logcumsumexp_cuda_kernelERKNSD_10TensorBaseESH_lENKUlvE_clEvENKUlvE3_clEvEUlS6_S6_E_S6_EEDaPvRmT3_T4_T5_mT6_P12ihipStream_tbENKUlT_T0_E_clISt17integral_constantIbLb0EESX_IbLb1EEEEDaST_SU_EUlST_E0_NS1_11comp_targetILNS1_3genE0ELNS1_11target_archE4294967295ELNS1_3gpuE0ELNS1_3repE0EEENS1_30default_config_static_selectorELNS0_4arch9wavefront6targetE1EEEvT1_,"axG",@progbits,_ZN7rocprim17ROCPRIM_400000_NS6detail17trampoline_kernelINS0_14default_configENS1_20scan_config_selectorIN3c104HalfEEEZZNS1_9scan_implILNS1_25lookback_scan_determinismE0ELb0ELb0ES3_PKS6_PS6_S6_ZZZN2at6native31launch_logcumsumexp_cuda_kernelERKNSD_10TensorBaseESH_lENKUlvE_clEvENKUlvE3_clEvEUlS6_S6_E_S6_EEDaPvRmT3_T4_T5_mT6_P12ihipStream_tbENKUlT_T0_E_clISt17integral_constantIbLb0EESX_IbLb1EEEEDaST_SU_EUlST_E0_NS1_11comp_targetILNS1_3genE0ELNS1_11target_archE4294967295ELNS1_3gpuE0ELNS1_3repE0EEENS1_30default_config_static_selectorELNS0_4arch9wavefront6targetE1EEEvT1_,comdat
.Lfunc_end429:
	.size	_ZN7rocprim17ROCPRIM_400000_NS6detail17trampoline_kernelINS0_14default_configENS1_20scan_config_selectorIN3c104HalfEEEZZNS1_9scan_implILNS1_25lookback_scan_determinismE0ELb0ELb0ES3_PKS6_PS6_S6_ZZZN2at6native31launch_logcumsumexp_cuda_kernelERKNSD_10TensorBaseESH_lENKUlvE_clEvENKUlvE3_clEvEUlS6_S6_E_S6_EEDaPvRmT3_T4_T5_mT6_P12ihipStream_tbENKUlT_T0_E_clISt17integral_constantIbLb0EESX_IbLb1EEEEDaST_SU_EUlST_E0_NS1_11comp_targetILNS1_3genE0ELNS1_11target_archE4294967295ELNS1_3gpuE0ELNS1_3repE0EEENS1_30default_config_static_selectorELNS0_4arch9wavefront6targetE1EEEvT1_, .Lfunc_end429-_ZN7rocprim17ROCPRIM_400000_NS6detail17trampoline_kernelINS0_14default_configENS1_20scan_config_selectorIN3c104HalfEEEZZNS1_9scan_implILNS1_25lookback_scan_determinismE0ELb0ELb0ES3_PKS6_PS6_S6_ZZZN2at6native31launch_logcumsumexp_cuda_kernelERKNSD_10TensorBaseESH_lENKUlvE_clEvENKUlvE3_clEvEUlS6_S6_E_S6_EEDaPvRmT3_T4_T5_mT6_P12ihipStream_tbENKUlT_T0_E_clISt17integral_constantIbLb0EESX_IbLb1EEEEDaST_SU_EUlST_E0_NS1_11comp_targetILNS1_3genE0ELNS1_11target_archE4294967295ELNS1_3gpuE0ELNS1_3repE0EEENS1_30default_config_static_selectorELNS0_4arch9wavefront6targetE1EEEvT1_
                                        ; -- End function
	.section	.AMDGPU.csdata,"",@progbits
; Kernel info:
; codeLenInByte = 0
; NumSgprs: 4
; NumVgprs: 0
; NumAgprs: 0
; TotalNumVgprs: 0
; ScratchSize: 0
; MemoryBound: 0
; FloatMode: 240
; IeeeMode: 1
; LDSByteSize: 0 bytes/workgroup (compile time only)
; SGPRBlocks: 0
; VGPRBlocks: 0
; NumSGPRsForWavesPerEU: 4
; NumVGPRsForWavesPerEU: 1
; AccumOffset: 4
; Occupancy: 8
; WaveLimiterHint : 0
; COMPUTE_PGM_RSRC2:SCRATCH_EN: 0
; COMPUTE_PGM_RSRC2:USER_SGPR: 6
; COMPUTE_PGM_RSRC2:TRAP_HANDLER: 0
; COMPUTE_PGM_RSRC2:TGID_X_EN: 1
; COMPUTE_PGM_RSRC2:TGID_Y_EN: 0
; COMPUTE_PGM_RSRC2:TGID_Z_EN: 0
; COMPUTE_PGM_RSRC2:TIDIG_COMP_CNT: 0
; COMPUTE_PGM_RSRC3_GFX90A:ACCUM_OFFSET: 0
; COMPUTE_PGM_RSRC3_GFX90A:TG_SPLIT: 0
	.section	.text._ZN7rocprim17ROCPRIM_400000_NS6detail17trampoline_kernelINS0_14default_configENS1_20scan_config_selectorIN3c104HalfEEEZZNS1_9scan_implILNS1_25lookback_scan_determinismE0ELb0ELb0ES3_PKS6_PS6_S6_ZZZN2at6native31launch_logcumsumexp_cuda_kernelERKNSD_10TensorBaseESH_lENKUlvE_clEvENKUlvE3_clEvEUlS6_S6_E_S6_EEDaPvRmT3_T4_T5_mT6_P12ihipStream_tbENKUlT_T0_E_clISt17integral_constantIbLb0EESX_IbLb1EEEEDaST_SU_EUlST_E0_NS1_11comp_targetILNS1_3genE5ELNS1_11target_archE942ELNS1_3gpuE9ELNS1_3repE0EEENS1_30default_config_static_selectorELNS0_4arch9wavefront6targetE1EEEvT1_,"axG",@progbits,_ZN7rocprim17ROCPRIM_400000_NS6detail17trampoline_kernelINS0_14default_configENS1_20scan_config_selectorIN3c104HalfEEEZZNS1_9scan_implILNS1_25lookback_scan_determinismE0ELb0ELb0ES3_PKS6_PS6_S6_ZZZN2at6native31launch_logcumsumexp_cuda_kernelERKNSD_10TensorBaseESH_lENKUlvE_clEvENKUlvE3_clEvEUlS6_S6_E_S6_EEDaPvRmT3_T4_T5_mT6_P12ihipStream_tbENKUlT_T0_E_clISt17integral_constantIbLb0EESX_IbLb1EEEEDaST_SU_EUlST_E0_NS1_11comp_targetILNS1_3genE5ELNS1_11target_archE942ELNS1_3gpuE9ELNS1_3repE0EEENS1_30default_config_static_selectorELNS0_4arch9wavefront6targetE1EEEvT1_,comdat
	.globl	_ZN7rocprim17ROCPRIM_400000_NS6detail17trampoline_kernelINS0_14default_configENS1_20scan_config_selectorIN3c104HalfEEEZZNS1_9scan_implILNS1_25lookback_scan_determinismE0ELb0ELb0ES3_PKS6_PS6_S6_ZZZN2at6native31launch_logcumsumexp_cuda_kernelERKNSD_10TensorBaseESH_lENKUlvE_clEvENKUlvE3_clEvEUlS6_S6_E_S6_EEDaPvRmT3_T4_T5_mT6_P12ihipStream_tbENKUlT_T0_E_clISt17integral_constantIbLb0EESX_IbLb1EEEEDaST_SU_EUlST_E0_NS1_11comp_targetILNS1_3genE5ELNS1_11target_archE942ELNS1_3gpuE9ELNS1_3repE0EEENS1_30default_config_static_selectorELNS0_4arch9wavefront6targetE1EEEvT1_ ; -- Begin function _ZN7rocprim17ROCPRIM_400000_NS6detail17trampoline_kernelINS0_14default_configENS1_20scan_config_selectorIN3c104HalfEEEZZNS1_9scan_implILNS1_25lookback_scan_determinismE0ELb0ELb0ES3_PKS6_PS6_S6_ZZZN2at6native31launch_logcumsumexp_cuda_kernelERKNSD_10TensorBaseESH_lENKUlvE_clEvENKUlvE3_clEvEUlS6_S6_E_S6_EEDaPvRmT3_T4_T5_mT6_P12ihipStream_tbENKUlT_T0_E_clISt17integral_constantIbLb0EESX_IbLb1EEEEDaST_SU_EUlST_E0_NS1_11comp_targetILNS1_3genE5ELNS1_11target_archE942ELNS1_3gpuE9ELNS1_3repE0EEENS1_30default_config_static_selectorELNS0_4arch9wavefront6targetE1EEEvT1_
	.p2align	8
	.type	_ZN7rocprim17ROCPRIM_400000_NS6detail17trampoline_kernelINS0_14default_configENS1_20scan_config_selectorIN3c104HalfEEEZZNS1_9scan_implILNS1_25lookback_scan_determinismE0ELb0ELb0ES3_PKS6_PS6_S6_ZZZN2at6native31launch_logcumsumexp_cuda_kernelERKNSD_10TensorBaseESH_lENKUlvE_clEvENKUlvE3_clEvEUlS6_S6_E_S6_EEDaPvRmT3_T4_T5_mT6_P12ihipStream_tbENKUlT_T0_E_clISt17integral_constantIbLb0EESX_IbLb1EEEEDaST_SU_EUlST_E0_NS1_11comp_targetILNS1_3genE5ELNS1_11target_archE942ELNS1_3gpuE9ELNS1_3repE0EEENS1_30default_config_static_selectorELNS0_4arch9wavefront6targetE1EEEvT1_,@function
_ZN7rocprim17ROCPRIM_400000_NS6detail17trampoline_kernelINS0_14default_configENS1_20scan_config_selectorIN3c104HalfEEEZZNS1_9scan_implILNS1_25lookback_scan_determinismE0ELb0ELb0ES3_PKS6_PS6_S6_ZZZN2at6native31launch_logcumsumexp_cuda_kernelERKNSD_10TensorBaseESH_lENKUlvE_clEvENKUlvE3_clEvEUlS6_S6_E_S6_EEDaPvRmT3_T4_T5_mT6_P12ihipStream_tbENKUlT_T0_E_clISt17integral_constantIbLb0EESX_IbLb1EEEEDaST_SU_EUlST_E0_NS1_11comp_targetILNS1_3genE5ELNS1_11target_archE942ELNS1_3gpuE9ELNS1_3repE0EEENS1_30default_config_static_selectorELNS0_4arch9wavefront6targetE1EEEvT1_: ; @_ZN7rocprim17ROCPRIM_400000_NS6detail17trampoline_kernelINS0_14default_configENS1_20scan_config_selectorIN3c104HalfEEEZZNS1_9scan_implILNS1_25lookback_scan_determinismE0ELb0ELb0ES3_PKS6_PS6_S6_ZZZN2at6native31launch_logcumsumexp_cuda_kernelERKNSD_10TensorBaseESH_lENKUlvE_clEvENKUlvE3_clEvEUlS6_S6_E_S6_EEDaPvRmT3_T4_T5_mT6_P12ihipStream_tbENKUlT_T0_E_clISt17integral_constantIbLb0EESX_IbLb1EEEEDaST_SU_EUlST_E0_NS1_11comp_targetILNS1_3genE5ELNS1_11target_archE942ELNS1_3gpuE9ELNS1_3repE0EEENS1_30default_config_static_selectorELNS0_4arch9wavefront6targetE1EEEvT1_
; %bb.0:
	.section	.rodata,"a",@progbits
	.p2align	6, 0x0
	.amdhsa_kernel _ZN7rocprim17ROCPRIM_400000_NS6detail17trampoline_kernelINS0_14default_configENS1_20scan_config_selectorIN3c104HalfEEEZZNS1_9scan_implILNS1_25lookback_scan_determinismE0ELb0ELb0ES3_PKS6_PS6_S6_ZZZN2at6native31launch_logcumsumexp_cuda_kernelERKNSD_10TensorBaseESH_lENKUlvE_clEvENKUlvE3_clEvEUlS6_S6_E_S6_EEDaPvRmT3_T4_T5_mT6_P12ihipStream_tbENKUlT_T0_E_clISt17integral_constantIbLb0EESX_IbLb1EEEEDaST_SU_EUlST_E0_NS1_11comp_targetILNS1_3genE5ELNS1_11target_archE942ELNS1_3gpuE9ELNS1_3repE0EEENS1_30default_config_static_selectorELNS0_4arch9wavefront6targetE1EEEvT1_
		.amdhsa_group_segment_fixed_size 0
		.amdhsa_private_segment_fixed_size 0
		.amdhsa_kernarg_size 32
		.amdhsa_user_sgpr_count 6
		.amdhsa_user_sgpr_private_segment_buffer 1
		.amdhsa_user_sgpr_dispatch_ptr 0
		.amdhsa_user_sgpr_queue_ptr 0
		.amdhsa_user_sgpr_kernarg_segment_ptr 1
		.amdhsa_user_sgpr_dispatch_id 0
		.amdhsa_user_sgpr_flat_scratch_init 0
		.amdhsa_user_sgpr_kernarg_preload_length 0
		.amdhsa_user_sgpr_kernarg_preload_offset 0
		.amdhsa_user_sgpr_private_segment_size 0
		.amdhsa_uses_dynamic_stack 0
		.amdhsa_system_sgpr_private_segment_wavefront_offset 0
		.amdhsa_system_sgpr_workgroup_id_x 1
		.amdhsa_system_sgpr_workgroup_id_y 0
		.amdhsa_system_sgpr_workgroup_id_z 0
		.amdhsa_system_sgpr_workgroup_info 0
		.amdhsa_system_vgpr_workitem_id 0
		.amdhsa_next_free_vgpr 1
		.amdhsa_next_free_sgpr 0
		.amdhsa_accum_offset 4
		.amdhsa_reserve_vcc 0
		.amdhsa_reserve_flat_scratch 0
		.amdhsa_float_round_mode_32 0
		.amdhsa_float_round_mode_16_64 0
		.amdhsa_float_denorm_mode_32 3
		.amdhsa_float_denorm_mode_16_64 3
		.amdhsa_dx10_clamp 1
		.amdhsa_ieee_mode 1
		.amdhsa_fp16_overflow 0
		.amdhsa_tg_split 0
		.amdhsa_exception_fp_ieee_invalid_op 0
		.amdhsa_exception_fp_denorm_src 0
		.amdhsa_exception_fp_ieee_div_zero 0
		.amdhsa_exception_fp_ieee_overflow 0
		.amdhsa_exception_fp_ieee_underflow 0
		.amdhsa_exception_fp_ieee_inexact 0
		.amdhsa_exception_int_div_zero 0
	.end_amdhsa_kernel
	.section	.text._ZN7rocprim17ROCPRIM_400000_NS6detail17trampoline_kernelINS0_14default_configENS1_20scan_config_selectorIN3c104HalfEEEZZNS1_9scan_implILNS1_25lookback_scan_determinismE0ELb0ELb0ES3_PKS6_PS6_S6_ZZZN2at6native31launch_logcumsumexp_cuda_kernelERKNSD_10TensorBaseESH_lENKUlvE_clEvENKUlvE3_clEvEUlS6_S6_E_S6_EEDaPvRmT3_T4_T5_mT6_P12ihipStream_tbENKUlT_T0_E_clISt17integral_constantIbLb0EESX_IbLb1EEEEDaST_SU_EUlST_E0_NS1_11comp_targetILNS1_3genE5ELNS1_11target_archE942ELNS1_3gpuE9ELNS1_3repE0EEENS1_30default_config_static_selectorELNS0_4arch9wavefront6targetE1EEEvT1_,"axG",@progbits,_ZN7rocprim17ROCPRIM_400000_NS6detail17trampoline_kernelINS0_14default_configENS1_20scan_config_selectorIN3c104HalfEEEZZNS1_9scan_implILNS1_25lookback_scan_determinismE0ELb0ELb0ES3_PKS6_PS6_S6_ZZZN2at6native31launch_logcumsumexp_cuda_kernelERKNSD_10TensorBaseESH_lENKUlvE_clEvENKUlvE3_clEvEUlS6_S6_E_S6_EEDaPvRmT3_T4_T5_mT6_P12ihipStream_tbENKUlT_T0_E_clISt17integral_constantIbLb0EESX_IbLb1EEEEDaST_SU_EUlST_E0_NS1_11comp_targetILNS1_3genE5ELNS1_11target_archE942ELNS1_3gpuE9ELNS1_3repE0EEENS1_30default_config_static_selectorELNS0_4arch9wavefront6targetE1EEEvT1_,comdat
.Lfunc_end430:
	.size	_ZN7rocprim17ROCPRIM_400000_NS6detail17trampoline_kernelINS0_14default_configENS1_20scan_config_selectorIN3c104HalfEEEZZNS1_9scan_implILNS1_25lookback_scan_determinismE0ELb0ELb0ES3_PKS6_PS6_S6_ZZZN2at6native31launch_logcumsumexp_cuda_kernelERKNSD_10TensorBaseESH_lENKUlvE_clEvENKUlvE3_clEvEUlS6_S6_E_S6_EEDaPvRmT3_T4_T5_mT6_P12ihipStream_tbENKUlT_T0_E_clISt17integral_constantIbLb0EESX_IbLb1EEEEDaST_SU_EUlST_E0_NS1_11comp_targetILNS1_3genE5ELNS1_11target_archE942ELNS1_3gpuE9ELNS1_3repE0EEENS1_30default_config_static_selectorELNS0_4arch9wavefront6targetE1EEEvT1_, .Lfunc_end430-_ZN7rocprim17ROCPRIM_400000_NS6detail17trampoline_kernelINS0_14default_configENS1_20scan_config_selectorIN3c104HalfEEEZZNS1_9scan_implILNS1_25lookback_scan_determinismE0ELb0ELb0ES3_PKS6_PS6_S6_ZZZN2at6native31launch_logcumsumexp_cuda_kernelERKNSD_10TensorBaseESH_lENKUlvE_clEvENKUlvE3_clEvEUlS6_S6_E_S6_EEDaPvRmT3_T4_T5_mT6_P12ihipStream_tbENKUlT_T0_E_clISt17integral_constantIbLb0EESX_IbLb1EEEEDaST_SU_EUlST_E0_NS1_11comp_targetILNS1_3genE5ELNS1_11target_archE942ELNS1_3gpuE9ELNS1_3repE0EEENS1_30default_config_static_selectorELNS0_4arch9wavefront6targetE1EEEvT1_
                                        ; -- End function
	.section	.AMDGPU.csdata,"",@progbits
; Kernel info:
; codeLenInByte = 0
; NumSgprs: 4
; NumVgprs: 0
; NumAgprs: 0
; TotalNumVgprs: 0
; ScratchSize: 0
; MemoryBound: 0
; FloatMode: 240
; IeeeMode: 1
; LDSByteSize: 0 bytes/workgroup (compile time only)
; SGPRBlocks: 0
; VGPRBlocks: 0
; NumSGPRsForWavesPerEU: 4
; NumVGPRsForWavesPerEU: 1
; AccumOffset: 4
; Occupancy: 8
; WaveLimiterHint : 0
; COMPUTE_PGM_RSRC2:SCRATCH_EN: 0
; COMPUTE_PGM_RSRC2:USER_SGPR: 6
; COMPUTE_PGM_RSRC2:TRAP_HANDLER: 0
; COMPUTE_PGM_RSRC2:TGID_X_EN: 1
; COMPUTE_PGM_RSRC2:TGID_Y_EN: 0
; COMPUTE_PGM_RSRC2:TGID_Z_EN: 0
; COMPUTE_PGM_RSRC2:TIDIG_COMP_CNT: 0
; COMPUTE_PGM_RSRC3_GFX90A:ACCUM_OFFSET: 0
; COMPUTE_PGM_RSRC3_GFX90A:TG_SPLIT: 0
	.section	.text._ZN7rocprim17ROCPRIM_400000_NS6detail17trampoline_kernelINS0_14default_configENS1_20scan_config_selectorIN3c104HalfEEEZZNS1_9scan_implILNS1_25lookback_scan_determinismE0ELb0ELb0ES3_PKS6_PS6_S6_ZZZN2at6native31launch_logcumsumexp_cuda_kernelERKNSD_10TensorBaseESH_lENKUlvE_clEvENKUlvE3_clEvEUlS6_S6_E_S6_EEDaPvRmT3_T4_T5_mT6_P12ihipStream_tbENKUlT_T0_E_clISt17integral_constantIbLb0EESX_IbLb1EEEEDaST_SU_EUlST_E0_NS1_11comp_targetILNS1_3genE4ELNS1_11target_archE910ELNS1_3gpuE8ELNS1_3repE0EEENS1_30default_config_static_selectorELNS0_4arch9wavefront6targetE1EEEvT1_,"axG",@progbits,_ZN7rocprim17ROCPRIM_400000_NS6detail17trampoline_kernelINS0_14default_configENS1_20scan_config_selectorIN3c104HalfEEEZZNS1_9scan_implILNS1_25lookback_scan_determinismE0ELb0ELb0ES3_PKS6_PS6_S6_ZZZN2at6native31launch_logcumsumexp_cuda_kernelERKNSD_10TensorBaseESH_lENKUlvE_clEvENKUlvE3_clEvEUlS6_S6_E_S6_EEDaPvRmT3_T4_T5_mT6_P12ihipStream_tbENKUlT_T0_E_clISt17integral_constantIbLb0EESX_IbLb1EEEEDaST_SU_EUlST_E0_NS1_11comp_targetILNS1_3genE4ELNS1_11target_archE910ELNS1_3gpuE8ELNS1_3repE0EEENS1_30default_config_static_selectorELNS0_4arch9wavefront6targetE1EEEvT1_,comdat
	.globl	_ZN7rocprim17ROCPRIM_400000_NS6detail17trampoline_kernelINS0_14default_configENS1_20scan_config_selectorIN3c104HalfEEEZZNS1_9scan_implILNS1_25lookback_scan_determinismE0ELb0ELb0ES3_PKS6_PS6_S6_ZZZN2at6native31launch_logcumsumexp_cuda_kernelERKNSD_10TensorBaseESH_lENKUlvE_clEvENKUlvE3_clEvEUlS6_S6_E_S6_EEDaPvRmT3_T4_T5_mT6_P12ihipStream_tbENKUlT_T0_E_clISt17integral_constantIbLb0EESX_IbLb1EEEEDaST_SU_EUlST_E0_NS1_11comp_targetILNS1_3genE4ELNS1_11target_archE910ELNS1_3gpuE8ELNS1_3repE0EEENS1_30default_config_static_selectorELNS0_4arch9wavefront6targetE1EEEvT1_ ; -- Begin function _ZN7rocprim17ROCPRIM_400000_NS6detail17trampoline_kernelINS0_14default_configENS1_20scan_config_selectorIN3c104HalfEEEZZNS1_9scan_implILNS1_25lookback_scan_determinismE0ELb0ELb0ES3_PKS6_PS6_S6_ZZZN2at6native31launch_logcumsumexp_cuda_kernelERKNSD_10TensorBaseESH_lENKUlvE_clEvENKUlvE3_clEvEUlS6_S6_E_S6_EEDaPvRmT3_T4_T5_mT6_P12ihipStream_tbENKUlT_T0_E_clISt17integral_constantIbLb0EESX_IbLb1EEEEDaST_SU_EUlST_E0_NS1_11comp_targetILNS1_3genE4ELNS1_11target_archE910ELNS1_3gpuE8ELNS1_3repE0EEENS1_30default_config_static_selectorELNS0_4arch9wavefront6targetE1EEEvT1_
	.p2align	8
	.type	_ZN7rocprim17ROCPRIM_400000_NS6detail17trampoline_kernelINS0_14default_configENS1_20scan_config_selectorIN3c104HalfEEEZZNS1_9scan_implILNS1_25lookback_scan_determinismE0ELb0ELb0ES3_PKS6_PS6_S6_ZZZN2at6native31launch_logcumsumexp_cuda_kernelERKNSD_10TensorBaseESH_lENKUlvE_clEvENKUlvE3_clEvEUlS6_S6_E_S6_EEDaPvRmT3_T4_T5_mT6_P12ihipStream_tbENKUlT_T0_E_clISt17integral_constantIbLb0EESX_IbLb1EEEEDaST_SU_EUlST_E0_NS1_11comp_targetILNS1_3genE4ELNS1_11target_archE910ELNS1_3gpuE8ELNS1_3repE0EEENS1_30default_config_static_selectorELNS0_4arch9wavefront6targetE1EEEvT1_,@function
_ZN7rocprim17ROCPRIM_400000_NS6detail17trampoline_kernelINS0_14default_configENS1_20scan_config_selectorIN3c104HalfEEEZZNS1_9scan_implILNS1_25lookback_scan_determinismE0ELb0ELb0ES3_PKS6_PS6_S6_ZZZN2at6native31launch_logcumsumexp_cuda_kernelERKNSD_10TensorBaseESH_lENKUlvE_clEvENKUlvE3_clEvEUlS6_S6_E_S6_EEDaPvRmT3_T4_T5_mT6_P12ihipStream_tbENKUlT_T0_E_clISt17integral_constantIbLb0EESX_IbLb1EEEEDaST_SU_EUlST_E0_NS1_11comp_targetILNS1_3genE4ELNS1_11target_archE910ELNS1_3gpuE8ELNS1_3repE0EEENS1_30default_config_static_selectorELNS0_4arch9wavefront6targetE1EEEvT1_: ; @_ZN7rocprim17ROCPRIM_400000_NS6detail17trampoline_kernelINS0_14default_configENS1_20scan_config_selectorIN3c104HalfEEEZZNS1_9scan_implILNS1_25lookback_scan_determinismE0ELb0ELb0ES3_PKS6_PS6_S6_ZZZN2at6native31launch_logcumsumexp_cuda_kernelERKNSD_10TensorBaseESH_lENKUlvE_clEvENKUlvE3_clEvEUlS6_S6_E_S6_EEDaPvRmT3_T4_T5_mT6_P12ihipStream_tbENKUlT_T0_E_clISt17integral_constantIbLb0EESX_IbLb1EEEEDaST_SU_EUlST_E0_NS1_11comp_targetILNS1_3genE4ELNS1_11target_archE910ELNS1_3gpuE8ELNS1_3repE0EEENS1_30default_config_static_selectorELNS0_4arch9wavefront6targetE1EEEvT1_
; %bb.0:
	s_load_dwordx4 s[52:55], s[4:5], 0x0
	v_mov_b32_e32 v1, 0
	v_lshlrev_b32_e32 v14, 1, v0
	s_waitcnt lgkmcnt(0)
	global_load_ushort v2, v1, s[52:53]
	v_cmp_gt_u32_e64 s[2:3], s54, v0
	s_waitcnt vmcnt(0)
	v_mov_b32_e32 v3, v2
	s_mov_b64 s[0:1], exec
                                        ; implicit-def: $vgpr51 : SGPR spill to VGPR lane
	v_writelane_b32 v51, s2, 0
	v_writelane_b32 v51, s3, 1
	s_and_b64 s[2:3], s[0:1], s[2:3]
	s_mov_b64 exec, s[2:3]
	s_cbranch_execz .LBB431_2
; %bb.1:
	global_load_ushort v3, v14, s[52:53]
.LBB431_2:
	s_or_b64 exec, exec, s[0:1]
	v_or_b32_e32 v1, 64, v0
	v_mov_b32_e32 v4, v2
	v_cmp_gt_u32_e64 s[2:3], s54, v1
	s_mov_b64 s[0:1], exec
	v_writelane_b32 v51, s2, 2
	v_writelane_b32 v51, s3, 3
	s_and_b64 s[2:3], s[0:1], s[2:3]
	s_mov_b64 exec, s[2:3]
	s_cbranch_execz .LBB431_4
; %bb.3:
	global_load_ushort v4, v14, s[52:53] offset:128
.LBB431_4:
	s_or_b64 exec, exec, s[0:1]
	v_or_b32_e32 v1, 0x80, v0
	v_cmp_gt_u32_e64 s[2:3], s54, v1
	v_mov_b32_e32 v5, v2
	v_writelane_b32 v51, s2, 4
	v_writelane_b32 v51, s3, 5
	s_and_saveexec_b64 s[0:1], s[2:3]
	s_cbranch_execz .LBB431_6
; %bb.5:
	global_load_ushort v5, v14, s[52:53] offset:256
.LBB431_6:
	s_or_b64 exec, exec, s[0:1]
	v_or_b32_e32 v1, 0xc0, v0
	v_cmp_gt_u32_e64 s[46:47], s54, v1
	v_mov_b32_e32 v6, v2
	s_and_saveexec_b64 s[0:1], s[46:47]
	s_cbranch_execz .LBB431_8
; %bb.7:
	global_load_ushort v6, v14, s[52:53] offset:384
.LBB431_8:
	s_or_b64 exec, exec, s[0:1]
	v_or_b32_e32 v1, 0x100, v0
	v_cmp_gt_u32_e64 s[6:7], s54, v1
	v_mov_b32_e32 v7, v2
	;; [unrolled: 9-line block ×20, first 2 shown]
	s_and_saveexec_b64 s[0:1], s[44:45]
	s_cbranch_execz .LBB431_46
; %bb.45:
	global_load_ushort v26, v14, s[52:53] offset:2816
.LBB431_46:
	s_or_b64 exec, exec, s[0:1]
	v_or_b32_e32 v1, 0x5c0, v0
	v_cmp_gt_u32_e64 s[0:1], s54, v1
	v_writelane_b32 v51, s0, 6
	v_cmp_le_u32_e64 s[48:49], s54, v1
	v_writelane_b32 v51, s1, 7
	s_and_saveexec_b64 s[0:1], s[48:49]
	s_xor_b64 s[0:1], exec, s[0:1]
; %bb.47:
	v_mov_b32_e32 v1, 0
; %bb.48:
	s_andn2_saveexec_b64 s[0:1], s[0:1]
	s_cbranch_execz .LBB431_50
; %bb.49:
	global_load_ushort v2, v14, s[52:53] offset:2944
	v_mov_b32_e32 v1, 0
.LBB431_50:
	s_or_b64 exec, exec, s[0:1]
	s_waitcnt vmcnt(0)
	ds_write_b16 v14, v3
	ds_write_b16 v14, v4 offset:128
	ds_write_b16 v14, v5 offset:256
	;; [unrolled: 1-line block ×23, first 2 shown]
	v_mad_u32_u24 v6, v0, 46, v14
	s_waitcnt lgkmcnt(0)
	; wave barrier
	s_waitcnt lgkmcnt(0)
	ds_read_b128 v[2:5], v6
	ds_read_b128 v[10:13], v6 offset:16
	ds_read_b128 v[6:9], v6 offset:32
	s_movk_i32 s33, 0x1f8
	s_waitcnt lgkmcnt(0)
	v_cvt_f32_f16_e32 v15, v2
	v_cvt_f32_f16_sdwa v16, v2 dst_sel:DWORD dst_unused:UNUSED_PAD src0_sel:WORD_1
	v_cmp_u_f16_e64 s[94:95], v2, v2
	v_cmp_u_f16_sdwa s[48:49], v2, v2 src0_sel:WORD_1 src1_sel:WORD_1
	v_mov_b32_e32 v33, v15
	v_min_f32_e32 v29, v15, v16
	v_cndmask_b32_e64 v17, v29, v15, s[94:95]
	v_max_f32_e32 v30, v15, v16
	v_cndmask_b32_e64 v18, v17, v16, s[48:49]
	v_cndmask_b32_e64 v17, v30, v15, s[94:95]
	;; [unrolled: 1-line block ×3, first 2 shown]
	v_cmp_neq_f32_e64 s[50:51], v18, v17
	v_cmp_class_f32_e64 s[0:1], v18, s33
	s_or_b64 s[50:51], s[50:51], s[0:1]
	v_mov_b32_e32 v31, v2
	v_mov_b32_e32 v32, v2
	; wave barrier
	s_and_saveexec_b64 s[0:1], s[50:51]
	s_cbranch_execz .LBB431_52
; %bb.51:
	v_sub_f32_e32 v18, v18, v17
	s_mov_b32 s2, 0x3fb8aa3b
	v_mul_f32_e32 v19, 0x3fb8aa3b, v18
	v_fma_f32 v20, v18, s2, -v19
	v_rndne_f32_e32 v21, v19
	v_fmac_f32_e32 v20, 0x32a5705f, v18
	v_sub_f32_e32 v19, v19, v21
	v_add_f32_e32 v19, v19, v20
	v_exp_f32_e32 v19, v19
	v_cvt_i32_f32_e32 v20, v21
	s_mov_b32 s2, 0xc2ce8ed0
	v_cmp_ngt_f32_e64 s[50:51], s2, v18
	s_mov_b32 s2, 0x42b17218
	v_ldexp_f32 v19, v19, v20
	v_cndmask_b32_e64 v19, 0, v19, s[50:51]
	v_mov_b32_e32 v20, 0x7f800000
	v_cmp_nlt_f32_e64 s[50:51], s2, v18
	v_cndmask_b32_e64 v28, v20, v19, s[50:51]
	v_add_f32_e32 v20, 1.0, v28
	v_add_f32_e32 v18, -1.0, v20
	v_sub_f32_e32 v19, v18, v20
	v_add_f32_e32 v19, 1.0, v19
	v_sub_f32_e32 v18, v28, v18
	v_add_f32_e32 v21, v18, v19
	v_frexp_mant_f32_e32 v22, v20
	s_mov_b32 s2, 0x3f2aaaab
	v_cvt_f64_f32_e32 v[18:19], v20
	v_frexp_exp_i32_f64_e32 v18, v[18:19]
	v_cmp_gt_f32_e64 s[50:51], s2, v22
	v_subbrev_co_u32_e64 v26, s[50:51], 0, v18, s[50:51]
	v_sub_u32_e32 v18, 0, v26
	v_ldexp_f32 v19, v20, v18
	v_add_f32_e32 v20, -1.0, v19
	v_add_f32_e32 v22, 1.0, v19
	v_ldexp_f32 v18, v21, v18
	v_add_f32_e32 v21, 1.0, v20
	v_add_f32_e32 v23, -1.0, v22
	v_sub_f32_e32 v21, v19, v21
	v_sub_f32_e32 v19, v19, v23
	v_add_f32_e32 v21, v18, v21
	v_add_f32_e32 v18, v18, v19
	;; [unrolled: 1-line block ×3, first 2 shown]
	v_rcp_f32_e32 v32, v27
	v_sub_f32_e32 v19, v22, v27
	v_add_f32_e32 v31, v18, v19
	v_add_f32_e32 v19, v20, v21
	v_mul_f32_e32 v34, v19, v32
	v_sub_f32_e32 v18, v20, v19
	v_mul_f32_e32 v20, v27, v34
	v_fma_f32 v22, v34, v27, -v20
	v_fmac_f32_e32 v22, v34, v31
	v_add_f32_e32 v33, v21, v18
	v_add_f32_e32 v18, v20, v22
	v_sub_f32_e32 v21, v19, v18
	v_pk_add_f32 v[24:25], v[18:19], v[20:21] neg_lo:[0,1] neg_hi:[0,1]
	v_mov_b32_e32 v23, v18
	v_pk_add_f32 v[18:19], v[24:25], v[22:23] neg_lo:[0,1] neg_hi:[0,1]
	v_add_f32_e32 v19, v33, v19
	v_add_f32_e32 v18, v18, v19
	;; [unrolled: 1-line block ×3, first 2 shown]
	v_mul_f32_e32 v33, v32, v19
	v_mul_f32_e32 v20, v27, v33
	v_fma_f32 v22, v33, v27, -v20
	v_fmac_f32_e32 v22, v33, v31
	v_sub_f32_e32 v21, v21, v19
	v_add_f32_e32 v27, v18, v21
	v_add_f32_e32 v18, v20, v22
	v_sub_f32_e32 v21, v19, v18
	v_pk_add_f32 v[24:25], v[18:19], v[20:21] neg_lo:[0,1] neg_hi:[0,1]
	v_mov_b32_e32 v23, v18
	v_pk_add_f32 v[18:19], v[24:25], v[22:23] neg_lo:[0,1] neg_hi:[0,1]
	v_add_f32_e32 v19, v27, v19
	v_add_f32_e32 v18, v18, v19
	;; [unrolled: 1-line block ×4, first 2 shown]
	v_sub_f32_e32 v19, v21, v34
	v_mul_f32_e32 v18, v32, v18
	v_sub_f32_e32 v19, v33, v19
	v_add_f32_e32 v18, v19, v18
	v_add_f32_e32 v22, v21, v18
	v_mul_f32_e32 v24, v22, v22
	v_mov_b32_e32 v20, 0x3ecc95a3
	v_fmac_f32_e32 v20, 0x3e9b6dac, v24
	v_mov_b32_e32 v19, 0x3f2aaada
	v_fmac_f32_e32 v19, v24, v20
	v_cvt_f32_i32_e32 v20, v26
	v_sub_f32_e32 v21, v22, v21
	v_sub_f32_e32 v18, v18, v21
	v_ldexp_f32 v25, v18, 1
	v_mul_f32_e32 v21, v22, v24
	v_mov_b32_e32 v18, 0x3f317218
	s_mov_b32 s2, 0x3f317218
	v_pk_mul_f32 v[18:19], v[20:21], v[18:19]
	v_ldexp_f32 v23, v22, 1
	v_fma_f32 v22, v20, s2, -v18
	v_fmac_f32_e32 v22, 0xb102e308, v20
	v_pk_add_f32 v[20:21], v[18:19], v[22:23]
	v_sub_f32_e32 v23, v21, v23
	v_sub_f32_e32 v23, v19, v23
	v_add_f32_e32 v25, v25, v23
	v_mov_b32_e32 v24, v18
	v_pk_add_f32 v[18:19], v[20:21], v[18:19] neg_lo:[0,1] neg_hi:[0,1]
	v_pk_add_f32 v[26:27], v[20:21], v[24:25]
	v_mov_b32_e32 v19, v27
	v_mov_b32_e32 v23, v20
	v_pk_add_f32 v[32:33], v[22:23], v[18:19] neg_lo:[0,1] neg_hi:[0,1]
	v_pk_add_f32 v[18:19], v[22:23], v[18:19]
	v_mov_b32_e32 v22, v19
	v_pk_add_f32 v[34:35], v[22:23], v[20:21] neg_lo:[0,1] neg_hi:[0,1]
	v_mov_b32_e32 v23, v34
	v_pk_add_f32 v[36:37], v[26:27], v[22:23] neg_lo:[0,1] neg_hi:[0,1]
	v_mov_b32_e32 v18, v27
	v_mov_b32_e32 v26, v21
	v_mov_b32_e32 v27, v34
	v_mov_b32_e32 v33, v19
	v_pk_add_f32 v[18:19], v[18:19], v[26:27] neg_lo:[0,1] neg_hi:[0,1]
	v_mov_b32_e32 v24, v25
	v_mov_b32_e32 v25, v20
	v_pk_add_f32 v[18:19], v[24:25], v[18:19] neg_lo:[0,1] neg_hi:[0,1]
	v_mov_b32_e32 v36, v32
	v_pk_add_f32 v[20:21], v[36:37], v[18:19]
	v_mov_b32_e32 v24, v21
	v_pk_add_f32 v[24:25], v[20:21], v[24:25]
	v_pk_add_f32 v[22:23], v[22:23], v[24:25]
	v_mov_b32_e32 v21, v22
	v_pk_add_f32 v[26:27], v[20:21], v[32:33] neg_lo:[0,1] neg_hi:[0,1]
	v_mov_b32_e32 v19, v24
	v_sub_f32_e32 v20, v20, v26
	v_pk_add_f32 v[18:19], v[18:19], v[26:27] neg_lo:[0,1] neg_hi:[0,1]
	v_sub_f32_e32 v20, v32, v20
	s_mov_b32 s3, 0x7f800000
	v_add_f32_e32 v18, v18, v20
	s_mov_b32 s2, 0x33800000
	v_add_f32_e32 v18, v18, v19
	v_cmp_eq_f32_e64 s[50:51], s3, v28
	v_cmp_lt_f32_e64 s[52:53], |v28|, s2
	v_add_f32_e32 v18, v22, v18
	s_or_b64 s[50:51], s[50:51], s[52:53]
	v_cndmask_b32_e64 v18, v18, v28, s[50:51]
	v_add_f32_e32 v17, v17, v18
	v_cvt_f16_f32_e32 v31, v17
	v_cvt_f32_f16_e32 v33, v31
	v_mov_b32_e32 v32, v31
.LBB431_52:
	s_or_b64 exec, exec, s[0:1]
	v_cvt_f32_f16_e32 v17, v3
	v_max_f32_e32 v18, v33, v33
	v_cmp_u_f16_e64 s[52:53], v31, v31
	v_cmp_u_f16_e64 s[50:51], v3, v3
	v_min_f32_e32 v19, v18, v17
	v_max_f32_e32 v18, v18, v17
	v_cndmask_b32_e64 v19, v19, v33, s[52:53]
	v_cndmask_b32_e64 v18, v18, v33, s[52:53]
	;; [unrolled: 1-line block ×4, first 2 shown]
	v_cmp_neq_f32_e64 s[52:53], v19, v18
	v_cmp_class_f32_e64 s[0:1], v19, s33
	s_or_b64 s[52:53], s[52:53], s[0:1]
	s_and_saveexec_b64 s[0:1], s[52:53]
	s_cbranch_execz .LBB431_54
; %bb.53:
	v_sub_f32_e32 v19, v19, v18
	s_mov_b32 s2, 0x3fb8aa3b
	v_mul_f32_e32 v20, 0x3fb8aa3b, v19
	v_fma_f32 v21, v19, s2, -v20
	v_rndne_f32_e32 v22, v20
	v_fmac_f32_e32 v21, 0x32a5705f, v19
	v_sub_f32_e32 v20, v20, v22
	v_add_f32_e32 v20, v20, v21
	v_exp_f32_e32 v20, v20
	v_cvt_i32_f32_e32 v21, v22
	s_mov_b32 s2, 0xc2ce8ed0
	v_cmp_ngt_f32_e64 s[52:53], s2, v19
	s_mov_b32 s2, 0x42b17218
	v_ldexp_f32 v20, v20, v21
	v_cndmask_b32_e64 v20, 0, v20, s[52:53]
	v_mov_b32_e32 v21, 0x7f800000
	v_cmp_nlt_f32_e64 s[52:53], s2, v19
	v_cndmask_b32_e64 v28, v21, v20, s[52:53]
	v_add_f32_e32 v19, 1.0, v28
	v_add_f32_e32 v20, -1.0, v19
	v_sub_f32_e32 v21, v20, v19
	v_add_f32_e32 v21, 1.0, v21
	v_sub_f32_e32 v20, v28, v20
	v_add_f32_e32 v22, v20, v21
	v_frexp_mant_f32_e32 v23, v19
	s_mov_b32 s2, 0x3f2aaaab
	v_cvt_f64_f32_e32 v[20:21], v19
	v_frexp_exp_i32_f64_e32 v20, v[20:21]
	v_cmp_gt_f32_e64 s[52:53], s2, v23
	v_subbrev_co_u32_e64 v31, s[52:53], 0, v20, s[52:53]
	v_sub_u32_e32 v20, 0, v31
	v_ldexp_f32 v19, v19, v20
	v_ldexp_f32 v20, v22, v20
	v_add_f32_e32 v22, -1.0, v19
	v_add_f32_e32 v21, 1.0, v22
	v_sub_f32_e32 v21, v19, v21
	v_add_f32_e32 v23, v20, v21
	v_add_f32_e32 v21, 1.0, v19
	v_add_f32_e32 v24, -1.0, v21
	v_sub_f32_e32 v19, v19, v24
	v_add_f32_e32 v19, v20, v19
	v_add_f32_e32 v32, v21, v19
	v_rcp_f32_e32 v33, v32
	v_sub_f32_e32 v20, v21, v32
	v_add_f32_e32 v21, v22, v23
	v_add_f32_e32 v19, v19, v20
	v_mul_f32_e32 v35, v21, v33
	v_sub_f32_e32 v20, v22, v21
	v_mul_f32_e32 v22, v32, v35
	v_fma_f32 v24, v35, v32, -v22
	v_fmac_f32_e32 v24, v35, v19
	v_add_f32_e32 v34, v23, v20
	v_add_f32_e32 v20, v22, v24
	v_sub_f32_e32 v23, v21, v20
	v_pk_add_f32 v[26:27], v[20:21], v[22:23] neg_lo:[0,1] neg_hi:[0,1]
	v_mov_b32_e32 v25, v20
	v_pk_add_f32 v[20:21], v[26:27], v[24:25] neg_lo:[0,1] neg_hi:[0,1]
	v_add_f32_e32 v21, v34, v21
	v_add_f32_e32 v20, v20, v21
	;; [unrolled: 1-line block ×3, first 2 shown]
	v_mul_f32_e32 v34, v33, v21
	v_mul_f32_e32 v22, v32, v34
	v_fma_f32 v24, v34, v32, -v22
	v_fmac_f32_e32 v24, v34, v19
	v_sub_f32_e32 v19, v23, v21
	v_add_f32_e32 v19, v20, v19
	v_add_f32_e32 v20, v22, v24
	v_sub_f32_e32 v23, v21, v20
	v_pk_add_f32 v[26:27], v[20:21], v[22:23] neg_lo:[0,1] neg_hi:[0,1]
	v_mov_b32_e32 v25, v20
	v_pk_add_f32 v[20:21], v[26:27], v[24:25] neg_lo:[0,1] neg_hi:[0,1]
	v_add_f32_e32 v19, v19, v21
	v_add_f32_e32 v19, v20, v19
	;; [unrolled: 1-line block ×4, first 2 shown]
	v_sub_f32_e32 v21, v20, v35
	v_mul_f32_e32 v19, v33, v19
	v_sub_f32_e32 v21, v34, v21
	v_add_f32_e32 v19, v21, v19
	v_add_f32_e32 v23, v20, v19
	v_mul_f32_e32 v24, v23, v23
	v_mov_b32_e32 v22, 0x3ecc95a3
	v_fmac_f32_e32 v22, 0x3e9b6dac, v24
	v_mov_b32_e32 v21, 0x3f2aaada
	v_fmac_f32_e32 v21, v24, v22
	v_cvt_f32_i32_e32 v22, v31
	v_sub_f32_e32 v20, v23, v20
	v_sub_f32_e32 v19, v19, v20
	v_ldexp_f32 v25, v23, 1
	v_mul_f32_e32 v23, v23, v24
	v_mov_b32_e32 v20, 0x3f317218
	s_mov_b32 s2, 0x3f317218
	v_pk_mul_f32 v[20:21], v[22:23], v[20:21]
	v_fma_f32 v24, v22, s2, -v20
	v_fmac_f32_e32 v24, 0xb102e308, v22
	v_pk_add_f32 v[22:23], v[20:21], v[24:25]
	v_sub_f32_e32 v25, v23, v25
	v_ldexp_f32 v19, v19, 1
	v_sub_f32_e32 v25, v21, v25
	v_add_f32_e32 v27, v19, v25
	v_mov_b32_e32 v26, v20
	v_pk_add_f32 v[20:21], v[22:23], v[20:21] neg_lo:[0,1] neg_hi:[0,1]
	v_pk_add_f32 v[32:33], v[22:23], v[26:27]
	v_mov_b32_e32 v21, v33
	v_mov_b32_e32 v25, v22
	v_pk_add_f32 v[34:35], v[24:25], v[20:21] neg_lo:[0,1] neg_hi:[0,1]
	v_pk_add_f32 v[20:21], v[24:25], v[20:21]
	v_mov_b32_e32 v24, v21
	v_pk_add_f32 v[36:37], v[24:25], v[22:23] neg_lo:[0,1] neg_hi:[0,1]
	v_mov_b32_e32 v19, v36
	v_pk_add_f32 v[38:39], v[32:33], v[18:19] neg_lo:[0,1] neg_hi:[0,1]
	v_mov_b32_e32 v20, v33
	v_mov_b32_e32 v32, v23
	;; [unrolled: 1-line block ×4, first 2 shown]
	v_pk_add_f32 v[20:21], v[20:21], v[32:33] neg_lo:[0,1] neg_hi:[0,1]
	v_mov_b32_e32 v26, v27
	v_mov_b32_e32 v27, v22
	v_pk_add_f32 v[20:21], v[26:27], v[20:21] neg_lo:[0,1] neg_hi:[0,1]
	v_mov_b32_e32 v38, v34
	v_pk_add_f32 v[22:23], v[38:39], v[20:21]
	v_mov_b32_e32 v26, v23
	v_pk_add_f32 v[26:27], v[22:23], v[26:27]
	v_pk_add_f32 v[24:25], v[24:25], v[26:27]
	v_mov_b32_e32 v23, v24
	v_pk_add_f32 v[32:33], v[22:23], v[34:35] neg_lo:[0,1] neg_hi:[0,1]
	v_mov_b32_e32 v21, v26
	v_sub_f32_e32 v19, v22, v32
	v_pk_add_f32 v[20:21], v[20:21], v[32:33] neg_lo:[0,1] neg_hi:[0,1]
	v_sub_f32_e32 v19, v34, v19
	s_mov_b32 s3, 0x7f800000
	v_add_f32_e32 v19, v20, v19
	s_mov_b32 s2, 0x33800000
	v_add_f32_e32 v19, v19, v21
	v_cmp_eq_f32_e64 s[52:53], s3, v28
	v_cmp_lt_f32_e64 s[54:55], |v28|, s2
	v_add_f32_e32 v19, v24, v19
	s_or_b64 s[52:53], s[52:53], s[54:55]
	v_cndmask_b32_e64 v19, v19, v28, s[52:53]
	v_add_f32_e32 v18, v18, v19
	v_cvt_f16_f32_e32 v31, v18
	v_cvt_f32_f16_e32 v33, v31
	v_mov_b32_e32 v32, v31
.LBB431_54:
	s_or_b64 exec, exec, s[0:1]
	v_cvt_f32_f16_sdwa v18, v3 dst_sel:DWORD dst_unused:UNUSED_PAD src0_sel:WORD_1
	v_max_f32_e32 v20, v33, v33
	v_cmp_u_f16_e64 s[54:55], v31, v31
	v_cmp_u_f16_sdwa s[52:53], v3, v3 src0_sel:WORD_1 src1_sel:WORD_1
	v_min_f32_e32 v19, v20, v18
	v_max_f32_e32 v3, v20, v18
	v_cndmask_b32_e64 v19, v19, v33, s[54:55]
	v_cndmask_b32_e64 v3, v3, v33, s[54:55]
	;; [unrolled: 1-line block ×4, first 2 shown]
	v_cmp_neq_f32_e64 s[54:55], v19, v3
	v_cmp_class_f32_e64 s[0:1], v19, s33
	s_or_b64 s[54:55], s[54:55], s[0:1]
	s_and_saveexec_b64 s[0:1], s[54:55]
	s_cbranch_execz .LBB431_56
; %bb.55:
	v_sub_f32_e32 v19, v19, v3
	s_mov_b32 s2, 0x3fb8aa3b
	v_mul_f32_e32 v20, 0x3fb8aa3b, v19
	v_fma_f32 v21, v19, s2, -v20
	v_rndne_f32_e32 v22, v20
	v_fmac_f32_e32 v21, 0x32a5705f, v19
	v_sub_f32_e32 v20, v20, v22
	v_add_f32_e32 v20, v20, v21
	v_exp_f32_e32 v20, v20
	v_cvt_i32_f32_e32 v21, v22
	s_mov_b32 s2, 0xc2ce8ed0
	v_cmp_ngt_f32_e64 s[54:55], s2, v19
	s_mov_b32 s2, 0x42b17218
	v_ldexp_f32 v20, v20, v21
	v_cndmask_b32_e64 v20, 0, v20, s[54:55]
	v_mov_b32_e32 v21, 0x7f800000
	v_cmp_nlt_f32_e64 s[54:55], s2, v19
	v_cndmask_b32_e64 v28, v21, v20, s[54:55]
	v_add_f32_e32 v19, 1.0, v28
	v_add_f32_e32 v20, -1.0, v19
	v_sub_f32_e32 v21, v20, v19
	v_add_f32_e32 v21, 1.0, v21
	v_sub_f32_e32 v20, v28, v20
	v_add_f32_e32 v22, v20, v21
	v_frexp_mant_f32_e32 v23, v19
	s_mov_b32 s2, 0x3f2aaaab
	v_cvt_f64_f32_e32 v[20:21], v19
	v_frexp_exp_i32_f64_e32 v20, v[20:21]
	v_cmp_gt_f32_e64 s[54:55], s2, v23
	v_subbrev_co_u32_e64 v31, s[54:55], 0, v20, s[54:55]
	v_sub_u32_e32 v20, 0, v31
	v_ldexp_f32 v19, v19, v20
	v_ldexp_f32 v20, v22, v20
	v_add_f32_e32 v22, -1.0, v19
	v_add_f32_e32 v21, 1.0, v22
	v_sub_f32_e32 v21, v19, v21
	v_add_f32_e32 v23, v20, v21
	v_add_f32_e32 v21, 1.0, v19
	v_add_f32_e32 v24, -1.0, v21
	v_sub_f32_e32 v19, v19, v24
	v_add_f32_e32 v19, v20, v19
	v_add_f32_e32 v32, v21, v19
	v_rcp_f32_e32 v33, v32
	v_sub_f32_e32 v20, v21, v32
	v_add_f32_e32 v21, v22, v23
	v_add_f32_e32 v19, v19, v20
	v_mul_f32_e32 v35, v21, v33
	v_sub_f32_e32 v20, v22, v21
	v_mul_f32_e32 v22, v32, v35
	v_fma_f32 v24, v35, v32, -v22
	v_fmac_f32_e32 v24, v35, v19
	v_add_f32_e32 v34, v23, v20
	v_add_f32_e32 v20, v22, v24
	v_sub_f32_e32 v23, v21, v20
	v_pk_add_f32 v[26:27], v[20:21], v[22:23] neg_lo:[0,1] neg_hi:[0,1]
	v_mov_b32_e32 v25, v20
	v_pk_add_f32 v[20:21], v[26:27], v[24:25] neg_lo:[0,1] neg_hi:[0,1]
	v_add_f32_e32 v21, v34, v21
	v_add_f32_e32 v20, v20, v21
	;; [unrolled: 1-line block ×3, first 2 shown]
	v_mul_f32_e32 v34, v33, v21
	v_mul_f32_e32 v22, v32, v34
	v_fma_f32 v24, v34, v32, -v22
	v_fmac_f32_e32 v24, v34, v19
	v_sub_f32_e32 v19, v23, v21
	v_add_f32_e32 v19, v20, v19
	v_add_f32_e32 v20, v22, v24
	v_sub_f32_e32 v23, v21, v20
	v_pk_add_f32 v[26:27], v[20:21], v[22:23] neg_lo:[0,1] neg_hi:[0,1]
	v_mov_b32_e32 v25, v20
	v_pk_add_f32 v[20:21], v[26:27], v[24:25] neg_lo:[0,1] neg_hi:[0,1]
	v_add_f32_e32 v19, v19, v21
	v_add_f32_e32 v19, v20, v19
	;; [unrolled: 1-line block ×4, first 2 shown]
	v_sub_f32_e32 v21, v20, v35
	v_mul_f32_e32 v19, v33, v19
	v_sub_f32_e32 v21, v34, v21
	v_add_f32_e32 v19, v21, v19
	v_add_f32_e32 v23, v20, v19
	v_mul_f32_e32 v24, v23, v23
	v_mov_b32_e32 v22, 0x3ecc95a3
	v_fmac_f32_e32 v22, 0x3e9b6dac, v24
	v_mov_b32_e32 v21, 0x3f2aaada
	v_fmac_f32_e32 v21, v24, v22
	v_cvt_f32_i32_e32 v22, v31
	v_sub_f32_e32 v20, v23, v20
	v_sub_f32_e32 v19, v19, v20
	v_ldexp_f32 v25, v23, 1
	v_mul_f32_e32 v23, v23, v24
	v_mov_b32_e32 v20, 0x3f317218
	s_mov_b32 s2, 0x3f317218
	v_pk_mul_f32 v[20:21], v[22:23], v[20:21]
	v_fma_f32 v24, v22, s2, -v20
	v_fmac_f32_e32 v24, 0xb102e308, v22
	v_pk_add_f32 v[22:23], v[20:21], v[24:25]
	v_sub_f32_e32 v25, v23, v25
	v_ldexp_f32 v19, v19, 1
	v_sub_f32_e32 v25, v21, v25
	v_add_f32_e32 v27, v19, v25
	v_mov_b32_e32 v26, v20
	v_pk_add_f32 v[20:21], v[22:23], v[20:21] neg_lo:[0,1] neg_hi:[0,1]
	v_pk_add_f32 v[32:33], v[22:23], v[26:27]
	v_mov_b32_e32 v21, v33
	v_mov_b32_e32 v25, v22
	v_pk_add_f32 v[34:35], v[24:25], v[20:21] neg_lo:[0,1] neg_hi:[0,1]
	v_pk_add_f32 v[20:21], v[24:25], v[20:21]
	v_mov_b32_e32 v24, v21
	v_pk_add_f32 v[36:37], v[24:25], v[22:23] neg_lo:[0,1] neg_hi:[0,1]
	v_mov_b32_e32 v19, v36
	v_pk_add_f32 v[38:39], v[32:33], v[18:19] neg_lo:[0,1] neg_hi:[0,1]
	v_mov_b32_e32 v20, v33
	v_mov_b32_e32 v32, v23
	;; [unrolled: 1-line block ×4, first 2 shown]
	v_pk_add_f32 v[20:21], v[20:21], v[32:33] neg_lo:[0,1] neg_hi:[0,1]
	v_mov_b32_e32 v26, v27
	v_mov_b32_e32 v27, v22
	v_pk_add_f32 v[20:21], v[26:27], v[20:21] neg_lo:[0,1] neg_hi:[0,1]
	v_mov_b32_e32 v38, v34
	v_pk_add_f32 v[22:23], v[38:39], v[20:21]
	v_mov_b32_e32 v26, v23
	v_pk_add_f32 v[26:27], v[22:23], v[26:27]
	v_pk_add_f32 v[24:25], v[24:25], v[26:27]
	v_mov_b32_e32 v23, v24
	v_pk_add_f32 v[32:33], v[22:23], v[34:35] neg_lo:[0,1] neg_hi:[0,1]
	v_mov_b32_e32 v21, v26
	v_sub_f32_e32 v19, v22, v32
	v_pk_add_f32 v[20:21], v[20:21], v[32:33] neg_lo:[0,1] neg_hi:[0,1]
	v_sub_f32_e32 v19, v34, v19
	s_mov_b32 s3, 0x7f800000
	v_add_f32_e32 v19, v20, v19
	s_mov_b32 s2, 0x33800000
	v_add_f32_e32 v19, v19, v21
	v_cmp_eq_f32_e64 s[54:55], s3, v28
	v_cmp_lt_f32_e64 s[56:57], |v28|, s2
	v_add_f32_e32 v19, v24, v19
	s_or_b64 s[54:55], s[54:55], s[56:57]
	v_cndmask_b32_e64 v19, v19, v28, s[54:55]
	v_add_f32_e32 v3, v3, v19
	v_cvt_f16_f32_e32 v31, v3
	v_cvt_f32_f16_e32 v33, v31
	v_mov_b32_e32 v32, v31
.LBB431_56:
	s_or_b64 exec, exec, s[0:1]
	v_cvt_f32_f16_e32 v3, v4
	v_max_f32_e32 v19, v33, v33
	v_cmp_u_f16_e64 s[56:57], v31, v31
	v_cmp_u_f16_e64 s[54:55], v4, v4
	v_min_f32_e32 v20, v19, v3
	v_max_f32_e32 v19, v19, v3
	v_cndmask_b32_e64 v20, v20, v33, s[56:57]
	v_cndmask_b32_e64 v19, v19, v33, s[56:57]
	v_cndmask_b32_e64 v20, v20, v3, s[54:55]
	v_cndmask_b32_e64 v19, v19, v3, s[54:55]
	v_cmp_neq_f32_e64 s[56:57], v20, v19
	v_cmp_class_f32_e64 s[0:1], v20, s33
	s_or_b64 s[56:57], s[56:57], s[0:1]
	s_and_saveexec_b64 s[0:1], s[56:57]
	s_cbranch_execz .LBB431_58
; %bb.57:
	v_sub_f32_e32 v20, v20, v19
	s_mov_b32 s2, 0x3fb8aa3b
	v_mul_f32_e32 v21, 0x3fb8aa3b, v20
	v_fma_f32 v22, v20, s2, -v21
	v_rndne_f32_e32 v23, v21
	v_fmac_f32_e32 v22, 0x32a5705f, v20
	v_sub_f32_e32 v21, v21, v23
	v_add_f32_e32 v21, v21, v22
	v_exp_f32_e32 v21, v21
	v_cvt_i32_f32_e32 v22, v23
	s_mov_b32 s2, 0xc2ce8ed0
	v_cmp_ngt_f32_e64 s[56:57], s2, v20
	s_mov_b32 s2, 0x42b17218
	v_ldexp_f32 v21, v21, v22
	v_cndmask_b32_e64 v21, 0, v21, s[56:57]
	v_mov_b32_e32 v22, 0x7f800000
	v_cmp_nlt_f32_e64 s[56:57], s2, v20
	v_cndmask_b32_e64 v28, v22, v21, s[56:57]
	v_add_f32_e32 v22, 1.0, v28
	v_add_f32_e32 v20, -1.0, v22
	v_sub_f32_e32 v21, v20, v22
	v_add_f32_e32 v21, 1.0, v21
	v_sub_f32_e32 v20, v28, v20
	v_add_f32_e32 v23, v20, v21
	v_frexp_mant_f32_e32 v24, v22
	s_mov_b32 s2, 0x3f2aaaab
	v_cvt_f64_f32_e32 v[20:21], v22
	v_frexp_exp_i32_f64_e32 v20, v[20:21]
	v_cmp_gt_f32_e64 s[56:57], s2, v24
	v_subbrev_co_u32_e64 v31, s[56:57], 0, v20, s[56:57]
	v_sub_u32_e32 v20, 0, v31
	v_ldexp_f32 v21, v22, v20
	v_add_f32_e32 v22, -1.0, v21
	v_add_f32_e32 v24, 1.0, v21
	v_ldexp_f32 v20, v23, v20
	v_add_f32_e32 v23, 1.0, v22
	v_add_f32_e32 v25, -1.0, v24
	v_sub_f32_e32 v23, v21, v23
	v_sub_f32_e32 v21, v21, v25
	v_add_f32_e32 v23, v20, v23
	v_add_f32_e32 v20, v20, v21
	;; [unrolled: 1-line block ×3, first 2 shown]
	v_rcp_f32_e32 v34, v32
	v_sub_f32_e32 v21, v24, v32
	v_add_f32_e32 v33, v20, v21
	v_add_f32_e32 v21, v22, v23
	v_mul_f32_e32 v36, v21, v34
	v_sub_f32_e32 v20, v22, v21
	v_mul_f32_e32 v22, v32, v36
	v_fma_f32 v24, v36, v32, -v22
	v_fmac_f32_e32 v24, v36, v33
	v_add_f32_e32 v35, v23, v20
	v_add_f32_e32 v20, v22, v24
	v_sub_f32_e32 v23, v21, v20
	v_pk_add_f32 v[26:27], v[20:21], v[22:23] neg_lo:[0,1] neg_hi:[0,1]
	v_mov_b32_e32 v25, v20
	v_pk_add_f32 v[20:21], v[26:27], v[24:25] neg_lo:[0,1] neg_hi:[0,1]
	v_add_f32_e32 v21, v35, v21
	v_add_f32_e32 v20, v20, v21
	;; [unrolled: 1-line block ×3, first 2 shown]
	v_mul_f32_e32 v35, v34, v21
	v_mul_f32_e32 v22, v32, v35
	v_fma_f32 v24, v35, v32, -v22
	v_fmac_f32_e32 v24, v35, v33
	v_sub_f32_e32 v23, v23, v21
	v_add_f32_e32 v32, v20, v23
	v_add_f32_e32 v20, v22, v24
	v_sub_f32_e32 v23, v21, v20
	v_pk_add_f32 v[26:27], v[20:21], v[22:23] neg_lo:[0,1] neg_hi:[0,1]
	v_mov_b32_e32 v25, v20
	v_pk_add_f32 v[20:21], v[26:27], v[24:25] neg_lo:[0,1] neg_hi:[0,1]
	v_add_f32_e32 v21, v32, v21
	v_add_f32_e32 v20, v20, v21
	;; [unrolled: 1-line block ×4, first 2 shown]
	v_sub_f32_e32 v21, v23, v36
	v_mul_f32_e32 v20, v34, v20
	v_sub_f32_e32 v21, v35, v21
	v_add_f32_e32 v20, v21, v20
	v_add_f32_e32 v24, v23, v20
	v_mul_f32_e32 v26, v24, v24
	v_mov_b32_e32 v22, 0x3ecc95a3
	v_fmac_f32_e32 v22, 0x3e9b6dac, v26
	v_mov_b32_e32 v21, 0x3f2aaada
	v_fmac_f32_e32 v21, v26, v22
	v_cvt_f32_i32_e32 v22, v31
	v_sub_f32_e32 v23, v24, v23
	v_sub_f32_e32 v20, v20, v23
	v_ldexp_f32 v27, v20, 1
	v_mul_f32_e32 v23, v24, v26
	v_mov_b32_e32 v20, 0x3f317218
	s_mov_b32 s2, 0x3f317218
	v_pk_mul_f32 v[20:21], v[22:23], v[20:21]
	v_ldexp_f32 v25, v24, 1
	v_fma_f32 v24, v22, s2, -v20
	v_fmac_f32_e32 v24, 0xb102e308, v22
	v_pk_add_f32 v[22:23], v[20:21], v[24:25]
	v_sub_f32_e32 v25, v23, v25
	v_sub_f32_e32 v25, v21, v25
	v_add_f32_e32 v27, v27, v25
	v_mov_b32_e32 v26, v20
	v_pk_add_f32 v[20:21], v[22:23], v[20:21] neg_lo:[0,1] neg_hi:[0,1]
	v_pk_add_f32 v[32:33], v[22:23], v[26:27]
	v_mov_b32_e32 v21, v33
	v_mov_b32_e32 v25, v22
	v_pk_add_f32 v[34:35], v[24:25], v[20:21] neg_lo:[0,1] neg_hi:[0,1]
	v_pk_add_f32 v[20:21], v[24:25], v[20:21]
	v_mov_b32_e32 v24, v21
	v_pk_add_f32 v[36:37], v[24:25], v[22:23] neg_lo:[0,1] neg_hi:[0,1]
	v_mov_b32_e32 v25, v36
	v_pk_add_f32 v[38:39], v[32:33], v[24:25] neg_lo:[0,1] neg_hi:[0,1]
	v_mov_b32_e32 v20, v33
	v_mov_b32_e32 v32, v23
	;; [unrolled: 1-line block ×4, first 2 shown]
	v_pk_add_f32 v[20:21], v[20:21], v[32:33] neg_lo:[0,1] neg_hi:[0,1]
	v_mov_b32_e32 v26, v27
	v_mov_b32_e32 v27, v22
	v_pk_add_f32 v[20:21], v[26:27], v[20:21] neg_lo:[0,1] neg_hi:[0,1]
	v_mov_b32_e32 v38, v34
	v_pk_add_f32 v[22:23], v[38:39], v[20:21]
	v_mov_b32_e32 v26, v23
	v_pk_add_f32 v[26:27], v[22:23], v[26:27]
	v_pk_add_f32 v[24:25], v[24:25], v[26:27]
	v_mov_b32_e32 v23, v24
	v_pk_add_f32 v[32:33], v[22:23], v[34:35] neg_lo:[0,1] neg_hi:[0,1]
	v_mov_b32_e32 v21, v26
	v_sub_f32_e32 v22, v22, v32
	v_pk_add_f32 v[20:21], v[20:21], v[32:33] neg_lo:[0,1] neg_hi:[0,1]
	v_sub_f32_e32 v22, v34, v22
	s_mov_b32 s3, 0x7f800000
	v_add_f32_e32 v20, v20, v22
	s_mov_b32 s2, 0x33800000
	v_add_f32_e32 v20, v20, v21
	v_cmp_eq_f32_e64 s[56:57], s3, v28
	v_cmp_lt_f32_e64 s[58:59], |v28|, s2
	v_add_f32_e32 v20, v24, v20
	s_or_b64 s[56:57], s[56:57], s[58:59]
	v_cndmask_b32_e64 v20, v20, v28, s[56:57]
	v_add_f32_e32 v19, v19, v20
	v_cvt_f16_f32_e32 v31, v19
	v_cvt_f32_f16_e32 v33, v31
	v_mov_b32_e32 v32, v31
.LBB431_58:
	s_or_b64 exec, exec, s[0:1]
	v_cvt_f32_f16_sdwa v19, v4 dst_sel:DWORD dst_unused:UNUSED_PAD src0_sel:WORD_1
	v_max_f32_e32 v21, v33, v33
	v_cmp_u_f16_e64 s[58:59], v31, v31
	v_cmp_u_f16_sdwa s[56:57], v4, v4 src0_sel:WORD_1 src1_sel:WORD_1
	v_min_f32_e32 v20, v21, v19
	v_max_f32_e32 v4, v21, v19
	v_cndmask_b32_e64 v20, v20, v33, s[58:59]
	v_cndmask_b32_e64 v4, v4, v33, s[58:59]
	v_cndmask_b32_e64 v20, v20, v19, s[56:57]
	v_cndmask_b32_e64 v4, v4, v19, s[56:57]
	v_cmp_neq_f32_e64 s[58:59], v20, v4
	v_cmp_class_f32_e64 s[0:1], v20, s33
	s_or_b64 s[58:59], s[58:59], s[0:1]
	s_and_saveexec_b64 s[0:1], s[58:59]
	s_cbranch_execz .LBB431_60
; %bb.59:
	v_sub_f32_e32 v20, v20, v4
	s_mov_b32 s2, 0x3fb8aa3b
	v_mul_f32_e32 v21, 0x3fb8aa3b, v20
	v_fma_f32 v22, v20, s2, -v21
	v_rndne_f32_e32 v23, v21
	v_fmac_f32_e32 v22, 0x32a5705f, v20
	v_sub_f32_e32 v21, v21, v23
	v_add_f32_e32 v21, v21, v22
	v_exp_f32_e32 v21, v21
	v_cvt_i32_f32_e32 v22, v23
	s_mov_b32 s2, 0xc2ce8ed0
	v_cmp_ngt_f32_e64 s[58:59], s2, v20
	s_mov_b32 s2, 0x42b17218
	v_ldexp_f32 v21, v21, v22
	v_cndmask_b32_e64 v21, 0, v21, s[58:59]
	v_mov_b32_e32 v22, 0x7f800000
	v_cmp_nlt_f32_e64 s[58:59], s2, v20
	v_cndmask_b32_e64 v28, v22, v21, s[58:59]
	v_add_f32_e32 v22, 1.0, v28
	v_add_f32_e32 v20, -1.0, v22
	v_sub_f32_e32 v21, v20, v22
	v_add_f32_e32 v21, 1.0, v21
	v_sub_f32_e32 v20, v28, v20
	v_add_f32_e32 v23, v20, v21
	v_frexp_mant_f32_e32 v24, v22
	s_mov_b32 s2, 0x3f2aaaab
	v_cvt_f64_f32_e32 v[20:21], v22
	v_frexp_exp_i32_f64_e32 v20, v[20:21]
	v_cmp_gt_f32_e64 s[58:59], s2, v24
	v_subbrev_co_u32_e64 v31, s[58:59], 0, v20, s[58:59]
	v_sub_u32_e32 v20, 0, v31
	v_ldexp_f32 v21, v22, v20
	v_add_f32_e32 v22, -1.0, v21
	v_add_f32_e32 v24, 1.0, v21
	v_ldexp_f32 v20, v23, v20
	v_add_f32_e32 v23, 1.0, v22
	v_add_f32_e32 v25, -1.0, v24
	v_sub_f32_e32 v23, v21, v23
	v_sub_f32_e32 v21, v21, v25
	v_add_f32_e32 v23, v20, v23
	v_add_f32_e32 v20, v20, v21
	;; [unrolled: 1-line block ×3, first 2 shown]
	v_rcp_f32_e32 v34, v32
	v_sub_f32_e32 v21, v24, v32
	v_add_f32_e32 v33, v20, v21
	v_add_f32_e32 v21, v22, v23
	v_mul_f32_e32 v36, v21, v34
	v_sub_f32_e32 v20, v22, v21
	v_mul_f32_e32 v22, v32, v36
	v_fma_f32 v24, v36, v32, -v22
	v_fmac_f32_e32 v24, v36, v33
	v_add_f32_e32 v35, v23, v20
	v_add_f32_e32 v20, v22, v24
	v_sub_f32_e32 v23, v21, v20
	v_pk_add_f32 v[26:27], v[20:21], v[22:23] neg_lo:[0,1] neg_hi:[0,1]
	v_mov_b32_e32 v25, v20
	v_pk_add_f32 v[20:21], v[26:27], v[24:25] neg_lo:[0,1] neg_hi:[0,1]
	v_add_f32_e32 v21, v35, v21
	v_add_f32_e32 v20, v20, v21
	;; [unrolled: 1-line block ×3, first 2 shown]
	v_mul_f32_e32 v35, v34, v21
	v_mul_f32_e32 v22, v32, v35
	v_fma_f32 v24, v35, v32, -v22
	v_fmac_f32_e32 v24, v35, v33
	v_sub_f32_e32 v23, v23, v21
	v_add_f32_e32 v32, v20, v23
	v_add_f32_e32 v20, v22, v24
	v_sub_f32_e32 v23, v21, v20
	v_pk_add_f32 v[26:27], v[20:21], v[22:23] neg_lo:[0,1] neg_hi:[0,1]
	v_mov_b32_e32 v25, v20
	v_pk_add_f32 v[20:21], v[26:27], v[24:25] neg_lo:[0,1] neg_hi:[0,1]
	v_add_f32_e32 v21, v32, v21
	v_add_f32_e32 v20, v20, v21
	;; [unrolled: 1-line block ×4, first 2 shown]
	v_sub_f32_e32 v21, v23, v36
	v_mul_f32_e32 v20, v34, v20
	v_sub_f32_e32 v21, v35, v21
	v_add_f32_e32 v20, v21, v20
	v_add_f32_e32 v24, v23, v20
	v_mul_f32_e32 v26, v24, v24
	v_mov_b32_e32 v22, 0x3ecc95a3
	v_fmac_f32_e32 v22, 0x3e9b6dac, v26
	v_mov_b32_e32 v21, 0x3f2aaada
	v_fmac_f32_e32 v21, v26, v22
	v_cvt_f32_i32_e32 v22, v31
	v_sub_f32_e32 v23, v24, v23
	v_sub_f32_e32 v20, v20, v23
	v_ldexp_f32 v27, v20, 1
	v_mul_f32_e32 v23, v24, v26
	v_mov_b32_e32 v20, 0x3f317218
	s_mov_b32 s2, 0x3f317218
	v_pk_mul_f32 v[20:21], v[22:23], v[20:21]
	v_ldexp_f32 v25, v24, 1
	v_fma_f32 v24, v22, s2, -v20
	v_fmac_f32_e32 v24, 0xb102e308, v22
	v_pk_add_f32 v[22:23], v[20:21], v[24:25]
	v_sub_f32_e32 v25, v23, v25
	v_sub_f32_e32 v25, v21, v25
	v_add_f32_e32 v27, v27, v25
	v_mov_b32_e32 v26, v20
	v_pk_add_f32 v[20:21], v[22:23], v[20:21] neg_lo:[0,1] neg_hi:[0,1]
	v_pk_add_f32 v[32:33], v[22:23], v[26:27]
	v_mov_b32_e32 v21, v33
	v_mov_b32_e32 v25, v22
	v_pk_add_f32 v[34:35], v[24:25], v[20:21] neg_lo:[0,1] neg_hi:[0,1]
	v_pk_add_f32 v[20:21], v[24:25], v[20:21]
	v_mov_b32_e32 v24, v21
	v_pk_add_f32 v[36:37], v[24:25], v[22:23] neg_lo:[0,1] neg_hi:[0,1]
	v_mov_b32_e32 v25, v36
	v_pk_add_f32 v[38:39], v[32:33], v[24:25] neg_lo:[0,1] neg_hi:[0,1]
	v_mov_b32_e32 v20, v33
	v_mov_b32_e32 v32, v23
	;; [unrolled: 1-line block ×4, first 2 shown]
	v_pk_add_f32 v[20:21], v[20:21], v[32:33] neg_lo:[0,1] neg_hi:[0,1]
	v_mov_b32_e32 v26, v27
	v_mov_b32_e32 v27, v22
	v_pk_add_f32 v[20:21], v[26:27], v[20:21] neg_lo:[0,1] neg_hi:[0,1]
	v_mov_b32_e32 v38, v34
	v_pk_add_f32 v[22:23], v[38:39], v[20:21]
	v_mov_b32_e32 v26, v23
	v_pk_add_f32 v[26:27], v[22:23], v[26:27]
	v_pk_add_f32 v[24:25], v[24:25], v[26:27]
	v_mov_b32_e32 v23, v24
	v_pk_add_f32 v[32:33], v[22:23], v[34:35] neg_lo:[0,1] neg_hi:[0,1]
	v_mov_b32_e32 v21, v26
	v_sub_f32_e32 v22, v22, v32
	v_pk_add_f32 v[20:21], v[20:21], v[32:33] neg_lo:[0,1] neg_hi:[0,1]
	v_sub_f32_e32 v22, v34, v22
	s_mov_b32 s3, 0x7f800000
	v_add_f32_e32 v20, v20, v22
	s_mov_b32 s2, 0x33800000
	v_add_f32_e32 v20, v20, v21
	v_cmp_eq_f32_e64 s[58:59], s3, v28
	v_cmp_lt_f32_e64 s[60:61], |v28|, s2
	v_add_f32_e32 v20, v24, v20
	s_or_b64 s[58:59], s[58:59], s[60:61]
	v_cndmask_b32_e64 v20, v20, v28, s[58:59]
	v_add_f32_e32 v4, v4, v20
	v_cvt_f16_f32_e32 v31, v4
	v_cvt_f32_f16_e32 v33, v31
	v_mov_b32_e32 v32, v31
.LBB431_60:
	s_or_b64 exec, exec, s[0:1]
	v_cvt_f32_f16_e32 v4, v5
	v_max_f32_e32 v20, v33, v33
	v_cmp_u_f16_e64 s[60:61], v31, v31
	v_cmp_u_f16_e64 s[58:59], v5, v5
	v_min_f32_e32 v21, v20, v4
	v_max_f32_e32 v20, v20, v4
	v_cndmask_b32_e64 v21, v21, v33, s[60:61]
	v_cndmask_b32_e64 v20, v20, v33, s[60:61]
	;; [unrolled: 1-line block ×4, first 2 shown]
	v_cmp_neq_f32_e64 s[60:61], v21, v20
	v_cmp_class_f32_e64 s[0:1], v21, s33
	s_or_b64 s[60:61], s[60:61], s[0:1]
	s_and_saveexec_b64 s[0:1], s[60:61]
	s_cbranch_execz .LBB431_62
; %bb.61:
	v_sub_f32_e32 v21, v21, v20
	s_mov_b32 s2, 0x3fb8aa3b
	v_mul_f32_e32 v22, 0x3fb8aa3b, v21
	v_fma_f32 v23, v21, s2, -v22
	v_rndne_f32_e32 v24, v22
	v_fmac_f32_e32 v23, 0x32a5705f, v21
	v_sub_f32_e32 v22, v22, v24
	v_add_f32_e32 v22, v22, v23
	v_exp_f32_e32 v22, v22
	v_cvt_i32_f32_e32 v23, v24
	s_mov_b32 s2, 0xc2ce8ed0
	v_cmp_ngt_f32_e64 s[60:61], s2, v21
	s_mov_b32 s2, 0x42b17218
	v_ldexp_f32 v22, v22, v23
	v_cndmask_b32_e64 v22, 0, v22, s[60:61]
	v_mov_b32_e32 v23, 0x7f800000
	v_cmp_nlt_f32_e64 s[60:61], s2, v21
	v_cndmask_b32_e64 v31, v23, v22, s[60:61]
	v_add_f32_e32 v21, 1.0, v31
	v_add_f32_e32 v22, -1.0, v21
	v_sub_f32_e32 v23, v22, v21
	v_add_f32_e32 v23, 1.0, v23
	v_sub_f32_e32 v22, v31, v22
	v_add_f32_e32 v24, v22, v23
	v_frexp_mant_f32_e32 v25, v21
	s_mov_b32 s2, 0x3f2aaaab
	v_cvt_f64_f32_e32 v[22:23], v21
	v_frexp_exp_i32_f64_e32 v22, v[22:23]
	v_cmp_gt_f32_e64 s[60:61], s2, v25
	v_subbrev_co_u32_e64 v28, s[60:61], 0, v22, s[60:61]
	v_sub_u32_e32 v22, 0, v28
	v_ldexp_f32 v21, v21, v22
	v_ldexp_f32 v22, v24, v22
	v_add_f32_e32 v24, -1.0, v21
	v_add_f32_e32 v23, 1.0, v24
	v_sub_f32_e32 v23, v21, v23
	v_add_f32_e32 v25, v22, v23
	v_add_f32_e32 v23, 1.0, v21
	v_add_f32_e32 v26, -1.0, v23
	v_sub_f32_e32 v21, v21, v26
	v_add_f32_e32 v21, v22, v21
	v_add_f32_e32 v34, v23, v21
	v_rcp_f32_e32 v35, v34
	v_sub_f32_e32 v22, v23, v34
	v_add_f32_e32 v23, v24, v25
	v_add_f32_e32 v21, v21, v22
	v_mul_f32_e32 v37, v23, v35
	v_sub_f32_e32 v22, v24, v23
	v_mul_f32_e32 v24, v34, v37
	v_fma_f32 v26, v37, v34, -v24
	v_fmac_f32_e32 v26, v37, v21
	v_add_f32_e32 v36, v25, v22
	v_add_f32_e32 v22, v24, v26
	v_sub_f32_e32 v25, v23, v22
	v_pk_add_f32 v[32:33], v[22:23], v[24:25] neg_lo:[0,1] neg_hi:[0,1]
	v_mov_b32_e32 v27, v22
	v_pk_add_f32 v[22:23], v[32:33], v[26:27] neg_lo:[0,1] neg_hi:[0,1]
	v_add_f32_e32 v23, v36, v23
	v_add_f32_e32 v22, v22, v23
	;; [unrolled: 1-line block ×3, first 2 shown]
	v_mul_f32_e32 v36, v35, v23
	v_mul_f32_e32 v24, v34, v36
	v_fma_f32 v26, v36, v34, -v24
	v_fmac_f32_e32 v26, v36, v21
	v_sub_f32_e32 v21, v25, v23
	v_add_f32_e32 v21, v22, v21
	v_add_f32_e32 v22, v24, v26
	v_sub_f32_e32 v25, v23, v22
	v_pk_add_f32 v[32:33], v[22:23], v[24:25] neg_lo:[0,1] neg_hi:[0,1]
	v_mov_b32_e32 v27, v22
	v_pk_add_f32 v[22:23], v[32:33], v[26:27] neg_lo:[0,1] neg_hi:[0,1]
	v_add_f32_e32 v21, v21, v23
	v_add_f32_e32 v21, v22, v21
	;; [unrolled: 1-line block ×4, first 2 shown]
	v_sub_f32_e32 v23, v22, v37
	v_mul_f32_e32 v21, v35, v21
	v_sub_f32_e32 v23, v36, v23
	v_add_f32_e32 v21, v23, v21
	v_add_f32_e32 v25, v22, v21
	v_mul_f32_e32 v26, v25, v25
	v_mov_b32_e32 v24, 0x3ecc95a3
	v_fmac_f32_e32 v24, 0x3e9b6dac, v26
	v_mov_b32_e32 v23, 0x3f2aaada
	v_fmac_f32_e32 v23, v26, v24
	v_cvt_f32_i32_e32 v24, v28
	v_sub_f32_e32 v22, v25, v22
	v_sub_f32_e32 v21, v21, v22
	v_ldexp_f32 v27, v25, 1
	v_mul_f32_e32 v25, v25, v26
	v_mov_b32_e32 v22, 0x3f317218
	s_mov_b32 s2, 0x3f317218
	v_pk_mul_f32 v[22:23], v[24:25], v[22:23]
	v_fma_f32 v26, v24, s2, -v22
	v_fmac_f32_e32 v26, 0xb102e308, v24
	v_pk_add_f32 v[24:25], v[22:23], v[26:27]
	v_sub_f32_e32 v27, v25, v27
	v_ldexp_f32 v21, v21, 1
	v_sub_f32_e32 v27, v23, v27
	v_add_f32_e32 v33, v21, v27
	v_mov_b32_e32 v32, v22
	v_pk_add_f32 v[22:23], v[24:25], v[22:23] neg_lo:[0,1] neg_hi:[0,1]
	v_pk_add_f32 v[34:35], v[24:25], v[32:33]
	v_mov_b32_e32 v23, v35
	v_mov_b32_e32 v27, v24
	v_pk_add_f32 v[36:37], v[26:27], v[22:23] neg_lo:[0,1] neg_hi:[0,1]
	v_pk_add_f32 v[22:23], v[26:27], v[22:23]
	v_mov_b32_e32 v26, v23
	v_pk_add_f32 v[38:39], v[26:27], v[24:25] neg_lo:[0,1] neg_hi:[0,1]
	v_mov_b32_e32 v21, v38
	v_pk_add_f32 v[40:41], v[34:35], v[20:21] neg_lo:[0,1] neg_hi:[0,1]
	v_mov_b32_e32 v22, v35
	v_mov_b32_e32 v34, v25
	;; [unrolled: 1-line block ×4, first 2 shown]
	v_pk_add_f32 v[22:23], v[22:23], v[34:35] neg_lo:[0,1] neg_hi:[0,1]
	v_mov_b32_e32 v32, v33
	v_mov_b32_e32 v33, v24
	v_pk_add_f32 v[22:23], v[32:33], v[22:23] neg_lo:[0,1] neg_hi:[0,1]
	v_mov_b32_e32 v40, v36
	v_pk_add_f32 v[24:25], v[40:41], v[22:23]
	v_mov_b32_e32 v28, v25
	v_pk_add_f32 v[32:33], v[24:25], v[28:29]
	v_pk_add_f32 v[26:27], v[26:27], v[32:33]
	v_mov_b32_e32 v25, v26
	v_pk_add_f32 v[34:35], v[24:25], v[36:37] neg_lo:[0,1] neg_hi:[0,1]
	v_mov_b32_e32 v23, v32
	v_sub_f32_e32 v21, v24, v34
	v_pk_add_f32 v[22:23], v[22:23], v[34:35] neg_lo:[0,1] neg_hi:[0,1]
	v_sub_f32_e32 v21, v36, v21
	s_mov_b32 s3, 0x7f800000
	v_add_f32_e32 v21, v22, v21
	s_mov_b32 s2, 0x33800000
	v_add_f32_e32 v21, v21, v23
	v_cmp_eq_f32_e64 s[60:61], s3, v31
	v_cmp_lt_f32_e64 s[62:63], |v31|, s2
	v_add_f32_e32 v21, v26, v21
	s_or_b64 s[60:61], s[60:61], s[62:63]
	v_cndmask_b32_e64 v21, v21, v31, s[60:61]
	v_add_f32_e32 v20, v20, v21
	v_cvt_f16_f32_e32 v31, v20
	v_cvt_f32_f16_e32 v33, v31
	v_mov_b32_e32 v32, v31
.LBB431_62:
	s_or_b64 exec, exec, s[0:1]
	v_cvt_f32_f16_sdwa v20, v5 dst_sel:DWORD dst_unused:UNUSED_PAD src0_sel:WORD_1
	v_max_f32_e32 v22, v33, v33
	v_cmp_u_f16_e64 s[62:63], v31, v31
	v_cmp_u_f16_sdwa s[60:61], v5, v5 src0_sel:WORD_1 src1_sel:WORD_1
	v_min_f32_e32 v21, v22, v20
	v_max_f32_e32 v5, v22, v20
	v_cndmask_b32_e64 v21, v21, v33, s[62:63]
	v_cndmask_b32_e64 v5, v5, v33, s[62:63]
	;; [unrolled: 1-line block ×4, first 2 shown]
	v_cmp_neq_f32_e64 s[62:63], v21, v5
	v_cmp_class_f32_e64 s[0:1], v21, s33
	s_or_b64 s[62:63], s[62:63], s[0:1]
	s_and_saveexec_b64 s[0:1], s[62:63]
	s_cbranch_execz .LBB431_64
; %bb.63:
	v_sub_f32_e32 v21, v21, v5
	s_mov_b32 s2, 0x3fb8aa3b
	v_mul_f32_e32 v22, 0x3fb8aa3b, v21
	v_fma_f32 v23, v21, s2, -v22
	v_rndne_f32_e32 v24, v22
	v_fmac_f32_e32 v23, 0x32a5705f, v21
	v_sub_f32_e32 v22, v22, v24
	v_add_f32_e32 v22, v22, v23
	v_exp_f32_e32 v22, v22
	v_cvt_i32_f32_e32 v23, v24
	s_mov_b32 s2, 0xc2ce8ed0
	v_cmp_ngt_f32_e64 s[62:63], s2, v21
	s_mov_b32 s2, 0x42b17218
	v_ldexp_f32 v22, v22, v23
	v_cndmask_b32_e64 v22, 0, v22, s[62:63]
	v_mov_b32_e32 v23, 0x7f800000
	v_cmp_nlt_f32_e64 s[62:63], s2, v21
	v_cndmask_b32_e64 v31, v23, v22, s[62:63]
	v_add_f32_e32 v21, 1.0, v31
	v_add_f32_e32 v22, -1.0, v21
	v_sub_f32_e32 v23, v22, v21
	v_add_f32_e32 v23, 1.0, v23
	v_sub_f32_e32 v22, v31, v22
	v_add_f32_e32 v24, v22, v23
	v_frexp_mant_f32_e32 v25, v21
	s_mov_b32 s2, 0x3f2aaaab
	v_cvt_f64_f32_e32 v[22:23], v21
	v_frexp_exp_i32_f64_e32 v22, v[22:23]
	v_cmp_gt_f32_e64 s[62:63], s2, v25
	v_subbrev_co_u32_e64 v28, s[62:63], 0, v22, s[62:63]
	v_sub_u32_e32 v22, 0, v28
	v_ldexp_f32 v21, v21, v22
	v_ldexp_f32 v22, v24, v22
	v_add_f32_e32 v24, -1.0, v21
	v_add_f32_e32 v23, 1.0, v24
	v_sub_f32_e32 v23, v21, v23
	v_add_f32_e32 v25, v22, v23
	v_add_f32_e32 v23, 1.0, v21
	v_add_f32_e32 v26, -1.0, v23
	v_sub_f32_e32 v21, v21, v26
	v_add_f32_e32 v21, v22, v21
	v_add_f32_e32 v34, v23, v21
	v_rcp_f32_e32 v35, v34
	v_sub_f32_e32 v22, v23, v34
	v_add_f32_e32 v23, v24, v25
	v_add_f32_e32 v21, v21, v22
	v_mul_f32_e32 v37, v23, v35
	v_sub_f32_e32 v22, v24, v23
	v_mul_f32_e32 v24, v34, v37
	v_fma_f32 v26, v37, v34, -v24
	v_fmac_f32_e32 v26, v37, v21
	v_add_f32_e32 v36, v25, v22
	v_add_f32_e32 v22, v24, v26
	v_sub_f32_e32 v25, v23, v22
	v_pk_add_f32 v[32:33], v[22:23], v[24:25] neg_lo:[0,1] neg_hi:[0,1]
	v_mov_b32_e32 v27, v22
	v_pk_add_f32 v[22:23], v[32:33], v[26:27] neg_lo:[0,1] neg_hi:[0,1]
	v_add_f32_e32 v23, v36, v23
	v_add_f32_e32 v22, v22, v23
	;; [unrolled: 1-line block ×3, first 2 shown]
	v_mul_f32_e32 v36, v35, v23
	v_mul_f32_e32 v24, v34, v36
	v_fma_f32 v26, v36, v34, -v24
	v_fmac_f32_e32 v26, v36, v21
	v_sub_f32_e32 v21, v25, v23
	v_add_f32_e32 v21, v22, v21
	v_add_f32_e32 v22, v24, v26
	v_sub_f32_e32 v25, v23, v22
	v_pk_add_f32 v[32:33], v[22:23], v[24:25] neg_lo:[0,1] neg_hi:[0,1]
	v_mov_b32_e32 v27, v22
	v_pk_add_f32 v[22:23], v[32:33], v[26:27] neg_lo:[0,1] neg_hi:[0,1]
	v_add_f32_e32 v21, v21, v23
	v_add_f32_e32 v21, v22, v21
	;; [unrolled: 1-line block ×4, first 2 shown]
	v_sub_f32_e32 v23, v22, v37
	v_mul_f32_e32 v21, v35, v21
	v_sub_f32_e32 v23, v36, v23
	v_add_f32_e32 v21, v23, v21
	v_add_f32_e32 v25, v22, v21
	v_mul_f32_e32 v26, v25, v25
	v_mov_b32_e32 v24, 0x3ecc95a3
	v_fmac_f32_e32 v24, 0x3e9b6dac, v26
	v_mov_b32_e32 v23, 0x3f2aaada
	v_fmac_f32_e32 v23, v26, v24
	v_cvt_f32_i32_e32 v24, v28
	v_sub_f32_e32 v22, v25, v22
	v_sub_f32_e32 v21, v21, v22
	v_ldexp_f32 v27, v25, 1
	v_mul_f32_e32 v25, v25, v26
	v_mov_b32_e32 v22, 0x3f317218
	s_mov_b32 s2, 0x3f317218
	v_pk_mul_f32 v[22:23], v[24:25], v[22:23]
	v_fma_f32 v26, v24, s2, -v22
	v_fmac_f32_e32 v26, 0xb102e308, v24
	v_pk_add_f32 v[24:25], v[22:23], v[26:27]
	v_sub_f32_e32 v27, v25, v27
	v_ldexp_f32 v21, v21, 1
	v_sub_f32_e32 v27, v23, v27
	v_add_f32_e32 v33, v21, v27
	v_mov_b32_e32 v32, v22
	v_pk_add_f32 v[22:23], v[24:25], v[22:23] neg_lo:[0,1] neg_hi:[0,1]
	v_pk_add_f32 v[34:35], v[24:25], v[32:33]
	v_mov_b32_e32 v23, v35
	v_mov_b32_e32 v27, v24
	v_pk_add_f32 v[36:37], v[26:27], v[22:23] neg_lo:[0,1] neg_hi:[0,1]
	v_pk_add_f32 v[22:23], v[26:27], v[22:23]
	v_mov_b32_e32 v26, v23
	v_pk_add_f32 v[38:39], v[26:27], v[24:25] neg_lo:[0,1] neg_hi:[0,1]
	v_mov_b32_e32 v21, v38
	v_pk_add_f32 v[40:41], v[34:35], v[20:21] neg_lo:[0,1] neg_hi:[0,1]
	v_mov_b32_e32 v22, v35
	v_mov_b32_e32 v34, v25
	;; [unrolled: 1-line block ×4, first 2 shown]
	v_pk_add_f32 v[22:23], v[22:23], v[34:35] neg_lo:[0,1] neg_hi:[0,1]
	v_mov_b32_e32 v32, v33
	v_mov_b32_e32 v33, v24
	v_pk_add_f32 v[22:23], v[32:33], v[22:23] neg_lo:[0,1] neg_hi:[0,1]
	v_mov_b32_e32 v40, v36
	v_pk_add_f32 v[24:25], v[40:41], v[22:23]
	v_mov_b32_e32 v28, v25
	v_pk_add_f32 v[32:33], v[24:25], v[28:29]
	v_pk_add_f32 v[26:27], v[26:27], v[32:33]
	v_mov_b32_e32 v25, v26
	v_pk_add_f32 v[34:35], v[24:25], v[36:37] neg_lo:[0,1] neg_hi:[0,1]
	v_mov_b32_e32 v23, v32
	v_sub_f32_e32 v21, v24, v34
	v_pk_add_f32 v[22:23], v[22:23], v[34:35] neg_lo:[0,1] neg_hi:[0,1]
	v_sub_f32_e32 v21, v36, v21
	s_mov_b32 s3, 0x7f800000
	v_add_f32_e32 v21, v22, v21
	s_mov_b32 s2, 0x33800000
	v_add_f32_e32 v21, v21, v23
	v_cmp_eq_f32_e64 s[62:63], s3, v31
	v_cmp_lt_f32_e64 s[64:65], |v31|, s2
	v_add_f32_e32 v21, v26, v21
	s_or_b64 s[62:63], s[62:63], s[64:65]
	v_cndmask_b32_e64 v21, v21, v31, s[62:63]
	v_add_f32_e32 v5, v5, v21
	v_cvt_f16_f32_e32 v31, v5
	v_cvt_f32_f16_e32 v33, v31
	v_mov_b32_e32 v32, v31
.LBB431_64:
	s_or_b64 exec, exec, s[0:1]
	v_cvt_f32_f16_e32 v5, v10
	v_max_f32_e32 v21, v33, v33
	v_cmp_u_f16_e64 s[64:65], v31, v31
	v_cmp_u_f16_e64 s[62:63], v10, v10
	v_min_f32_e32 v22, v21, v5
	v_max_f32_e32 v21, v21, v5
	v_cndmask_b32_e64 v22, v22, v33, s[64:65]
	v_cndmask_b32_e64 v21, v21, v33, s[64:65]
	;; [unrolled: 1-line block ×4, first 2 shown]
	v_cmp_neq_f32_e64 s[64:65], v22, v21
	v_cmp_class_f32_e64 s[0:1], v22, s33
	s_or_b64 s[64:65], s[64:65], s[0:1]
	s_and_saveexec_b64 s[0:1], s[64:65]
	s_cbranch_execz .LBB431_66
; %bb.65:
	v_sub_f32_e32 v22, v22, v21
	s_mov_b32 s2, 0x3fb8aa3b
	v_mul_f32_e32 v23, 0x3fb8aa3b, v22
	v_fma_f32 v24, v22, s2, -v23
	v_rndne_f32_e32 v25, v23
	v_fmac_f32_e32 v24, 0x32a5705f, v22
	v_sub_f32_e32 v23, v23, v25
	v_add_f32_e32 v23, v23, v24
	v_exp_f32_e32 v23, v23
	v_cvt_i32_f32_e32 v24, v25
	s_mov_b32 s2, 0xc2ce8ed0
	v_cmp_ngt_f32_e64 s[64:65], s2, v22
	s_mov_b32 s2, 0x42b17218
	v_ldexp_f32 v23, v23, v24
	v_cndmask_b32_e64 v23, 0, v23, s[64:65]
	v_mov_b32_e32 v24, 0x7f800000
	v_cmp_nlt_f32_e64 s[64:65], s2, v22
	v_cndmask_b32_e64 v31, v24, v23, s[64:65]
	v_add_f32_e32 v24, 1.0, v31
	v_add_f32_e32 v22, -1.0, v24
	v_sub_f32_e32 v23, v22, v24
	v_add_f32_e32 v23, 1.0, v23
	v_sub_f32_e32 v22, v31, v22
	v_add_f32_e32 v25, v22, v23
	v_frexp_mant_f32_e32 v26, v24
	s_mov_b32 s2, 0x3f2aaaab
	v_cvt_f64_f32_e32 v[22:23], v24
	v_frexp_exp_i32_f64_e32 v22, v[22:23]
	v_cmp_gt_f32_e64 s[64:65], s2, v26
	v_subbrev_co_u32_e64 v28, s[64:65], 0, v22, s[64:65]
	v_sub_u32_e32 v22, 0, v28
	v_ldexp_f32 v23, v24, v22
	v_add_f32_e32 v24, -1.0, v23
	v_add_f32_e32 v26, 1.0, v23
	v_ldexp_f32 v22, v25, v22
	v_add_f32_e32 v25, 1.0, v24
	v_add_f32_e32 v27, -1.0, v26
	v_sub_f32_e32 v25, v23, v25
	v_sub_f32_e32 v23, v23, v27
	v_add_f32_e32 v25, v22, v25
	v_add_f32_e32 v22, v22, v23
	;; [unrolled: 1-line block ×3, first 2 shown]
	v_rcp_f32_e32 v36, v34
	v_sub_f32_e32 v23, v26, v34
	v_add_f32_e32 v35, v22, v23
	v_add_f32_e32 v23, v24, v25
	v_mul_f32_e32 v38, v23, v36
	v_sub_f32_e32 v22, v24, v23
	v_mul_f32_e32 v24, v34, v38
	v_fma_f32 v26, v38, v34, -v24
	v_fmac_f32_e32 v26, v38, v35
	v_add_f32_e32 v37, v25, v22
	v_add_f32_e32 v22, v24, v26
	v_sub_f32_e32 v25, v23, v22
	v_pk_add_f32 v[32:33], v[22:23], v[24:25] neg_lo:[0,1] neg_hi:[0,1]
	v_mov_b32_e32 v27, v22
	v_pk_add_f32 v[22:23], v[32:33], v[26:27] neg_lo:[0,1] neg_hi:[0,1]
	v_add_f32_e32 v23, v37, v23
	v_add_f32_e32 v22, v22, v23
	;; [unrolled: 1-line block ×3, first 2 shown]
	v_mul_f32_e32 v37, v36, v23
	v_mul_f32_e32 v24, v34, v37
	v_fma_f32 v26, v37, v34, -v24
	v_fmac_f32_e32 v26, v37, v35
	v_sub_f32_e32 v25, v25, v23
	v_add_f32_e32 v34, v22, v25
	v_add_f32_e32 v22, v24, v26
	v_sub_f32_e32 v25, v23, v22
	v_pk_add_f32 v[32:33], v[22:23], v[24:25] neg_lo:[0,1] neg_hi:[0,1]
	v_mov_b32_e32 v27, v22
	v_pk_add_f32 v[22:23], v[32:33], v[26:27] neg_lo:[0,1] neg_hi:[0,1]
	v_add_f32_e32 v23, v34, v23
	v_add_f32_e32 v22, v22, v23
	;; [unrolled: 1-line block ×4, first 2 shown]
	v_sub_f32_e32 v23, v25, v38
	v_mul_f32_e32 v22, v36, v22
	v_sub_f32_e32 v23, v37, v23
	v_add_f32_e32 v22, v23, v22
	v_add_f32_e32 v26, v25, v22
	v_mul_f32_e32 v32, v26, v26
	v_mov_b32_e32 v24, 0x3ecc95a3
	v_fmac_f32_e32 v24, 0x3e9b6dac, v32
	v_mov_b32_e32 v23, 0x3f2aaada
	v_fmac_f32_e32 v23, v32, v24
	v_cvt_f32_i32_e32 v24, v28
	v_sub_f32_e32 v25, v26, v25
	v_sub_f32_e32 v22, v22, v25
	v_ldexp_f32 v28, v22, 1
	v_mul_f32_e32 v25, v26, v32
	v_mov_b32_e32 v22, 0x3f317218
	s_mov_b32 s2, 0x3f317218
	v_pk_mul_f32 v[22:23], v[24:25], v[22:23]
	v_ldexp_f32 v27, v26, 1
	v_fma_f32 v26, v24, s2, -v22
	v_fmac_f32_e32 v26, 0xb102e308, v24
	v_pk_add_f32 v[24:25], v[22:23], v[26:27]
	v_sub_f32_e32 v27, v25, v27
	v_sub_f32_e32 v27, v23, v27
	v_add_f32_e32 v33, v28, v27
	v_mov_b32_e32 v32, v22
	v_pk_add_f32 v[22:23], v[24:25], v[22:23] neg_lo:[0,1] neg_hi:[0,1]
	v_pk_add_f32 v[34:35], v[24:25], v[32:33]
	v_mov_b32_e32 v23, v35
	v_mov_b32_e32 v27, v24
	v_pk_add_f32 v[36:37], v[26:27], v[22:23] neg_lo:[0,1] neg_hi:[0,1]
	v_pk_add_f32 v[22:23], v[26:27], v[22:23]
	v_mov_b32_e32 v26, v23
	v_pk_add_f32 v[38:39], v[26:27], v[24:25] neg_lo:[0,1] neg_hi:[0,1]
	v_mov_b32_e32 v27, v38
	v_pk_add_f32 v[40:41], v[34:35], v[26:27] neg_lo:[0,1] neg_hi:[0,1]
	v_mov_b32_e32 v22, v35
	v_mov_b32_e32 v34, v25
	;; [unrolled: 1-line block ×4, first 2 shown]
	v_pk_add_f32 v[22:23], v[22:23], v[34:35] neg_lo:[0,1] neg_hi:[0,1]
	v_mov_b32_e32 v32, v33
	v_mov_b32_e32 v33, v24
	v_pk_add_f32 v[22:23], v[32:33], v[22:23] neg_lo:[0,1] neg_hi:[0,1]
	v_mov_b32_e32 v40, v36
	v_pk_add_f32 v[24:25], v[40:41], v[22:23]
	v_mov_b32_e32 v28, v25
	v_pk_add_f32 v[32:33], v[24:25], v[28:29]
	v_pk_add_f32 v[26:27], v[26:27], v[32:33]
	v_mov_b32_e32 v25, v26
	v_pk_add_f32 v[34:35], v[24:25], v[36:37] neg_lo:[0,1] neg_hi:[0,1]
	v_mov_b32_e32 v23, v32
	v_sub_f32_e32 v24, v24, v34
	v_pk_add_f32 v[22:23], v[22:23], v[34:35] neg_lo:[0,1] neg_hi:[0,1]
	v_sub_f32_e32 v24, v36, v24
	s_mov_b32 s3, 0x7f800000
	v_add_f32_e32 v22, v22, v24
	s_mov_b32 s2, 0x33800000
	v_add_f32_e32 v22, v22, v23
	v_cmp_eq_f32_e64 s[64:65], s3, v31
	v_cmp_lt_f32_e64 s[66:67], |v31|, s2
	v_add_f32_e32 v22, v26, v22
	s_or_b64 s[64:65], s[64:65], s[66:67]
	v_cndmask_b32_e64 v22, v22, v31, s[64:65]
	v_add_f32_e32 v21, v21, v22
	v_cvt_f16_f32_e32 v31, v21
	v_cvt_f32_f16_e32 v33, v31
	v_mov_b32_e32 v32, v31
.LBB431_66:
	s_or_b64 exec, exec, s[0:1]
	v_cvt_f32_f16_sdwa v21, v10 dst_sel:DWORD dst_unused:UNUSED_PAD src0_sel:WORD_1
	v_max_f32_e32 v23, v33, v33
	v_cmp_u_f16_e64 s[66:67], v31, v31
	v_cmp_u_f16_sdwa s[64:65], v10, v10 src0_sel:WORD_1 src1_sel:WORD_1
	v_min_f32_e32 v22, v23, v21
	v_max_f32_e32 v10, v23, v21
	v_cndmask_b32_e64 v22, v22, v33, s[66:67]
	v_cndmask_b32_e64 v10, v10, v33, s[66:67]
	;; [unrolled: 1-line block ×4, first 2 shown]
	v_cmp_neq_f32_e64 s[66:67], v22, v10
	v_cmp_class_f32_e64 s[0:1], v22, s33
	s_or_b64 s[66:67], s[66:67], s[0:1]
	s_and_saveexec_b64 s[0:1], s[66:67]
	s_cbranch_execz .LBB431_68
; %bb.67:
	v_sub_f32_e32 v22, v22, v10
	s_mov_b32 s2, 0x3fb8aa3b
	v_mul_f32_e32 v23, 0x3fb8aa3b, v22
	v_fma_f32 v24, v22, s2, -v23
	v_rndne_f32_e32 v25, v23
	v_fmac_f32_e32 v24, 0x32a5705f, v22
	v_sub_f32_e32 v23, v23, v25
	v_add_f32_e32 v23, v23, v24
	v_exp_f32_e32 v23, v23
	v_cvt_i32_f32_e32 v24, v25
	s_mov_b32 s2, 0xc2ce8ed0
	v_cmp_ngt_f32_e64 s[66:67], s2, v22
	s_mov_b32 s2, 0x42b17218
	v_ldexp_f32 v23, v23, v24
	v_cndmask_b32_e64 v23, 0, v23, s[66:67]
	v_mov_b32_e32 v24, 0x7f800000
	v_cmp_nlt_f32_e64 s[66:67], s2, v22
	v_cndmask_b32_e64 v31, v24, v23, s[66:67]
	v_add_f32_e32 v24, 1.0, v31
	v_add_f32_e32 v22, -1.0, v24
	v_sub_f32_e32 v23, v22, v24
	v_add_f32_e32 v23, 1.0, v23
	v_sub_f32_e32 v22, v31, v22
	v_add_f32_e32 v25, v22, v23
	v_frexp_mant_f32_e32 v26, v24
	s_mov_b32 s2, 0x3f2aaaab
	v_cvt_f64_f32_e32 v[22:23], v24
	v_frexp_exp_i32_f64_e32 v22, v[22:23]
	v_cmp_gt_f32_e64 s[66:67], s2, v26
	v_subbrev_co_u32_e64 v28, s[66:67], 0, v22, s[66:67]
	v_sub_u32_e32 v22, 0, v28
	v_ldexp_f32 v23, v24, v22
	v_add_f32_e32 v24, -1.0, v23
	v_add_f32_e32 v26, 1.0, v23
	v_ldexp_f32 v22, v25, v22
	v_add_f32_e32 v25, 1.0, v24
	v_add_f32_e32 v27, -1.0, v26
	v_sub_f32_e32 v25, v23, v25
	v_sub_f32_e32 v23, v23, v27
	v_add_f32_e32 v25, v22, v25
	v_add_f32_e32 v22, v22, v23
	v_add_f32_e32 v34, v26, v22
	v_rcp_f32_e32 v36, v34
	v_sub_f32_e32 v23, v26, v34
	v_add_f32_e32 v35, v22, v23
	v_add_f32_e32 v23, v24, v25
	v_mul_f32_e32 v38, v23, v36
	v_sub_f32_e32 v22, v24, v23
	v_mul_f32_e32 v24, v34, v38
	v_fma_f32 v26, v38, v34, -v24
	v_fmac_f32_e32 v26, v38, v35
	v_add_f32_e32 v37, v25, v22
	v_add_f32_e32 v22, v24, v26
	v_sub_f32_e32 v25, v23, v22
	v_pk_add_f32 v[32:33], v[22:23], v[24:25] neg_lo:[0,1] neg_hi:[0,1]
	v_mov_b32_e32 v27, v22
	v_pk_add_f32 v[22:23], v[32:33], v[26:27] neg_lo:[0,1] neg_hi:[0,1]
	v_add_f32_e32 v23, v37, v23
	v_add_f32_e32 v22, v22, v23
	;; [unrolled: 1-line block ×3, first 2 shown]
	v_mul_f32_e32 v37, v36, v23
	v_mul_f32_e32 v24, v34, v37
	v_fma_f32 v26, v37, v34, -v24
	v_fmac_f32_e32 v26, v37, v35
	v_sub_f32_e32 v25, v25, v23
	v_add_f32_e32 v34, v22, v25
	v_add_f32_e32 v22, v24, v26
	v_sub_f32_e32 v25, v23, v22
	v_pk_add_f32 v[32:33], v[22:23], v[24:25] neg_lo:[0,1] neg_hi:[0,1]
	v_mov_b32_e32 v27, v22
	v_pk_add_f32 v[22:23], v[32:33], v[26:27] neg_lo:[0,1] neg_hi:[0,1]
	v_add_f32_e32 v23, v34, v23
	v_add_f32_e32 v22, v22, v23
	;; [unrolled: 1-line block ×4, first 2 shown]
	v_sub_f32_e32 v23, v25, v38
	v_mul_f32_e32 v22, v36, v22
	v_sub_f32_e32 v23, v37, v23
	v_add_f32_e32 v22, v23, v22
	v_add_f32_e32 v26, v25, v22
	v_mul_f32_e32 v32, v26, v26
	v_mov_b32_e32 v24, 0x3ecc95a3
	v_fmac_f32_e32 v24, 0x3e9b6dac, v32
	v_mov_b32_e32 v23, 0x3f2aaada
	v_fmac_f32_e32 v23, v32, v24
	v_cvt_f32_i32_e32 v24, v28
	v_sub_f32_e32 v25, v26, v25
	v_sub_f32_e32 v22, v22, v25
	v_ldexp_f32 v28, v22, 1
	v_mul_f32_e32 v25, v26, v32
	v_mov_b32_e32 v22, 0x3f317218
	s_mov_b32 s2, 0x3f317218
	v_pk_mul_f32 v[22:23], v[24:25], v[22:23]
	v_ldexp_f32 v27, v26, 1
	v_fma_f32 v26, v24, s2, -v22
	v_fmac_f32_e32 v26, 0xb102e308, v24
	v_pk_add_f32 v[24:25], v[22:23], v[26:27]
	v_sub_f32_e32 v27, v25, v27
	v_sub_f32_e32 v27, v23, v27
	v_add_f32_e32 v33, v28, v27
	v_mov_b32_e32 v32, v22
	v_pk_add_f32 v[22:23], v[24:25], v[22:23] neg_lo:[0,1] neg_hi:[0,1]
	v_pk_add_f32 v[34:35], v[24:25], v[32:33]
	v_mov_b32_e32 v23, v35
	v_mov_b32_e32 v27, v24
	v_pk_add_f32 v[36:37], v[26:27], v[22:23] neg_lo:[0,1] neg_hi:[0,1]
	v_pk_add_f32 v[22:23], v[26:27], v[22:23]
	v_mov_b32_e32 v26, v23
	v_pk_add_f32 v[38:39], v[26:27], v[24:25] neg_lo:[0,1] neg_hi:[0,1]
	v_mov_b32_e32 v27, v38
	v_pk_add_f32 v[40:41], v[34:35], v[26:27] neg_lo:[0,1] neg_hi:[0,1]
	v_mov_b32_e32 v22, v35
	v_mov_b32_e32 v34, v25
	;; [unrolled: 1-line block ×4, first 2 shown]
	v_pk_add_f32 v[22:23], v[22:23], v[34:35] neg_lo:[0,1] neg_hi:[0,1]
	v_mov_b32_e32 v32, v33
	v_mov_b32_e32 v33, v24
	v_pk_add_f32 v[22:23], v[32:33], v[22:23] neg_lo:[0,1] neg_hi:[0,1]
	v_mov_b32_e32 v40, v36
	v_pk_add_f32 v[24:25], v[40:41], v[22:23]
	v_mov_b32_e32 v28, v25
	v_pk_add_f32 v[32:33], v[24:25], v[28:29]
	v_pk_add_f32 v[26:27], v[26:27], v[32:33]
	v_mov_b32_e32 v25, v26
	v_pk_add_f32 v[34:35], v[24:25], v[36:37] neg_lo:[0,1] neg_hi:[0,1]
	v_mov_b32_e32 v23, v32
	v_sub_f32_e32 v24, v24, v34
	v_pk_add_f32 v[22:23], v[22:23], v[34:35] neg_lo:[0,1] neg_hi:[0,1]
	v_sub_f32_e32 v24, v36, v24
	s_mov_b32 s3, 0x7f800000
	v_add_f32_e32 v22, v22, v24
	s_mov_b32 s2, 0x33800000
	v_add_f32_e32 v22, v22, v23
	v_cmp_eq_f32_e64 s[66:67], s3, v31
	v_cmp_lt_f32_e64 s[68:69], |v31|, s2
	v_add_f32_e32 v22, v26, v22
	s_or_b64 s[66:67], s[66:67], s[68:69]
	v_cndmask_b32_e64 v22, v22, v31, s[66:67]
	v_add_f32_e32 v10, v10, v22
	v_cvt_f16_f32_e32 v31, v10
	v_cvt_f32_f16_e32 v33, v31
	v_mov_b32_e32 v32, v31
.LBB431_68:
	s_or_b64 exec, exec, s[0:1]
	v_cvt_f32_f16_e32 v10, v11
	v_max_f32_e32 v22, v33, v33
	v_cmp_u_f16_e64 s[68:69], v31, v31
	v_cmp_u_f16_e64 s[66:67], v11, v11
	v_min_f32_e32 v23, v22, v10
	v_max_f32_e32 v22, v22, v10
	v_cndmask_b32_e64 v23, v23, v33, s[68:69]
	v_cndmask_b32_e64 v22, v22, v33, s[68:69]
	v_cndmask_b32_e64 v23, v23, v10, s[66:67]
	v_cndmask_b32_e64 v22, v22, v10, s[66:67]
	v_cmp_neq_f32_e64 s[68:69], v23, v22
	v_cmp_class_f32_e64 s[0:1], v23, s33
	s_or_b64 s[68:69], s[68:69], s[0:1]
	s_and_saveexec_b64 s[0:1], s[68:69]
	s_cbranch_execz .LBB431_70
; %bb.69:
	v_sub_f32_e32 v23, v23, v22
	s_mov_b32 s2, 0x3fb8aa3b
	v_mul_f32_e32 v24, 0x3fb8aa3b, v23
	v_fma_f32 v25, v23, s2, -v24
	v_rndne_f32_e32 v26, v24
	v_fmac_f32_e32 v25, 0x32a5705f, v23
	v_sub_f32_e32 v24, v24, v26
	v_add_f32_e32 v24, v24, v25
	v_exp_f32_e32 v24, v24
	v_cvt_i32_f32_e32 v25, v26
	s_mov_b32 s2, 0xc2ce8ed0
	v_cmp_ngt_f32_e64 s[68:69], s2, v23
	s_mov_b32 s2, 0x42b17218
	v_ldexp_f32 v24, v24, v25
	v_cndmask_b32_e64 v24, 0, v24, s[68:69]
	v_mov_b32_e32 v25, 0x7f800000
	v_cmp_nlt_f32_e64 s[68:69], s2, v23
	v_cndmask_b32_e64 v31, v25, v24, s[68:69]
	v_add_f32_e32 v23, 1.0, v31
	v_add_f32_e32 v24, -1.0, v23
	v_sub_f32_e32 v25, v24, v23
	v_add_f32_e32 v25, 1.0, v25
	v_sub_f32_e32 v24, v31, v24
	v_add_f32_e32 v26, v24, v25
	v_frexp_mant_f32_e32 v27, v23
	s_mov_b32 s2, 0x3f2aaaab
	v_cvt_f64_f32_e32 v[24:25], v23
	v_frexp_exp_i32_f64_e32 v24, v[24:25]
	v_cmp_gt_f32_e64 s[68:69], s2, v27
	v_subbrev_co_u32_e64 v28, s[68:69], 0, v24, s[68:69]
	v_sub_u32_e32 v24, 0, v28
	v_ldexp_f32 v23, v23, v24
	v_ldexp_f32 v24, v26, v24
	v_add_f32_e32 v26, -1.0, v23
	v_add_f32_e32 v25, 1.0, v26
	v_sub_f32_e32 v25, v23, v25
	v_add_f32_e32 v27, v24, v25
	v_add_f32_e32 v25, 1.0, v23
	v_add_f32_e32 v32, -1.0, v25
	v_sub_f32_e32 v23, v23, v32
	v_add_f32_e32 v23, v24, v23
	v_add_f32_e32 v36, v25, v23
	v_rcp_f32_e32 v37, v36
	v_sub_f32_e32 v24, v25, v36
	v_add_f32_e32 v25, v26, v27
	v_add_f32_e32 v23, v23, v24
	v_mul_f32_e32 v39, v25, v37
	v_sub_f32_e32 v24, v26, v25
	v_mul_f32_e32 v26, v36, v39
	v_fma_f32 v32, v39, v36, -v26
	v_fmac_f32_e32 v32, v39, v23
	v_add_f32_e32 v38, v27, v24
	v_add_f32_e32 v24, v26, v32
	v_sub_f32_e32 v27, v25, v24
	v_pk_add_f32 v[34:35], v[24:25], v[26:27] neg_lo:[0,1] neg_hi:[0,1]
	v_mov_b32_e32 v33, v24
	v_pk_add_f32 v[24:25], v[34:35], v[32:33] neg_lo:[0,1] neg_hi:[0,1]
	v_add_f32_e32 v25, v38, v25
	v_add_f32_e32 v24, v24, v25
	;; [unrolled: 1-line block ×3, first 2 shown]
	v_mul_f32_e32 v38, v37, v25
	v_mul_f32_e32 v26, v36, v38
	v_fma_f32 v32, v38, v36, -v26
	v_fmac_f32_e32 v32, v38, v23
	v_sub_f32_e32 v23, v27, v25
	v_add_f32_e32 v23, v24, v23
	v_add_f32_e32 v24, v26, v32
	v_sub_f32_e32 v27, v25, v24
	v_pk_add_f32 v[34:35], v[24:25], v[26:27] neg_lo:[0,1] neg_hi:[0,1]
	v_mov_b32_e32 v33, v24
	v_pk_add_f32 v[24:25], v[34:35], v[32:33] neg_lo:[0,1] neg_hi:[0,1]
	v_add_f32_e32 v23, v23, v25
	v_add_f32_e32 v23, v24, v23
	;; [unrolled: 1-line block ×4, first 2 shown]
	v_sub_f32_e32 v25, v24, v39
	v_mul_f32_e32 v23, v37, v23
	v_sub_f32_e32 v25, v38, v25
	v_add_f32_e32 v23, v25, v23
	v_add_f32_e32 v27, v24, v23
	v_mul_f32_e32 v32, v27, v27
	v_mov_b32_e32 v26, 0x3ecc95a3
	v_fmac_f32_e32 v26, 0x3e9b6dac, v32
	v_mov_b32_e32 v25, 0x3f2aaada
	v_fmac_f32_e32 v25, v32, v26
	v_cvt_f32_i32_e32 v26, v28
	v_sub_f32_e32 v24, v27, v24
	v_sub_f32_e32 v23, v23, v24
	v_ldexp_f32 v33, v27, 1
	v_mul_f32_e32 v27, v27, v32
	v_mov_b32_e32 v24, 0x3f317218
	s_mov_b32 s2, 0x3f317218
	v_pk_mul_f32 v[24:25], v[26:27], v[24:25]
	v_fma_f32 v32, v26, s2, -v24
	v_fmac_f32_e32 v32, 0xb102e308, v26
	v_pk_add_f32 v[26:27], v[24:25], v[32:33]
	v_sub_f32_e32 v28, v27, v33
	v_ldexp_f32 v23, v23, 1
	v_sub_f32_e32 v28, v25, v28
	v_add_f32_e32 v35, v23, v28
	v_mov_b32_e32 v34, v24
	v_pk_add_f32 v[24:25], v[26:27], v[24:25] neg_lo:[0,1] neg_hi:[0,1]
	v_pk_add_f32 v[36:37], v[26:27], v[34:35]
	v_mov_b32_e32 v25, v37
	v_mov_b32_e32 v33, v26
	v_pk_add_f32 v[38:39], v[32:33], v[24:25] neg_lo:[0,1] neg_hi:[0,1]
	v_pk_add_f32 v[24:25], v[32:33], v[24:25]
	v_mov_b32_e32 v28, v25
	v_pk_add_f32 v[32:33], v[28:29], v[26:27] neg_lo:[0,1] neg_hi:[0,1]
	v_mov_b32_e32 v23, v32
	v_pk_add_f32 v[40:41], v[36:37], v[22:23] neg_lo:[0,1] neg_hi:[0,1]
	v_mov_b32_e32 v24, v37
	v_mov_b32_e32 v36, v27
	;; [unrolled: 1-line block ×4, first 2 shown]
	v_pk_add_f32 v[24:25], v[24:25], v[36:37] neg_lo:[0,1] neg_hi:[0,1]
	v_mov_b32_e32 v32, v35
	v_mov_b32_e32 v33, v26
	v_pk_add_f32 v[24:25], v[32:33], v[24:25] neg_lo:[0,1] neg_hi:[0,1]
	v_mov_b32_e32 v40, v38
	v_pk_add_f32 v[26:27], v[40:41], v[24:25]
	v_mov_b32_e32 v32, v27
	v_pk_add_f32 v[32:33], v[26:27], v[32:33]
	v_pk_add_f32 v[34:35], v[28:29], v[32:33]
	v_mov_b32_e32 v27, v34
	v_pk_add_f32 v[36:37], v[26:27], v[38:39] neg_lo:[0,1] neg_hi:[0,1]
	v_mov_b32_e32 v25, v32
	v_sub_f32_e32 v23, v26, v36
	v_pk_add_f32 v[24:25], v[24:25], v[36:37] neg_lo:[0,1] neg_hi:[0,1]
	v_sub_f32_e32 v23, v38, v23
	s_mov_b32 s3, 0x7f800000
	v_add_f32_e32 v23, v24, v23
	s_mov_b32 s2, 0x33800000
	v_add_f32_e32 v23, v23, v25
	v_cmp_eq_f32_e64 s[68:69], s3, v31
	v_cmp_lt_f32_e64 s[70:71], |v31|, s2
	v_add_f32_e32 v23, v34, v23
	s_or_b64 s[68:69], s[68:69], s[70:71]
	v_cndmask_b32_e64 v23, v23, v31, s[68:69]
	v_add_f32_e32 v22, v22, v23
	v_cvt_f16_f32_e32 v31, v22
	v_cvt_f32_f16_e32 v33, v31
	v_mov_b32_e32 v32, v31
.LBB431_70:
	s_or_b64 exec, exec, s[0:1]
	v_cvt_f32_f16_sdwa v22, v11 dst_sel:DWORD dst_unused:UNUSED_PAD src0_sel:WORD_1
	v_max_f32_e32 v24, v33, v33
	v_cmp_u_f16_e64 s[70:71], v31, v31
	v_cmp_u_f16_sdwa s[68:69], v11, v11 src0_sel:WORD_1 src1_sel:WORD_1
	v_min_f32_e32 v23, v24, v22
	v_max_f32_e32 v11, v24, v22
	v_cndmask_b32_e64 v23, v23, v33, s[70:71]
	v_cndmask_b32_e64 v11, v11, v33, s[70:71]
	;; [unrolled: 1-line block ×4, first 2 shown]
	v_cmp_neq_f32_e64 s[70:71], v23, v11
	v_cmp_class_f32_e64 s[0:1], v23, s33
	s_or_b64 s[70:71], s[70:71], s[0:1]
	s_and_saveexec_b64 s[0:1], s[70:71]
	s_cbranch_execz .LBB431_72
; %bb.71:
	v_sub_f32_e32 v23, v23, v11
	s_mov_b32 s2, 0x3fb8aa3b
	v_mul_f32_e32 v24, 0x3fb8aa3b, v23
	v_fma_f32 v25, v23, s2, -v24
	v_rndne_f32_e32 v26, v24
	v_fmac_f32_e32 v25, 0x32a5705f, v23
	v_sub_f32_e32 v24, v24, v26
	v_add_f32_e32 v24, v24, v25
	v_exp_f32_e32 v24, v24
	v_cvt_i32_f32_e32 v25, v26
	s_mov_b32 s2, 0xc2ce8ed0
	v_cmp_ngt_f32_e64 s[70:71], s2, v23
	s_mov_b32 s2, 0x42b17218
	v_ldexp_f32 v24, v24, v25
	v_cndmask_b32_e64 v24, 0, v24, s[70:71]
	v_mov_b32_e32 v25, 0x7f800000
	v_cmp_nlt_f32_e64 s[70:71], s2, v23
	v_cndmask_b32_e64 v31, v25, v24, s[70:71]
	v_add_f32_e32 v23, 1.0, v31
	v_add_f32_e32 v24, -1.0, v23
	v_sub_f32_e32 v25, v24, v23
	v_add_f32_e32 v25, 1.0, v25
	v_sub_f32_e32 v24, v31, v24
	v_add_f32_e32 v26, v24, v25
	v_frexp_mant_f32_e32 v27, v23
	s_mov_b32 s2, 0x3f2aaaab
	v_cvt_f64_f32_e32 v[24:25], v23
	v_frexp_exp_i32_f64_e32 v24, v[24:25]
	v_cmp_gt_f32_e64 s[70:71], s2, v27
	v_subbrev_co_u32_e64 v28, s[70:71], 0, v24, s[70:71]
	v_sub_u32_e32 v24, 0, v28
	v_ldexp_f32 v23, v23, v24
	v_ldexp_f32 v24, v26, v24
	v_add_f32_e32 v26, -1.0, v23
	v_add_f32_e32 v25, 1.0, v26
	v_sub_f32_e32 v25, v23, v25
	v_add_f32_e32 v27, v24, v25
	v_add_f32_e32 v25, 1.0, v23
	v_add_f32_e32 v32, -1.0, v25
	v_sub_f32_e32 v23, v23, v32
	v_add_f32_e32 v23, v24, v23
	v_add_f32_e32 v36, v25, v23
	v_rcp_f32_e32 v37, v36
	v_sub_f32_e32 v24, v25, v36
	v_add_f32_e32 v25, v26, v27
	v_add_f32_e32 v23, v23, v24
	v_mul_f32_e32 v39, v25, v37
	v_sub_f32_e32 v24, v26, v25
	v_mul_f32_e32 v26, v36, v39
	v_fma_f32 v32, v39, v36, -v26
	v_fmac_f32_e32 v32, v39, v23
	v_add_f32_e32 v38, v27, v24
	v_add_f32_e32 v24, v26, v32
	v_sub_f32_e32 v27, v25, v24
	v_pk_add_f32 v[34:35], v[24:25], v[26:27] neg_lo:[0,1] neg_hi:[0,1]
	v_mov_b32_e32 v33, v24
	v_pk_add_f32 v[24:25], v[34:35], v[32:33] neg_lo:[0,1] neg_hi:[0,1]
	v_add_f32_e32 v25, v38, v25
	v_add_f32_e32 v24, v24, v25
	;; [unrolled: 1-line block ×3, first 2 shown]
	v_mul_f32_e32 v38, v37, v25
	v_mul_f32_e32 v26, v36, v38
	v_fma_f32 v32, v38, v36, -v26
	v_fmac_f32_e32 v32, v38, v23
	v_sub_f32_e32 v23, v27, v25
	v_add_f32_e32 v23, v24, v23
	v_add_f32_e32 v24, v26, v32
	v_sub_f32_e32 v27, v25, v24
	v_pk_add_f32 v[34:35], v[24:25], v[26:27] neg_lo:[0,1] neg_hi:[0,1]
	v_mov_b32_e32 v33, v24
	v_pk_add_f32 v[24:25], v[34:35], v[32:33] neg_lo:[0,1] neg_hi:[0,1]
	v_add_f32_e32 v23, v23, v25
	v_add_f32_e32 v23, v24, v23
	;; [unrolled: 1-line block ×4, first 2 shown]
	v_sub_f32_e32 v25, v24, v39
	v_mul_f32_e32 v23, v37, v23
	v_sub_f32_e32 v25, v38, v25
	v_add_f32_e32 v23, v25, v23
	v_add_f32_e32 v27, v24, v23
	v_mul_f32_e32 v32, v27, v27
	v_mov_b32_e32 v26, 0x3ecc95a3
	v_fmac_f32_e32 v26, 0x3e9b6dac, v32
	v_mov_b32_e32 v25, 0x3f2aaada
	v_fmac_f32_e32 v25, v32, v26
	v_cvt_f32_i32_e32 v26, v28
	v_sub_f32_e32 v24, v27, v24
	v_sub_f32_e32 v23, v23, v24
	v_ldexp_f32 v33, v27, 1
	v_mul_f32_e32 v27, v27, v32
	v_mov_b32_e32 v24, 0x3f317218
	s_mov_b32 s2, 0x3f317218
	v_pk_mul_f32 v[24:25], v[26:27], v[24:25]
	v_fma_f32 v32, v26, s2, -v24
	v_fmac_f32_e32 v32, 0xb102e308, v26
	v_pk_add_f32 v[26:27], v[24:25], v[32:33]
	v_sub_f32_e32 v28, v27, v33
	v_ldexp_f32 v23, v23, 1
	v_sub_f32_e32 v28, v25, v28
	v_add_f32_e32 v35, v23, v28
	v_mov_b32_e32 v34, v24
	v_pk_add_f32 v[24:25], v[26:27], v[24:25] neg_lo:[0,1] neg_hi:[0,1]
	v_pk_add_f32 v[36:37], v[26:27], v[34:35]
	v_mov_b32_e32 v25, v37
	v_mov_b32_e32 v33, v26
	v_pk_add_f32 v[38:39], v[32:33], v[24:25] neg_lo:[0,1] neg_hi:[0,1]
	v_pk_add_f32 v[24:25], v[32:33], v[24:25]
	v_mov_b32_e32 v28, v25
	v_pk_add_f32 v[32:33], v[28:29], v[26:27] neg_lo:[0,1] neg_hi:[0,1]
	v_mov_b32_e32 v23, v32
	v_pk_add_f32 v[40:41], v[36:37], v[22:23] neg_lo:[0,1] neg_hi:[0,1]
	v_mov_b32_e32 v24, v37
	v_mov_b32_e32 v36, v27
	;; [unrolled: 1-line block ×4, first 2 shown]
	v_pk_add_f32 v[24:25], v[24:25], v[36:37] neg_lo:[0,1] neg_hi:[0,1]
	v_mov_b32_e32 v32, v35
	v_mov_b32_e32 v33, v26
	v_pk_add_f32 v[24:25], v[32:33], v[24:25] neg_lo:[0,1] neg_hi:[0,1]
	v_mov_b32_e32 v40, v38
	v_pk_add_f32 v[26:27], v[40:41], v[24:25]
	v_mov_b32_e32 v32, v27
	v_pk_add_f32 v[32:33], v[26:27], v[32:33]
	v_pk_add_f32 v[34:35], v[28:29], v[32:33]
	v_mov_b32_e32 v27, v34
	v_pk_add_f32 v[36:37], v[26:27], v[38:39] neg_lo:[0,1] neg_hi:[0,1]
	v_mov_b32_e32 v25, v32
	v_sub_f32_e32 v23, v26, v36
	v_pk_add_f32 v[24:25], v[24:25], v[36:37] neg_lo:[0,1] neg_hi:[0,1]
	v_sub_f32_e32 v23, v38, v23
	s_mov_b32 s3, 0x7f800000
	v_add_f32_e32 v23, v24, v23
	s_mov_b32 s2, 0x33800000
	v_add_f32_e32 v23, v23, v25
	v_cmp_eq_f32_e64 s[70:71], s3, v31
	v_cmp_lt_f32_e64 s[72:73], |v31|, s2
	v_add_f32_e32 v23, v34, v23
	s_or_b64 s[70:71], s[70:71], s[72:73]
	v_cndmask_b32_e64 v23, v23, v31, s[70:71]
	v_add_f32_e32 v11, v11, v23
	v_cvt_f16_f32_e32 v31, v11
	v_cvt_f32_f16_e32 v33, v31
	v_mov_b32_e32 v32, v31
.LBB431_72:
	s_or_b64 exec, exec, s[0:1]
	v_cvt_f32_f16_e32 v11, v12
	v_max_f32_e32 v23, v33, v33
	v_cmp_u_f16_e64 s[72:73], v31, v31
	v_cmp_u_f16_e64 s[70:71], v12, v12
	v_min_f32_e32 v24, v23, v11
	v_max_f32_e32 v23, v23, v11
	v_cndmask_b32_e64 v24, v24, v33, s[72:73]
	v_cndmask_b32_e64 v23, v23, v33, s[72:73]
	;; [unrolled: 1-line block ×4, first 2 shown]
	v_cmp_neq_f32_e64 s[72:73], v24, v23
	v_cmp_class_f32_e64 s[0:1], v24, s33
	s_or_b64 s[72:73], s[72:73], s[0:1]
	s_and_saveexec_b64 s[0:1], s[72:73]
	s_cbranch_execz .LBB431_74
; %bb.73:
	v_sub_f32_e32 v24, v24, v23
	s_mov_b32 s2, 0x3fb8aa3b
	v_mul_f32_e32 v25, 0x3fb8aa3b, v24
	v_fma_f32 v26, v24, s2, -v25
	v_rndne_f32_e32 v27, v25
	v_fmac_f32_e32 v26, 0x32a5705f, v24
	v_sub_f32_e32 v25, v25, v27
	v_add_f32_e32 v25, v25, v26
	v_exp_f32_e32 v25, v25
	v_cvt_i32_f32_e32 v26, v27
	s_mov_b32 s2, 0xc2ce8ed0
	v_cmp_ngt_f32_e64 s[72:73], s2, v24
	s_mov_b32 s2, 0x42b17218
	v_ldexp_f32 v25, v25, v26
	v_cndmask_b32_e64 v25, 0, v25, s[72:73]
	v_mov_b32_e32 v26, 0x7f800000
	v_cmp_nlt_f32_e64 s[72:73], s2, v24
	v_cndmask_b32_e64 v42, v26, v25, s[72:73]
	v_add_f32_e32 v26, 1.0, v42
	v_add_f32_e32 v24, -1.0, v26
	v_sub_f32_e32 v25, v24, v26
	v_add_f32_e32 v25, 1.0, v25
	v_sub_f32_e32 v24, v42, v24
	v_add_f32_e32 v27, v24, v25
	v_frexp_mant_f32_e32 v28, v26
	s_mov_b32 s2, 0x3f2aaaab
	v_cvt_f64_f32_e32 v[24:25], v26
	v_frexp_exp_i32_f64_e32 v24, v[24:25]
	v_cmp_gt_f32_e64 s[72:73], s2, v28
	v_subbrev_co_u32_e64 v28, s[72:73], 0, v24, s[72:73]
	v_sub_u32_e32 v24, 0, v28
	v_ldexp_f32 v25, v26, v24
	v_add_f32_e32 v26, -1.0, v25
	v_add_f32_e32 v31, 1.0, v25
	v_ldexp_f32 v24, v27, v24
	v_add_f32_e32 v27, 1.0, v26
	v_add_f32_e32 v32, -1.0, v31
	v_sub_f32_e32 v27, v25, v27
	v_sub_f32_e32 v25, v25, v32
	v_add_f32_e32 v27, v24, v27
	v_add_f32_e32 v24, v24, v25
	;; [unrolled: 1-line block ×3, first 2 shown]
	v_rcp_f32_e32 v37, v36
	v_sub_f32_e32 v25, v31, v36
	v_add_f32_e32 v31, v24, v25
	v_add_f32_e32 v25, v26, v27
	v_mul_f32_e32 v39, v25, v37
	v_sub_f32_e32 v24, v26, v25
	v_mul_f32_e32 v26, v36, v39
	v_fma_f32 v32, v39, v36, -v26
	v_fmac_f32_e32 v32, v39, v31
	v_add_f32_e32 v38, v27, v24
	v_add_f32_e32 v24, v26, v32
	v_sub_f32_e32 v27, v25, v24
	v_pk_add_f32 v[34:35], v[24:25], v[26:27] neg_lo:[0,1] neg_hi:[0,1]
	v_mov_b32_e32 v33, v24
	v_pk_add_f32 v[24:25], v[34:35], v[32:33] neg_lo:[0,1] neg_hi:[0,1]
	v_add_f32_e32 v25, v38, v25
	v_add_f32_e32 v24, v24, v25
	;; [unrolled: 1-line block ×3, first 2 shown]
	v_mul_f32_e32 v38, v37, v25
	v_mul_f32_e32 v26, v36, v38
	v_fma_f32 v32, v38, v36, -v26
	v_fmac_f32_e32 v32, v38, v31
	v_sub_f32_e32 v27, v27, v25
	v_add_f32_e32 v31, v24, v27
	v_add_f32_e32 v24, v26, v32
	v_sub_f32_e32 v27, v25, v24
	v_pk_add_f32 v[34:35], v[24:25], v[26:27] neg_lo:[0,1] neg_hi:[0,1]
	v_mov_b32_e32 v33, v24
	v_pk_add_f32 v[24:25], v[34:35], v[32:33] neg_lo:[0,1] neg_hi:[0,1]
	v_add_f32_e32 v25, v31, v25
	v_add_f32_e32 v24, v24, v25
	;; [unrolled: 1-line block ×4, first 2 shown]
	v_sub_f32_e32 v25, v27, v39
	v_mul_f32_e32 v24, v37, v24
	v_sub_f32_e32 v25, v38, v25
	v_add_f32_e32 v24, v25, v24
	v_add_f32_e32 v31, v27, v24
	v_mul_f32_e32 v32, v31, v31
	v_mov_b32_e32 v26, 0x3ecc95a3
	v_fmac_f32_e32 v26, 0x3e9b6dac, v32
	v_mov_b32_e32 v25, 0x3f2aaada
	v_fmac_f32_e32 v25, v32, v26
	v_cvt_f32_i32_e32 v26, v28
	v_sub_f32_e32 v27, v31, v27
	v_sub_f32_e32 v24, v24, v27
	v_ldexp_f32 v28, v24, 1
	v_mul_f32_e32 v27, v31, v32
	v_mov_b32_e32 v24, 0x3f317218
	s_mov_b32 s2, 0x3f317218
	v_pk_mul_f32 v[24:25], v[26:27], v[24:25]
	v_fma_f32 v32, v26, s2, -v24
	v_ldexp_f32 v33, v31, 1
	v_fmac_f32_e32 v32, 0xb102e308, v26
	v_pk_add_f32 v[26:27], v[24:25], v[32:33]
	v_sub_f32_e32 v31, v27, v33
	v_sub_f32_e32 v31, v25, v31
	v_add_f32_e32 v35, v28, v31
	v_mov_b32_e32 v34, v24
	v_pk_add_f32 v[24:25], v[26:27], v[24:25] neg_lo:[0,1] neg_hi:[0,1]
	v_pk_add_f32 v[36:37], v[26:27], v[34:35]
	v_mov_b32_e32 v25, v37
	v_mov_b32_e32 v33, v26
	v_pk_add_f32 v[38:39], v[32:33], v[24:25] neg_lo:[0,1] neg_hi:[0,1]
	v_pk_add_f32 v[24:25], v[32:33], v[24:25]
	v_mov_b32_e32 v28, v25
	v_pk_add_f32 v[32:33], v[28:29], v[26:27] neg_lo:[0,1] neg_hi:[0,1]
	v_mov_b32_e32 v31, v32
	v_pk_add_f32 v[40:41], v[36:37], v[30:31] neg_lo:[0,1] neg_hi:[0,1]
	v_mov_b32_e32 v24, v37
	v_mov_b32_e32 v36, v27
	;; [unrolled: 1-line block ×4, first 2 shown]
	v_pk_add_f32 v[24:25], v[24:25], v[36:37] neg_lo:[0,1] neg_hi:[0,1]
	v_mov_b32_e32 v32, v35
	v_mov_b32_e32 v33, v26
	v_pk_add_f32 v[24:25], v[32:33], v[24:25] neg_lo:[0,1] neg_hi:[0,1]
	v_mov_b32_e32 v40, v38
	v_pk_add_f32 v[26:27], v[40:41], v[24:25]
	v_mov_b32_e32 v32, v27
	v_pk_add_f32 v[32:33], v[26:27], v[32:33]
	v_pk_add_f32 v[34:35], v[28:29], v[32:33]
	v_mov_b32_e32 v27, v34
	v_pk_add_f32 v[36:37], v[26:27], v[38:39] neg_lo:[0,1] neg_hi:[0,1]
	v_mov_b32_e32 v25, v32
	v_sub_f32_e32 v26, v26, v36
	v_pk_add_f32 v[24:25], v[24:25], v[36:37] neg_lo:[0,1] neg_hi:[0,1]
	v_sub_f32_e32 v26, v38, v26
	s_mov_b32 s3, 0x7f800000
	v_add_f32_e32 v24, v24, v26
	s_mov_b32 s2, 0x33800000
	v_add_f32_e32 v24, v24, v25
	v_cmp_eq_f32_e64 s[72:73], s3, v42
	v_cmp_lt_f32_e64 s[74:75], |v42|, s2
	v_add_f32_e32 v24, v34, v24
	s_or_b64 s[72:73], s[72:73], s[74:75]
	v_cndmask_b32_e64 v24, v24, v42, s[72:73]
	v_add_f32_e32 v23, v23, v24
	v_cvt_f16_f32_e32 v31, v23
	v_cvt_f32_f16_e32 v33, v31
	v_mov_b32_e32 v32, v31
.LBB431_74:
	s_or_b64 exec, exec, s[0:1]
	v_cvt_f32_f16_sdwa v23, v12 dst_sel:DWORD dst_unused:UNUSED_PAD src0_sel:WORD_1
	v_max_f32_e32 v25, v33, v33
	v_cmp_u_f16_e64 s[74:75], v31, v31
	v_cmp_u_f16_sdwa s[72:73], v12, v12 src0_sel:WORD_1 src1_sel:WORD_1
	v_min_f32_e32 v24, v25, v23
	v_max_f32_e32 v12, v25, v23
	v_cndmask_b32_e64 v24, v24, v33, s[74:75]
	v_cndmask_b32_e64 v12, v12, v33, s[74:75]
	;; [unrolled: 1-line block ×4, first 2 shown]
	v_cmp_neq_f32_e64 s[74:75], v24, v12
	v_cmp_class_f32_e64 s[0:1], v24, s33
	s_or_b64 s[74:75], s[74:75], s[0:1]
	s_and_saveexec_b64 s[0:1], s[74:75]
	s_cbranch_execz .LBB431_76
; %bb.75:
	v_sub_f32_e32 v24, v24, v12
	s_mov_b32 s2, 0x3fb8aa3b
	v_mul_f32_e32 v25, 0x3fb8aa3b, v24
	v_fma_f32 v26, v24, s2, -v25
	v_rndne_f32_e32 v27, v25
	v_fmac_f32_e32 v26, 0x32a5705f, v24
	v_sub_f32_e32 v25, v25, v27
	v_add_f32_e32 v25, v25, v26
	v_exp_f32_e32 v25, v25
	v_cvt_i32_f32_e32 v26, v27
	s_mov_b32 s2, 0xc2ce8ed0
	v_cmp_ngt_f32_e64 s[74:75], s2, v24
	s_mov_b32 s2, 0x42b17218
	v_ldexp_f32 v25, v25, v26
	v_cndmask_b32_e64 v25, 0, v25, s[74:75]
	v_mov_b32_e32 v26, 0x7f800000
	v_cmp_nlt_f32_e64 s[74:75], s2, v24
	v_cndmask_b32_e64 v42, v26, v25, s[74:75]
	v_add_f32_e32 v26, 1.0, v42
	v_add_f32_e32 v24, -1.0, v26
	v_sub_f32_e32 v25, v24, v26
	v_add_f32_e32 v25, 1.0, v25
	v_sub_f32_e32 v24, v42, v24
	v_add_f32_e32 v27, v24, v25
	v_frexp_mant_f32_e32 v28, v26
	s_mov_b32 s2, 0x3f2aaaab
	v_cvt_f64_f32_e32 v[24:25], v26
	v_frexp_exp_i32_f64_e32 v24, v[24:25]
	v_cmp_gt_f32_e64 s[74:75], s2, v28
	v_subbrev_co_u32_e64 v28, s[74:75], 0, v24, s[74:75]
	v_sub_u32_e32 v24, 0, v28
	v_ldexp_f32 v25, v26, v24
	v_add_f32_e32 v26, -1.0, v25
	v_add_f32_e32 v31, 1.0, v25
	v_ldexp_f32 v24, v27, v24
	v_add_f32_e32 v27, 1.0, v26
	v_add_f32_e32 v32, -1.0, v31
	v_sub_f32_e32 v27, v25, v27
	v_sub_f32_e32 v25, v25, v32
	v_add_f32_e32 v27, v24, v27
	v_add_f32_e32 v24, v24, v25
	;; [unrolled: 1-line block ×3, first 2 shown]
	v_rcp_f32_e32 v37, v36
	v_sub_f32_e32 v25, v31, v36
	v_add_f32_e32 v31, v24, v25
	v_add_f32_e32 v25, v26, v27
	v_mul_f32_e32 v39, v25, v37
	v_sub_f32_e32 v24, v26, v25
	v_mul_f32_e32 v26, v36, v39
	v_fma_f32 v32, v39, v36, -v26
	v_fmac_f32_e32 v32, v39, v31
	v_add_f32_e32 v38, v27, v24
	v_add_f32_e32 v24, v26, v32
	v_sub_f32_e32 v27, v25, v24
	v_pk_add_f32 v[34:35], v[24:25], v[26:27] neg_lo:[0,1] neg_hi:[0,1]
	v_mov_b32_e32 v33, v24
	v_pk_add_f32 v[24:25], v[34:35], v[32:33] neg_lo:[0,1] neg_hi:[0,1]
	v_add_f32_e32 v25, v38, v25
	v_add_f32_e32 v24, v24, v25
	;; [unrolled: 1-line block ×3, first 2 shown]
	v_mul_f32_e32 v38, v37, v25
	v_mul_f32_e32 v26, v36, v38
	v_fma_f32 v32, v38, v36, -v26
	v_fmac_f32_e32 v32, v38, v31
	v_sub_f32_e32 v27, v27, v25
	v_add_f32_e32 v31, v24, v27
	v_add_f32_e32 v24, v26, v32
	v_sub_f32_e32 v27, v25, v24
	v_pk_add_f32 v[34:35], v[24:25], v[26:27] neg_lo:[0,1] neg_hi:[0,1]
	v_mov_b32_e32 v33, v24
	v_pk_add_f32 v[24:25], v[34:35], v[32:33] neg_lo:[0,1] neg_hi:[0,1]
	v_add_f32_e32 v25, v31, v25
	v_add_f32_e32 v24, v24, v25
	;; [unrolled: 1-line block ×4, first 2 shown]
	v_sub_f32_e32 v25, v27, v39
	v_mul_f32_e32 v24, v37, v24
	v_sub_f32_e32 v25, v38, v25
	v_add_f32_e32 v24, v25, v24
	v_add_f32_e32 v31, v27, v24
	v_mul_f32_e32 v32, v31, v31
	v_mov_b32_e32 v26, 0x3ecc95a3
	v_fmac_f32_e32 v26, 0x3e9b6dac, v32
	v_mov_b32_e32 v25, 0x3f2aaada
	v_fmac_f32_e32 v25, v32, v26
	v_cvt_f32_i32_e32 v26, v28
	v_sub_f32_e32 v27, v31, v27
	v_sub_f32_e32 v24, v24, v27
	v_ldexp_f32 v28, v24, 1
	v_mul_f32_e32 v27, v31, v32
	v_mov_b32_e32 v24, 0x3f317218
	s_mov_b32 s2, 0x3f317218
	v_pk_mul_f32 v[24:25], v[26:27], v[24:25]
	v_fma_f32 v32, v26, s2, -v24
	v_ldexp_f32 v33, v31, 1
	v_fmac_f32_e32 v32, 0xb102e308, v26
	v_pk_add_f32 v[26:27], v[24:25], v[32:33]
	v_sub_f32_e32 v31, v27, v33
	v_sub_f32_e32 v31, v25, v31
	v_add_f32_e32 v35, v28, v31
	v_mov_b32_e32 v34, v24
	v_pk_add_f32 v[24:25], v[26:27], v[24:25] neg_lo:[0,1] neg_hi:[0,1]
	v_pk_add_f32 v[36:37], v[26:27], v[34:35]
	v_mov_b32_e32 v25, v37
	v_mov_b32_e32 v33, v26
	v_pk_add_f32 v[38:39], v[32:33], v[24:25] neg_lo:[0,1] neg_hi:[0,1]
	v_pk_add_f32 v[24:25], v[32:33], v[24:25]
	v_mov_b32_e32 v28, v25
	v_pk_add_f32 v[32:33], v[28:29], v[26:27] neg_lo:[0,1] neg_hi:[0,1]
	v_mov_b32_e32 v31, v32
	v_pk_add_f32 v[40:41], v[36:37], v[30:31] neg_lo:[0,1] neg_hi:[0,1]
	v_mov_b32_e32 v24, v37
	v_mov_b32_e32 v36, v27
	;; [unrolled: 1-line block ×4, first 2 shown]
	v_pk_add_f32 v[24:25], v[24:25], v[36:37] neg_lo:[0,1] neg_hi:[0,1]
	v_mov_b32_e32 v32, v35
	v_mov_b32_e32 v33, v26
	v_pk_add_f32 v[24:25], v[32:33], v[24:25] neg_lo:[0,1] neg_hi:[0,1]
	v_mov_b32_e32 v40, v38
	v_pk_add_f32 v[26:27], v[40:41], v[24:25]
	v_mov_b32_e32 v32, v27
	v_pk_add_f32 v[32:33], v[26:27], v[32:33]
	v_pk_add_f32 v[34:35], v[28:29], v[32:33]
	v_mov_b32_e32 v27, v34
	v_pk_add_f32 v[36:37], v[26:27], v[38:39] neg_lo:[0,1] neg_hi:[0,1]
	v_mov_b32_e32 v25, v32
	v_sub_f32_e32 v26, v26, v36
	v_pk_add_f32 v[24:25], v[24:25], v[36:37] neg_lo:[0,1] neg_hi:[0,1]
	v_sub_f32_e32 v26, v38, v26
	s_mov_b32 s3, 0x7f800000
	v_add_f32_e32 v24, v24, v26
	s_mov_b32 s2, 0x33800000
	v_add_f32_e32 v24, v24, v25
	v_cmp_eq_f32_e64 s[74:75], s3, v42
	v_cmp_lt_f32_e64 s[76:77], |v42|, s2
	v_add_f32_e32 v24, v34, v24
	s_or_b64 s[74:75], s[74:75], s[76:77]
	v_cndmask_b32_e64 v24, v24, v42, s[74:75]
	v_add_f32_e32 v12, v12, v24
	v_cvt_f16_f32_e32 v31, v12
	v_cvt_f32_f16_e32 v33, v31
	v_mov_b32_e32 v32, v31
.LBB431_76:
	s_or_b64 exec, exec, s[0:1]
	v_cvt_f32_f16_e32 v12, v13
	v_max_f32_e32 v24, v33, v33
	v_cmp_u_f16_e64 s[76:77], v31, v31
	v_cmp_u_f16_e64 s[74:75], v13, v13
	v_min_f32_e32 v25, v24, v12
	v_max_f32_e32 v24, v24, v12
	v_cndmask_b32_e64 v25, v25, v33, s[76:77]
	v_cndmask_b32_e64 v24, v24, v33, s[76:77]
	;; [unrolled: 1-line block ×4, first 2 shown]
	v_cmp_neq_f32_e64 s[76:77], v25, v24
	v_cmp_class_f32_e64 s[0:1], v25, s33
	s_or_b64 s[76:77], s[76:77], s[0:1]
	s_and_saveexec_b64 s[0:1], s[76:77]
	s_cbranch_execz .LBB431_78
; %bb.77:
	v_sub_f32_e32 v25, v25, v24
	s_mov_b32 s2, 0x3fb8aa3b
	v_mul_f32_e32 v26, 0x3fb8aa3b, v25
	v_fma_f32 v27, v25, s2, -v26
	v_rndne_f32_e32 v28, v26
	v_fmac_f32_e32 v27, 0x32a5705f, v25
	v_sub_f32_e32 v26, v26, v28
	v_add_f32_e32 v26, v26, v27
	v_exp_f32_e32 v26, v26
	v_cvt_i32_f32_e32 v27, v28
	s_mov_b32 s2, 0xc2ce8ed0
	v_cmp_ngt_f32_e64 s[76:77], s2, v25
	s_mov_b32 s2, 0x42b17218
	v_ldexp_f32 v26, v26, v27
	v_cndmask_b32_e64 v26, 0, v26, s[76:77]
	v_mov_b32_e32 v27, 0x7f800000
	v_cmp_nlt_f32_e64 s[76:77], s2, v25
	v_cndmask_b32_e64 v31, v27, v26, s[76:77]
	v_add_f32_e32 v25, 1.0, v31
	v_add_f32_e32 v26, -1.0, v25
	v_sub_f32_e32 v27, v26, v25
	v_add_f32_e32 v27, 1.0, v27
	v_sub_f32_e32 v26, v31, v26
	v_add_f32_e32 v28, v26, v27
	v_frexp_mant_f32_e32 v32, v25
	s_mov_b32 s2, 0x3f2aaaab
	v_cvt_f64_f32_e32 v[26:27], v25
	v_frexp_exp_i32_f64_e32 v26, v[26:27]
	v_cmp_gt_f32_e64 s[76:77], s2, v32
	v_subbrev_co_u32_e64 v38, s[76:77], 0, v26, s[76:77]
	v_sub_u32_e32 v26, 0, v38
	v_ldexp_f32 v25, v25, v26
	v_ldexp_f32 v26, v28, v26
	v_add_f32_e32 v28, -1.0, v25
	v_add_f32_e32 v27, 1.0, v28
	v_sub_f32_e32 v27, v25, v27
	v_add_f32_e32 v32, v26, v27
	v_add_f32_e32 v27, 1.0, v25
	v_add_f32_e32 v33, -1.0, v27
	v_sub_f32_e32 v25, v25, v33
	v_add_f32_e32 v25, v26, v25
	v_add_f32_e32 v39, v27, v25
	v_rcp_f32_e32 v40, v39
	v_sub_f32_e32 v26, v27, v39
	v_add_f32_e32 v27, v28, v32
	v_add_f32_e32 v25, v25, v26
	v_sub_f32_e32 v26, v28, v27
	v_mul_f32_e32 v41, v27, v40
	v_add_f32_e32 v28, v32, v26
	v_mul_f32_e32 v32, v39, v41
	v_fma_f32 v34, v41, v39, -v32
	v_fmac_f32_e32 v34, v41, v25
	v_add_f32_e32 v26, v32, v34
	v_sub_f32_e32 v33, v27, v26
	v_pk_add_f32 v[36:37], v[26:27], v[32:33] neg_lo:[0,1] neg_hi:[0,1]
	v_mov_b32_e32 v35, v26
	v_pk_add_f32 v[26:27], v[36:37], v[34:35] neg_lo:[0,1] neg_hi:[0,1]
	v_add_f32_e32 v27, v28, v27
	v_add_f32_e32 v26, v26, v27
	;; [unrolled: 1-line block ×3, first 2 shown]
	v_mul_f32_e32 v28, v40, v27
	v_mul_f32_e32 v32, v39, v28
	v_fma_f32 v34, v28, v39, -v32
	v_fmac_f32_e32 v34, v28, v25
	v_sub_f32_e32 v25, v33, v27
	v_add_f32_e32 v25, v26, v25
	v_add_f32_e32 v26, v32, v34
	v_sub_f32_e32 v33, v27, v26
	v_pk_add_f32 v[36:37], v[26:27], v[32:33] neg_lo:[0,1] neg_hi:[0,1]
	v_mov_b32_e32 v35, v26
	v_pk_add_f32 v[26:27], v[36:37], v[34:35] neg_lo:[0,1] neg_hi:[0,1]
	v_add_f32_e32 v25, v25, v27
	v_add_f32_e32 v25, v26, v25
	;; [unrolled: 1-line block ×4, first 2 shown]
	v_sub_f32_e32 v27, v26, v41
	v_mul_f32_e32 v25, v40, v25
	v_sub_f32_e32 v27, v28, v27
	v_add_f32_e32 v25, v27, v25
	v_add_f32_e32 v28, v26, v25
	v_mul_f32_e32 v33, v28, v28
	v_mov_b32_e32 v32, 0x3ecc95a3
	v_fmac_f32_e32 v32, 0x3e9b6dac, v33
	v_mov_b32_e32 v27, 0x3f2aaada
	v_fmac_f32_e32 v27, v33, v32
	v_cvt_f32_i32_e32 v32, v38
	v_sub_f32_e32 v26, v28, v26
	v_sub_f32_e32 v25, v25, v26
	v_mul_f32_e32 v33, v28, v33
	v_mov_b32_e32 v26, 0x3f317218
	s_mov_b32 s2, 0x3f317218
	v_pk_mul_f32 v[26:27], v[32:33], v[26:27]
	v_fma_f32 v34, v32, s2, -v26
	v_ldexp_f32 v35, v28, 1
	v_fmac_f32_e32 v34, 0xb102e308, v32
	v_pk_add_f32 v[32:33], v[26:27], v[34:35]
	v_sub_f32_e32 v28, v33, v35
	v_ldexp_f32 v25, v25, 1
	v_sub_f32_e32 v28, v27, v28
	v_add_f32_e32 v37, v25, v28
	v_mov_b32_e32 v36, v26
	v_pk_add_f32 v[26:27], v[32:33], v[26:27] neg_lo:[0,1] neg_hi:[0,1]
	v_pk_add_f32 v[38:39], v[32:33], v[36:37]
	v_mov_b32_e32 v27, v39
	v_mov_b32_e32 v35, v32
	v_pk_add_f32 v[40:41], v[34:35], v[26:27] neg_lo:[0,1] neg_hi:[0,1]
	v_pk_add_f32 v[26:27], v[34:35], v[26:27]
	v_mov_b32_e32 v28, v27
	v_pk_add_f32 v[34:35], v[28:29], v[32:33] neg_lo:[0,1] neg_hi:[0,1]
	v_mov_b32_e32 v25, v34
	v_pk_add_f32 v[42:43], v[38:39], v[24:25] neg_lo:[0,1] neg_hi:[0,1]
	v_mov_b32_e32 v26, v39
	v_mov_b32_e32 v38, v33
	;; [unrolled: 1-line block ×4, first 2 shown]
	v_pk_add_f32 v[26:27], v[26:27], v[38:39] neg_lo:[0,1] neg_hi:[0,1]
	v_mov_b32_e32 v34, v37
	v_mov_b32_e32 v35, v32
	v_pk_add_f32 v[26:27], v[34:35], v[26:27] neg_lo:[0,1] neg_hi:[0,1]
	v_mov_b32_e32 v42, v40
	v_pk_add_f32 v[32:33], v[42:43], v[26:27]
	v_mov_b32_e32 v34, v33
	v_pk_add_f32 v[34:35], v[32:33], v[34:35]
	v_pk_add_f32 v[36:37], v[28:29], v[34:35]
	v_mov_b32_e32 v33, v36
	v_pk_add_f32 v[38:39], v[32:33], v[40:41] neg_lo:[0,1] neg_hi:[0,1]
	v_mov_b32_e32 v27, v34
	v_sub_f32_e32 v25, v32, v38
	v_pk_add_f32 v[26:27], v[26:27], v[38:39] neg_lo:[0,1] neg_hi:[0,1]
	v_sub_f32_e32 v25, v40, v25
	s_mov_b32 s3, 0x7f800000
	v_add_f32_e32 v25, v26, v25
	s_mov_b32 s2, 0x33800000
	v_add_f32_e32 v25, v25, v27
	v_cmp_eq_f32_e64 s[76:77], s3, v31
	v_cmp_lt_f32_e64 s[78:79], |v31|, s2
	v_add_f32_e32 v25, v36, v25
	s_or_b64 s[76:77], s[76:77], s[78:79]
	v_cndmask_b32_e64 v25, v25, v31, s[76:77]
	v_add_f32_e32 v24, v24, v25
	v_cvt_f16_f32_e32 v31, v24
	v_cvt_f32_f16_e32 v33, v31
	v_mov_b32_e32 v32, v31
.LBB431_78:
	s_or_b64 exec, exec, s[0:1]
	v_cvt_f32_f16_sdwa v24, v13 dst_sel:DWORD dst_unused:UNUSED_PAD src0_sel:WORD_1
	v_max_f32_e32 v26, v33, v33
	v_cmp_u_f16_e64 s[78:79], v31, v31
	v_cmp_u_f16_sdwa s[76:77], v13, v13 src0_sel:WORD_1 src1_sel:WORD_1
	v_min_f32_e32 v25, v26, v24
	v_max_f32_e32 v13, v26, v24
	v_cndmask_b32_e64 v25, v25, v33, s[78:79]
	v_cndmask_b32_e64 v13, v13, v33, s[78:79]
	;; [unrolled: 1-line block ×4, first 2 shown]
	v_cmp_neq_f32_e64 s[78:79], v25, v13
	v_cmp_class_f32_e64 s[0:1], v25, s33
	s_or_b64 s[78:79], s[78:79], s[0:1]
	s_and_saveexec_b64 s[0:1], s[78:79]
	s_cbranch_execz .LBB431_80
; %bb.79:
	v_sub_f32_e32 v25, v25, v13
	s_mov_b32 s2, 0x3fb8aa3b
	v_mul_f32_e32 v26, 0x3fb8aa3b, v25
	v_fma_f32 v27, v25, s2, -v26
	v_rndne_f32_e32 v28, v26
	v_fmac_f32_e32 v27, 0x32a5705f, v25
	v_sub_f32_e32 v26, v26, v28
	v_add_f32_e32 v26, v26, v27
	v_exp_f32_e32 v26, v26
	v_cvt_i32_f32_e32 v27, v28
	s_mov_b32 s2, 0xc2ce8ed0
	v_cmp_ngt_f32_e64 s[78:79], s2, v25
	s_mov_b32 s2, 0x42b17218
	v_ldexp_f32 v26, v26, v27
	v_cndmask_b32_e64 v26, 0, v26, s[78:79]
	v_mov_b32_e32 v27, 0x7f800000
	v_cmp_nlt_f32_e64 s[78:79], s2, v25
	v_cndmask_b32_e64 v31, v27, v26, s[78:79]
	v_add_f32_e32 v25, 1.0, v31
	v_add_f32_e32 v26, -1.0, v25
	v_sub_f32_e32 v27, v26, v25
	v_add_f32_e32 v27, 1.0, v27
	v_sub_f32_e32 v26, v31, v26
	v_add_f32_e32 v28, v26, v27
	v_frexp_mant_f32_e32 v32, v25
	s_mov_b32 s2, 0x3f2aaaab
	v_cvt_f64_f32_e32 v[26:27], v25
	v_frexp_exp_i32_f64_e32 v26, v[26:27]
	v_cmp_gt_f32_e64 s[78:79], s2, v32
	v_subbrev_co_u32_e64 v38, s[78:79], 0, v26, s[78:79]
	v_sub_u32_e32 v26, 0, v38
	v_ldexp_f32 v25, v25, v26
	v_ldexp_f32 v26, v28, v26
	v_add_f32_e32 v28, -1.0, v25
	v_add_f32_e32 v27, 1.0, v28
	v_sub_f32_e32 v27, v25, v27
	v_add_f32_e32 v32, v26, v27
	v_add_f32_e32 v27, 1.0, v25
	v_add_f32_e32 v33, -1.0, v27
	v_sub_f32_e32 v25, v25, v33
	v_add_f32_e32 v25, v26, v25
	v_add_f32_e32 v39, v27, v25
	v_rcp_f32_e32 v40, v39
	v_sub_f32_e32 v26, v27, v39
	v_add_f32_e32 v27, v28, v32
	v_add_f32_e32 v25, v25, v26
	v_sub_f32_e32 v26, v28, v27
	v_mul_f32_e32 v41, v27, v40
	v_add_f32_e32 v28, v32, v26
	v_mul_f32_e32 v32, v39, v41
	v_fma_f32 v34, v41, v39, -v32
	v_fmac_f32_e32 v34, v41, v25
	v_add_f32_e32 v26, v32, v34
	v_sub_f32_e32 v33, v27, v26
	v_pk_add_f32 v[36:37], v[26:27], v[32:33] neg_lo:[0,1] neg_hi:[0,1]
	v_mov_b32_e32 v35, v26
	v_pk_add_f32 v[26:27], v[36:37], v[34:35] neg_lo:[0,1] neg_hi:[0,1]
	v_add_f32_e32 v27, v28, v27
	v_add_f32_e32 v26, v26, v27
	;; [unrolled: 1-line block ×3, first 2 shown]
	v_mul_f32_e32 v28, v40, v27
	v_mul_f32_e32 v32, v39, v28
	v_fma_f32 v34, v28, v39, -v32
	v_fmac_f32_e32 v34, v28, v25
	v_sub_f32_e32 v25, v33, v27
	v_add_f32_e32 v25, v26, v25
	v_add_f32_e32 v26, v32, v34
	v_sub_f32_e32 v33, v27, v26
	v_pk_add_f32 v[36:37], v[26:27], v[32:33] neg_lo:[0,1] neg_hi:[0,1]
	v_mov_b32_e32 v35, v26
	v_pk_add_f32 v[26:27], v[36:37], v[34:35] neg_lo:[0,1] neg_hi:[0,1]
	v_add_f32_e32 v25, v25, v27
	v_add_f32_e32 v25, v26, v25
	;; [unrolled: 1-line block ×4, first 2 shown]
	v_sub_f32_e32 v27, v26, v41
	v_mul_f32_e32 v25, v40, v25
	v_sub_f32_e32 v27, v28, v27
	v_add_f32_e32 v25, v27, v25
	v_add_f32_e32 v28, v26, v25
	v_mul_f32_e32 v33, v28, v28
	v_mov_b32_e32 v32, 0x3ecc95a3
	v_fmac_f32_e32 v32, 0x3e9b6dac, v33
	v_mov_b32_e32 v27, 0x3f2aaada
	v_fmac_f32_e32 v27, v33, v32
	v_cvt_f32_i32_e32 v32, v38
	v_sub_f32_e32 v26, v28, v26
	v_sub_f32_e32 v25, v25, v26
	v_mul_f32_e32 v33, v28, v33
	v_mov_b32_e32 v26, 0x3f317218
	s_mov_b32 s2, 0x3f317218
	v_pk_mul_f32 v[26:27], v[32:33], v[26:27]
	v_fma_f32 v34, v32, s2, -v26
	v_ldexp_f32 v35, v28, 1
	v_fmac_f32_e32 v34, 0xb102e308, v32
	v_pk_add_f32 v[32:33], v[26:27], v[34:35]
	v_sub_f32_e32 v28, v33, v35
	v_ldexp_f32 v25, v25, 1
	v_sub_f32_e32 v28, v27, v28
	v_add_f32_e32 v37, v25, v28
	v_mov_b32_e32 v36, v26
	v_pk_add_f32 v[26:27], v[32:33], v[26:27] neg_lo:[0,1] neg_hi:[0,1]
	v_pk_add_f32 v[38:39], v[32:33], v[36:37]
	v_mov_b32_e32 v27, v39
	v_mov_b32_e32 v35, v32
	v_pk_add_f32 v[40:41], v[34:35], v[26:27] neg_lo:[0,1] neg_hi:[0,1]
	v_pk_add_f32 v[26:27], v[34:35], v[26:27]
	v_mov_b32_e32 v28, v27
	v_pk_add_f32 v[34:35], v[28:29], v[32:33] neg_lo:[0,1] neg_hi:[0,1]
	v_mov_b32_e32 v25, v34
	v_pk_add_f32 v[42:43], v[38:39], v[24:25] neg_lo:[0,1] neg_hi:[0,1]
	v_mov_b32_e32 v26, v39
	v_mov_b32_e32 v38, v33
	;; [unrolled: 1-line block ×4, first 2 shown]
	v_pk_add_f32 v[26:27], v[26:27], v[38:39] neg_lo:[0,1] neg_hi:[0,1]
	v_mov_b32_e32 v34, v37
	v_mov_b32_e32 v35, v32
	v_pk_add_f32 v[26:27], v[34:35], v[26:27] neg_lo:[0,1] neg_hi:[0,1]
	v_mov_b32_e32 v42, v40
	v_pk_add_f32 v[32:33], v[42:43], v[26:27]
	v_mov_b32_e32 v34, v33
	v_pk_add_f32 v[34:35], v[32:33], v[34:35]
	v_pk_add_f32 v[36:37], v[28:29], v[34:35]
	v_mov_b32_e32 v33, v36
	v_pk_add_f32 v[38:39], v[32:33], v[40:41] neg_lo:[0,1] neg_hi:[0,1]
	v_mov_b32_e32 v27, v34
	v_sub_f32_e32 v25, v32, v38
	v_pk_add_f32 v[26:27], v[26:27], v[38:39] neg_lo:[0,1] neg_hi:[0,1]
	v_sub_f32_e32 v25, v40, v25
	s_mov_b32 s3, 0x7f800000
	v_add_f32_e32 v25, v26, v25
	s_mov_b32 s2, 0x33800000
	v_add_f32_e32 v25, v25, v27
	v_cmp_eq_f32_e64 s[78:79], s3, v31
	v_cmp_lt_f32_e64 s[80:81], |v31|, s2
	v_add_f32_e32 v25, v36, v25
	s_or_b64 s[78:79], s[78:79], s[80:81]
	v_cndmask_b32_e64 v25, v25, v31, s[78:79]
	v_add_f32_e32 v13, v13, v25
	v_cvt_f16_f32_e32 v31, v13
	v_cvt_f32_f16_e32 v33, v31
	v_mov_b32_e32 v32, v31
.LBB431_80:
	s_or_b64 exec, exec, s[0:1]
	v_cvt_f32_f16_e32 v13, v6
	v_max_f32_e32 v25, v33, v33
	v_cmp_u_f16_e64 s[80:81], v31, v31
	v_cmp_u_f16_e64 s[78:79], v6, v6
	v_min_f32_e32 v26, v25, v13
	v_max_f32_e32 v25, v25, v13
	v_cndmask_b32_e64 v26, v26, v33, s[80:81]
	v_cndmask_b32_e64 v25, v25, v33, s[80:81]
	;; [unrolled: 1-line block ×4, first 2 shown]
	v_cmp_neq_f32_e64 s[80:81], v26, v25
	v_cmp_class_f32_e64 s[0:1], v26, s33
	s_or_b64 s[80:81], s[80:81], s[0:1]
	s_and_saveexec_b64 s[0:1], s[80:81]
	s_cbranch_execz .LBB431_82
; %bb.81:
	v_sub_f32_e32 v26, v26, v25
	s_mov_b32 s2, 0x3fb8aa3b
	v_mul_f32_e32 v27, 0x3fb8aa3b, v26
	v_fma_f32 v28, v26, s2, -v27
	v_rndne_f32_e32 v31, v27
	v_fmac_f32_e32 v28, 0x32a5705f, v26
	v_sub_f32_e32 v27, v27, v31
	v_add_f32_e32 v27, v27, v28
	v_exp_f32_e32 v27, v27
	v_cvt_i32_f32_e32 v28, v31
	s_mov_b32 s2, 0xc2ce8ed0
	v_cmp_ngt_f32_e64 s[80:81], s2, v26
	s_mov_b32 s2, 0x42b17218
	v_ldexp_f32 v27, v27, v28
	v_cndmask_b32_e64 v27, 0, v27, s[80:81]
	v_mov_b32_e32 v28, 0x7f800000
	v_cmp_nlt_f32_e64 s[80:81], s2, v26
	v_cndmask_b32_e64 v44, v28, v27, s[80:81]
	v_add_f32_e32 v28, 1.0, v44
	v_add_f32_e32 v26, -1.0, v28
	v_sub_f32_e32 v27, v26, v28
	v_add_f32_e32 v27, 1.0, v27
	v_sub_f32_e32 v26, v44, v26
	v_add_f32_e32 v31, v26, v27
	v_frexp_mant_f32_e32 v32, v28
	s_mov_b32 s2, 0x3f2aaaab
	v_cvt_f64_f32_e32 v[26:27], v28
	v_frexp_exp_i32_f64_e32 v26, v[26:27]
	v_cmp_gt_f32_e64 s[80:81], s2, v32
	v_subbrev_co_u32_e64 v38, s[80:81], 0, v26, s[80:81]
	v_sub_u32_e32 v26, 0, v38
	v_ldexp_f32 v27, v28, v26
	v_add_f32_e32 v28, -1.0, v27
	v_add_f32_e32 v32, 1.0, v27
	v_ldexp_f32 v26, v31, v26
	v_add_f32_e32 v31, 1.0, v28
	v_add_f32_e32 v33, -1.0, v32
	v_sub_f32_e32 v31, v27, v31
	v_sub_f32_e32 v27, v27, v33
	v_add_f32_e32 v31, v26, v31
	v_add_f32_e32 v26, v26, v27
	;; [unrolled: 1-line block ×3, first 2 shown]
	v_rcp_f32_e32 v41, v39
	v_sub_f32_e32 v27, v32, v39
	v_add_f32_e32 v40, v26, v27
	v_add_f32_e32 v27, v28, v31
	v_sub_f32_e32 v26, v28, v27
	v_add_f32_e32 v28, v31, v26
	v_mul_f32_e32 v31, v27, v41
	v_mul_f32_e32 v32, v39, v31
	v_fma_f32 v34, v31, v39, -v32
	v_fmac_f32_e32 v34, v31, v40
	v_add_f32_e32 v26, v32, v34
	v_sub_f32_e32 v33, v27, v26
	v_pk_add_f32 v[36:37], v[26:27], v[32:33] neg_lo:[0,1] neg_hi:[0,1]
	v_mov_b32_e32 v35, v26
	v_pk_add_f32 v[26:27], v[36:37], v[34:35] neg_lo:[0,1] neg_hi:[0,1]
	v_add_f32_e32 v27, v28, v27
	v_add_f32_e32 v26, v26, v27
	v_add_f32_e32 v27, v33, v26
	v_mul_f32_e32 v28, v41, v27
	v_mul_f32_e32 v32, v39, v28
	v_fma_f32 v34, v28, v39, -v32
	v_fmac_f32_e32 v34, v28, v40
	v_sub_f32_e32 v33, v33, v27
	v_add_f32_e32 v39, v26, v33
	v_add_f32_e32 v26, v32, v34
	v_sub_f32_e32 v33, v27, v26
	v_pk_add_f32 v[36:37], v[26:27], v[32:33] neg_lo:[0,1] neg_hi:[0,1]
	v_mov_b32_e32 v35, v26
	v_pk_add_f32 v[26:27], v[36:37], v[34:35] neg_lo:[0,1] neg_hi:[0,1]
	v_add_f32_e32 v27, v39, v27
	v_add_f32_e32 v26, v26, v27
	;; [unrolled: 1-line block ×4, first 2 shown]
	v_sub_f32_e32 v27, v33, v31
	v_mul_f32_e32 v26, v41, v26
	v_sub_f32_e32 v27, v28, v27
	v_add_f32_e32 v26, v27, v26
	v_add_f32_e32 v28, v33, v26
	v_mul_f32_e32 v31, v28, v28
	v_mov_b32_e32 v32, 0x3ecc95a3
	v_fmac_f32_e32 v32, 0x3e9b6dac, v31
	v_mov_b32_e32 v27, 0x3f2aaada
	v_fmac_f32_e32 v27, v31, v32
	v_cvt_f32_i32_e32 v32, v38
	v_sub_f32_e32 v33, v28, v33
	v_sub_f32_e32 v26, v26, v33
	v_ldexp_f32 v36, v26, 1
	v_mul_f32_e32 v33, v28, v31
	v_mov_b32_e32 v26, 0x3f317218
	s_mov_b32 s2, 0x3f317218
	v_pk_mul_f32 v[26:27], v[32:33], v[26:27]
	v_fma_f32 v34, v32, s2, -v26
	v_ldexp_f32 v35, v28, 1
	v_fmac_f32_e32 v34, 0xb102e308, v32
	v_pk_add_f32 v[32:33], v[26:27], v[34:35]
	v_sub_f32_e32 v28, v33, v35
	v_sub_f32_e32 v28, v27, v28
	v_add_f32_e32 v37, v36, v28
	v_mov_b32_e32 v36, v26
	v_pk_add_f32 v[26:27], v[32:33], v[26:27] neg_lo:[0,1] neg_hi:[0,1]
	v_pk_add_f32 v[38:39], v[32:33], v[36:37]
	v_mov_b32_e32 v27, v39
	v_mov_b32_e32 v35, v32
	v_pk_add_f32 v[40:41], v[34:35], v[26:27] neg_lo:[0,1] neg_hi:[0,1]
	v_pk_add_f32 v[26:27], v[34:35], v[26:27]
	v_mov_b32_e32 v28, v27
	v_pk_add_f32 v[34:35], v[28:29], v[32:33] neg_lo:[0,1] neg_hi:[0,1]
	v_mov_b32_e32 v31, v34
	v_pk_add_f32 v[42:43], v[38:39], v[30:31] neg_lo:[0,1] neg_hi:[0,1]
	v_mov_b32_e32 v26, v39
	v_mov_b32_e32 v38, v33
	;; [unrolled: 1-line block ×4, first 2 shown]
	v_pk_add_f32 v[26:27], v[26:27], v[38:39] neg_lo:[0,1] neg_hi:[0,1]
	v_mov_b32_e32 v34, v37
	v_mov_b32_e32 v35, v32
	v_pk_add_f32 v[26:27], v[34:35], v[26:27] neg_lo:[0,1] neg_hi:[0,1]
	v_mov_b32_e32 v42, v40
	v_pk_add_f32 v[32:33], v[42:43], v[26:27]
	v_mov_b32_e32 v34, v33
	v_pk_add_f32 v[34:35], v[32:33], v[34:35]
	v_pk_add_f32 v[36:37], v[28:29], v[34:35]
	v_mov_b32_e32 v33, v36
	v_pk_add_f32 v[38:39], v[32:33], v[40:41] neg_lo:[0,1] neg_hi:[0,1]
	v_mov_b32_e32 v27, v34
	v_sub_f32_e32 v28, v32, v38
	v_pk_add_f32 v[26:27], v[26:27], v[38:39] neg_lo:[0,1] neg_hi:[0,1]
	v_sub_f32_e32 v28, v40, v28
	s_mov_b32 s3, 0x7f800000
	v_add_f32_e32 v26, v26, v28
	s_mov_b32 s2, 0x33800000
	v_add_f32_e32 v26, v26, v27
	v_cmp_eq_f32_e64 s[80:81], s3, v44
	v_cmp_lt_f32_e64 s[82:83], |v44|, s2
	v_add_f32_e32 v26, v36, v26
	s_or_b64 s[80:81], s[80:81], s[82:83]
	v_cndmask_b32_e64 v26, v26, v44, s[80:81]
	v_add_f32_e32 v25, v25, v26
	v_cvt_f16_f32_e32 v31, v25
	v_cvt_f32_f16_e32 v33, v31
	v_mov_b32_e32 v32, v31
.LBB431_82:
	s_or_b64 exec, exec, s[0:1]
	v_cvt_f32_f16_sdwa v25, v6 dst_sel:DWORD dst_unused:UNUSED_PAD src0_sel:WORD_1
	v_max_f32_e32 v27, v33, v33
	v_cmp_u_f16_e64 s[82:83], v31, v31
	v_cmp_u_f16_sdwa s[80:81], v6, v6 src0_sel:WORD_1 src1_sel:WORD_1
	v_min_f32_e32 v26, v27, v25
	v_max_f32_e32 v6, v27, v25
	v_cndmask_b32_e64 v26, v26, v33, s[82:83]
	v_cndmask_b32_e64 v6, v6, v33, s[82:83]
	;; [unrolled: 1-line block ×4, first 2 shown]
	v_cmp_neq_f32_e64 s[82:83], v26, v6
	v_cmp_class_f32_e64 s[0:1], v26, s33
	s_or_b64 s[82:83], s[82:83], s[0:1]
	s_and_saveexec_b64 s[0:1], s[82:83]
	s_cbranch_execz .LBB431_84
; %bb.83:
	v_sub_f32_e32 v26, v26, v6
	s_mov_b32 s2, 0x3fb8aa3b
	v_mul_f32_e32 v27, 0x3fb8aa3b, v26
	v_fma_f32 v28, v26, s2, -v27
	v_rndne_f32_e32 v31, v27
	v_fmac_f32_e32 v28, 0x32a5705f, v26
	v_sub_f32_e32 v27, v27, v31
	v_add_f32_e32 v27, v27, v28
	v_exp_f32_e32 v27, v27
	v_cvt_i32_f32_e32 v28, v31
	s_mov_b32 s2, 0xc2ce8ed0
	v_cmp_ngt_f32_e64 s[82:83], s2, v26
	s_mov_b32 s2, 0x42b17218
	v_ldexp_f32 v27, v27, v28
	v_cndmask_b32_e64 v27, 0, v27, s[82:83]
	v_mov_b32_e32 v28, 0x7f800000
	v_cmp_nlt_f32_e64 s[82:83], s2, v26
	v_cndmask_b32_e64 v44, v28, v27, s[82:83]
	v_add_f32_e32 v28, 1.0, v44
	v_add_f32_e32 v26, -1.0, v28
	v_sub_f32_e32 v27, v26, v28
	v_add_f32_e32 v27, 1.0, v27
	v_sub_f32_e32 v26, v44, v26
	v_add_f32_e32 v31, v26, v27
	v_frexp_mant_f32_e32 v32, v28
	s_mov_b32 s2, 0x3f2aaaab
	v_cvt_f64_f32_e32 v[26:27], v28
	v_frexp_exp_i32_f64_e32 v26, v[26:27]
	v_cmp_gt_f32_e64 s[82:83], s2, v32
	v_subbrev_co_u32_e64 v38, s[82:83], 0, v26, s[82:83]
	v_sub_u32_e32 v26, 0, v38
	v_ldexp_f32 v27, v28, v26
	v_add_f32_e32 v28, -1.0, v27
	v_add_f32_e32 v32, 1.0, v27
	v_ldexp_f32 v26, v31, v26
	v_add_f32_e32 v31, 1.0, v28
	v_add_f32_e32 v33, -1.0, v32
	v_sub_f32_e32 v31, v27, v31
	v_sub_f32_e32 v27, v27, v33
	v_add_f32_e32 v31, v26, v31
	v_add_f32_e32 v26, v26, v27
	;; [unrolled: 1-line block ×3, first 2 shown]
	v_rcp_f32_e32 v41, v39
	v_sub_f32_e32 v27, v32, v39
	v_add_f32_e32 v40, v26, v27
	v_add_f32_e32 v27, v28, v31
	v_sub_f32_e32 v26, v28, v27
	v_add_f32_e32 v28, v31, v26
	v_mul_f32_e32 v31, v27, v41
	v_mul_f32_e32 v32, v39, v31
	v_fma_f32 v34, v31, v39, -v32
	v_fmac_f32_e32 v34, v31, v40
	v_add_f32_e32 v26, v32, v34
	v_sub_f32_e32 v33, v27, v26
	v_pk_add_f32 v[36:37], v[26:27], v[32:33] neg_lo:[0,1] neg_hi:[0,1]
	v_mov_b32_e32 v35, v26
	v_pk_add_f32 v[26:27], v[36:37], v[34:35] neg_lo:[0,1] neg_hi:[0,1]
	v_add_f32_e32 v27, v28, v27
	v_add_f32_e32 v26, v26, v27
	;; [unrolled: 1-line block ×3, first 2 shown]
	v_mul_f32_e32 v28, v41, v27
	v_mul_f32_e32 v32, v39, v28
	v_fma_f32 v34, v28, v39, -v32
	v_fmac_f32_e32 v34, v28, v40
	v_sub_f32_e32 v33, v33, v27
	v_add_f32_e32 v39, v26, v33
	v_add_f32_e32 v26, v32, v34
	v_sub_f32_e32 v33, v27, v26
	v_pk_add_f32 v[36:37], v[26:27], v[32:33] neg_lo:[0,1] neg_hi:[0,1]
	v_mov_b32_e32 v35, v26
	v_pk_add_f32 v[26:27], v[36:37], v[34:35] neg_lo:[0,1] neg_hi:[0,1]
	v_add_f32_e32 v27, v39, v27
	v_add_f32_e32 v26, v26, v27
	v_add_f32_e32 v26, v33, v26
	v_add_f32_e32 v33, v31, v28
	v_sub_f32_e32 v27, v33, v31
	v_mul_f32_e32 v26, v41, v26
	v_sub_f32_e32 v27, v28, v27
	v_add_f32_e32 v26, v27, v26
	v_add_f32_e32 v28, v33, v26
	v_mul_f32_e32 v31, v28, v28
	v_mov_b32_e32 v32, 0x3ecc95a3
	v_fmac_f32_e32 v32, 0x3e9b6dac, v31
	v_mov_b32_e32 v27, 0x3f2aaada
	v_fmac_f32_e32 v27, v31, v32
	v_cvt_f32_i32_e32 v32, v38
	v_sub_f32_e32 v33, v28, v33
	v_sub_f32_e32 v26, v26, v33
	v_ldexp_f32 v36, v26, 1
	v_mul_f32_e32 v33, v28, v31
	v_mov_b32_e32 v26, 0x3f317218
	s_mov_b32 s2, 0x3f317218
	v_pk_mul_f32 v[26:27], v[32:33], v[26:27]
	v_fma_f32 v34, v32, s2, -v26
	v_ldexp_f32 v35, v28, 1
	v_fmac_f32_e32 v34, 0xb102e308, v32
	v_pk_add_f32 v[32:33], v[26:27], v[34:35]
	v_sub_f32_e32 v28, v33, v35
	v_sub_f32_e32 v28, v27, v28
	v_add_f32_e32 v37, v36, v28
	v_mov_b32_e32 v36, v26
	v_pk_add_f32 v[26:27], v[32:33], v[26:27] neg_lo:[0,1] neg_hi:[0,1]
	v_pk_add_f32 v[38:39], v[32:33], v[36:37]
	v_mov_b32_e32 v27, v39
	v_mov_b32_e32 v35, v32
	v_pk_add_f32 v[40:41], v[34:35], v[26:27] neg_lo:[0,1] neg_hi:[0,1]
	v_pk_add_f32 v[26:27], v[34:35], v[26:27]
	v_mov_b32_e32 v28, v27
	v_pk_add_f32 v[34:35], v[28:29], v[32:33] neg_lo:[0,1] neg_hi:[0,1]
	v_mov_b32_e32 v31, v34
	v_pk_add_f32 v[42:43], v[38:39], v[30:31] neg_lo:[0,1] neg_hi:[0,1]
	v_mov_b32_e32 v26, v39
	v_mov_b32_e32 v38, v33
	;; [unrolled: 1-line block ×4, first 2 shown]
	v_pk_add_f32 v[26:27], v[26:27], v[38:39] neg_lo:[0,1] neg_hi:[0,1]
	v_mov_b32_e32 v34, v37
	v_mov_b32_e32 v35, v32
	v_pk_add_f32 v[26:27], v[34:35], v[26:27] neg_lo:[0,1] neg_hi:[0,1]
	v_mov_b32_e32 v42, v40
	v_pk_add_f32 v[32:33], v[42:43], v[26:27]
	v_mov_b32_e32 v34, v33
	v_pk_add_f32 v[34:35], v[32:33], v[34:35]
	v_pk_add_f32 v[36:37], v[28:29], v[34:35]
	v_mov_b32_e32 v33, v36
	v_pk_add_f32 v[38:39], v[32:33], v[40:41] neg_lo:[0,1] neg_hi:[0,1]
	v_mov_b32_e32 v27, v34
	v_sub_f32_e32 v28, v32, v38
	v_pk_add_f32 v[26:27], v[26:27], v[38:39] neg_lo:[0,1] neg_hi:[0,1]
	v_sub_f32_e32 v28, v40, v28
	s_mov_b32 s3, 0x7f800000
	v_add_f32_e32 v26, v26, v28
	s_mov_b32 s2, 0x33800000
	v_add_f32_e32 v26, v26, v27
	v_cmp_eq_f32_e64 s[82:83], s3, v44
	v_cmp_lt_f32_e64 s[84:85], |v44|, s2
	v_add_f32_e32 v26, v36, v26
	s_or_b64 s[82:83], s[82:83], s[84:85]
	v_cndmask_b32_e64 v26, v26, v44, s[82:83]
	v_add_f32_e32 v6, v6, v26
	v_cvt_f16_f32_e32 v31, v6
	v_cvt_f32_f16_e32 v33, v31
	v_mov_b32_e32 v32, v31
.LBB431_84:
	s_or_b64 exec, exec, s[0:1]
	v_cvt_f32_f16_e32 v6, v7
	v_max_f32_e32 v26, v33, v33
	v_cmp_u_f16_e64 s[84:85], v31, v31
	v_cmp_u_f16_e64 s[82:83], v7, v7
	v_min_f32_e32 v27, v26, v6
	v_max_f32_e32 v26, v26, v6
	v_cndmask_b32_e64 v27, v27, v33, s[84:85]
	v_cndmask_b32_e64 v26, v26, v33, s[84:85]
	;; [unrolled: 1-line block ×4, first 2 shown]
	v_cmp_neq_f32_e64 s[84:85], v27, v26
	v_cmp_class_f32_e64 s[0:1], v27, s33
	s_or_b64 s[84:85], s[84:85], s[0:1]
	s_and_saveexec_b64 s[0:1], s[84:85]
	s_cbranch_execz .LBB431_86
; %bb.85:
	v_sub_f32_e32 v27, v27, v26
	s_mov_b32 s2, 0x3fb8aa3b
	v_mul_f32_e32 v28, 0x3fb8aa3b, v27
	v_fma_f32 v31, v27, s2, -v28
	v_rndne_f32_e32 v32, v28
	v_fmac_f32_e32 v31, 0x32a5705f, v27
	v_sub_f32_e32 v28, v28, v32
	v_add_f32_e32 v28, v28, v31
	v_exp_f32_e32 v28, v28
	v_cvt_i32_f32_e32 v31, v32
	s_mov_b32 s2, 0xc2ce8ed0
	v_cmp_ngt_f32_e64 s[84:85], s2, v27
	s_mov_b32 s2, 0x42b17218
	v_ldexp_f32 v28, v28, v31
	v_cndmask_b32_e64 v28, 0, v28, s[84:85]
	v_mov_b32_e32 v31, 0x7f800000
	v_cmp_nlt_f32_e64 s[84:85], s2, v27
	v_cndmask_b32_e64 v31, v31, v28, s[84:85]
	v_add_f32_e32 v27, 1.0, v31
	v_add_f32_e32 v28, -1.0, v27
	v_sub_f32_e32 v32, v28, v27
	v_add_f32_e32 v32, 1.0, v32
	v_sub_f32_e32 v28, v31, v28
	v_add_f32_e32 v28, v28, v32
	v_frexp_mant_f32_e32 v34, v27
	s_mov_b32 s2, 0x3f2aaaab
	v_cvt_f64_f32_e32 v[32:33], v27
	v_frexp_exp_i32_f64_e32 v32, v[32:33]
	v_cmp_gt_f32_e64 s[84:85], s2, v34
	v_subbrev_co_u32_e64 v40, s[84:85], 0, v32, s[84:85]
	v_sub_u32_e32 v32, 0, v40
	v_ldexp_f32 v27, v27, v32
	v_ldexp_f32 v28, v28, v32
	v_add_f32_e32 v32, -1.0, v27
	v_add_f32_e32 v33, 1.0, v32
	v_sub_f32_e32 v33, v27, v33
	v_add_f32_e32 v34, v28, v33
	v_add_f32_e32 v33, 1.0, v27
	v_add_f32_e32 v35, -1.0, v33
	v_sub_f32_e32 v27, v27, v35
	v_add_f32_e32 v27, v28, v27
	v_add_f32_e32 v28, v33, v27
	v_rcp_f32_e32 v41, v28
	v_sub_f32_e32 v33, v33, v28
	v_add_f32_e32 v27, v27, v33
	v_add_f32_e32 v33, v32, v34
	v_sub_f32_e32 v32, v32, v33
	v_mul_f32_e32 v43, v33, v41
	v_add_f32_e32 v42, v34, v32
	v_mul_f32_e32 v34, v28, v43
	v_fma_f32 v36, v43, v28, -v34
	v_fmac_f32_e32 v36, v43, v27
	v_add_f32_e32 v32, v34, v36
	v_sub_f32_e32 v35, v33, v32
	v_pk_add_f32 v[38:39], v[32:33], v[34:35] neg_lo:[0,1] neg_hi:[0,1]
	v_mov_b32_e32 v37, v32
	v_pk_add_f32 v[32:33], v[38:39], v[36:37] neg_lo:[0,1] neg_hi:[0,1]
	v_add_f32_e32 v33, v42, v33
	v_add_f32_e32 v32, v32, v33
	;; [unrolled: 1-line block ×3, first 2 shown]
	v_mul_f32_e32 v42, v41, v33
	v_mul_f32_e32 v34, v28, v42
	v_fma_f32 v36, v42, v28, -v34
	v_fmac_f32_e32 v36, v42, v27
	v_sub_f32_e32 v27, v35, v33
	v_add_f32_e32 v27, v32, v27
	v_add_f32_e32 v32, v34, v36
	v_sub_f32_e32 v35, v33, v32
	v_pk_add_f32 v[38:39], v[32:33], v[34:35] neg_lo:[0,1] neg_hi:[0,1]
	v_mov_b32_e32 v37, v32
	v_pk_add_f32 v[32:33], v[38:39], v[36:37] neg_lo:[0,1] neg_hi:[0,1]
	v_add_f32_e32 v27, v27, v33
	v_add_f32_e32 v27, v32, v27
	;; [unrolled: 1-line block ×4, first 2 shown]
	v_sub_f32_e32 v32, v28, v43
	v_mul_f32_e32 v27, v41, v27
	v_sub_f32_e32 v32, v42, v32
	v_add_f32_e32 v27, v32, v27
	v_add_f32_e32 v32, v28, v27
	v_mul_f32_e32 v35, v32, v32
	v_mov_b32_e32 v34, 0x3ecc95a3
	v_fmac_f32_e32 v34, 0x3e9b6dac, v35
	v_mov_b32_e32 v33, 0x3f2aaada
	v_fmac_f32_e32 v33, v35, v34
	v_cvt_f32_i32_e32 v34, v40
	v_sub_f32_e32 v28, v32, v28
	v_ldexp_f32 v37, v32, 1
	v_mul_f32_e32 v35, v32, v35
	v_mov_b32_e32 v32, 0x3f317218
	s_mov_b32 s2, 0x3f317218
	v_pk_mul_f32 v[32:33], v[34:35], v[32:33]
	v_fma_f32 v36, v34, s2, -v32
	v_fmac_f32_e32 v36, 0xb102e308, v34
	v_pk_add_f32 v[34:35], v[32:33], v[36:37]
	v_sub_f32_e32 v27, v27, v28
	v_sub_f32_e32 v28, v35, v37
	v_ldexp_f32 v27, v27, 1
	v_sub_f32_e32 v28, v33, v28
	v_add_f32_e32 v39, v27, v28
	v_mov_b32_e32 v38, v32
	v_pk_add_f32 v[32:33], v[34:35], v[32:33] neg_lo:[0,1] neg_hi:[0,1]
	v_pk_add_f32 v[40:41], v[34:35], v[38:39]
	v_mov_b32_e32 v33, v41
	v_mov_b32_e32 v37, v34
	v_pk_add_f32 v[42:43], v[36:37], v[32:33] neg_lo:[0,1] neg_hi:[0,1]
	v_pk_add_f32 v[32:33], v[36:37], v[32:33]
	v_mov_b32_e32 v28, v33
	v_pk_add_f32 v[36:37], v[28:29], v[34:35] neg_lo:[0,1] neg_hi:[0,1]
	v_mov_b32_e32 v27, v36
	v_pk_add_f32 v[44:45], v[40:41], v[26:27] neg_lo:[0,1] neg_hi:[0,1]
	v_mov_b32_e32 v32, v41
	v_mov_b32_e32 v40, v35
	v_mov_b32_e32 v41, v36
	v_mov_b32_e32 v43, v33
	v_pk_add_f32 v[32:33], v[32:33], v[40:41] neg_lo:[0,1] neg_hi:[0,1]
	v_mov_b32_e32 v36, v39
	v_mov_b32_e32 v37, v34
	v_pk_add_f32 v[32:33], v[36:37], v[32:33] neg_lo:[0,1] neg_hi:[0,1]
	v_mov_b32_e32 v44, v42
	v_pk_add_f32 v[34:35], v[44:45], v[32:33]
	v_mov_b32_e32 v36, v35
	v_pk_add_f32 v[36:37], v[34:35], v[36:37]
	v_pk_add_f32 v[38:39], v[28:29], v[36:37]
	v_mov_b32_e32 v35, v38
	v_pk_add_f32 v[40:41], v[34:35], v[42:43] neg_lo:[0,1] neg_hi:[0,1]
	v_mov_b32_e32 v33, v36
	v_sub_f32_e32 v27, v34, v40
	v_pk_add_f32 v[32:33], v[32:33], v[40:41] neg_lo:[0,1] neg_hi:[0,1]
	v_sub_f32_e32 v27, v42, v27
	s_mov_b32 s3, 0x7f800000
	v_add_f32_e32 v27, v32, v27
	s_mov_b32 s2, 0x33800000
	v_add_f32_e32 v27, v27, v33
	v_cmp_eq_f32_e64 s[84:85], s3, v31
	v_cmp_lt_f32_e64 s[86:87], |v31|, s2
	v_add_f32_e32 v27, v38, v27
	s_or_b64 s[84:85], s[84:85], s[86:87]
	v_cndmask_b32_e64 v27, v27, v31, s[84:85]
	v_add_f32_e32 v26, v26, v27
	v_cvt_f16_f32_e32 v31, v26
	v_cvt_f32_f16_e32 v33, v31
	v_mov_b32_e32 v32, v31
.LBB431_86:
	s_or_b64 exec, exec, s[0:1]
	v_cvt_f32_f16_sdwa v26, v7 dst_sel:DWORD dst_unused:UNUSED_PAD src0_sel:WORD_1
	v_max_f32_e32 v28, v33, v33
	v_cmp_u_f16_e64 s[86:87], v31, v31
	v_cmp_u_f16_sdwa s[84:85], v7, v7 src0_sel:WORD_1 src1_sel:WORD_1
	v_min_f32_e32 v27, v28, v26
	v_max_f32_e32 v7, v28, v26
	v_cndmask_b32_e64 v27, v27, v33, s[86:87]
	v_cndmask_b32_e64 v7, v7, v33, s[86:87]
	v_cndmask_b32_e64 v27, v27, v26, s[84:85]
	v_cndmask_b32_e64 v7, v7, v26, s[84:85]
	v_cmp_neq_f32_e64 s[86:87], v27, v7
	v_cmp_class_f32_e64 s[0:1], v27, s33
	s_or_b64 s[86:87], s[86:87], s[0:1]
	s_and_saveexec_b64 s[0:1], s[86:87]
	s_cbranch_execz .LBB431_88
; %bb.87:
	v_sub_f32_e32 v27, v27, v7
	s_mov_b32 s2, 0x3fb8aa3b
	v_mul_f32_e32 v28, 0x3fb8aa3b, v27
	v_fma_f32 v31, v27, s2, -v28
	v_rndne_f32_e32 v32, v28
	v_fmac_f32_e32 v31, 0x32a5705f, v27
	v_sub_f32_e32 v28, v28, v32
	v_add_f32_e32 v28, v28, v31
	v_exp_f32_e32 v28, v28
	v_cvt_i32_f32_e32 v31, v32
	s_mov_b32 s2, 0xc2ce8ed0
	v_cmp_ngt_f32_e64 s[86:87], s2, v27
	s_mov_b32 s2, 0x42b17218
	v_ldexp_f32 v28, v28, v31
	v_cndmask_b32_e64 v28, 0, v28, s[86:87]
	v_mov_b32_e32 v31, 0x7f800000
	v_cmp_nlt_f32_e64 s[86:87], s2, v27
	v_cndmask_b32_e64 v31, v31, v28, s[86:87]
	v_add_f32_e32 v27, 1.0, v31
	v_add_f32_e32 v28, -1.0, v27
	v_sub_f32_e32 v32, v28, v27
	v_add_f32_e32 v32, 1.0, v32
	v_sub_f32_e32 v28, v31, v28
	v_add_f32_e32 v28, v28, v32
	v_frexp_mant_f32_e32 v34, v27
	s_mov_b32 s2, 0x3f2aaaab
	v_cvt_f64_f32_e32 v[32:33], v27
	v_frexp_exp_i32_f64_e32 v32, v[32:33]
	v_cmp_gt_f32_e64 s[86:87], s2, v34
	v_subbrev_co_u32_e64 v40, s[86:87], 0, v32, s[86:87]
	v_sub_u32_e32 v32, 0, v40
	v_ldexp_f32 v27, v27, v32
	v_ldexp_f32 v28, v28, v32
	v_add_f32_e32 v32, -1.0, v27
	v_add_f32_e32 v33, 1.0, v32
	v_sub_f32_e32 v33, v27, v33
	v_add_f32_e32 v34, v28, v33
	v_add_f32_e32 v33, 1.0, v27
	v_add_f32_e32 v35, -1.0, v33
	v_sub_f32_e32 v27, v27, v35
	v_add_f32_e32 v27, v28, v27
	v_add_f32_e32 v28, v33, v27
	v_rcp_f32_e32 v41, v28
	v_sub_f32_e32 v33, v33, v28
	v_add_f32_e32 v27, v27, v33
	v_add_f32_e32 v33, v32, v34
	v_sub_f32_e32 v32, v32, v33
	v_mul_f32_e32 v43, v33, v41
	v_add_f32_e32 v42, v34, v32
	v_mul_f32_e32 v34, v28, v43
	v_fma_f32 v36, v43, v28, -v34
	v_fmac_f32_e32 v36, v43, v27
	v_add_f32_e32 v32, v34, v36
	v_sub_f32_e32 v35, v33, v32
	v_pk_add_f32 v[38:39], v[32:33], v[34:35] neg_lo:[0,1] neg_hi:[0,1]
	v_mov_b32_e32 v37, v32
	v_pk_add_f32 v[32:33], v[38:39], v[36:37] neg_lo:[0,1] neg_hi:[0,1]
	v_add_f32_e32 v33, v42, v33
	v_add_f32_e32 v32, v32, v33
	;; [unrolled: 1-line block ×3, first 2 shown]
	v_mul_f32_e32 v42, v41, v33
	v_mul_f32_e32 v34, v28, v42
	v_fma_f32 v36, v42, v28, -v34
	v_fmac_f32_e32 v36, v42, v27
	v_sub_f32_e32 v27, v35, v33
	v_add_f32_e32 v27, v32, v27
	v_add_f32_e32 v32, v34, v36
	v_sub_f32_e32 v35, v33, v32
	v_pk_add_f32 v[38:39], v[32:33], v[34:35] neg_lo:[0,1] neg_hi:[0,1]
	v_mov_b32_e32 v37, v32
	v_pk_add_f32 v[32:33], v[38:39], v[36:37] neg_lo:[0,1] neg_hi:[0,1]
	v_add_f32_e32 v27, v27, v33
	v_add_f32_e32 v27, v32, v27
	;; [unrolled: 1-line block ×4, first 2 shown]
	v_sub_f32_e32 v32, v28, v43
	v_mul_f32_e32 v27, v41, v27
	v_sub_f32_e32 v32, v42, v32
	v_add_f32_e32 v27, v32, v27
	v_add_f32_e32 v32, v28, v27
	v_mul_f32_e32 v35, v32, v32
	v_mov_b32_e32 v34, 0x3ecc95a3
	v_fmac_f32_e32 v34, 0x3e9b6dac, v35
	v_mov_b32_e32 v33, 0x3f2aaada
	v_fmac_f32_e32 v33, v35, v34
	v_cvt_f32_i32_e32 v34, v40
	v_sub_f32_e32 v28, v32, v28
	v_ldexp_f32 v37, v32, 1
	v_mul_f32_e32 v35, v32, v35
	v_mov_b32_e32 v32, 0x3f317218
	s_mov_b32 s2, 0x3f317218
	v_pk_mul_f32 v[32:33], v[34:35], v[32:33]
	v_fma_f32 v36, v34, s2, -v32
	v_fmac_f32_e32 v36, 0xb102e308, v34
	v_pk_add_f32 v[34:35], v[32:33], v[36:37]
	v_sub_f32_e32 v27, v27, v28
	v_sub_f32_e32 v28, v35, v37
	v_ldexp_f32 v27, v27, 1
	v_sub_f32_e32 v28, v33, v28
	v_add_f32_e32 v39, v27, v28
	v_mov_b32_e32 v38, v32
	v_pk_add_f32 v[32:33], v[34:35], v[32:33] neg_lo:[0,1] neg_hi:[0,1]
	v_pk_add_f32 v[40:41], v[34:35], v[38:39]
	v_mov_b32_e32 v33, v41
	v_mov_b32_e32 v37, v34
	v_pk_add_f32 v[42:43], v[36:37], v[32:33] neg_lo:[0,1] neg_hi:[0,1]
	v_pk_add_f32 v[32:33], v[36:37], v[32:33]
	v_mov_b32_e32 v28, v33
	v_pk_add_f32 v[36:37], v[28:29], v[34:35] neg_lo:[0,1] neg_hi:[0,1]
	v_mov_b32_e32 v27, v36
	v_pk_add_f32 v[44:45], v[40:41], v[26:27] neg_lo:[0,1] neg_hi:[0,1]
	v_mov_b32_e32 v32, v41
	v_mov_b32_e32 v40, v35
	;; [unrolled: 1-line block ×4, first 2 shown]
	v_pk_add_f32 v[32:33], v[32:33], v[40:41] neg_lo:[0,1] neg_hi:[0,1]
	v_mov_b32_e32 v36, v39
	v_mov_b32_e32 v37, v34
	v_pk_add_f32 v[32:33], v[36:37], v[32:33] neg_lo:[0,1] neg_hi:[0,1]
	v_mov_b32_e32 v44, v42
	v_pk_add_f32 v[34:35], v[44:45], v[32:33]
	v_mov_b32_e32 v36, v35
	v_pk_add_f32 v[36:37], v[34:35], v[36:37]
	v_pk_add_f32 v[38:39], v[28:29], v[36:37]
	v_mov_b32_e32 v35, v38
	v_pk_add_f32 v[40:41], v[34:35], v[42:43] neg_lo:[0,1] neg_hi:[0,1]
	v_mov_b32_e32 v33, v36
	v_sub_f32_e32 v27, v34, v40
	v_pk_add_f32 v[32:33], v[32:33], v[40:41] neg_lo:[0,1] neg_hi:[0,1]
	v_sub_f32_e32 v27, v42, v27
	s_mov_b32 s3, 0x7f800000
	v_add_f32_e32 v27, v32, v27
	s_mov_b32 s2, 0x33800000
	v_add_f32_e32 v27, v27, v33
	v_cmp_eq_f32_e64 s[86:87], s3, v31
	v_cmp_lt_f32_e64 s[88:89], |v31|, s2
	v_add_f32_e32 v27, v38, v27
	s_or_b64 s[86:87], s[86:87], s[88:89]
	v_cndmask_b32_e64 v27, v27, v31, s[86:87]
	v_add_f32_e32 v7, v7, v27
	v_cvt_f16_f32_e32 v31, v7
	v_cvt_f32_f16_e32 v33, v31
	v_mov_b32_e32 v32, v31
.LBB431_88:
	s_or_b64 exec, exec, s[0:1]
	v_cvt_f32_f16_e32 v7, v8
	v_max_f32_e32 v27, v33, v33
	v_cmp_u_f16_e64 s[88:89], v31, v31
	v_cmp_u_f16_e64 s[86:87], v8, v8
	v_min_f32_e32 v28, v27, v7
	v_max_f32_e32 v27, v27, v7
	v_cndmask_b32_e64 v28, v28, v33, s[88:89]
	v_cndmask_b32_e64 v27, v27, v33, s[88:89]
	;; [unrolled: 1-line block ×4, first 2 shown]
	v_cmp_neq_f32_e64 s[88:89], v28, v27
	v_cmp_class_f32_e64 s[0:1], v28, s33
	s_or_b64 s[88:89], s[88:89], s[0:1]
	s_and_saveexec_b64 s[0:1], s[88:89]
	s_cbranch_execz .LBB431_90
; %bb.89:
	v_sub_f32_e32 v28, v28, v27
	s_mov_b32 s2, 0x3fb8aa3b
	v_mul_f32_e32 v31, 0x3fb8aa3b, v28
	v_fma_f32 v32, v28, s2, -v31
	v_rndne_f32_e32 v33, v31
	v_fmac_f32_e32 v32, 0x32a5705f, v28
	v_sub_f32_e32 v31, v31, v33
	v_add_f32_e32 v31, v31, v32
	v_exp_f32_e32 v31, v31
	v_cvt_i32_f32_e32 v32, v33
	s_mov_b32 s2, 0xc2ce8ed0
	v_cmp_ngt_f32_e64 s[88:89], s2, v28
	s_mov_b32 s2, 0x42b17218
	v_ldexp_f32 v31, v31, v32
	v_cndmask_b32_e64 v31, 0, v31, s[88:89]
	v_mov_b32_e32 v32, 0x7f800000
	v_cmp_nlt_f32_e64 s[88:89], s2, v28
	v_cndmask_b32_e64 v46, v32, v31, s[88:89]
	v_add_f32_e32 v28, 1.0, v46
	v_add_f32_e32 v31, -1.0, v28
	v_sub_f32_e32 v32, v31, v28
	v_add_f32_e32 v32, 1.0, v32
	v_sub_f32_e32 v31, v46, v31
	v_add_f32_e32 v31, v31, v32
	v_frexp_mant_f32_e32 v34, v28
	s_mov_b32 s2, 0x3f2aaaab
	v_cvt_f64_f32_e32 v[32:33], v28
	v_frexp_exp_i32_f64_e32 v32, v[32:33]
	v_cmp_gt_f32_e64 s[88:89], s2, v34
	v_subbrev_co_u32_e64 v40, s[88:89], 0, v32, s[88:89]
	v_sub_u32_e32 v32, 0, v40
	v_ldexp_f32 v28, v28, v32
	v_ldexp_f32 v31, v31, v32
	v_add_f32_e32 v32, -1.0, v28
	v_add_f32_e32 v33, 1.0, v32
	v_sub_f32_e32 v33, v28, v33
	v_add_f32_e32 v34, v31, v33
	v_add_f32_e32 v33, 1.0, v28
	v_add_f32_e32 v35, -1.0, v33
	v_sub_f32_e32 v28, v28, v35
	v_add_f32_e32 v28, v31, v28
	v_add_f32_e32 v31, v33, v28
	v_rcp_f32_e32 v41, v31
	v_sub_f32_e32 v33, v33, v31
	v_add_f32_e32 v28, v28, v33
	v_add_f32_e32 v33, v32, v34
	v_sub_f32_e32 v32, v32, v33
	v_mul_f32_e32 v43, v33, v41
	v_add_f32_e32 v42, v34, v32
	v_mul_f32_e32 v34, v31, v43
	v_fma_f32 v36, v43, v31, -v34
	v_fmac_f32_e32 v36, v43, v28
	v_add_f32_e32 v32, v34, v36
	v_sub_f32_e32 v35, v33, v32
	v_pk_add_f32 v[38:39], v[32:33], v[34:35] neg_lo:[0,1] neg_hi:[0,1]
	v_mov_b32_e32 v37, v32
	v_pk_add_f32 v[32:33], v[38:39], v[36:37] neg_lo:[0,1] neg_hi:[0,1]
	v_add_f32_e32 v33, v42, v33
	v_add_f32_e32 v32, v32, v33
	;; [unrolled: 1-line block ×3, first 2 shown]
	v_mul_f32_e32 v42, v41, v33
	v_mul_f32_e32 v34, v31, v42
	v_fma_f32 v36, v42, v31, -v34
	v_fmac_f32_e32 v36, v42, v28
	v_sub_f32_e32 v28, v35, v33
	v_add_f32_e32 v28, v32, v28
	v_add_f32_e32 v32, v34, v36
	v_sub_f32_e32 v35, v33, v32
	v_pk_add_f32 v[38:39], v[32:33], v[34:35] neg_lo:[0,1] neg_hi:[0,1]
	v_mov_b32_e32 v37, v32
	v_pk_add_f32 v[32:33], v[38:39], v[36:37] neg_lo:[0,1] neg_hi:[0,1]
	v_add_f32_e32 v28, v28, v33
	v_add_f32_e32 v28, v32, v28
	;; [unrolled: 1-line block ×4, first 2 shown]
	v_sub_f32_e32 v32, v31, v43
	v_mul_f32_e32 v28, v41, v28
	v_sub_f32_e32 v32, v42, v32
	v_add_f32_e32 v28, v32, v28
	v_add_f32_e32 v32, v31, v28
	v_mul_f32_e32 v35, v32, v32
	v_mov_b32_e32 v34, 0x3ecc95a3
	v_fmac_f32_e32 v34, 0x3e9b6dac, v35
	v_mov_b32_e32 v33, 0x3f2aaada
	v_fmac_f32_e32 v33, v35, v34
	v_cvt_f32_i32_e32 v34, v40
	v_sub_f32_e32 v31, v32, v31
	v_ldexp_f32 v37, v32, 1
	v_mul_f32_e32 v35, v32, v35
	v_mov_b32_e32 v32, 0x3f317218
	s_mov_b32 s2, 0x3f317218
	v_pk_mul_f32 v[32:33], v[34:35], v[32:33]
	v_fma_f32 v36, v34, s2, -v32
	v_fmac_f32_e32 v36, 0xb102e308, v34
	v_pk_add_f32 v[34:35], v[32:33], v[36:37]
	v_sub_f32_e32 v28, v28, v31
	v_sub_f32_e32 v31, v35, v37
	v_ldexp_f32 v28, v28, 1
	v_sub_f32_e32 v31, v33, v31
	v_add_f32_e32 v39, v28, v31
	v_mov_b32_e32 v38, v32
	v_pk_add_f32 v[32:33], v[34:35], v[32:33] neg_lo:[0,1] neg_hi:[0,1]
	v_pk_add_f32 v[40:41], v[34:35], v[38:39]
	v_mov_b32_e32 v33, v41
	v_mov_b32_e32 v37, v34
	v_pk_add_f32 v[42:43], v[36:37], v[32:33] neg_lo:[0,1] neg_hi:[0,1]
	v_pk_add_f32 v[32:33], v[36:37], v[32:33]
	v_mov_b32_e32 v28, v33
	v_pk_add_f32 v[36:37], v[28:29], v[34:35] neg_lo:[0,1] neg_hi:[0,1]
	v_mov_b32_e32 v31, v36
	v_pk_add_f32 v[44:45], v[40:41], v[30:31] neg_lo:[0,1] neg_hi:[0,1]
	v_mov_b32_e32 v32, v41
	v_mov_b32_e32 v40, v35
	;; [unrolled: 1-line block ×4, first 2 shown]
	v_pk_add_f32 v[32:33], v[32:33], v[40:41] neg_lo:[0,1] neg_hi:[0,1]
	v_mov_b32_e32 v36, v39
	v_mov_b32_e32 v37, v34
	v_pk_add_f32 v[32:33], v[36:37], v[32:33] neg_lo:[0,1] neg_hi:[0,1]
	v_mov_b32_e32 v44, v42
	v_pk_add_f32 v[34:35], v[44:45], v[32:33]
	v_mov_b32_e32 v36, v35
	v_pk_add_f32 v[36:37], v[34:35], v[36:37]
	v_pk_add_f32 v[38:39], v[28:29], v[36:37]
	v_mov_b32_e32 v35, v38
	v_pk_add_f32 v[40:41], v[34:35], v[42:43] neg_lo:[0,1] neg_hi:[0,1]
	v_mov_b32_e32 v33, v36
	v_sub_f32_e32 v28, v34, v40
	v_pk_add_f32 v[32:33], v[32:33], v[40:41] neg_lo:[0,1] neg_hi:[0,1]
	v_sub_f32_e32 v28, v42, v28
	s_mov_b32 s3, 0x7f800000
	v_add_f32_e32 v28, v32, v28
	s_mov_b32 s2, 0x33800000
	v_add_f32_e32 v28, v28, v33
	v_cmp_eq_f32_e64 s[88:89], s3, v46
	v_cmp_lt_f32_e64 s[90:91], |v46|, s2
	v_add_f32_e32 v28, v38, v28
	s_or_b64 s[88:89], s[88:89], s[90:91]
	v_cndmask_b32_e64 v28, v28, v46, s[88:89]
	v_add_f32_e32 v27, v27, v28
	v_cvt_f16_f32_e32 v31, v27
	v_cvt_f32_f16_e32 v33, v31
	v_mov_b32_e32 v32, v31
.LBB431_90:
	s_or_b64 exec, exec, s[0:1]
	v_cvt_f32_f16_sdwa v27, v8 dst_sel:DWORD dst_unused:UNUSED_PAD src0_sel:WORD_1
	v_max_f32_e32 v34, v33, v33
	v_cmp_u_f16_e64 s[90:91], v31, v31
	v_cmp_u_f16_sdwa s[88:89], v8, v8 src0_sel:WORD_1 src1_sel:WORD_1
	v_min_f32_e32 v28, v34, v27
	v_max_f32_e32 v8, v34, v27
	v_cndmask_b32_e64 v28, v28, v33, s[90:91]
	v_cndmask_b32_e64 v8, v8, v33, s[90:91]
	;; [unrolled: 1-line block ×4, first 2 shown]
	v_cmp_neq_f32_e64 s[90:91], v28, v8
	v_cmp_class_f32_e64 s[0:1], v28, s33
	s_or_b64 s[90:91], s[90:91], s[0:1]
	s_and_saveexec_b64 s[0:1], s[90:91]
	s_cbranch_execz .LBB431_92
; %bb.91:
	v_sub_f32_e32 v28, v28, v8
	s_mov_b32 s2, 0x3fb8aa3b
	v_mul_f32_e32 v31, 0x3fb8aa3b, v28
	v_fma_f32 v32, v28, s2, -v31
	v_rndne_f32_e32 v33, v31
	v_fmac_f32_e32 v32, 0x32a5705f, v28
	v_sub_f32_e32 v31, v31, v33
	v_add_f32_e32 v31, v31, v32
	v_exp_f32_e32 v31, v31
	v_cvt_i32_f32_e32 v32, v33
	s_mov_b32 s2, 0xc2ce8ed0
	v_cmp_ngt_f32_e64 s[90:91], s2, v28
	s_mov_b32 s2, 0x42b17218
	v_ldexp_f32 v31, v31, v32
	v_cndmask_b32_e64 v31, 0, v31, s[90:91]
	v_mov_b32_e32 v32, 0x7f800000
	v_cmp_nlt_f32_e64 s[90:91], s2, v28
	v_cndmask_b32_e64 v46, v32, v31, s[90:91]
	v_add_f32_e32 v28, 1.0, v46
	v_add_f32_e32 v31, -1.0, v28
	v_sub_f32_e32 v32, v31, v28
	v_add_f32_e32 v32, 1.0, v32
	v_sub_f32_e32 v31, v46, v31
	v_add_f32_e32 v31, v31, v32
	v_frexp_mant_f32_e32 v34, v28
	s_mov_b32 s2, 0x3f2aaaab
	v_cvt_f64_f32_e32 v[32:33], v28
	v_frexp_exp_i32_f64_e32 v32, v[32:33]
	v_cmp_gt_f32_e64 s[90:91], s2, v34
	v_subbrev_co_u32_e64 v40, s[90:91], 0, v32, s[90:91]
	v_sub_u32_e32 v32, 0, v40
	v_ldexp_f32 v28, v28, v32
	v_ldexp_f32 v31, v31, v32
	v_add_f32_e32 v32, -1.0, v28
	v_add_f32_e32 v33, 1.0, v32
	v_sub_f32_e32 v33, v28, v33
	v_add_f32_e32 v34, v31, v33
	v_add_f32_e32 v33, 1.0, v28
	v_add_f32_e32 v35, -1.0, v33
	v_sub_f32_e32 v28, v28, v35
	v_add_f32_e32 v28, v31, v28
	v_add_f32_e32 v31, v33, v28
	v_rcp_f32_e32 v41, v31
	v_sub_f32_e32 v33, v33, v31
	v_add_f32_e32 v28, v28, v33
	v_add_f32_e32 v33, v32, v34
	v_sub_f32_e32 v32, v32, v33
	v_mul_f32_e32 v43, v33, v41
	v_add_f32_e32 v42, v34, v32
	v_mul_f32_e32 v34, v31, v43
	v_fma_f32 v36, v43, v31, -v34
	v_fmac_f32_e32 v36, v43, v28
	v_add_f32_e32 v32, v34, v36
	v_sub_f32_e32 v35, v33, v32
	v_pk_add_f32 v[38:39], v[32:33], v[34:35] neg_lo:[0,1] neg_hi:[0,1]
	v_mov_b32_e32 v37, v32
	v_pk_add_f32 v[32:33], v[38:39], v[36:37] neg_lo:[0,1] neg_hi:[0,1]
	v_add_f32_e32 v33, v42, v33
	v_add_f32_e32 v32, v32, v33
	;; [unrolled: 1-line block ×3, first 2 shown]
	v_mul_f32_e32 v42, v41, v33
	v_mul_f32_e32 v34, v31, v42
	v_fma_f32 v36, v42, v31, -v34
	v_fmac_f32_e32 v36, v42, v28
	v_sub_f32_e32 v28, v35, v33
	v_add_f32_e32 v28, v32, v28
	v_add_f32_e32 v32, v34, v36
	v_sub_f32_e32 v35, v33, v32
	v_pk_add_f32 v[38:39], v[32:33], v[34:35] neg_lo:[0,1] neg_hi:[0,1]
	v_mov_b32_e32 v37, v32
	v_pk_add_f32 v[32:33], v[38:39], v[36:37] neg_lo:[0,1] neg_hi:[0,1]
	v_add_f32_e32 v28, v28, v33
	v_add_f32_e32 v28, v32, v28
	;; [unrolled: 1-line block ×4, first 2 shown]
	v_sub_f32_e32 v32, v31, v43
	v_mul_f32_e32 v28, v41, v28
	v_sub_f32_e32 v32, v42, v32
	v_add_f32_e32 v28, v32, v28
	v_add_f32_e32 v32, v31, v28
	v_mul_f32_e32 v35, v32, v32
	v_mov_b32_e32 v34, 0x3ecc95a3
	v_fmac_f32_e32 v34, 0x3e9b6dac, v35
	v_mov_b32_e32 v33, 0x3f2aaada
	v_fmac_f32_e32 v33, v35, v34
	v_cvt_f32_i32_e32 v34, v40
	v_sub_f32_e32 v31, v32, v31
	v_ldexp_f32 v37, v32, 1
	v_mul_f32_e32 v35, v32, v35
	v_mov_b32_e32 v32, 0x3f317218
	s_mov_b32 s2, 0x3f317218
	v_pk_mul_f32 v[32:33], v[34:35], v[32:33]
	v_fma_f32 v36, v34, s2, -v32
	v_fmac_f32_e32 v36, 0xb102e308, v34
	v_pk_add_f32 v[34:35], v[32:33], v[36:37]
	v_sub_f32_e32 v28, v28, v31
	v_sub_f32_e32 v31, v35, v37
	v_ldexp_f32 v28, v28, 1
	v_sub_f32_e32 v31, v33, v31
	v_add_f32_e32 v39, v28, v31
	v_mov_b32_e32 v38, v32
	v_pk_add_f32 v[32:33], v[34:35], v[32:33] neg_lo:[0,1] neg_hi:[0,1]
	v_pk_add_f32 v[40:41], v[34:35], v[38:39]
	v_mov_b32_e32 v33, v41
	v_mov_b32_e32 v37, v34
	v_pk_add_f32 v[42:43], v[36:37], v[32:33] neg_lo:[0,1] neg_hi:[0,1]
	v_pk_add_f32 v[32:33], v[36:37], v[32:33]
	v_mov_b32_e32 v28, v33
	v_pk_add_f32 v[36:37], v[28:29], v[34:35] neg_lo:[0,1] neg_hi:[0,1]
	v_mov_b32_e32 v31, v36
	v_pk_add_f32 v[44:45], v[40:41], v[30:31] neg_lo:[0,1] neg_hi:[0,1]
	v_mov_b32_e32 v32, v41
	v_mov_b32_e32 v40, v35
	;; [unrolled: 1-line block ×4, first 2 shown]
	v_pk_add_f32 v[32:33], v[32:33], v[40:41] neg_lo:[0,1] neg_hi:[0,1]
	v_mov_b32_e32 v36, v39
	v_mov_b32_e32 v37, v34
	v_pk_add_f32 v[32:33], v[36:37], v[32:33] neg_lo:[0,1] neg_hi:[0,1]
	v_mov_b32_e32 v44, v42
	v_pk_add_f32 v[34:35], v[44:45], v[32:33]
	v_mov_b32_e32 v36, v35
	v_pk_add_f32 v[36:37], v[34:35], v[36:37]
	v_pk_add_f32 v[38:39], v[28:29], v[36:37]
	v_mov_b32_e32 v35, v38
	v_pk_add_f32 v[40:41], v[34:35], v[42:43] neg_lo:[0,1] neg_hi:[0,1]
	v_mov_b32_e32 v33, v36
	v_sub_f32_e32 v28, v34, v40
	v_pk_add_f32 v[32:33], v[32:33], v[40:41] neg_lo:[0,1] neg_hi:[0,1]
	v_sub_f32_e32 v28, v42, v28
	s_mov_b32 s3, 0x7f800000
	v_add_f32_e32 v28, v32, v28
	s_mov_b32 s2, 0x33800000
	v_add_f32_e32 v28, v28, v33
	v_cmp_eq_f32_e64 s[90:91], s3, v46
	v_cmp_lt_f32_e64 s[92:93], |v46|, s2
	v_add_f32_e32 v28, v38, v28
	s_or_b64 s[90:91], s[90:91], s[92:93]
	v_cndmask_b32_e64 v28, v28, v46, s[90:91]
	v_add_f32_e32 v8, v8, v28
	v_cvt_f16_f32_e32 v31, v8
	v_cvt_f32_f16_e32 v33, v31
	v_mov_b32_e32 v32, v31
.LBB431_92:
	s_or_b64 exec, exec, s[0:1]
	v_cvt_f32_f16_e32 v8, v9
	v_max_f32_e32 v28, v33, v33
	v_cmp_u_f16_e64 s[92:93], v31, v31
	v_cmp_u_f16_e64 s[90:91], v9, v9
	v_min_f32_e32 v34, v28, v8
	v_max_f32_e32 v28, v28, v8
	v_cndmask_b32_e64 v34, v34, v33, s[92:93]
	v_cndmask_b32_e64 v28, v28, v33, s[92:93]
	;; [unrolled: 1-line block ×4, first 2 shown]
	v_cmp_neq_f32_e64 s[92:93], v34, v28
	v_cmp_class_f32_e64 s[0:1], v34, s33
	s_or_b64 s[92:93], s[92:93], s[0:1]
	s_and_saveexec_b64 s[0:1], s[92:93]
	s_cbranch_execz .LBB431_94
; %bb.93:
	v_sub_f32_e32 v31, v34, v28
	s_mov_b32 s2, 0x3fb8aa3b
	v_mul_f32_e32 v32, 0x3fb8aa3b, v31
	v_fma_f32 v33, v31, s2, -v32
	v_rndne_f32_e32 v34, v32
	v_fmac_f32_e32 v33, 0x32a5705f, v31
	v_sub_f32_e32 v32, v32, v34
	v_add_f32_e32 v32, v32, v33
	v_exp_f32_e32 v32, v32
	v_cvt_i32_f32_e32 v33, v34
	s_mov_b32 s2, 0xc2ce8ed0
	v_cmp_ngt_f32_e64 s[92:93], s2, v31
	s_mov_b32 s2, 0x42b17218
	v_ldexp_f32 v32, v32, v33
	v_cndmask_b32_e64 v32, 0, v32, s[92:93]
	v_mov_b32_e32 v33, 0x7f800000
	v_cmp_nlt_f32_e64 s[92:93], s2, v31
	v_cndmask_b32_e64 v48, v33, v32, s[92:93]
	v_add_f32_e32 v31, 1.0, v48
	v_add_f32_e32 v32, -1.0, v31
	v_sub_f32_e32 v33, v32, v31
	v_add_f32_e32 v33, 1.0, v33
	v_sub_f32_e32 v32, v48, v32
	v_add_f32_e32 v34, v32, v33
	v_frexp_mant_f32_e32 v35, v31
	s_mov_b32 s2, 0x3f2aaaab
	v_cvt_f64_f32_e32 v[32:33], v31
	v_frexp_exp_i32_f64_e32 v32, v[32:33]
	v_cmp_gt_f32_e64 s[92:93], s2, v35
	v_subbrev_co_u32_e64 v40, s[92:93], 0, v32, s[92:93]
	v_sub_u32_e32 v32, 0, v40
	v_ldexp_f32 v31, v31, v32
	v_ldexp_f32 v32, v34, v32
	v_add_f32_e32 v34, -1.0, v31
	v_add_f32_e32 v33, 1.0, v34
	v_sub_f32_e32 v33, v31, v33
	v_add_f32_e32 v35, v32, v33
	v_add_f32_e32 v33, 1.0, v31
	v_add_f32_e32 v36, -1.0, v33
	v_sub_f32_e32 v31, v31, v36
	v_add_f32_e32 v31, v32, v31
	v_add_f32_e32 v41, v33, v31
	v_rcp_f32_e32 v42, v41
	v_sub_f32_e32 v32, v33, v41
	v_add_f32_e32 v33, v34, v35
	v_add_f32_e32 v31, v31, v32
	v_mul_f32_e32 v44, v33, v42
	v_sub_f32_e32 v32, v34, v33
	v_mul_f32_e32 v34, v41, v44
	v_fma_f32 v36, v44, v41, -v34
	v_fmac_f32_e32 v36, v44, v31
	v_add_f32_e32 v43, v35, v32
	v_add_f32_e32 v32, v34, v36
	v_sub_f32_e32 v35, v33, v32
	v_pk_add_f32 v[38:39], v[32:33], v[34:35] neg_lo:[0,1] neg_hi:[0,1]
	v_mov_b32_e32 v37, v32
	v_pk_add_f32 v[32:33], v[38:39], v[36:37] neg_lo:[0,1] neg_hi:[0,1]
	v_add_f32_e32 v33, v43, v33
	v_add_f32_e32 v32, v32, v33
	;; [unrolled: 1-line block ×3, first 2 shown]
	v_mul_f32_e32 v43, v42, v33
	v_mul_f32_e32 v34, v41, v43
	v_fma_f32 v36, v43, v41, -v34
	v_fmac_f32_e32 v36, v43, v31
	v_sub_f32_e32 v31, v35, v33
	v_add_f32_e32 v31, v32, v31
	v_add_f32_e32 v32, v34, v36
	v_sub_f32_e32 v35, v33, v32
	v_pk_add_f32 v[38:39], v[32:33], v[34:35] neg_lo:[0,1] neg_hi:[0,1]
	v_mov_b32_e32 v37, v32
	v_pk_add_f32 v[32:33], v[38:39], v[36:37] neg_lo:[0,1] neg_hi:[0,1]
	v_add_f32_e32 v31, v31, v33
	v_add_f32_e32 v31, v32, v31
	;; [unrolled: 1-line block ×4, first 2 shown]
	v_sub_f32_e32 v33, v32, v44
	v_mul_f32_e32 v31, v42, v31
	v_sub_f32_e32 v33, v43, v33
	v_add_f32_e32 v31, v33, v31
	v_add_f32_e32 v35, v32, v31
	v_mul_f32_e32 v36, v35, v35
	v_mov_b32_e32 v34, 0x3ecc95a3
	v_fmac_f32_e32 v34, 0x3e9b6dac, v36
	v_mov_b32_e32 v33, 0x3f2aaada
	v_fmac_f32_e32 v33, v36, v34
	v_cvt_f32_i32_e32 v34, v40
	v_sub_f32_e32 v32, v35, v32
	v_sub_f32_e32 v31, v31, v32
	v_ldexp_f32 v37, v35, 1
	v_mul_f32_e32 v35, v35, v36
	v_mov_b32_e32 v32, 0x3f317218
	s_mov_b32 s2, 0x3f317218
	v_pk_mul_f32 v[32:33], v[34:35], v[32:33]
	v_fma_f32 v36, v34, s2, -v32
	v_fmac_f32_e32 v36, 0xb102e308, v34
	v_pk_add_f32 v[34:35], v[32:33], v[36:37]
	v_sub_f32_e32 v37, v35, v37
	v_ldexp_f32 v31, v31, 1
	v_sub_f32_e32 v37, v33, v37
	v_add_f32_e32 v39, v31, v37
	v_mov_b32_e32 v38, v32
	v_pk_add_f32 v[32:33], v[34:35], v[32:33] neg_lo:[0,1] neg_hi:[0,1]
	v_pk_add_f32 v[40:41], v[34:35], v[38:39]
	v_mov_b32_e32 v33, v41
	v_mov_b32_e32 v37, v34
	v_pk_add_f32 v[42:43], v[36:37], v[32:33] neg_lo:[0,1] neg_hi:[0,1]
	v_pk_add_f32 v[32:33], v[36:37], v[32:33]
	v_mov_b32_e32 v36, v33
	v_pk_add_f32 v[44:45], v[36:37], v[34:35] neg_lo:[0,1] neg_hi:[0,1]
	v_mov_b32_e32 v31, v44
	v_pk_add_f32 v[46:47], v[40:41], v[30:31] neg_lo:[0,1] neg_hi:[0,1]
	v_mov_b32_e32 v32, v41
	v_mov_b32_e32 v40, v35
	;; [unrolled: 1-line block ×4, first 2 shown]
	v_pk_add_f32 v[32:33], v[32:33], v[40:41] neg_lo:[0,1] neg_hi:[0,1]
	v_mov_b32_e32 v38, v39
	v_mov_b32_e32 v39, v34
	v_pk_add_f32 v[32:33], v[38:39], v[32:33] neg_lo:[0,1] neg_hi:[0,1]
	v_mov_b32_e32 v46, v42
	v_pk_add_f32 v[34:35], v[46:47], v[32:33]
	v_mov_b32_e32 v38, v35
	v_pk_add_f32 v[38:39], v[34:35], v[38:39]
	v_pk_add_f32 v[36:37], v[36:37], v[38:39]
	v_mov_b32_e32 v35, v36
	v_pk_add_f32 v[40:41], v[34:35], v[42:43] neg_lo:[0,1] neg_hi:[0,1]
	v_mov_b32_e32 v33, v38
	v_sub_f32_e32 v31, v34, v40
	v_pk_add_f32 v[32:33], v[32:33], v[40:41] neg_lo:[0,1] neg_hi:[0,1]
	v_sub_f32_e32 v31, v42, v31
	s_mov_b32 s3, 0x7f800000
	v_add_f32_e32 v31, v32, v31
	s_mov_b32 s2, 0x33800000
	v_add_f32_e32 v31, v31, v33
	v_cmp_eq_f32_e64 s[92:93], s3, v48
	v_cmp_lt_f32_e64 vcc, |v48|, s2
	v_add_f32_e32 v31, v36, v31
	s_or_b64 s[92:93], s[92:93], vcc
	v_cndmask_b32_e64 v31, v31, v48, s[92:93]
	v_add_f32_e32 v28, v28, v31
	v_cvt_f16_f32_e32 v31, v28
	v_cvt_f32_f16_e32 v33, v31
	v_mov_b32_e32 v32, v31
.LBB431_94:
	s_or_b64 exec, exec, s[0:1]
	v_cvt_f32_f16_sdwa v28, v9 dst_sel:DWORD dst_unused:UNUSED_PAD src0_sel:WORD_1
	v_max_f32_e32 v34, v33, v33
	v_cmp_u_f16_e32 vcc, v31, v31
	v_cmp_u_f16_sdwa s[92:93], v9, v9 src0_sel:WORD_1 src1_sel:WORD_1
	v_min_f32_e32 v9, v34, v28
	v_cndmask_b32_e32 v9, v9, v33, vcc
	v_cndmask_b32_e64 v31, v9, v28, s[92:93]
	v_max_f32_e32 v9, v34, v28
	v_cndmask_b32_e32 v9, v9, v33, vcc
	v_cndmask_b32_e64 v9, v9, v28, s[92:93]
	s_movk_i32 s0, 0x1f8
	v_cmp_neq_f32_e32 vcc, v31, v9
	v_cmp_class_f32_e64 s[0:1], v31, s0
	s_or_b64 vcc, vcc, s[0:1]
	s_and_saveexec_b64 s[0:1], vcc
	s_cbranch_execz .LBB431_96
; %bb.95:
	v_sub_f32_e32 v31, v31, v9
	s_mov_b32 s2, 0x3fb8aa3b
	v_mul_f32_e32 v32, 0x3fb8aa3b, v31
	v_fma_f32 v33, v31, s2, -v32
	v_rndne_f32_e32 v34, v32
	v_fmac_f32_e32 v33, 0x32a5705f, v31
	v_sub_f32_e32 v32, v32, v34
	v_add_f32_e32 v32, v32, v33
	v_exp_f32_e32 v32, v32
	v_cvt_i32_f32_e32 v33, v34
	s_mov_b32 s2, 0xc2ce8ed0
	v_cmp_ngt_f32_e32 vcc, s2, v31
	s_mov_b32 s2, 0x42b17218
	v_ldexp_f32 v32, v32, v33
	v_cndmask_b32_e32 v32, 0, v32, vcc
	v_mov_b32_e32 v33, 0x7f800000
	v_cmp_nlt_f32_e32 vcc, s2, v31
	v_cndmask_b32_e32 v48, v33, v32, vcc
	v_add_f32_e32 v31, 1.0, v48
	v_add_f32_e32 v32, -1.0, v31
	v_sub_f32_e32 v33, v32, v31
	v_add_f32_e32 v33, 1.0, v33
	v_sub_f32_e32 v32, v48, v32
	v_add_f32_e32 v34, v32, v33
	v_frexp_mant_f32_e32 v35, v31
	s_mov_b32 s2, 0x3f2aaaab
	v_cvt_f64_f32_e32 v[32:33], v31
	v_frexp_exp_i32_f64_e32 v32, v[32:33]
	v_cmp_gt_f32_e32 vcc, s2, v35
	v_subbrev_co_u32_e32 v40, vcc, 0, v32, vcc
	v_sub_u32_e32 v32, 0, v40
	v_ldexp_f32 v31, v31, v32
	v_ldexp_f32 v32, v34, v32
	v_add_f32_e32 v34, -1.0, v31
	v_add_f32_e32 v33, 1.0, v34
	v_sub_f32_e32 v33, v31, v33
	v_add_f32_e32 v35, v32, v33
	v_add_f32_e32 v33, 1.0, v31
	v_add_f32_e32 v36, -1.0, v33
	v_sub_f32_e32 v31, v31, v36
	v_add_f32_e32 v31, v32, v31
	v_add_f32_e32 v41, v33, v31
	v_rcp_f32_e32 v42, v41
	v_sub_f32_e32 v32, v33, v41
	v_add_f32_e32 v33, v34, v35
	v_add_f32_e32 v31, v31, v32
	v_mul_f32_e32 v44, v33, v42
	v_sub_f32_e32 v32, v34, v33
	v_mul_f32_e32 v34, v41, v44
	v_fma_f32 v36, v44, v41, -v34
	v_fmac_f32_e32 v36, v44, v31
	v_add_f32_e32 v43, v35, v32
	v_add_f32_e32 v32, v34, v36
	v_sub_f32_e32 v35, v33, v32
	v_pk_add_f32 v[38:39], v[32:33], v[34:35] neg_lo:[0,1] neg_hi:[0,1]
	v_mov_b32_e32 v37, v32
	v_pk_add_f32 v[32:33], v[38:39], v[36:37] neg_lo:[0,1] neg_hi:[0,1]
	v_add_f32_e32 v33, v43, v33
	v_add_f32_e32 v32, v32, v33
	;; [unrolled: 1-line block ×3, first 2 shown]
	v_mul_f32_e32 v43, v42, v33
	v_mul_f32_e32 v34, v41, v43
	v_fma_f32 v36, v43, v41, -v34
	v_fmac_f32_e32 v36, v43, v31
	v_sub_f32_e32 v31, v35, v33
	v_add_f32_e32 v31, v32, v31
	v_add_f32_e32 v32, v34, v36
	v_sub_f32_e32 v35, v33, v32
	v_pk_add_f32 v[38:39], v[32:33], v[34:35] neg_lo:[0,1] neg_hi:[0,1]
	v_mov_b32_e32 v37, v32
	v_pk_add_f32 v[32:33], v[38:39], v[36:37] neg_lo:[0,1] neg_hi:[0,1]
	v_add_f32_e32 v31, v31, v33
	v_add_f32_e32 v31, v32, v31
	;; [unrolled: 1-line block ×4, first 2 shown]
	v_sub_f32_e32 v33, v32, v44
	v_mul_f32_e32 v31, v42, v31
	v_sub_f32_e32 v33, v43, v33
	v_add_f32_e32 v31, v33, v31
	v_add_f32_e32 v35, v32, v31
	v_mul_f32_e32 v36, v35, v35
	v_mov_b32_e32 v34, 0x3ecc95a3
	v_fmac_f32_e32 v34, 0x3e9b6dac, v36
	v_mov_b32_e32 v33, 0x3f2aaada
	v_fmac_f32_e32 v33, v36, v34
	v_cvt_f32_i32_e32 v34, v40
	v_sub_f32_e32 v32, v35, v32
	v_sub_f32_e32 v31, v31, v32
	v_ldexp_f32 v37, v35, 1
	v_mul_f32_e32 v35, v35, v36
	v_mov_b32_e32 v32, 0x3f317218
	s_mov_b32 s2, 0x3f317218
	v_pk_mul_f32 v[32:33], v[34:35], v[32:33]
	v_fma_f32 v36, v34, s2, -v32
	v_fmac_f32_e32 v36, 0xb102e308, v34
	v_pk_add_f32 v[34:35], v[32:33], v[36:37]
	v_sub_f32_e32 v37, v35, v37
	v_ldexp_f32 v31, v31, 1
	v_sub_f32_e32 v37, v33, v37
	v_add_f32_e32 v39, v31, v37
	v_mov_b32_e32 v38, v32
	v_pk_add_f32 v[32:33], v[34:35], v[32:33] neg_lo:[0,1] neg_hi:[0,1]
	v_pk_add_f32 v[40:41], v[34:35], v[38:39]
	v_mov_b32_e32 v33, v41
	v_mov_b32_e32 v37, v34
	v_pk_add_f32 v[42:43], v[36:37], v[32:33] neg_lo:[0,1] neg_hi:[0,1]
	v_pk_add_f32 v[32:33], v[36:37], v[32:33]
	v_mov_b32_e32 v36, v33
	v_pk_add_f32 v[44:45], v[36:37], v[34:35] neg_lo:[0,1] neg_hi:[0,1]
	v_mov_b32_e32 v31, v44
	v_pk_add_f32 v[46:47], v[40:41], v[30:31] neg_lo:[0,1] neg_hi:[0,1]
	v_mov_b32_e32 v32, v41
	v_mov_b32_e32 v40, v35
	;; [unrolled: 1-line block ×4, first 2 shown]
	v_pk_add_f32 v[32:33], v[32:33], v[40:41] neg_lo:[0,1] neg_hi:[0,1]
	v_mov_b32_e32 v38, v39
	v_mov_b32_e32 v39, v34
	v_pk_add_f32 v[32:33], v[38:39], v[32:33] neg_lo:[0,1] neg_hi:[0,1]
	v_mov_b32_e32 v46, v42
	v_pk_add_f32 v[34:35], v[46:47], v[32:33]
	v_mov_b32_e32 v38, v35
	v_pk_add_f32 v[38:39], v[34:35], v[38:39]
	v_pk_add_f32 v[36:37], v[36:37], v[38:39]
	v_mov_b32_e32 v35, v36
	v_pk_add_f32 v[40:41], v[34:35], v[42:43] neg_lo:[0,1] neg_hi:[0,1]
	v_mov_b32_e32 v33, v38
	v_sub_f32_e32 v31, v34, v40
	v_pk_add_f32 v[32:33], v[32:33], v[40:41] neg_lo:[0,1] neg_hi:[0,1]
	v_sub_f32_e32 v31, v42, v31
	s_mov_b32 s3, 0x7f800000
	v_add_f32_e32 v31, v32, v31
	s_mov_b32 s2, 0x33800000
	v_add_f32_e32 v31, v31, v33
	v_cmp_eq_f32_e32 vcc, s3, v48
	v_cmp_lt_f32_e64 s[2:3], |v48|, s2
	v_add_f32_e32 v31, v36, v31
	s_or_b64 vcc, vcc, s[2:3]
	v_cndmask_b32_e32 v31, v31, v48, vcc
	v_add_f32_e32 v9, v9, v31
	v_cvt_f16_f32_e32 v32, v9
.LBB431_96:
	s_or_b64 exec, exec, s[0:1]
	s_load_dwordx2 s[0:1], s[4:5], 0x18
	v_mbcnt_lo_u32_b32 v9, -1, 0
	v_mbcnt_hi_u32_b32 v31, -1, v9
	v_and_b32_e32 v33, 15, v31
	v_and_b32_e32 v34, 0xffff, v32
	s_waitcnt lgkmcnt(0)
	v_writelane_b32 v51, s0, 8
	v_cmp_ne_u32_e32 vcc, 0, v33
	v_mov_b32_dpp v35, v34 row_shr:1 row_mask:0xf bank_mask:0xf
	v_writelane_b32 v51, s1, 9
	s_and_saveexec_b64 s[0:1], vcc
	s_cbranch_execz .LBB431_100
; %bb.97:
	v_cvt_f32_f16_e32 v9, v35
	v_cvt_f32_f16_e32 v34, v32
	v_cmp_u_f16_e32 vcc, v35, v35
	v_cmp_u_f16_e64 s[4:5], v32, v32
	s_movk_i32 s2, 0x1f8
	v_min_f32_e32 v32, v9, v34
	v_max_f32_e32 v36, v9, v34
	v_cndmask_b32_e32 v32, v32, v9, vcc
	v_cndmask_b32_e32 v9, v36, v9, vcc
	v_cndmask_b32_e64 v32, v32, v34, s[4:5]
	v_cndmask_b32_e64 v9, v9, v34, s[4:5]
	v_cmp_neq_f32_e32 vcc, v32, v9
	v_cmp_class_f32_e64 s[2:3], v32, s2
	s_or_b64 s[2:3], vcc, s[2:3]
	s_and_saveexec_b64 s[4:5], s[2:3]
	s_cbranch_execz .LBB431_99
; %bb.98:
	v_sub_f32_e32 v32, v32, v9
	s_mov_b32 s2, 0x3fb8aa3b
	v_mul_f32_e32 v34, 0x3fb8aa3b, v32
	v_fma_f32 v35, v32, s2, -v34
	v_rndne_f32_e32 v36, v34
	v_fmac_f32_e32 v35, 0x32a5705f, v32
	v_sub_f32_e32 v34, v34, v36
	v_add_f32_e32 v34, v34, v35
	v_exp_f32_e32 v34, v34
	v_cvt_i32_f32_e32 v35, v36
	s_mov_b32 s2, 0xc2ce8ed0
	v_cmp_ngt_f32_e32 vcc, s2, v32
	s_mov_b32 s2, 0x42b17218
	v_ldexp_f32 v34, v34, v35
	v_cndmask_b32_e32 v34, 0, v34, vcc
	v_mov_b32_e32 v35, 0x7f800000
	v_cmp_nlt_f32_e32 vcc, s2, v32
	v_cndmask_b32_e32 v48, v35, v34, vcc
	v_add_f32_e32 v32, 1.0, v48
	v_add_f32_e32 v34, -1.0, v32
	v_sub_f32_e32 v35, v34, v32
	v_add_f32_e32 v35, 1.0, v35
	v_sub_f32_e32 v34, v48, v34
	v_add_f32_e32 v36, v34, v35
	v_frexp_mant_f32_e32 v37, v32
	s_mov_b32 s2, 0x3f2aaaab
	v_cvt_f64_f32_e32 v[34:35], v32
	v_frexp_exp_i32_f64_e32 v34, v[34:35]
	v_cmp_gt_f32_e32 vcc, s2, v37
	v_subbrev_co_u32_e32 v42, vcc, 0, v34, vcc
	v_sub_u32_e32 v34, 0, v42
	v_ldexp_f32 v32, v32, v34
	v_ldexp_f32 v34, v36, v34
	v_add_f32_e32 v36, -1.0, v32
	v_add_f32_e32 v35, 1.0, v36
	v_sub_f32_e32 v35, v32, v35
	v_add_f32_e32 v37, v34, v35
	v_add_f32_e32 v35, 1.0, v32
	v_add_f32_e32 v38, -1.0, v35
	v_sub_f32_e32 v32, v32, v38
	v_add_f32_e32 v32, v34, v32
	v_add_f32_e32 v43, v35, v32
	v_rcp_f32_e32 v44, v43
	v_sub_f32_e32 v34, v35, v43
	v_add_f32_e32 v35, v36, v37
	v_add_f32_e32 v32, v32, v34
	v_mul_f32_e32 v46, v35, v44
	v_sub_f32_e32 v34, v36, v35
	v_mul_f32_e32 v36, v43, v46
	v_fma_f32 v38, v46, v43, -v36
	v_fmac_f32_e32 v38, v46, v32
	v_add_f32_e32 v45, v37, v34
	v_add_f32_e32 v34, v36, v38
	v_sub_f32_e32 v37, v35, v34
	v_pk_add_f32 v[40:41], v[34:35], v[36:37] neg_lo:[0,1] neg_hi:[0,1]
	v_mov_b32_e32 v39, v34
	v_pk_add_f32 v[34:35], v[40:41], v[38:39] neg_lo:[0,1] neg_hi:[0,1]
	v_add_f32_e32 v35, v45, v35
	v_add_f32_e32 v34, v34, v35
	;; [unrolled: 1-line block ×3, first 2 shown]
	v_mul_f32_e32 v45, v44, v35
	v_mul_f32_e32 v36, v43, v45
	v_fma_f32 v38, v45, v43, -v36
	v_fmac_f32_e32 v38, v45, v32
	v_sub_f32_e32 v32, v37, v35
	v_add_f32_e32 v32, v34, v32
	v_add_f32_e32 v34, v36, v38
	v_sub_f32_e32 v37, v35, v34
	v_pk_add_f32 v[40:41], v[34:35], v[36:37] neg_lo:[0,1] neg_hi:[0,1]
	v_mov_b32_e32 v39, v34
	v_pk_add_f32 v[34:35], v[40:41], v[38:39] neg_lo:[0,1] neg_hi:[0,1]
	v_add_f32_e32 v32, v32, v35
	v_add_f32_e32 v32, v34, v32
	;; [unrolled: 1-line block ×4, first 2 shown]
	v_sub_f32_e32 v35, v34, v46
	v_mul_f32_e32 v32, v44, v32
	v_sub_f32_e32 v35, v45, v35
	v_add_f32_e32 v32, v35, v32
	v_add_f32_e32 v37, v34, v32
	v_mul_f32_e32 v38, v37, v37
	v_mov_b32_e32 v36, 0x3ecc95a3
	v_fmac_f32_e32 v36, 0x3e9b6dac, v38
	v_mov_b32_e32 v35, 0x3f2aaada
	v_fmac_f32_e32 v35, v38, v36
	v_cvt_f32_i32_e32 v36, v42
	v_sub_f32_e32 v34, v37, v34
	v_sub_f32_e32 v32, v32, v34
	v_ldexp_f32 v39, v37, 1
	v_mul_f32_e32 v37, v37, v38
	v_mov_b32_e32 v34, 0x3f317218
	s_mov_b32 s2, 0x3f317218
	v_pk_mul_f32 v[34:35], v[36:37], v[34:35]
	v_fma_f32 v38, v36, s2, -v34
	v_fmac_f32_e32 v38, 0xb102e308, v36
	v_pk_add_f32 v[36:37], v[34:35], v[38:39]
	v_sub_f32_e32 v39, v37, v39
	v_ldexp_f32 v32, v32, 1
	v_sub_f32_e32 v39, v35, v39
	v_add_f32_e32 v41, v32, v39
	v_mov_b32_e32 v40, v34
	v_pk_add_f32 v[34:35], v[36:37], v[34:35] neg_lo:[0,1] neg_hi:[0,1]
	v_pk_add_f32 v[42:43], v[36:37], v[40:41]
	v_mov_b32_e32 v35, v43
	v_mov_b32_e32 v39, v36
	v_pk_add_f32 v[44:45], v[38:39], v[34:35] neg_lo:[0,1] neg_hi:[0,1]
	v_pk_add_f32 v[34:35], v[38:39], v[34:35]
	v_mov_b32_e32 v32, v35
	v_pk_add_f32 v[38:39], v[32:33], v[36:37] neg_lo:[0,1] neg_hi:[0,1]
	v_mov_b32_e32 v39, v38
	v_pk_add_f32 v[46:47], v[42:43], v[38:39] neg_lo:[0,1] neg_hi:[0,1]
	v_mov_b32_e32 v34, v43
	v_mov_b32_e32 v42, v37
	;; [unrolled: 1-line block ×4, first 2 shown]
	v_pk_add_f32 v[34:35], v[34:35], v[42:43] neg_lo:[0,1] neg_hi:[0,1]
	v_mov_b32_e32 v38, v41
	v_mov_b32_e32 v39, v36
	v_pk_add_f32 v[34:35], v[38:39], v[34:35] neg_lo:[0,1] neg_hi:[0,1]
	v_mov_b32_e32 v46, v44
	v_pk_add_f32 v[36:37], v[46:47], v[34:35]
	v_mov_b32_e32 v38, v37
	v_pk_add_f32 v[38:39], v[36:37], v[38:39]
	v_pk_add_f32 v[40:41], v[32:33], v[38:39]
	v_mov_b32_e32 v37, v40
	v_pk_add_f32 v[42:43], v[36:37], v[44:45] neg_lo:[0,1] neg_hi:[0,1]
	v_mov_b32_e32 v35, v38
	v_sub_f32_e32 v32, v36, v42
	v_pk_add_f32 v[34:35], v[34:35], v[42:43] neg_lo:[0,1] neg_hi:[0,1]
	v_sub_f32_e32 v32, v44, v32
	s_mov_b32 s3, 0x7f800000
	v_add_f32_e32 v32, v34, v32
	s_mov_b32 s2, 0x33800000
	v_add_f32_e32 v32, v32, v35
	v_cmp_eq_f32_e32 vcc, s3, v48
	v_cmp_lt_f32_e64 s[2:3], |v48|, s2
	v_add_f32_e32 v32, v40, v32
	s_or_b64 vcc, vcc, s[2:3]
	v_cndmask_b32_e32 v32, v32, v48, vcc
	v_add_f32_e32 v9, v9, v32
	v_cvt_f16_f32_e32 v35, v9
.LBB431_99:
	s_or_b64 exec, exec, s[4:5]
	v_and_b32_e32 v34, 0xffff, v35
	v_mov_b32_e32 v32, v35
.LBB431_100:
	s_or_b64 exec, exec, s[0:1]
	v_mul_u32_u24_e32 v9, 46, v0
	v_mov_b32_dpp v35, v34 row_shr:2 row_mask:0xf bank_mask:0xf
	v_cmp_lt_u32_e32 vcc, 1, v33
	s_and_saveexec_b64 s[0:1], vcc
	s_cbranch_execz .LBB431_104
; %bb.101:
	v_cvt_f32_f16_e32 v36, v35
	v_cvt_f32_f16_e32 v37, v32
	v_cmp_u_f16_e32 vcc, v35, v35
	v_cmp_u_f16_e64 s[4:5], v32, v32
	s_movk_i32 s2, 0x1f8
	v_min_f32_e32 v32, v36, v37
	v_cndmask_b32_e32 v32, v32, v36, vcc
	v_cndmask_b32_e64 v34, v32, v37, s[4:5]
	v_max_f32_e32 v32, v36, v37
	v_cndmask_b32_e32 v32, v32, v36, vcc
	v_cndmask_b32_e64 v32, v32, v37, s[4:5]
	v_cmp_neq_f32_e32 vcc, v34, v32
	v_cmp_class_f32_e64 s[2:3], v34, s2
	s_or_b64 s[2:3], vcc, s[2:3]
	s_and_saveexec_b64 s[4:5], s[2:3]
	s_cbranch_execz .LBB431_103
; %bb.102:
	v_sub_f32_e32 v34, v34, v32
	s_mov_b32 s2, 0x3fb8aa3b
	v_mul_f32_e32 v35, 0x3fb8aa3b, v34
	v_fma_f32 v36, v34, s2, -v35
	v_rndne_f32_e32 v37, v35
	v_fmac_f32_e32 v36, 0x32a5705f, v34
	v_sub_f32_e32 v35, v35, v37
	v_add_f32_e32 v35, v35, v36
	v_exp_f32_e32 v35, v35
	v_cvt_i32_f32_e32 v36, v37
	s_mov_b32 s2, 0xc2ce8ed0
	v_cmp_ngt_f32_e32 vcc, s2, v34
	s_mov_b32 s2, 0x42b17218
	v_ldexp_f32 v35, v35, v36
	v_cndmask_b32_e32 v35, 0, v35, vcc
	v_mov_b32_e32 v36, 0x7f800000
	v_cmp_nlt_f32_e32 vcc, s2, v34
	v_cndmask_b32_e32 v50, v36, v35, vcc
	v_add_f32_e32 v36, 1.0, v50
	v_add_f32_e32 v34, -1.0, v36
	v_sub_f32_e32 v35, v34, v36
	v_add_f32_e32 v35, 1.0, v35
	v_sub_f32_e32 v34, v50, v34
	v_add_f32_e32 v37, v34, v35
	v_frexp_mant_f32_e32 v38, v36
	s_mov_b32 s2, 0x3f2aaaab
	v_cvt_f64_f32_e32 v[34:35], v36
	v_frexp_exp_i32_f64_e32 v34, v[34:35]
	v_cmp_gt_f32_e32 vcc, s2, v38
	v_subbrev_co_u32_e32 v42, vcc, 0, v34, vcc
	v_sub_u32_e32 v34, 0, v42
	v_ldexp_f32 v35, v36, v34
	v_add_f32_e32 v36, -1.0, v35
	v_add_f32_e32 v38, 1.0, v35
	v_ldexp_f32 v34, v37, v34
	v_add_f32_e32 v37, 1.0, v36
	v_add_f32_e32 v39, -1.0, v38
	v_sub_f32_e32 v37, v35, v37
	v_sub_f32_e32 v35, v35, v39
	v_add_f32_e32 v37, v34, v37
	v_add_f32_e32 v34, v34, v35
	;; [unrolled: 1-line block ×3, first 2 shown]
	v_rcp_f32_e32 v45, v43
	v_sub_f32_e32 v35, v38, v43
	v_add_f32_e32 v44, v34, v35
	v_add_f32_e32 v35, v36, v37
	v_mul_f32_e32 v47, v35, v45
	v_sub_f32_e32 v34, v36, v35
	v_mul_f32_e32 v36, v43, v47
	v_fma_f32 v38, v47, v43, -v36
	v_fmac_f32_e32 v38, v47, v44
	v_add_f32_e32 v46, v37, v34
	v_add_f32_e32 v34, v36, v38
	v_sub_f32_e32 v37, v35, v34
	v_pk_add_f32 v[40:41], v[34:35], v[36:37] neg_lo:[0,1] neg_hi:[0,1]
	v_mov_b32_e32 v39, v34
	v_pk_add_f32 v[34:35], v[40:41], v[38:39] neg_lo:[0,1] neg_hi:[0,1]
	v_add_f32_e32 v35, v46, v35
	v_add_f32_e32 v34, v34, v35
	;; [unrolled: 1-line block ×3, first 2 shown]
	v_mul_f32_e32 v46, v45, v35
	v_mul_f32_e32 v36, v43, v46
	v_fma_f32 v38, v46, v43, -v36
	v_fmac_f32_e32 v38, v46, v44
	v_sub_f32_e32 v37, v37, v35
	v_add_f32_e32 v43, v34, v37
	v_add_f32_e32 v34, v36, v38
	v_sub_f32_e32 v37, v35, v34
	v_pk_add_f32 v[40:41], v[34:35], v[36:37] neg_lo:[0,1] neg_hi:[0,1]
	v_mov_b32_e32 v39, v34
	v_pk_add_f32 v[34:35], v[40:41], v[38:39] neg_lo:[0,1] neg_hi:[0,1]
	v_add_f32_e32 v35, v43, v35
	v_add_f32_e32 v34, v34, v35
	;; [unrolled: 1-line block ×4, first 2 shown]
	v_sub_f32_e32 v35, v37, v47
	v_mul_f32_e32 v34, v45, v34
	v_sub_f32_e32 v35, v46, v35
	v_add_f32_e32 v34, v35, v34
	v_add_f32_e32 v38, v37, v34
	v_mul_f32_e32 v40, v38, v38
	v_mov_b32_e32 v36, 0x3ecc95a3
	v_fmac_f32_e32 v36, 0x3e9b6dac, v40
	v_mov_b32_e32 v35, 0x3f2aaada
	v_fmac_f32_e32 v35, v40, v36
	v_cvt_f32_i32_e32 v36, v42
	v_sub_f32_e32 v37, v38, v37
	v_sub_f32_e32 v34, v34, v37
	v_ldexp_f32 v41, v34, 1
	v_mul_f32_e32 v37, v38, v40
	v_mov_b32_e32 v34, 0x3f317218
	s_mov_b32 s2, 0x3f317218
	v_pk_mul_f32 v[34:35], v[36:37], v[34:35]
	v_ldexp_f32 v39, v38, 1
	v_fma_f32 v38, v36, s2, -v34
	v_fmac_f32_e32 v38, 0xb102e308, v36
	v_pk_add_f32 v[36:37], v[34:35], v[38:39]
	v_sub_f32_e32 v39, v37, v39
	v_sub_f32_e32 v39, v35, v39
	v_add_f32_e32 v41, v41, v39
	v_mov_b32_e32 v40, v34
	v_pk_add_f32 v[34:35], v[36:37], v[34:35] neg_lo:[0,1] neg_hi:[0,1]
	v_pk_add_f32 v[42:43], v[36:37], v[40:41]
	v_mov_b32_e32 v35, v43
	v_mov_b32_e32 v39, v36
	v_pk_add_f32 v[44:45], v[38:39], v[34:35] neg_lo:[0,1] neg_hi:[0,1]
	v_pk_add_f32 v[34:35], v[38:39], v[34:35]
	v_mov_b32_e32 v38, v35
	v_pk_add_f32 v[46:47], v[38:39], v[36:37] neg_lo:[0,1] neg_hi:[0,1]
	v_mov_b32_e32 v39, v46
	v_pk_add_f32 v[48:49], v[42:43], v[38:39] neg_lo:[0,1] neg_hi:[0,1]
	v_mov_b32_e32 v34, v43
	v_mov_b32_e32 v42, v37
	;; [unrolled: 1-line block ×4, first 2 shown]
	v_pk_add_f32 v[34:35], v[34:35], v[42:43] neg_lo:[0,1] neg_hi:[0,1]
	v_mov_b32_e32 v40, v41
	v_mov_b32_e32 v41, v36
	v_pk_add_f32 v[34:35], v[40:41], v[34:35] neg_lo:[0,1] neg_hi:[0,1]
	v_mov_b32_e32 v48, v44
	v_pk_add_f32 v[36:37], v[48:49], v[34:35]
	v_mov_b32_e32 v40, v37
	v_pk_add_f32 v[40:41], v[36:37], v[40:41]
	v_pk_add_f32 v[38:39], v[38:39], v[40:41]
	v_mov_b32_e32 v37, v38
	v_pk_add_f32 v[42:43], v[36:37], v[44:45] neg_lo:[0,1] neg_hi:[0,1]
	v_mov_b32_e32 v35, v40
	v_sub_f32_e32 v36, v36, v42
	v_pk_add_f32 v[34:35], v[34:35], v[42:43] neg_lo:[0,1] neg_hi:[0,1]
	v_sub_f32_e32 v36, v44, v36
	s_mov_b32 s3, 0x7f800000
	v_add_f32_e32 v34, v34, v36
	s_mov_b32 s2, 0x33800000
	v_add_f32_e32 v34, v34, v35
	v_cmp_eq_f32_e32 vcc, s3, v50
	v_cmp_lt_f32_e64 s[2:3], |v50|, s2
	v_add_f32_e32 v34, v38, v34
	s_or_b64 vcc, vcc, s[2:3]
	v_cndmask_b32_e32 v34, v34, v50, vcc
	v_add_f32_e32 v32, v32, v34
	v_cvt_f16_f32_e32 v35, v32
.LBB431_103:
	s_or_b64 exec, exec, s[4:5]
	v_and_b32_e32 v34, 0xffff, v35
	v_mov_b32_e32 v32, v35
.LBB431_104:
	s_or_b64 exec, exec, s[0:1]
	v_mov_b32_dpp v35, v34 row_shr:4 row_mask:0xf bank_mask:0xf
	v_cmp_lt_u32_e32 vcc, 3, v33
	s_and_saveexec_b64 s[0:1], vcc
	s_cbranch_execz .LBB431_108
; %bb.105:
	v_cvt_f32_f16_e32 v36, v35
	v_cvt_f32_f16_e32 v37, v32
	v_cmp_u_f16_e32 vcc, v35, v35
	v_cmp_u_f16_e64 s[4:5], v32, v32
	s_movk_i32 s2, 0x1f8
	v_min_f32_e32 v32, v36, v37
	v_cndmask_b32_e32 v32, v32, v36, vcc
	v_cndmask_b32_e64 v34, v32, v37, s[4:5]
	v_max_f32_e32 v32, v36, v37
	v_cndmask_b32_e32 v32, v32, v36, vcc
	v_cndmask_b32_e64 v32, v32, v37, s[4:5]
	v_cmp_neq_f32_e32 vcc, v34, v32
	v_cmp_class_f32_e64 s[2:3], v34, s2
	s_or_b64 s[2:3], vcc, s[2:3]
	s_and_saveexec_b64 s[4:5], s[2:3]
	s_cbranch_execz .LBB431_107
; %bb.106:
	v_sub_f32_e32 v34, v34, v32
	s_mov_b32 s2, 0x3fb8aa3b
	v_mul_f32_e32 v35, 0x3fb8aa3b, v34
	v_fma_f32 v36, v34, s2, -v35
	v_rndne_f32_e32 v37, v35
	v_fmac_f32_e32 v36, 0x32a5705f, v34
	v_sub_f32_e32 v35, v35, v37
	v_add_f32_e32 v35, v35, v36
	v_exp_f32_e32 v35, v35
	v_cvt_i32_f32_e32 v36, v37
	s_mov_b32 s2, 0xc2ce8ed0
	v_cmp_ngt_f32_e32 vcc, s2, v34
	s_mov_b32 s2, 0x42b17218
	v_ldexp_f32 v35, v35, v36
	v_cndmask_b32_e32 v35, 0, v35, vcc
	v_mov_b32_e32 v36, 0x7f800000
	v_cmp_nlt_f32_e32 vcc, s2, v34
	v_cndmask_b32_e32 v50, v36, v35, vcc
	v_add_f32_e32 v36, 1.0, v50
	v_add_f32_e32 v34, -1.0, v36
	v_sub_f32_e32 v35, v34, v36
	v_add_f32_e32 v35, 1.0, v35
	v_sub_f32_e32 v34, v50, v34
	v_add_f32_e32 v37, v34, v35
	v_frexp_mant_f32_e32 v38, v36
	s_mov_b32 s2, 0x3f2aaaab
	v_cvt_f64_f32_e32 v[34:35], v36
	v_frexp_exp_i32_f64_e32 v34, v[34:35]
	v_cmp_gt_f32_e32 vcc, s2, v38
	v_subbrev_co_u32_e32 v42, vcc, 0, v34, vcc
	v_sub_u32_e32 v34, 0, v42
	v_ldexp_f32 v35, v36, v34
	v_add_f32_e32 v36, -1.0, v35
	v_add_f32_e32 v38, 1.0, v35
	v_ldexp_f32 v34, v37, v34
	v_add_f32_e32 v37, 1.0, v36
	v_add_f32_e32 v39, -1.0, v38
	v_sub_f32_e32 v37, v35, v37
	v_sub_f32_e32 v35, v35, v39
	v_add_f32_e32 v37, v34, v37
	v_add_f32_e32 v34, v34, v35
	;; [unrolled: 1-line block ×3, first 2 shown]
	v_rcp_f32_e32 v45, v43
	v_sub_f32_e32 v35, v38, v43
	v_add_f32_e32 v44, v34, v35
	v_add_f32_e32 v35, v36, v37
	v_mul_f32_e32 v47, v35, v45
	v_sub_f32_e32 v34, v36, v35
	v_mul_f32_e32 v36, v43, v47
	v_fma_f32 v38, v47, v43, -v36
	v_fmac_f32_e32 v38, v47, v44
	v_add_f32_e32 v46, v37, v34
	v_add_f32_e32 v34, v36, v38
	v_sub_f32_e32 v37, v35, v34
	v_pk_add_f32 v[40:41], v[34:35], v[36:37] neg_lo:[0,1] neg_hi:[0,1]
	v_mov_b32_e32 v39, v34
	v_pk_add_f32 v[34:35], v[40:41], v[38:39] neg_lo:[0,1] neg_hi:[0,1]
	v_add_f32_e32 v35, v46, v35
	v_add_f32_e32 v34, v34, v35
	;; [unrolled: 1-line block ×3, first 2 shown]
	v_mul_f32_e32 v46, v45, v35
	v_mul_f32_e32 v36, v43, v46
	v_fma_f32 v38, v46, v43, -v36
	v_fmac_f32_e32 v38, v46, v44
	v_sub_f32_e32 v37, v37, v35
	v_add_f32_e32 v43, v34, v37
	v_add_f32_e32 v34, v36, v38
	v_sub_f32_e32 v37, v35, v34
	v_pk_add_f32 v[40:41], v[34:35], v[36:37] neg_lo:[0,1] neg_hi:[0,1]
	v_mov_b32_e32 v39, v34
	v_pk_add_f32 v[34:35], v[40:41], v[38:39] neg_lo:[0,1] neg_hi:[0,1]
	v_add_f32_e32 v35, v43, v35
	v_add_f32_e32 v34, v34, v35
	;; [unrolled: 1-line block ×4, first 2 shown]
	v_sub_f32_e32 v35, v37, v47
	v_mul_f32_e32 v34, v45, v34
	v_sub_f32_e32 v35, v46, v35
	v_add_f32_e32 v34, v35, v34
	v_add_f32_e32 v38, v37, v34
	v_mul_f32_e32 v40, v38, v38
	v_mov_b32_e32 v36, 0x3ecc95a3
	v_fmac_f32_e32 v36, 0x3e9b6dac, v40
	v_mov_b32_e32 v35, 0x3f2aaada
	v_fmac_f32_e32 v35, v40, v36
	v_cvt_f32_i32_e32 v36, v42
	v_sub_f32_e32 v37, v38, v37
	v_sub_f32_e32 v34, v34, v37
	v_ldexp_f32 v41, v34, 1
	v_mul_f32_e32 v37, v38, v40
	v_mov_b32_e32 v34, 0x3f317218
	s_mov_b32 s2, 0x3f317218
	v_pk_mul_f32 v[34:35], v[36:37], v[34:35]
	v_ldexp_f32 v39, v38, 1
	v_fma_f32 v38, v36, s2, -v34
	v_fmac_f32_e32 v38, 0xb102e308, v36
	v_pk_add_f32 v[36:37], v[34:35], v[38:39]
	v_sub_f32_e32 v39, v37, v39
	v_sub_f32_e32 v39, v35, v39
	v_add_f32_e32 v41, v41, v39
	v_mov_b32_e32 v40, v34
	v_pk_add_f32 v[34:35], v[36:37], v[34:35] neg_lo:[0,1] neg_hi:[0,1]
	v_pk_add_f32 v[42:43], v[36:37], v[40:41]
	v_mov_b32_e32 v35, v43
	v_mov_b32_e32 v39, v36
	v_pk_add_f32 v[44:45], v[38:39], v[34:35] neg_lo:[0,1] neg_hi:[0,1]
	v_pk_add_f32 v[34:35], v[38:39], v[34:35]
	v_mov_b32_e32 v38, v35
	v_pk_add_f32 v[46:47], v[38:39], v[36:37] neg_lo:[0,1] neg_hi:[0,1]
	v_mov_b32_e32 v39, v46
	v_pk_add_f32 v[48:49], v[42:43], v[38:39] neg_lo:[0,1] neg_hi:[0,1]
	v_mov_b32_e32 v34, v43
	v_mov_b32_e32 v42, v37
	;; [unrolled: 1-line block ×4, first 2 shown]
	v_pk_add_f32 v[34:35], v[34:35], v[42:43] neg_lo:[0,1] neg_hi:[0,1]
	v_mov_b32_e32 v40, v41
	v_mov_b32_e32 v41, v36
	v_pk_add_f32 v[34:35], v[40:41], v[34:35] neg_lo:[0,1] neg_hi:[0,1]
	v_mov_b32_e32 v48, v44
	v_pk_add_f32 v[36:37], v[48:49], v[34:35]
	v_mov_b32_e32 v40, v37
	v_pk_add_f32 v[40:41], v[36:37], v[40:41]
	v_pk_add_f32 v[38:39], v[38:39], v[40:41]
	v_mov_b32_e32 v37, v38
	v_pk_add_f32 v[42:43], v[36:37], v[44:45] neg_lo:[0,1] neg_hi:[0,1]
	v_mov_b32_e32 v35, v40
	v_sub_f32_e32 v36, v36, v42
	v_pk_add_f32 v[34:35], v[34:35], v[42:43] neg_lo:[0,1] neg_hi:[0,1]
	v_sub_f32_e32 v36, v44, v36
	s_mov_b32 s3, 0x7f800000
	v_add_f32_e32 v34, v34, v36
	s_mov_b32 s2, 0x33800000
	v_add_f32_e32 v34, v34, v35
	v_cmp_eq_f32_e32 vcc, s3, v50
	v_cmp_lt_f32_e64 s[2:3], |v50|, s2
	v_add_f32_e32 v34, v38, v34
	s_or_b64 vcc, vcc, s[2:3]
	v_cndmask_b32_e32 v34, v34, v50, vcc
	v_add_f32_e32 v32, v32, v34
	v_cvt_f16_f32_e32 v35, v32
.LBB431_107:
	s_or_b64 exec, exec, s[4:5]
	v_and_b32_e32 v34, 0xffff, v35
	v_mov_b32_e32 v32, v35
.LBB431_108:
	s_or_b64 exec, exec, s[0:1]
	v_mov_b32_dpp v35, v34 row_shr:8 row_mask:0xf bank_mask:0xf
	v_cmp_lt_u32_e32 vcc, 7, v33
	s_and_saveexec_b64 s[0:1], vcc
	s_cbranch_execz .LBB431_112
; %bb.109:
	v_cvt_f32_f16_e32 v34, v35
	v_cvt_f32_f16_e32 v36, v32
	v_cmp_u_f16_e32 vcc, v35, v35
	v_cmp_u_f16_e64 s[4:5], v32, v32
	s_movk_i32 s2, 0x1f8
	v_min_f32_e32 v32, v34, v36
	v_cndmask_b32_e32 v32, v32, v34, vcc
	v_cndmask_b32_e64 v33, v32, v36, s[4:5]
	v_max_f32_e32 v32, v34, v36
	v_cndmask_b32_e32 v32, v32, v34, vcc
	v_cndmask_b32_e64 v32, v32, v36, s[4:5]
	v_cmp_neq_f32_e32 vcc, v33, v32
	v_cmp_class_f32_e64 s[2:3], v33, s2
	s_or_b64 s[2:3], vcc, s[2:3]
	s_and_saveexec_b64 s[4:5], s[2:3]
	s_cbranch_execz .LBB431_111
; %bb.110:
	v_sub_f32_e32 v33, v33, v32
	s_mov_b32 s2, 0x3fb8aa3b
	v_mul_f32_e32 v34, 0x3fb8aa3b, v33
	v_fma_f32 v35, v33, s2, -v34
	v_rndne_f32_e32 v36, v34
	v_fmac_f32_e32 v35, 0x32a5705f, v33
	v_sub_f32_e32 v34, v34, v36
	v_add_f32_e32 v34, v34, v35
	v_exp_f32_e32 v34, v34
	v_cvt_i32_f32_e32 v35, v36
	s_mov_b32 s2, 0xc2ce8ed0
	v_cmp_ngt_f32_e32 vcc, s2, v33
	s_mov_b32 s2, 0x42b17218
	v_ldexp_f32 v34, v34, v35
	v_cndmask_b32_e32 v34, 0, v34, vcc
	v_mov_b32_e32 v35, 0x7f800000
	v_cmp_nlt_f32_e32 vcc, s2, v33
	v_cndmask_b32_e32 v50, v35, v34, vcc
	v_add_f32_e32 v33, 1.0, v50
	v_add_f32_e32 v34, -1.0, v33
	v_sub_f32_e32 v35, v34, v33
	v_add_f32_e32 v35, 1.0, v35
	v_sub_f32_e32 v34, v50, v34
	v_add_f32_e32 v36, v34, v35
	v_frexp_mant_f32_e32 v37, v33
	s_mov_b32 s2, 0x3f2aaaab
	v_cvt_f64_f32_e32 v[34:35], v33
	v_frexp_exp_i32_f64_e32 v34, v[34:35]
	v_cmp_gt_f32_e32 vcc, s2, v37
	v_subbrev_co_u32_e32 v42, vcc, 0, v34, vcc
	v_sub_u32_e32 v34, 0, v42
	v_ldexp_f32 v33, v33, v34
	v_ldexp_f32 v34, v36, v34
	v_add_f32_e32 v36, -1.0, v33
	v_add_f32_e32 v35, 1.0, v36
	v_sub_f32_e32 v35, v33, v35
	v_add_f32_e32 v37, v34, v35
	v_add_f32_e32 v35, 1.0, v33
	v_add_f32_e32 v38, -1.0, v35
	v_sub_f32_e32 v33, v33, v38
	v_add_f32_e32 v33, v34, v33
	v_add_f32_e32 v43, v35, v33
	v_rcp_f32_e32 v44, v43
	v_sub_f32_e32 v34, v35, v43
	v_add_f32_e32 v35, v36, v37
	v_add_f32_e32 v33, v33, v34
	v_mul_f32_e32 v46, v35, v44
	v_sub_f32_e32 v34, v36, v35
	v_mul_f32_e32 v36, v43, v46
	v_fma_f32 v38, v46, v43, -v36
	v_fmac_f32_e32 v38, v46, v33
	v_add_f32_e32 v45, v37, v34
	v_add_f32_e32 v34, v36, v38
	v_sub_f32_e32 v37, v35, v34
	v_pk_add_f32 v[40:41], v[34:35], v[36:37] neg_lo:[0,1] neg_hi:[0,1]
	v_mov_b32_e32 v39, v34
	v_pk_add_f32 v[34:35], v[40:41], v[38:39] neg_lo:[0,1] neg_hi:[0,1]
	v_add_f32_e32 v35, v45, v35
	v_add_f32_e32 v34, v34, v35
	;; [unrolled: 1-line block ×3, first 2 shown]
	v_mul_f32_e32 v45, v44, v35
	v_mul_f32_e32 v36, v43, v45
	v_fma_f32 v38, v45, v43, -v36
	v_fmac_f32_e32 v38, v45, v33
	v_sub_f32_e32 v33, v37, v35
	v_add_f32_e32 v33, v34, v33
	v_add_f32_e32 v34, v36, v38
	v_sub_f32_e32 v37, v35, v34
	v_pk_add_f32 v[40:41], v[34:35], v[36:37] neg_lo:[0,1] neg_hi:[0,1]
	v_mov_b32_e32 v39, v34
	v_pk_add_f32 v[34:35], v[40:41], v[38:39] neg_lo:[0,1] neg_hi:[0,1]
	v_add_f32_e32 v33, v33, v35
	v_add_f32_e32 v33, v34, v33
	;; [unrolled: 1-line block ×4, first 2 shown]
	v_sub_f32_e32 v35, v34, v46
	v_mul_f32_e32 v33, v44, v33
	v_sub_f32_e32 v35, v45, v35
	v_add_f32_e32 v33, v35, v33
	v_add_f32_e32 v37, v34, v33
	v_mul_f32_e32 v38, v37, v37
	v_mov_b32_e32 v36, 0x3ecc95a3
	v_fmac_f32_e32 v36, 0x3e9b6dac, v38
	v_mov_b32_e32 v35, 0x3f2aaada
	v_fmac_f32_e32 v35, v38, v36
	v_cvt_f32_i32_e32 v36, v42
	v_sub_f32_e32 v34, v37, v34
	v_sub_f32_e32 v33, v33, v34
	v_ldexp_f32 v39, v37, 1
	v_mul_f32_e32 v37, v37, v38
	v_mov_b32_e32 v34, 0x3f317218
	s_mov_b32 s2, 0x3f317218
	v_pk_mul_f32 v[34:35], v[36:37], v[34:35]
	v_fma_f32 v38, v36, s2, -v34
	v_fmac_f32_e32 v38, 0xb102e308, v36
	v_pk_add_f32 v[36:37], v[34:35], v[38:39]
	v_sub_f32_e32 v39, v37, v39
	v_ldexp_f32 v33, v33, 1
	v_sub_f32_e32 v39, v35, v39
	v_add_f32_e32 v41, v33, v39
	v_mov_b32_e32 v40, v34
	v_pk_add_f32 v[34:35], v[36:37], v[34:35] neg_lo:[0,1] neg_hi:[0,1]
	v_pk_add_f32 v[42:43], v[36:37], v[40:41]
	v_mov_b32_e32 v35, v43
	v_mov_b32_e32 v39, v36
	v_pk_add_f32 v[44:45], v[38:39], v[34:35] neg_lo:[0,1] neg_hi:[0,1]
	v_pk_add_f32 v[34:35], v[38:39], v[34:35]
	v_mov_b32_e32 v38, v35
	v_pk_add_f32 v[46:47], v[38:39], v[36:37] neg_lo:[0,1] neg_hi:[0,1]
	v_mov_b32_e32 v33, v46
	v_pk_add_f32 v[48:49], v[42:43], v[32:33] neg_lo:[0,1] neg_hi:[0,1]
	v_mov_b32_e32 v34, v43
	v_mov_b32_e32 v42, v37
	;; [unrolled: 1-line block ×4, first 2 shown]
	v_pk_add_f32 v[34:35], v[34:35], v[42:43] neg_lo:[0,1] neg_hi:[0,1]
	v_mov_b32_e32 v40, v41
	v_mov_b32_e32 v41, v36
	v_pk_add_f32 v[34:35], v[40:41], v[34:35] neg_lo:[0,1] neg_hi:[0,1]
	v_mov_b32_e32 v48, v44
	v_pk_add_f32 v[36:37], v[48:49], v[34:35]
	v_mov_b32_e32 v40, v37
	v_pk_add_f32 v[40:41], v[36:37], v[40:41]
	v_pk_add_f32 v[38:39], v[38:39], v[40:41]
	v_mov_b32_e32 v37, v38
	v_pk_add_f32 v[42:43], v[36:37], v[44:45] neg_lo:[0,1] neg_hi:[0,1]
	v_mov_b32_e32 v35, v40
	v_sub_f32_e32 v33, v36, v42
	v_pk_add_f32 v[34:35], v[34:35], v[42:43] neg_lo:[0,1] neg_hi:[0,1]
	v_sub_f32_e32 v33, v44, v33
	s_mov_b32 s3, 0x7f800000
	v_add_f32_e32 v33, v34, v33
	s_mov_b32 s2, 0x33800000
	v_add_f32_e32 v33, v33, v35
	v_cmp_eq_f32_e32 vcc, s3, v50
	v_cmp_lt_f32_e64 s[2:3], |v50|, s2
	v_add_f32_e32 v33, v38, v33
	s_or_b64 vcc, vcc, s[2:3]
	v_cndmask_b32_e32 v33, v33, v50, vcc
	v_add_f32_e32 v32, v32, v33
	v_cvt_f16_f32_e32 v35, v32
.LBB431_111:
	s_or_b64 exec, exec, s[4:5]
	v_and_b32_e32 v34, 0xffff, v35
	v_mov_b32_e32 v32, v35
.LBB431_112:
	s_or_b64 exec, exec, s[0:1]
	v_and_b32_e32 v35, 16, v31
	v_mov_b32_dpp v33, v34 row_bcast:15 row_mask:0xf bank_mask:0xf
	v_cmp_ne_u32_e32 vcc, 0, v35
	s_and_saveexec_b64 s[0:1], vcc
	s_cbranch_execz .LBB431_116
; %bb.113:
	v_cvt_f32_f16_e32 v35, v33
	v_cvt_f32_f16_e32 v36, v32
	v_cmp_u_f16_e32 vcc, v33, v33
	v_cmp_u_f16_e64 s[4:5], v32, v32
	s_movk_i32 s2, 0x1f8
	v_min_f32_e32 v32, v35, v36
	v_cndmask_b32_e32 v32, v32, v35, vcc
	v_cndmask_b32_e64 v34, v32, v36, s[4:5]
	v_max_f32_e32 v32, v35, v36
	v_cndmask_b32_e32 v32, v32, v35, vcc
	v_cndmask_b32_e64 v32, v32, v36, s[4:5]
	v_cmp_neq_f32_e32 vcc, v34, v32
	v_cmp_class_f32_e64 s[2:3], v34, s2
	s_or_b64 s[2:3], vcc, s[2:3]
	s_and_saveexec_b64 s[4:5], s[2:3]
	s_cbranch_execz .LBB431_115
; %bb.114:
	v_sub_f32_e32 v33, v34, v32
	s_mov_b32 s2, 0x3fb8aa3b
	v_mul_f32_e32 v34, 0x3fb8aa3b, v33
	v_fma_f32 v35, v33, s2, -v34
	v_rndne_f32_e32 v36, v34
	v_fmac_f32_e32 v35, 0x32a5705f, v33
	v_sub_f32_e32 v34, v34, v36
	v_add_f32_e32 v34, v34, v35
	v_exp_f32_e32 v34, v34
	v_cvt_i32_f32_e32 v35, v36
	s_mov_b32 s2, 0xc2ce8ed0
	v_cmp_ngt_f32_e32 vcc, s2, v33
	s_mov_b32 s2, 0x42b17218
	v_ldexp_f32 v34, v34, v35
	v_cndmask_b32_e32 v34, 0, v34, vcc
	v_mov_b32_e32 v35, 0x7f800000
	v_cmp_nlt_f32_e32 vcc, s2, v33
	v_cndmask_b32_e32 v50, v35, v34, vcc
	v_add_f32_e32 v33, 1.0, v50
	v_add_f32_e32 v34, -1.0, v33
	v_sub_f32_e32 v35, v34, v33
	v_add_f32_e32 v35, 1.0, v35
	v_sub_f32_e32 v34, v50, v34
	v_add_f32_e32 v36, v34, v35
	v_frexp_mant_f32_e32 v37, v33
	s_mov_b32 s2, 0x3f2aaaab
	v_cvt_f64_f32_e32 v[34:35], v33
	v_frexp_exp_i32_f64_e32 v34, v[34:35]
	v_cmp_gt_f32_e32 vcc, s2, v37
	v_subbrev_co_u32_e32 v42, vcc, 0, v34, vcc
	v_sub_u32_e32 v34, 0, v42
	v_ldexp_f32 v33, v33, v34
	v_ldexp_f32 v34, v36, v34
	v_add_f32_e32 v36, -1.0, v33
	v_add_f32_e32 v35, 1.0, v36
	v_sub_f32_e32 v35, v33, v35
	v_add_f32_e32 v37, v34, v35
	v_add_f32_e32 v35, 1.0, v33
	v_add_f32_e32 v38, -1.0, v35
	v_sub_f32_e32 v33, v33, v38
	v_add_f32_e32 v33, v34, v33
	v_add_f32_e32 v43, v35, v33
	v_rcp_f32_e32 v44, v43
	v_sub_f32_e32 v34, v35, v43
	v_add_f32_e32 v35, v36, v37
	v_add_f32_e32 v33, v33, v34
	v_mul_f32_e32 v46, v35, v44
	v_sub_f32_e32 v34, v36, v35
	v_mul_f32_e32 v36, v43, v46
	v_fma_f32 v38, v46, v43, -v36
	v_fmac_f32_e32 v38, v46, v33
	v_add_f32_e32 v45, v37, v34
	v_add_f32_e32 v34, v36, v38
	v_sub_f32_e32 v37, v35, v34
	v_pk_add_f32 v[40:41], v[34:35], v[36:37] neg_lo:[0,1] neg_hi:[0,1]
	v_mov_b32_e32 v39, v34
	v_pk_add_f32 v[34:35], v[40:41], v[38:39] neg_lo:[0,1] neg_hi:[0,1]
	v_add_f32_e32 v35, v45, v35
	v_add_f32_e32 v34, v34, v35
	;; [unrolled: 1-line block ×3, first 2 shown]
	v_mul_f32_e32 v45, v44, v35
	v_mul_f32_e32 v36, v43, v45
	v_fma_f32 v38, v45, v43, -v36
	v_fmac_f32_e32 v38, v45, v33
	v_sub_f32_e32 v33, v37, v35
	v_add_f32_e32 v33, v34, v33
	v_add_f32_e32 v34, v36, v38
	v_sub_f32_e32 v37, v35, v34
	v_pk_add_f32 v[40:41], v[34:35], v[36:37] neg_lo:[0,1] neg_hi:[0,1]
	v_mov_b32_e32 v39, v34
	v_pk_add_f32 v[34:35], v[40:41], v[38:39] neg_lo:[0,1] neg_hi:[0,1]
	v_add_f32_e32 v33, v33, v35
	v_add_f32_e32 v33, v34, v33
	;; [unrolled: 1-line block ×4, first 2 shown]
	v_sub_f32_e32 v35, v34, v46
	v_mul_f32_e32 v33, v44, v33
	v_sub_f32_e32 v35, v45, v35
	v_add_f32_e32 v33, v35, v33
	v_add_f32_e32 v37, v34, v33
	v_mul_f32_e32 v38, v37, v37
	v_mov_b32_e32 v36, 0x3ecc95a3
	v_fmac_f32_e32 v36, 0x3e9b6dac, v38
	v_mov_b32_e32 v35, 0x3f2aaada
	v_fmac_f32_e32 v35, v38, v36
	v_cvt_f32_i32_e32 v36, v42
	v_sub_f32_e32 v34, v37, v34
	v_sub_f32_e32 v33, v33, v34
	v_ldexp_f32 v39, v37, 1
	v_mul_f32_e32 v37, v37, v38
	v_mov_b32_e32 v34, 0x3f317218
	s_mov_b32 s2, 0x3f317218
	v_pk_mul_f32 v[34:35], v[36:37], v[34:35]
	v_fma_f32 v38, v36, s2, -v34
	v_fmac_f32_e32 v38, 0xb102e308, v36
	v_pk_add_f32 v[36:37], v[34:35], v[38:39]
	v_sub_f32_e32 v39, v37, v39
	v_ldexp_f32 v33, v33, 1
	v_sub_f32_e32 v39, v35, v39
	v_add_f32_e32 v41, v33, v39
	v_mov_b32_e32 v40, v34
	v_pk_add_f32 v[34:35], v[36:37], v[34:35] neg_lo:[0,1] neg_hi:[0,1]
	v_pk_add_f32 v[42:43], v[36:37], v[40:41]
	v_mov_b32_e32 v35, v43
	v_mov_b32_e32 v39, v36
	v_pk_add_f32 v[44:45], v[38:39], v[34:35] neg_lo:[0,1] neg_hi:[0,1]
	v_pk_add_f32 v[34:35], v[38:39], v[34:35]
	v_mov_b32_e32 v38, v35
	v_pk_add_f32 v[46:47], v[38:39], v[36:37] neg_lo:[0,1] neg_hi:[0,1]
	v_mov_b32_e32 v33, v46
	v_pk_add_f32 v[48:49], v[42:43], v[32:33] neg_lo:[0,1] neg_hi:[0,1]
	v_mov_b32_e32 v34, v43
	v_mov_b32_e32 v42, v37
	;; [unrolled: 1-line block ×4, first 2 shown]
	v_pk_add_f32 v[34:35], v[34:35], v[42:43] neg_lo:[0,1] neg_hi:[0,1]
	v_mov_b32_e32 v40, v41
	v_mov_b32_e32 v41, v36
	v_pk_add_f32 v[34:35], v[40:41], v[34:35] neg_lo:[0,1] neg_hi:[0,1]
	v_mov_b32_e32 v48, v44
	v_pk_add_f32 v[36:37], v[48:49], v[34:35]
	v_mov_b32_e32 v40, v37
	v_pk_add_f32 v[40:41], v[36:37], v[40:41]
	v_pk_add_f32 v[38:39], v[38:39], v[40:41]
	v_mov_b32_e32 v37, v38
	v_pk_add_f32 v[42:43], v[36:37], v[44:45] neg_lo:[0,1] neg_hi:[0,1]
	v_mov_b32_e32 v35, v40
	v_sub_f32_e32 v33, v36, v42
	v_pk_add_f32 v[34:35], v[34:35], v[42:43] neg_lo:[0,1] neg_hi:[0,1]
	v_sub_f32_e32 v33, v44, v33
	s_mov_b32 s3, 0x7f800000
	v_add_f32_e32 v33, v34, v33
	s_mov_b32 s2, 0x33800000
	v_add_f32_e32 v33, v33, v35
	v_cmp_eq_f32_e32 vcc, s3, v50
	v_cmp_lt_f32_e64 s[2:3], |v50|, s2
	v_add_f32_e32 v33, v38, v33
	s_or_b64 vcc, vcc, s[2:3]
	v_cndmask_b32_e32 v33, v33, v50, vcc
	v_add_f32_e32 v32, v32, v33
	v_cvt_f16_f32_e32 v33, v32
.LBB431_115:
	s_or_b64 exec, exec, s[4:5]
	v_and_b32_e32 v34, 0xffff, v33
	v_mov_b32_e32 v32, v33
.LBB431_116:
	s_or_b64 exec, exec, s[0:1]
	v_mov_b32_dpp v33, v34 row_bcast:31 row_mask:0xf bank_mask:0xf
	v_cmp_lt_u32_e32 vcc, 31, v31
	s_and_saveexec_b64 s[0:1], vcc
	s_cbranch_execz .LBB431_120
; %bb.117:
	v_cvt_f32_f16_e32 v35, v33
	v_cvt_f32_f16_e32 v36, v32
	v_cmp_u_f16_e32 vcc, v33, v33
	v_cmp_u_f16_e64 s[4:5], v32, v32
	s_movk_i32 s2, 0x1f8
	v_min_f32_e32 v32, v35, v36
	v_cndmask_b32_e32 v32, v32, v35, vcc
	v_cndmask_b32_e64 v34, v32, v36, s[4:5]
	v_max_f32_e32 v32, v35, v36
	v_cndmask_b32_e32 v32, v32, v35, vcc
	v_cndmask_b32_e64 v32, v32, v36, s[4:5]
	v_cmp_neq_f32_e32 vcc, v34, v32
	v_cmp_class_f32_e64 s[2:3], v34, s2
	s_or_b64 s[2:3], vcc, s[2:3]
	s_and_saveexec_b64 s[4:5], s[2:3]
	s_cbranch_execz .LBB431_119
; %bb.118:
	v_sub_f32_e32 v33, v34, v32
	s_mov_b32 s2, 0x3fb8aa3b
	v_mul_f32_e32 v34, 0x3fb8aa3b, v33
	v_fma_f32 v35, v33, s2, -v34
	v_rndne_f32_e32 v36, v34
	v_fmac_f32_e32 v35, 0x32a5705f, v33
	v_sub_f32_e32 v34, v34, v36
	v_add_f32_e32 v34, v34, v35
	v_exp_f32_e32 v34, v34
	v_cvt_i32_f32_e32 v35, v36
	s_mov_b32 s2, 0xc2ce8ed0
	v_cmp_ngt_f32_e32 vcc, s2, v33
	s_mov_b32 s2, 0x42b17218
	v_ldexp_f32 v34, v34, v35
	v_cndmask_b32_e32 v34, 0, v34, vcc
	v_mov_b32_e32 v35, 0x7f800000
	v_cmp_nlt_f32_e32 vcc, s2, v33
	v_cndmask_b32_e32 v50, v35, v34, vcc
	v_add_f32_e32 v33, 1.0, v50
	v_add_f32_e32 v34, -1.0, v33
	v_sub_f32_e32 v35, v34, v33
	v_add_f32_e32 v35, 1.0, v35
	v_sub_f32_e32 v34, v50, v34
	v_add_f32_e32 v36, v34, v35
	v_frexp_mant_f32_e32 v37, v33
	s_mov_b32 s2, 0x3f2aaaab
	v_cvt_f64_f32_e32 v[34:35], v33
	v_frexp_exp_i32_f64_e32 v34, v[34:35]
	v_cmp_gt_f32_e32 vcc, s2, v37
	v_subbrev_co_u32_e32 v42, vcc, 0, v34, vcc
	v_sub_u32_e32 v34, 0, v42
	v_ldexp_f32 v33, v33, v34
	v_ldexp_f32 v34, v36, v34
	v_add_f32_e32 v36, -1.0, v33
	v_add_f32_e32 v35, 1.0, v36
	v_sub_f32_e32 v35, v33, v35
	v_add_f32_e32 v37, v34, v35
	v_add_f32_e32 v35, 1.0, v33
	v_add_f32_e32 v38, -1.0, v35
	v_sub_f32_e32 v33, v33, v38
	v_add_f32_e32 v33, v34, v33
	v_add_f32_e32 v43, v35, v33
	v_rcp_f32_e32 v44, v43
	v_sub_f32_e32 v34, v35, v43
	v_add_f32_e32 v35, v36, v37
	v_add_f32_e32 v33, v33, v34
	v_mul_f32_e32 v46, v35, v44
	v_sub_f32_e32 v34, v36, v35
	v_mul_f32_e32 v36, v43, v46
	v_fma_f32 v38, v46, v43, -v36
	v_fmac_f32_e32 v38, v46, v33
	v_add_f32_e32 v45, v37, v34
	v_add_f32_e32 v34, v36, v38
	v_sub_f32_e32 v37, v35, v34
	v_pk_add_f32 v[40:41], v[34:35], v[36:37] neg_lo:[0,1] neg_hi:[0,1]
	v_mov_b32_e32 v39, v34
	v_pk_add_f32 v[34:35], v[40:41], v[38:39] neg_lo:[0,1] neg_hi:[0,1]
	v_add_f32_e32 v35, v45, v35
	v_add_f32_e32 v34, v34, v35
	;; [unrolled: 1-line block ×3, first 2 shown]
	v_mul_f32_e32 v45, v44, v35
	v_mul_f32_e32 v36, v43, v45
	v_fma_f32 v38, v45, v43, -v36
	v_fmac_f32_e32 v38, v45, v33
	v_sub_f32_e32 v33, v37, v35
	v_add_f32_e32 v33, v34, v33
	v_add_f32_e32 v34, v36, v38
	v_sub_f32_e32 v37, v35, v34
	v_pk_add_f32 v[40:41], v[34:35], v[36:37] neg_lo:[0,1] neg_hi:[0,1]
	v_mov_b32_e32 v39, v34
	v_pk_add_f32 v[34:35], v[40:41], v[38:39] neg_lo:[0,1] neg_hi:[0,1]
	v_add_f32_e32 v33, v33, v35
	v_add_f32_e32 v33, v34, v33
	;; [unrolled: 1-line block ×4, first 2 shown]
	v_sub_f32_e32 v35, v34, v46
	v_mul_f32_e32 v33, v44, v33
	v_sub_f32_e32 v35, v45, v35
	v_add_f32_e32 v33, v35, v33
	v_add_f32_e32 v37, v34, v33
	v_mul_f32_e32 v38, v37, v37
	v_mov_b32_e32 v36, 0x3ecc95a3
	v_fmac_f32_e32 v36, 0x3e9b6dac, v38
	v_mov_b32_e32 v35, 0x3f2aaada
	v_fmac_f32_e32 v35, v38, v36
	v_cvt_f32_i32_e32 v36, v42
	v_sub_f32_e32 v34, v37, v34
	v_sub_f32_e32 v33, v33, v34
	v_ldexp_f32 v39, v37, 1
	v_mul_f32_e32 v37, v37, v38
	v_mov_b32_e32 v34, 0x3f317218
	s_mov_b32 s2, 0x3f317218
	v_pk_mul_f32 v[34:35], v[36:37], v[34:35]
	v_fma_f32 v38, v36, s2, -v34
	v_fmac_f32_e32 v38, 0xb102e308, v36
	v_pk_add_f32 v[36:37], v[34:35], v[38:39]
	v_sub_f32_e32 v39, v37, v39
	v_ldexp_f32 v33, v33, 1
	v_sub_f32_e32 v39, v35, v39
	v_add_f32_e32 v41, v33, v39
	v_mov_b32_e32 v40, v34
	v_pk_add_f32 v[34:35], v[36:37], v[34:35] neg_lo:[0,1] neg_hi:[0,1]
	v_pk_add_f32 v[42:43], v[36:37], v[40:41]
	v_mov_b32_e32 v35, v43
	v_mov_b32_e32 v39, v36
	v_pk_add_f32 v[44:45], v[38:39], v[34:35] neg_lo:[0,1] neg_hi:[0,1]
	v_pk_add_f32 v[34:35], v[38:39], v[34:35]
	v_mov_b32_e32 v38, v35
	v_pk_add_f32 v[46:47], v[38:39], v[36:37] neg_lo:[0,1] neg_hi:[0,1]
	v_mov_b32_e32 v33, v46
	v_pk_add_f32 v[48:49], v[42:43], v[32:33] neg_lo:[0,1] neg_hi:[0,1]
	v_mov_b32_e32 v34, v43
	v_mov_b32_e32 v42, v37
	;; [unrolled: 1-line block ×4, first 2 shown]
	v_pk_add_f32 v[34:35], v[34:35], v[42:43] neg_lo:[0,1] neg_hi:[0,1]
	v_mov_b32_e32 v40, v41
	v_mov_b32_e32 v41, v36
	v_pk_add_f32 v[34:35], v[40:41], v[34:35] neg_lo:[0,1] neg_hi:[0,1]
	v_mov_b32_e32 v48, v44
	v_pk_add_f32 v[36:37], v[48:49], v[34:35]
	v_mov_b32_e32 v40, v37
	v_pk_add_f32 v[40:41], v[36:37], v[40:41]
	v_pk_add_f32 v[38:39], v[38:39], v[40:41]
	v_mov_b32_e32 v37, v38
	v_pk_add_f32 v[42:43], v[36:37], v[44:45] neg_lo:[0,1] neg_hi:[0,1]
	v_mov_b32_e32 v35, v40
	v_sub_f32_e32 v33, v36, v42
	v_pk_add_f32 v[34:35], v[34:35], v[42:43] neg_lo:[0,1] neg_hi:[0,1]
	v_sub_f32_e32 v33, v44, v33
	s_mov_b32 s3, 0x7f800000
	v_add_f32_e32 v33, v34, v33
	s_mov_b32 s2, 0x33800000
	v_add_f32_e32 v33, v33, v35
	v_cmp_eq_f32_e32 vcc, s3, v50
	v_cmp_lt_f32_e64 s[2:3], |v50|, s2
	v_add_f32_e32 v33, v38, v33
	s_or_b64 vcc, vcc, s[2:3]
	v_cndmask_b32_e32 v33, v33, v50, vcc
	v_add_f32_e32 v32, v32, v33
	v_cvt_f16_f32_e32 v33, v32
.LBB431_119:
	s_or_b64 exec, exec, s[4:5]
	v_mov_b32_e32 v32, v33
.LBB431_120:
	s_or_b64 exec, exec, s[0:1]
	v_cmp_eq_u32_e32 vcc, 63, v0
	s_and_saveexec_b64 s[0:1], vcc
	s_cbranch_execz .LBB431_122
; %bb.121:
	v_mov_b32_e32 v33, 0
	ds_write_b16 v33, v32
.LBB431_122:
	s_or_b64 exec, exec, s[0:1]
	v_add_u32_e32 v33, -1, v31
	v_and_b32_e32 v34, 64, v31
	v_cmp_lt_i32_e32 vcc, v33, v34
	v_cndmask_b32_e32 v31, v33, v31, vcc
	v_and_b32_e32 v32, 0xffff, v32
	v_lshlrev_b32_e32 v31, 2, v31
	ds_bpermute_b32 v32, v31, v32
	v_cmp_ne_u32_e32 vcc, 0, v0
	v_mov_b32_e32 v31, v2
	s_waitcnt lgkmcnt(0)
	; wave barrier
	s_waitcnt lgkmcnt(0)
	s_and_saveexec_b64 s[4:5], vcc
	s_cbranch_execz .LBB431_126
; %bb.123:
	v_cvt_f32_f16_e32 v33, v32
	v_max_f32_e32 v2, v15, v15
	v_cmp_u_f16_e32 vcc, v32, v32
	s_movk_i32 s0, 0x1f8
	v_min_f32_e32 v29, v33, v2
	v_max_f32_e32 v2, v33, v2
	v_cndmask_b32_e32 v29, v29, v33, vcc
	v_cndmask_b32_e32 v2, v2, v33, vcc
	v_cndmask_b32_e64 v29, v29, v15, s[94:95]
	v_cndmask_b32_e64 v2, v2, v15, s[94:95]
	v_cmp_neq_f32_e32 vcc, v29, v2
	v_cmp_class_f32_e64 s[0:1], v29, s0
	s_or_b64 s[2:3], vcc, s[0:1]
	s_and_saveexec_b64 s[0:1], s[2:3]
	s_cbranch_execz .LBB431_125
; %bb.124:
	v_sub_f32_e32 v15, v29, v2
	s_mov_b32 s2, 0x3fb8aa3b
	v_mul_f32_e32 v29, 0x3fb8aa3b, v15
	v_fma_f32 v30, v15, s2, -v29
	v_rndne_f32_e32 v31, v29
	v_fmac_f32_e32 v30, 0x32a5705f, v15
	v_sub_f32_e32 v29, v29, v31
	v_add_f32_e32 v29, v29, v30
	v_exp_f32_e32 v29, v29
	v_cvt_i32_f32_e32 v30, v31
	s_mov_b32 s2, 0xc2ce8ed0
	v_cmp_ngt_f32_e32 vcc, s2, v15
	s_mov_b32 s2, 0x42b17218
	v_ldexp_f32 v29, v29, v30
	v_cndmask_b32_e32 v29, 0, v29, vcc
	v_mov_b32_e32 v30, 0x7f800000
	v_cmp_nlt_f32_e32 vcc, s2, v15
	v_cndmask_b32_e32 v29, v30, v29, vcc
	v_add_f32_e32 v15, 1.0, v29
	v_add_f32_e32 v30, -1.0, v15
	v_sub_f32_e32 v31, v30, v15
	v_add_f32_e32 v31, 1.0, v31
	v_sub_f32_e32 v30, v29, v30
	v_add_f32_e32 v32, v30, v31
	v_frexp_mant_f32_e32 v33, v15
	s_mov_b32 s2, 0x3f2aaaab
	v_cvt_f64_f32_e32 v[30:31], v15
	v_frexp_exp_i32_f64_e32 v30, v[30:31]
	v_cmp_gt_f32_e32 vcc, s2, v33
	v_subbrev_co_u32_e32 v38, vcc, 0, v30, vcc
	v_sub_u32_e32 v30, 0, v38
	v_ldexp_f32 v15, v15, v30
	v_ldexp_f32 v30, v32, v30
	v_add_f32_e32 v32, -1.0, v15
	v_add_f32_e32 v31, 1.0, v32
	v_sub_f32_e32 v31, v15, v31
	v_add_f32_e32 v33, v30, v31
	v_add_f32_e32 v31, 1.0, v15
	v_add_f32_e32 v34, -1.0, v31
	v_sub_f32_e32 v15, v15, v34
	v_add_f32_e32 v15, v30, v15
	v_add_f32_e32 v39, v31, v15
	v_rcp_f32_e32 v40, v39
	v_sub_f32_e32 v30, v31, v39
	v_add_f32_e32 v31, v32, v33
	v_add_f32_e32 v15, v15, v30
	v_mul_f32_e32 v42, v31, v40
	v_sub_f32_e32 v30, v32, v31
	v_mul_f32_e32 v32, v39, v42
	v_fma_f32 v34, v42, v39, -v32
	v_fmac_f32_e32 v34, v42, v15
	v_add_f32_e32 v41, v33, v30
	v_add_f32_e32 v30, v32, v34
	v_sub_f32_e32 v33, v31, v30
	v_pk_add_f32 v[36:37], v[30:31], v[32:33] neg_lo:[0,1] neg_hi:[0,1]
	v_mov_b32_e32 v35, v30
	v_pk_add_f32 v[30:31], v[36:37], v[34:35] neg_lo:[0,1] neg_hi:[0,1]
	v_add_f32_e32 v31, v41, v31
	v_add_f32_e32 v30, v30, v31
	;; [unrolled: 1-line block ×3, first 2 shown]
	v_mul_f32_e32 v41, v40, v31
	v_mul_f32_e32 v32, v39, v41
	v_fma_f32 v34, v41, v39, -v32
	v_fmac_f32_e32 v34, v41, v15
	v_sub_f32_e32 v15, v33, v31
	v_add_f32_e32 v15, v30, v15
	v_add_f32_e32 v30, v32, v34
	v_sub_f32_e32 v33, v31, v30
	v_pk_add_f32 v[36:37], v[30:31], v[32:33] neg_lo:[0,1] neg_hi:[0,1]
	v_mov_b32_e32 v35, v30
	v_pk_add_f32 v[30:31], v[36:37], v[34:35] neg_lo:[0,1] neg_hi:[0,1]
	v_add_f32_e32 v15, v15, v31
	v_add_f32_e32 v15, v30, v15
	;; [unrolled: 1-line block ×4, first 2 shown]
	v_sub_f32_e32 v31, v30, v42
	v_mul_f32_e32 v15, v40, v15
	v_sub_f32_e32 v31, v41, v31
	v_add_f32_e32 v15, v31, v15
	v_add_f32_e32 v33, v30, v15
	v_mul_f32_e32 v34, v33, v33
	v_mov_b32_e32 v32, 0x3ecc95a3
	v_fmac_f32_e32 v32, 0x3e9b6dac, v34
	v_mov_b32_e32 v31, 0x3f2aaada
	v_fmac_f32_e32 v31, v34, v32
	v_cvt_f32_i32_e32 v32, v38
	v_sub_f32_e32 v30, v33, v30
	v_sub_f32_e32 v15, v15, v30
	v_ldexp_f32 v35, v33, 1
	v_mul_f32_e32 v33, v33, v34
	v_mov_b32_e32 v30, 0x3f317218
	s_mov_b32 s2, 0x3f317218
	v_pk_mul_f32 v[30:31], v[32:33], v[30:31]
	v_fma_f32 v34, v32, s2, -v30
	v_fmac_f32_e32 v34, 0xb102e308, v32
	v_pk_add_f32 v[32:33], v[30:31], v[34:35]
	v_sub_f32_e32 v35, v33, v35
	v_ldexp_f32 v15, v15, 1
	v_sub_f32_e32 v35, v31, v35
	v_add_f32_e32 v37, v15, v35
	v_mov_b32_e32 v36, v30
	v_pk_add_f32 v[30:31], v[32:33], v[30:31] neg_lo:[0,1] neg_hi:[0,1]
	v_pk_add_f32 v[38:39], v[32:33], v[36:37]
	v_mov_b32_e32 v31, v39
	v_mov_b32_e32 v35, v32
	v_pk_add_f32 v[40:41], v[34:35], v[30:31] neg_lo:[0,1] neg_hi:[0,1]
	v_pk_add_f32 v[30:31], v[34:35], v[30:31]
	v_mov_b32_e32 v34, v31
	v_pk_add_f32 v[42:43], v[34:35], v[32:33] neg_lo:[0,1] neg_hi:[0,1]
	v_mov_b32_e32 v15, v42
	v_pk_add_f32 v[44:45], v[38:39], v[14:15] neg_lo:[0,1] neg_hi:[0,1]
	v_mov_b32_e32 v30, v39
	v_mov_b32_e32 v38, v33
	;; [unrolled: 1-line block ×4, first 2 shown]
	v_pk_add_f32 v[30:31], v[30:31], v[38:39] neg_lo:[0,1] neg_hi:[0,1]
	v_mov_b32_e32 v36, v37
	v_mov_b32_e32 v37, v32
	v_pk_add_f32 v[30:31], v[36:37], v[30:31] neg_lo:[0,1] neg_hi:[0,1]
	v_mov_b32_e32 v44, v40
	v_pk_add_f32 v[32:33], v[44:45], v[30:31]
	v_mov_b32_e32 v36, v33
	v_pk_add_f32 v[36:37], v[32:33], v[36:37]
	v_pk_add_f32 v[34:35], v[34:35], v[36:37]
	v_mov_b32_e32 v33, v34
	v_pk_add_f32 v[38:39], v[32:33], v[40:41] neg_lo:[0,1] neg_hi:[0,1]
	v_mov_b32_e32 v31, v36
	v_sub_f32_e32 v15, v32, v38
	v_pk_add_f32 v[30:31], v[30:31], v[38:39] neg_lo:[0,1] neg_hi:[0,1]
	v_sub_f32_e32 v15, v40, v15
	s_mov_b32 s3, 0x7f800000
	v_add_f32_e32 v15, v30, v15
	s_mov_b32 s2, 0x33800000
	v_add_f32_e32 v15, v15, v31
	v_cmp_eq_f32_e32 vcc, s3, v29
	v_cmp_lt_f32_e64 s[2:3], |v29|, s2
	v_add_f32_e32 v15, v34, v15
	s_or_b64 vcc, vcc, s[2:3]
	v_cndmask_b32_e32 v15, v15, v29, vcc
	v_add_f32_e32 v2, v2, v15
	v_cvt_f16_f32_e32 v32, v2
	v_cvt_f32_f16_e32 v33, v32
.LBB431_125:
	s_or_b64 exec, exec, s[0:1]
	v_max_f32_e32 v2, v16, v16
	v_max_f32_e32 v15, v33, v33
	v_min_f32_e32 v29, v15, v2
	v_max_f32_e32 v30, v15, v2
	v_mov_b32_e32 v2, v32
	v_mov_b32_e32 v31, v32
	;; [unrolled: 1-line block ×3, first 2 shown]
	;;#ASMSTART
	;;#ASMEND
.LBB431_126:
	s_or_b64 exec, exec, s[4:5]
	v_cmp_u_f16_e32 vcc, v31, v31
	v_cndmask_b32_e32 v29, v29, v15, vcc
	v_cndmask_b32_e64 v32, v29, v16, s[48:49]
	v_cndmask_b32_e32 v29, v30, v15, vcc
	v_cndmask_b32_e64 v29, v29, v16, s[48:49]
	s_movk_i32 s4, 0x1f8
	v_cmp_neq_f32_e32 vcc, v32, v29
	v_cmp_class_f32_e64 s[0:1], v32, s4
	s_or_b64 s[2:3], vcc, s[0:1]
	v_mov_b32_e32 v16, v2
	s_and_saveexec_b64 s[0:1], s[2:3]
	s_cbranch_execz .LBB431_128
; %bb.127:
	v_sub_f32_e32 v15, v32, v29
	s_mov_b32 s2, 0x3fb8aa3b
	v_mul_f32_e32 v16, 0x3fb8aa3b, v15
	v_fma_f32 v30, v15, s2, -v16
	v_rndne_f32_e32 v31, v16
	v_fmac_f32_e32 v30, 0x32a5705f, v15
	v_sub_f32_e32 v16, v16, v31
	v_add_f32_e32 v16, v16, v30
	v_exp_f32_e32 v16, v16
	v_cvt_i32_f32_e32 v30, v31
	s_mov_b32 s2, 0xc2ce8ed0
	v_cmp_ngt_f32_e32 vcc, s2, v15
	s_mov_b32 s2, 0x42b17218
	v_ldexp_f32 v16, v16, v30
	v_cndmask_b32_e32 v16, 0, v16, vcc
	v_mov_b32_e32 v30, 0x7f800000
	v_cmp_nlt_f32_e32 vcc, s2, v15
	v_cndmask_b32_e32 v44, v30, v16, vcc
	v_add_f32_e32 v15, 1.0, v44
	v_add_f32_e32 v16, -1.0, v15
	v_sub_f32_e32 v30, v16, v15
	v_add_f32_e32 v30, 1.0, v30
	v_sub_f32_e32 v16, v44, v16
	v_add_f32_e32 v16, v16, v30
	v_frexp_mant_f32_e32 v32, v15
	s_mov_b32 s2, 0x3f2aaaab
	v_cvt_f64_f32_e32 v[30:31], v15
	v_frexp_exp_i32_f64_e32 v30, v[30:31]
	v_cmp_gt_f32_e32 vcc, s2, v32
	v_subbrev_co_u32_e32 v38, vcc, 0, v30, vcc
	v_sub_u32_e32 v30, 0, v38
	v_ldexp_f32 v15, v15, v30
	v_ldexp_f32 v16, v16, v30
	v_add_f32_e32 v30, -1.0, v15
	v_add_f32_e32 v31, 1.0, v30
	v_sub_f32_e32 v31, v15, v31
	v_add_f32_e32 v32, v16, v31
	v_add_f32_e32 v31, 1.0, v15
	v_add_f32_e32 v33, -1.0, v31
	v_sub_f32_e32 v15, v15, v33
	v_add_f32_e32 v15, v16, v15
	v_add_f32_e32 v16, v31, v15
	v_rcp_f32_e32 v39, v16
	v_sub_f32_e32 v31, v31, v16
	v_add_f32_e32 v15, v15, v31
	v_add_f32_e32 v31, v30, v32
	v_sub_f32_e32 v30, v30, v31
	v_mul_f32_e32 v41, v31, v39
	v_add_f32_e32 v40, v32, v30
	v_mul_f32_e32 v32, v16, v41
	v_fma_f32 v34, v41, v16, -v32
	v_fmac_f32_e32 v34, v41, v15
	v_add_f32_e32 v30, v32, v34
	v_sub_f32_e32 v33, v31, v30
	v_pk_add_f32 v[36:37], v[30:31], v[32:33] neg_lo:[0,1] neg_hi:[0,1]
	v_mov_b32_e32 v35, v30
	v_pk_add_f32 v[30:31], v[36:37], v[34:35] neg_lo:[0,1] neg_hi:[0,1]
	v_add_f32_e32 v31, v40, v31
	v_add_f32_e32 v30, v30, v31
	;; [unrolled: 1-line block ×3, first 2 shown]
	v_mul_f32_e32 v40, v39, v31
	v_mul_f32_e32 v32, v16, v40
	v_fma_f32 v34, v40, v16, -v32
	v_fmac_f32_e32 v34, v40, v15
	v_sub_f32_e32 v15, v33, v31
	v_add_f32_e32 v15, v30, v15
	v_add_f32_e32 v30, v32, v34
	v_sub_f32_e32 v33, v31, v30
	v_pk_add_f32 v[36:37], v[30:31], v[32:33] neg_lo:[0,1] neg_hi:[0,1]
	v_mov_b32_e32 v35, v30
	v_pk_add_f32 v[30:31], v[36:37], v[34:35] neg_lo:[0,1] neg_hi:[0,1]
	v_add_f32_e32 v15, v15, v31
	v_add_f32_e32 v15, v30, v15
	;; [unrolled: 1-line block ×4, first 2 shown]
	v_sub_f32_e32 v30, v16, v41
	v_mul_f32_e32 v15, v39, v15
	v_sub_f32_e32 v30, v40, v30
	v_add_f32_e32 v15, v30, v15
	v_add_f32_e32 v30, v16, v15
	v_mul_f32_e32 v33, v30, v30
	v_mov_b32_e32 v32, 0x3ecc95a3
	v_fmac_f32_e32 v32, 0x3e9b6dac, v33
	v_mov_b32_e32 v31, 0x3f2aaada
	v_fmac_f32_e32 v31, v33, v32
	v_cvt_f32_i32_e32 v32, v38
	v_sub_f32_e32 v16, v30, v16
	v_ldexp_f32 v35, v30, 1
	v_mul_f32_e32 v33, v30, v33
	v_mov_b32_e32 v30, 0x3f317218
	s_mov_b32 s2, 0x3f317218
	v_pk_mul_f32 v[30:31], v[32:33], v[30:31]
	v_fma_f32 v34, v32, s2, -v30
	v_fmac_f32_e32 v34, 0xb102e308, v32
	v_pk_add_f32 v[32:33], v[30:31], v[34:35]
	v_sub_f32_e32 v15, v15, v16
	v_sub_f32_e32 v16, v33, v35
	v_ldexp_f32 v15, v15, 1
	v_sub_f32_e32 v16, v31, v16
	v_add_f32_e32 v37, v15, v16
	v_mov_b32_e32 v36, v30
	v_pk_add_f32 v[30:31], v[32:33], v[30:31] neg_lo:[0,1] neg_hi:[0,1]
	v_pk_add_f32 v[38:39], v[32:33], v[36:37]
	v_mov_b32_e32 v31, v39
	v_mov_b32_e32 v35, v32
	v_pk_add_f32 v[40:41], v[34:35], v[30:31] neg_lo:[0,1] neg_hi:[0,1]
	v_pk_add_f32 v[30:31], v[34:35], v[30:31]
	v_mov_b32_e32 v16, v31
	v_pk_add_f32 v[34:35], v[16:17], v[32:33] neg_lo:[0,1] neg_hi:[0,1]
	v_mov_b32_e32 v15, v34
	v_pk_add_f32 v[42:43], v[38:39], v[14:15] neg_lo:[0,1] neg_hi:[0,1]
	v_mov_b32_e32 v30, v39
	v_mov_b32_e32 v38, v33
	;; [unrolled: 1-line block ×4, first 2 shown]
	v_pk_add_f32 v[30:31], v[30:31], v[38:39] neg_lo:[0,1] neg_hi:[0,1]
	v_mov_b32_e32 v34, v37
	v_mov_b32_e32 v35, v32
	v_pk_add_f32 v[30:31], v[34:35], v[30:31] neg_lo:[0,1] neg_hi:[0,1]
	v_mov_b32_e32 v42, v40
	v_pk_add_f32 v[32:33], v[42:43], v[30:31]
	v_mov_b32_e32 v34, v33
	v_pk_add_f32 v[34:35], v[32:33], v[34:35]
	v_pk_add_f32 v[36:37], v[16:17], v[34:35]
	v_mov_b32_e32 v33, v36
	v_pk_add_f32 v[38:39], v[32:33], v[40:41] neg_lo:[0,1] neg_hi:[0,1]
	v_mov_b32_e32 v31, v34
	v_sub_f32_e32 v15, v32, v38
	v_pk_add_f32 v[30:31], v[30:31], v[38:39] neg_lo:[0,1] neg_hi:[0,1]
	v_sub_f32_e32 v15, v40, v15
	s_mov_b32 s3, 0x7f800000
	v_add_f32_e32 v15, v30, v15
	s_mov_b32 s2, 0x33800000
	v_add_f32_e32 v15, v15, v31
	v_cmp_eq_f32_e32 vcc, s3, v44
	v_cmp_lt_f32_e64 s[2:3], |v44|, s2
	v_add_f32_e32 v15, v36, v15
	s_or_b64 vcc, vcc, s[2:3]
	v_cndmask_b32_e32 v15, v15, v44, vcc
	v_add_f32_e32 v15, v29, v15
	v_cvt_f16_f32_e32 v31, v15
	v_cvt_f32_f16_e32 v15, v31
	v_mov_b32_e32 v16, v31
.LBB431_128:
	s_or_b64 exec, exec, s[0:1]
	v_max_f32_e32 v29, v17, v17
	v_max_f32_e32 v32, v15, v15
	v_min_f32_e32 v30, v32, v29
	v_cmp_u_f16_e32 vcc, v31, v31
	v_max_f32_e32 v29, v32, v29
	v_cndmask_b32_e32 v30, v30, v15, vcc
	v_cndmask_b32_e32 v29, v29, v15, vcc
	v_cndmask_b32_e64 v30, v30, v17, s[50:51]
	v_cndmask_b32_e64 v29, v29, v17, s[50:51]
	v_cmp_neq_f32_e32 vcc, v30, v29
	v_cmp_class_f32_e64 s[0:1], v30, s4
	s_or_b64 s[2:3], vcc, s[0:1]
	v_mov_b32_e32 v17, v16
	s_and_saveexec_b64 s[0:1], s[2:3]
	s_cbranch_execz .LBB431_130
; %bb.129:
	v_sub_f32_e32 v15, v30, v29
	s_mov_b32 s2, 0x3fb8aa3b
	v_mul_f32_e32 v17, 0x3fb8aa3b, v15
	v_fma_f32 v30, v15, s2, -v17
	v_rndne_f32_e32 v31, v17
	v_fmac_f32_e32 v30, 0x32a5705f, v15
	v_sub_f32_e32 v17, v17, v31
	v_add_f32_e32 v17, v17, v30
	v_exp_f32_e32 v17, v17
	v_cvt_i32_f32_e32 v30, v31
	s_mov_b32 s2, 0xc2ce8ed0
	v_cmp_ngt_f32_e32 vcc, s2, v15
	s_mov_b32 s2, 0x42b17218
	v_ldexp_f32 v17, v17, v30
	v_cndmask_b32_e32 v17, 0, v17, vcc
	v_mov_b32_e32 v30, 0x7f800000
	v_cmp_nlt_f32_e32 vcc, s2, v15
	v_cndmask_b32_e32 v17, v30, v17, vcc
	v_add_f32_e32 v15, 1.0, v17
	v_add_f32_e32 v30, -1.0, v15
	v_sub_f32_e32 v31, v30, v15
	v_add_f32_e32 v31, 1.0, v31
	v_sub_f32_e32 v30, v17, v30
	v_add_f32_e32 v32, v30, v31
	v_frexp_mant_f32_e32 v33, v15
	s_mov_b32 s2, 0x3f2aaaab
	v_cvt_f64_f32_e32 v[30:31], v15
	v_frexp_exp_i32_f64_e32 v30, v[30:31]
	v_cmp_gt_f32_e32 vcc, s2, v33
	v_subbrev_co_u32_e32 v38, vcc, 0, v30, vcc
	v_sub_u32_e32 v30, 0, v38
	v_ldexp_f32 v15, v15, v30
	v_ldexp_f32 v30, v32, v30
	v_add_f32_e32 v32, -1.0, v15
	v_add_f32_e32 v31, 1.0, v32
	v_sub_f32_e32 v31, v15, v31
	v_add_f32_e32 v33, v30, v31
	v_add_f32_e32 v31, 1.0, v15
	v_add_f32_e32 v34, -1.0, v31
	v_sub_f32_e32 v15, v15, v34
	v_add_f32_e32 v15, v30, v15
	v_add_f32_e32 v39, v31, v15
	v_rcp_f32_e32 v40, v39
	v_sub_f32_e32 v30, v31, v39
	v_add_f32_e32 v31, v32, v33
	v_add_f32_e32 v15, v15, v30
	v_mul_f32_e32 v42, v31, v40
	v_sub_f32_e32 v30, v32, v31
	v_mul_f32_e32 v32, v39, v42
	v_fma_f32 v34, v42, v39, -v32
	v_fmac_f32_e32 v34, v42, v15
	v_add_f32_e32 v41, v33, v30
	v_add_f32_e32 v30, v32, v34
	v_sub_f32_e32 v33, v31, v30
	v_pk_add_f32 v[36:37], v[30:31], v[32:33] neg_lo:[0,1] neg_hi:[0,1]
	v_mov_b32_e32 v35, v30
	v_pk_add_f32 v[30:31], v[36:37], v[34:35] neg_lo:[0,1] neg_hi:[0,1]
	v_add_f32_e32 v31, v41, v31
	v_add_f32_e32 v30, v30, v31
	;; [unrolled: 1-line block ×3, first 2 shown]
	v_mul_f32_e32 v41, v40, v31
	v_mul_f32_e32 v32, v39, v41
	v_fma_f32 v34, v41, v39, -v32
	v_fmac_f32_e32 v34, v41, v15
	v_sub_f32_e32 v15, v33, v31
	v_add_f32_e32 v15, v30, v15
	v_add_f32_e32 v30, v32, v34
	v_sub_f32_e32 v33, v31, v30
	v_pk_add_f32 v[36:37], v[30:31], v[32:33] neg_lo:[0,1] neg_hi:[0,1]
	v_mov_b32_e32 v35, v30
	v_pk_add_f32 v[30:31], v[36:37], v[34:35] neg_lo:[0,1] neg_hi:[0,1]
	v_add_f32_e32 v15, v15, v31
	v_add_f32_e32 v15, v30, v15
	;; [unrolled: 1-line block ×4, first 2 shown]
	v_sub_f32_e32 v31, v30, v42
	v_mul_f32_e32 v15, v40, v15
	v_sub_f32_e32 v31, v41, v31
	v_add_f32_e32 v15, v31, v15
	v_add_f32_e32 v33, v30, v15
	v_mul_f32_e32 v34, v33, v33
	v_mov_b32_e32 v32, 0x3ecc95a3
	v_fmac_f32_e32 v32, 0x3e9b6dac, v34
	v_mov_b32_e32 v31, 0x3f2aaada
	v_fmac_f32_e32 v31, v34, v32
	v_cvt_f32_i32_e32 v32, v38
	v_sub_f32_e32 v30, v33, v30
	v_sub_f32_e32 v15, v15, v30
	v_ldexp_f32 v35, v33, 1
	v_mul_f32_e32 v33, v33, v34
	v_mov_b32_e32 v30, 0x3f317218
	s_mov_b32 s2, 0x3f317218
	v_pk_mul_f32 v[30:31], v[32:33], v[30:31]
	v_fma_f32 v34, v32, s2, -v30
	v_fmac_f32_e32 v34, 0xb102e308, v32
	v_pk_add_f32 v[32:33], v[30:31], v[34:35]
	v_sub_f32_e32 v35, v33, v35
	v_ldexp_f32 v15, v15, 1
	v_sub_f32_e32 v35, v31, v35
	v_add_f32_e32 v37, v15, v35
	v_mov_b32_e32 v36, v30
	v_pk_add_f32 v[30:31], v[32:33], v[30:31] neg_lo:[0,1] neg_hi:[0,1]
	v_pk_add_f32 v[38:39], v[32:33], v[36:37]
	v_mov_b32_e32 v31, v39
	v_mov_b32_e32 v35, v32
	v_pk_add_f32 v[40:41], v[34:35], v[30:31] neg_lo:[0,1] neg_hi:[0,1]
	v_pk_add_f32 v[30:31], v[34:35], v[30:31]
	v_mov_b32_e32 v34, v31
	v_pk_add_f32 v[42:43], v[34:35], v[32:33] neg_lo:[0,1] neg_hi:[0,1]
	v_mov_b32_e32 v15, v42
	v_pk_add_f32 v[44:45], v[38:39], v[14:15] neg_lo:[0,1] neg_hi:[0,1]
	v_mov_b32_e32 v30, v39
	v_mov_b32_e32 v38, v33
	;; [unrolled: 1-line block ×4, first 2 shown]
	v_pk_add_f32 v[30:31], v[30:31], v[38:39] neg_lo:[0,1] neg_hi:[0,1]
	v_mov_b32_e32 v36, v37
	v_mov_b32_e32 v37, v32
	v_pk_add_f32 v[30:31], v[36:37], v[30:31] neg_lo:[0,1] neg_hi:[0,1]
	v_mov_b32_e32 v44, v40
	v_pk_add_f32 v[32:33], v[44:45], v[30:31]
	v_mov_b32_e32 v36, v33
	v_pk_add_f32 v[36:37], v[32:33], v[36:37]
	v_pk_add_f32 v[34:35], v[34:35], v[36:37]
	v_mov_b32_e32 v33, v34
	v_pk_add_f32 v[38:39], v[32:33], v[40:41] neg_lo:[0,1] neg_hi:[0,1]
	v_mov_b32_e32 v31, v36
	v_sub_f32_e32 v15, v32, v38
	v_pk_add_f32 v[30:31], v[30:31], v[38:39] neg_lo:[0,1] neg_hi:[0,1]
	v_sub_f32_e32 v15, v40, v15
	s_mov_b32 s3, 0x7f800000
	v_add_f32_e32 v15, v30, v15
	s_mov_b32 s2, 0x33800000
	v_add_f32_e32 v15, v15, v31
	v_cmp_eq_f32_e32 vcc, s3, v17
	v_cmp_lt_f32_e64 s[2:3], |v17|, s2
	v_add_f32_e32 v15, v34, v15
	s_or_b64 vcc, vcc, s[2:3]
	v_cndmask_b32_e32 v15, v15, v17, vcc
	v_add_f32_e32 v15, v29, v15
	v_cvt_f16_f32_e32 v31, v15
	v_cvt_f32_f16_e32 v15, v31
	v_mov_b32_e32 v17, v31
.LBB431_130:
	s_or_b64 exec, exec, s[0:1]
	v_max_f32_e32 v29, v18, v18
	v_max_f32_e32 v32, v15, v15
	v_min_f32_e32 v30, v32, v29
	v_cmp_u_f16_e32 vcc, v31, v31
	v_max_f32_e32 v29, v32, v29
	v_cndmask_b32_e32 v30, v30, v15, vcc
	v_cndmask_b32_e32 v29, v29, v15, vcc
	v_cndmask_b32_e64 v30, v30, v18, s[52:53]
	v_cndmask_b32_e64 v29, v29, v18, s[52:53]
	v_cmp_neq_f32_e32 vcc, v30, v29
	v_cmp_class_f32_e64 s[0:1], v30, s4
	s_or_b64 s[2:3], vcc, s[0:1]
	v_mov_b32_e32 v18, v17
	s_and_saveexec_b64 s[0:1], s[2:3]
	s_cbranch_execz .LBB431_132
; %bb.131:
	v_sub_f32_e32 v15, v30, v29
	s_mov_b32 s2, 0x3fb8aa3b
	v_mul_f32_e32 v18, 0x3fb8aa3b, v15
	v_fma_f32 v30, v15, s2, -v18
	v_rndne_f32_e32 v31, v18
	v_fmac_f32_e32 v30, 0x32a5705f, v15
	v_sub_f32_e32 v18, v18, v31
	v_add_f32_e32 v18, v18, v30
	v_exp_f32_e32 v18, v18
	v_cvt_i32_f32_e32 v30, v31
	s_mov_b32 s2, 0xc2ce8ed0
	v_cmp_ngt_f32_e32 vcc, s2, v15
	s_mov_b32 s2, 0x42b17218
	v_ldexp_f32 v18, v18, v30
	v_cndmask_b32_e32 v18, 0, v18, vcc
	v_mov_b32_e32 v30, 0x7f800000
	v_cmp_nlt_f32_e32 vcc, s2, v15
	v_cndmask_b32_e32 v44, v30, v18, vcc
	v_add_f32_e32 v15, 1.0, v44
	v_add_f32_e32 v18, -1.0, v15
	v_sub_f32_e32 v30, v18, v15
	v_add_f32_e32 v30, 1.0, v30
	v_sub_f32_e32 v18, v44, v18
	v_add_f32_e32 v18, v18, v30
	v_frexp_mant_f32_e32 v32, v15
	s_mov_b32 s2, 0x3f2aaaab
	v_cvt_f64_f32_e32 v[30:31], v15
	v_frexp_exp_i32_f64_e32 v30, v[30:31]
	v_cmp_gt_f32_e32 vcc, s2, v32
	v_subbrev_co_u32_e32 v38, vcc, 0, v30, vcc
	v_sub_u32_e32 v30, 0, v38
	v_ldexp_f32 v15, v15, v30
	v_ldexp_f32 v18, v18, v30
	v_add_f32_e32 v30, -1.0, v15
	v_add_f32_e32 v31, 1.0, v30
	v_sub_f32_e32 v31, v15, v31
	v_add_f32_e32 v32, v18, v31
	v_add_f32_e32 v31, 1.0, v15
	v_add_f32_e32 v33, -1.0, v31
	v_sub_f32_e32 v15, v15, v33
	v_add_f32_e32 v15, v18, v15
	v_add_f32_e32 v18, v31, v15
	v_rcp_f32_e32 v39, v18
	v_sub_f32_e32 v31, v31, v18
	v_add_f32_e32 v15, v15, v31
	v_add_f32_e32 v31, v30, v32
	v_sub_f32_e32 v30, v30, v31
	v_mul_f32_e32 v41, v31, v39
	v_add_f32_e32 v40, v32, v30
	v_mul_f32_e32 v32, v18, v41
	v_fma_f32 v34, v41, v18, -v32
	v_fmac_f32_e32 v34, v41, v15
	v_add_f32_e32 v30, v32, v34
	v_sub_f32_e32 v33, v31, v30
	v_pk_add_f32 v[36:37], v[30:31], v[32:33] neg_lo:[0,1] neg_hi:[0,1]
	v_mov_b32_e32 v35, v30
	v_pk_add_f32 v[30:31], v[36:37], v[34:35] neg_lo:[0,1] neg_hi:[0,1]
	v_add_f32_e32 v31, v40, v31
	v_add_f32_e32 v30, v30, v31
	;; [unrolled: 1-line block ×3, first 2 shown]
	v_mul_f32_e32 v40, v39, v31
	v_mul_f32_e32 v32, v18, v40
	v_fma_f32 v34, v40, v18, -v32
	v_fmac_f32_e32 v34, v40, v15
	v_sub_f32_e32 v15, v33, v31
	v_add_f32_e32 v15, v30, v15
	v_add_f32_e32 v30, v32, v34
	v_sub_f32_e32 v33, v31, v30
	v_pk_add_f32 v[36:37], v[30:31], v[32:33] neg_lo:[0,1] neg_hi:[0,1]
	v_mov_b32_e32 v35, v30
	v_pk_add_f32 v[30:31], v[36:37], v[34:35] neg_lo:[0,1] neg_hi:[0,1]
	v_add_f32_e32 v15, v15, v31
	v_add_f32_e32 v15, v30, v15
	;; [unrolled: 1-line block ×4, first 2 shown]
	v_sub_f32_e32 v30, v18, v41
	v_mul_f32_e32 v15, v39, v15
	v_sub_f32_e32 v30, v40, v30
	v_add_f32_e32 v15, v30, v15
	v_add_f32_e32 v30, v18, v15
	v_mul_f32_e32 v33, v30, v30
	v_mov_b32_e32 v32, 0x3ecc95a3
	v_fmac_f32_e32 v32, 0x3e9b6dac, v33
	v_mov_b32_e32 v31, 0x3f2aaada
	v_fmac_f32_e32 v31, v33, v32
	v_cvt_f32_i32_e32 v32, v38
	v_sub_f32_e32 v18, v30, v18
	v_ldexp_f32 v35, v30, 1
	v_mul_f32_e32 v33, v30, v33
	v_mov_b32_e32 v30, 0x3f317218
	s_mov_b32 s2, 0x3f317218
	v_pk_mul_f32 v[30:31], v[32:33], v[30:31]
	v_fma_f32 v34, v32, s2, -v30
	v_fmac_f32_e32 v34, 0xb102e308, v32
	v_pk_add_f32 v[32:33], v[30:31], v[34:35]
	v_sub_f32_e32 v15, v15, v18
	v_sub_f32_e32 v18, v33, v35
	v_ldexp_f32 v15, v15, 1
	v_sub_f32_e32 v18, v31, v18
	v_add_f32_e32 v37, v15, v18
	v_mov_b32_e32 v36, v30
	v_pk_add_f32 v[30:31], v[32:33], v[30:31] neg_lo:[0,1] neg_hi:[0,1]
	v_pk_add_f32 v[38:39], v[32:33], v[36:37]
	v_mov_b32_e32 v31, v39
	v_mov_b32_e32 v35, v32
	v_pk_add_f32 v[40:41], v[34:35], v[30:31] neg_lo:[0,1] neg_hi:[0,1]
	v_pk_add_f32 v[30:31], v[34:35], v[30:31]
	v_mov_b32_e32 v18, v31
	v_pk_add_f32 v[34:35], v[18:19], v[32:33] neg_lo:[0,1] neg_hi:[0,1]
	v_mov_b32_e32 v15, v34
	v_pk_add_f32 v[42:43], v[38:39], v[14:15] neg_lo:[0,1] neg_hi:[0,1]
	v_mov_b32_e32 v30, v39
	v_mov_b32_e32 v38, v33
	;; [unrolled: 1-line block ×4, first 2 shown]
	v_pk_add_f32 v[30:31], v[30:31], v[38:39] neg_lo:[0,1] neg_hi:[0,1]
	v_mov_b32_e32 v34, v37
	v_mov_b32_e32 v35, v32
	v_pk_add_f32 v[30:31], v[34:35], v[30:31] neg_lo:[0,1] neg_hi:[0,1]
	v_mov_b32_e32 v42, v40
	v_pk_add_f32 v[32:33], v[42:43], v[30:31]
	v_mov_b32_e32 v34, v33
	v_pk_add_f32 v[34:35], v[32:33], v[34:35]
	v_pk_add_f32 v[36:37], v[18:19], v[34:35]
	v_mov_b32_e32 v33, v36
	v_pk_add_f32 v[38:39], v[32:33], v[40:41] neg_lo:[0,1] neg_hi:[0,1]
	v_mov_b32_e32 v31, v34
	v_sub_f32_e32 v15, v32, v38
	v_pk_add_f32 v[30:31], v[30:31], v[38:39] neg_lo:[0,1] neg_hi:[0,1]
	v_sub_f32_e32 v15, v40, v15
	s_mov_b32 s3, 0x7f800000
	v_add_f32_e32 v15, v30, v15
	s_mov_b32 s2, 0x33800000
	v_add_f32_e32 v15, v15, v31
	v_cmp_eq_f32_e32 vcc, s3, v44
	v_cmp_lt_f32_e64 s[2:3], |v44|, s2
	v_add_f32_e32 v15, v36, v15
	s_or_b64 vcc, vcc, s[2:3]
	v_cndmask_b32_e32 v15, v15, v44, vcc
	v_add_f32_e32 v15, v29, v15
	v_cvt_f16_f32_e32 v31, v15
	v_cvt_f32_f16_e32 v15, v31
	v_mov_b32_e32 v18, v31
.LBB431_132:
	s_or_b64 exec, exec, s[0:1]
	v_max_f32_e32 v29, v3, v3
	v_max_f32_e32 v32, v15, v15
	v_min_f32_e32 v30, v32, v29
	v_cmp_u_f16_e32 vcc, v31, v31
	v_max_f32_e32 v29, v32, v29
	v_cndmask_b32_e32 v30, v30, v15, vcc
	v_cndmask_b32_e32 v29, v29, v15, vcc
	v_cndmask_b32_e64 v30, v30, v3, s[54:55]
	v_cndmask_b32_e64 v29, v29, v3, s[54:55]
	v_cmp_neq_f32_e32 vcc, v30, v29
	v_cmp_class_f32_e64 s[0:1], v30, s4
	s_or_b64 s[2:3], vcc, s[0:1]
	v_mov_b32_e32 v3, v18
	s_and_saveexec_b64 s[0:1], s[2:3]
	s_cbranch_execz .LBB431_134
; %bb.133:
	v_sub_f32_e32 v3, v30, v29
	s_mov_b32 s2, 0x3fb8aa3b
	v_mul_f32_e32 v15, 0x3fb8aa3b, v3
	v_fma_f32 v30, v3, s2, -v15
	v_rndne_f32_e32 v31, v15
	v_fmac_f32_e32 v30, 0x32a5705f, v3
	v_sub_f32_e32 v15, v15, v31
	v_add_f32_e32 v15, v15, v30
	v_exp_f32_e32 v15, v15
	v_cvt_i32_f32_e32 v30, v31
	s_mov_b32 s2, 0xc2ce8ed0
	v_cmp_ngt_f32_e32 vcc, s2, v3
	s_mov_b32 s2, 0x42b17218
	v_ldexp_f32 v15, v15, v30
	v_cndmask_b32_e32 v15, 0, v15, vcc
	v_mov_b32_e32 v30, 0x7f800000
	v_cmp_nlt_f32_e32 vcc, s2, v3
	v_cndmask_b32_e32 v15, v30, v15, vcc
	v_add_f32_e32 v3, 1.0, v15
	v_add_f32_e32 v30, -1.0, v3
	v_sub_f32_e32 v31, v30, v3
	v_add_f32_e32 v31, 1.0, v31
	v_sub_f32_e32 v30, v15, v30
	v_add_f32_e32 v32, v30, v31
	v_frexp_mant_f32_e32 v33, v3
	s_mov_b32 s2, 0x3f2aaaab
	v_cvt_f64_f32_e32 v[30:31], v3
	v_frexp_exp_i32_f64_e32 v30, v[30:31]
	v_cmp_gt_f32_e32 vcc, s2, v33
	v_subbrev_co_u32_e32 v38, vcc, 0, v30, vcc
	v_sub_u32_e32 v30, 0, v38
	v_ldexp_f32 v3, v3, v30
	v_ldexp_f32 v30, v32, v30
	v_add_f32_e32 v32, -1.0, v3
	v_add_f32_e32 v31, 1.0, v32
	v_sub_f32_e32 v31, v3, v31
	v_add_f32_e32 v33, v30, v31
	v_add_f32_e32 v31, 1.0, v3
	v_add_f32_e32 v34, -1.0, v31
	v_sub_f32_e32 v3, v3, v34
	v_add_f32_e32 v3, v30, v3
	v_add_f32_e32 v39, v31, v3
	v_rcp_f32_e32 v40, v39
	v_sub_f32_e32 v30, v31, v39
	v_add_f32_e32 v31, v32, v33
	v_add_f32_e32 v3, v3, v30
	v_mul_f32_e32 v42, v31, v40
	v_sub_f32_e32 v30, v32, v31
	v_mul_f32_e32 v32, v39, v42
	v_fma_f32 v34, v42, v39, -v32
	v_fmac_f32_e32 v34, v42, v3
	v_add_f32_e32 v41, v33, v30
	v_add_f32_e32 v30, v32, v34
	v_sub_f32_e32 v33, v31, v30
	v_pk_add_f32 v[36:37], v[30:31], v[32:33] neg_lo:[0,1] neg_hi:[0,1]
	v_mov_b32_e32 v35, v30
	v_pk_add_f32 v[30:31], v[36:37], v[34:35] neg_lo:[0,1] neg_hi:[0,1]
	v_add_f32_e32 v31, v41, v31
	v_add_f32_e32 v30, v30, v31
	v_add_f32_e32 v31, v33, v30
	v_mul_f32_e32 v41, v40, v31
	v_mul_f32_e32 v32, v39, v41
	v_fma_f32 v34, v41, v39, -v32
	v_fmac_f32_e32 v34, v41, v3
	v_sub_f32_e32 v3, v33, v31
	v_add_f32_e32 v3, v30, v3
	v_add_f32_e32 v30, v32, v34
	v_sub_f32_e32 v33, v31, v30
	v_pk_add_f32 v[36:37], v[30:31], v[32:33] neg_lo:[0,1] neg_hi:[0,1]
	v_mov_b32_e32 v35, v30
	v_pk_add_f32 v[30:31], v[36:37], v[34:35] neg_lo:[0,1] neg_hi:[0,1]
	v_add_f32_e32 v3, v3, v31
	v_add_f32_e32 v3, v30, v3
	;; [unrolled: 1-line block ×4, first 2 shown]
	v_sub_f32_e32 v31, v30, v42
	v_mul_f32_e32 v3, v40, v3
	v_sub_f32_e32 v31, v41, v31
	v_add_f32_e32 v3, v31, v3
	v_add_f32_e32 v33, v30, v3
	v_mul_f32_e32 v34, v33, v33
	v_mov_b32_e32 v32, 0x3ecc95a3
	v_fmac_f32_e32 v32, 0x3e9b6dac, v34
	v_mov_b32_e32 v31, 0x3f2aaada
	v_fmac_f32_e32 v31, v34, v32
	v_cvt_f32_i32_e32 v32, v38
	v_sub_f32_e32 v30, v33, v30
	v_sub_f32_e32 v3, v3, v30
	v_ldexp_f32 v35, v33, 1
	v_mul_f32_e32 v33, v33, v34
	v_mov_b32_e32 v30, 0x3f317218
	s_mov_b32 s2, 0x3f317218
	v_pk_mul_f32 v[30:31], v[32:33], v[30:31]
	v_fma_f32 v34, v32, s2, -v30
	v_fmac_f32_e32 v34, 0xb102e308, v32
	v_pk_add_f32 v[32:33], v[30:31], v[34:35]
	v_sub_f32_e32 v35, v33, v35
	v_ldexp_f32 v3, v3, 1
	v_sub_f32_e32 v35, v31, v35
	v_add_f32_e32 v37, v3, v35
	v_mov_b32_e32 v36, v30
	v_pk_add_f32 v[30:31], v[32:33], v[30:31] neg_lo:[0,1] neg_hi:[0,1]
	v_pk_add_f32 v[38:39], v[32:33], v[36:37]
	v_mov_b32_e32 v31, v39
	v_mov_b32_e32 v35, v32
	v_pk_add_f32 v[40:41], v[34:35], v[30:31] neg_lo:[0,1] neg_hi:[0,1]
	v_pk_add_f32 v[30:31], v[34:35], v[30:31]
	v_mov_b32_e32 v34, v31
	v_pk_add_f32 v[42:43], v[34:35], v[32:33] neg_lo:[0,1] neg_hi:[0,1]
	v_mov_b32_e32 v3, v42
	v_pk_add_f32 v[44:45], v[38:39], v[2:3] neg_lo:[0,1] neg_hi:[0,1]
	v_mov_b32_e32 v30, v39
	v_mov_b32_e32 v38, v33
	;; [unrolled: 1-line block ×4, first 2 shown]
	v_pk_add_f32 v[30:31], v[30:31], v[38:39] neg_lo:[0,1] neg_hi:[0,1]
	v_mov_b32_e32 v36, v37
	v_mov_b32_e32 v37, v32
	v_pk_add_f32 v[30:31], v[36:37], v[30:31] neg_lo:[0,1] neg_hi:[0,1]
	v_mov_b32_e32 v44, v40
	v_pk_add_f32 v[32:33], v[44:45], v[30:31]
	v_mov_b32_e32 v36, v33
	v_pk_add_f32 v[36:37], v[32:33], v[36:37]
	v_pk_add_f32 v[34:35], v[34:35], v[36:37]
	v_mov_b32_e32 v33, v34
	v_pk_add_f32 v[38:39], v[32:33], v[40:41] neg_lo:[0,1] neg_hi:[0,1]
	v_mov_b32_e32 v31, v36
	v_sub_f32_e32 v3, v32, v38
	v_pk_add_f32 v[30:31], v[30:31], v[38:39] neg_lo:[0,1] neg_hi:[0,1]
	v_sub_f32_e32 v3, v40, v3
	s_mov_b32 s3, 0x7f800000
	v_add_f32_e32 v3, v30, v3
	s_mov_b32 s2, 0x33800000
	v_add_f32_e32 v3, v3, v31
	v_cmp_eq_f32_e32 vcc, s3, v15
	v_cmp_lt_f32_e64 s[2:3], |v15|, s2
	v_add_f32_e32 v3, v34, v3
	s_or_b64 vcc, vcc, s[2:3]
	v_cndmask_b32_e32 v3, v3, v15, vcc
	v_add_f32_e32 v3, v29, v3
	v_cvt_f16_f32_e32 v31, v3
	v_cvt_f32_f16_e32 v15, v31
	v_mov_b32_e32 v3, v31
.LBB431_134:
	s_or_b64 exec, exec, s[0:1]
	v_max_f32_e32 v29, v19, v19
	v_max_f32_e32 v32, v15, v15
	v_min_f32_e32 v30, v32, v29
	v_cmp_u_f16_e32 vcc, v31, v31
	v_max_f32_e32 v29, v32, v29
	v_cndmask_b32_e32 v30, v30, v15, vcc
	v_cndmask_b32_e32 v29, v29, v15, vcc
	v_cndmask_b32_e64 v30, v30, v19, s[56:57]
	v_cndmask_b32_e64 v29, v29, v19, s[56:57]
	v_cmp_neq_f32_e32 vcc, v30, v29
	v_cmp_class_f32_e64 s[0:1], v30, s4
	s_or_b64 s[2:3], vcc, s[0:1]
	v_mov_b32_e32 v19, v3
	s_and_saveexec_b64 s[0:1], s[2:3]
	s_cbranch_execz .LBB431_136
; %bb.135:
	v_sub_f32_e32 v15, v30, v29
	s_mov_b32 s2, 0x3fb8aa3b
	v_mul_f32_e32 v19, 0x3fb8aa3b, v15
	v_fma_f32 v30, v15, s2, -v19
	v_rndne_f32_e32 v31, v19
	v_fmac_f32_e32 v30, 0x32a5705f, v15
	v_sub_f32_e32 v19, v19, v31
	v_add_f32_e32 v19, v19, v30
	v_exp_f32_e32 v19, v19
	v_cvt_i32_f32_e32 v30, v31
	s_mov_b32 s2, 0xc2ce8ed0
	v_cmp_ngt_f32_e32 vcc, s2, v15
	s_mov_b32 s2, 0x42b17218
	v_ldexp_f32 v19, v19, v30
	v_cndmask_b32_e32 v19, 0, v19, vcc
	v_mov_b32_e32 v30, 0x7f800000
	v_cmp_nlt_f32_e32 vcc, s2, v15
	v_cndmask_b32_e32 v19, v30, v19, vcc
	v_add_f32_e32 v15, 1.0, v19
	v_add_f32_e32 v30, -1.0, v15
	v_sub_f32_e32 v31, v30, v15
	v_add_f32_e32 v31, 1.0, v31
	v_sub_f32_e32 v30, v19, v30
	v_add_f32_e32 v32, v30, v31
	v_frexp_mant_f32_e32 v33, v15
	s_mov_b32 s2, 0x3f2aaaab
	v_cvt_f64_f32_e32 v[30:31], v15
	v_frexp_exp_i32_f64_e32 v30, v[30:31]
	v_cmp_gt_f32_e32 vcc, s2, v33
	v_subbrev_co_u32_e32 v38, vcc, 0, v30, vcc
	v_sub_u32_e32 v30, 0, v38
	v_ldexp_f32 v15, v15, v30
	v_ldexp_f32 v30, v32, v30
	v_add_f32_e32 v32, -1.0, v15
	v_add_f32_e32 v31, 1.0, v32
	v_sub_f32_e32 v31, v15, v31
	v_add_f32_e32 v33, v30, v31
	v_add_f32_e32 v31, 1.0, v15
	v_add_f32_e32 v34, -1.0, v31
	v_sub_f32_e32 v15, v15, v34
	v_add_f32_e32 v15, v30, v15
	v_add_f32_e32 v39, v31, v15
	v_rcp_f32_e32 v40, v39
	v_sub_f32_e32 v30, v31, v39
	v_add_f32_e32 v31, v32, v33
	v_add_f32_e32 v15, v15, v30
	v_mul_f32_e32 v42, v31, v40
	v_sub_f32_e32 v30, v32, v31
	v_mul_f32_e32 v32, v39, v42
	v_fma_f32 v34, v42, v39, -v32
	v_fmac_f32_e32 v34, v42, v15
	v_add_f32_e32 v41, v33, v30
	v_add_f32_e32 v30, v32, v34
	v_sub_f32_e32 v33, v31, v30
	v_pk_add_f32 v[36:37], v[30:31], v[32:33] neg_lo:[0,1] neg_hi:[0,1]
	v_mov_b32_e32 v35, v30
	v_pk_add_f32 v[30:31], v[36:37], v[34:35] neg_lo:[0,1] neg_hi:[0,1]
	v_add_f32_e32 v31, v41, v31
	v_add_f32_e32 v30, v30, v31
	;; [unrolled: 1-line block ×3, first 2 shown]
	v_mul_f32_e32 v41, v40, v31
	v_mul_f32_e32 v32, v39, v41
	v_fma_f32 v34, v41, v39, -v32
	v_fmac_f32_e32 v34, v41, v15
	v_sub_f32_e32 v15, v33, v31
	v_add_f32_e32 v15, v30, v15
	v_add_f32_e32 v30, v32, v34
	v_sub_f32_e32 v33, v31, v30
	v_pk_add_f32 v[36:37], v[30:31], v[32:33] neg_lo:[0,1] neg_hi:[0,1]
	v_mov_b32_e32 v35, v30
	v_pk_add_f32 v[30:31], v[36:37], v[34:35] neg_lo:[0,1] neg_hi:[0,1]
	v_add_f32_e32 v15, v15, v31
	v_add_f32_e32 v15, v30, v15
	;; [unrolled: 1-line block ×4, first 2 shown]
	v_sub_f32_e32 v31, v30, v42
	v_mul_f32_e32 v15, v40, v15
	v_sub_f32_e32 v31, v41, v31
	v_add_f32_e32 v15, v31, v15
	v_add_f32_e32 v33, v30, v15
	v_mul_f32_e32 v34, v33, v33
	v_mov_b32_e32 v32, 0x3ecc95a3
	v_fmac_f32_e32 v32, 0x3e9b6dac, v34
	v_mov_b32_e32 v31, 0x3f2aaada
	v_fmac_f32_e32 v31, v34, v32
	v_cvt_f32_i32_e32 v32, v38
	v_sub_f32_e32 v30, v33, v30
	v_sub_f32_e32 v15, v15, v30
	v_ldexp_f32 v35, v33, 1
	v_mul_f32_e32 v33, v33, v34
	v_mov_b32_e32 v30, 0x3f317218
	s_mov_b32 s2, 0x3f317218
	v_pk_mul_f32 v[30:31], v[32:33], v[30:31]
	v_fma_f32 v34, v32, s2, -v30
	v_fmac_f32_e32 v34, 0xb102e308, v32
	v_pk_add_f32 v[32:33], v[30:31], v[34:35]
	v_sub_f32_e32 v35, v33, v35
	v_ldexp_f32 v15, v15, 1
	v_sub_f32_e32 v35, v31, v35
	v_add_f32_e32 v37, v15, v35
	v_mov_b32_e32 v36, v30
	v_pk_add_f32 v[30:31], v[32:33], v[30:31] neg_lo:[0,1] neg_hi:[0,1]
	v_pk_add_f32 v[38:39], v[32:33], v[36:37]
	v_mov_b32_e32 v31, v39
	v_mov_b32_e32 v35, v32
	v_pk_add_f32 v[40:41], v[34:35], v[30:31] neg_lo:[0,1] neg_hi:[0,1]
	v_pk_add_f32 v[30:31], v[34:35], v[30:31]
	v_mov_b32_e32 v34, v31
	v_pk_add_f32 v[42:43], v[34:35], v[32:33] neg_lo:[0,1] neg_hi:[0,1]
	v_mov_b32_e32 v15, v42
	v_pk_add_f32 v[44:45], v[38:39], v[14:15] neg_lo:[0,1] neg_hi:[0,1]
	v_mov_b32_e32 v30, v39
	v_mov_b32_e32 v38, v33
	;; [unrolled: 1-line block ×4, first 2 shown]
	v_pk_add_f32 v[30:31], v[30:31], v[38:39] neg_lo:[0,1] neg_hi:[0,1]
	v_mov_b32_e32 v36, v37
	v_mov_b32_e32 v37, v32
	v_pk_add_f32 v[30:31], v[36:37], v[30:31] neg_lo:[0,1] neg_hi:[0,1]
	v_mov_b32_e32 v44, v40
	v_pk_add_f32 v[32:33], v[44:45], v[30:31]
	v_mov_b32_e32 v36, v33
	v_pk_add_f32 v[36:37], v[32:33], v[36:37]
	v_pk_add_f32 v[34:35], v[34:35], v[36:37]
	v_mov_b32_e32 v33, v34
	v_pk_add_f32 v[38:39], v[32:33], v[40:41] neg_lo:[0,1] neg_hi:[0,1]
	v_mov_b32_e32 v31, v36
	v_sub_f32_e32 v15, v32, v38
	v_pk_add_f32 v[30:31], v[30:31], v[38:39] neg_lo:[0,1] neg_hi:[0,1]
	v_sub_f32_e32 v15, v40, v15
	s_mov_b32 s3, 0x7f800000
	v_add_f32_e32 v15, v30, v15
	s_mov_b32 s2, 0x33800000
	v_add_f32_e32 v15, v15, v31
	v_cmp_eq_f32_e32 vcc, s3, v19
	v_cmp_lt_f32_e64 s[2:3], |v19|, s2
	v_add_f32_e32 v15, v34, v15
	s_or_b64 vcc, vcc, s[2:3]
	v_cndmask_b32_e32 v15, v15, v19, vcc
	v_add_f32_e32 v15, v29, v15
	v_cvt_f16_f32_e32 v31, v15
	v_cvt_f32_f16_e32 v15, v31
	v_mov_b32_e32 v19, v31
.LBB431_136:
	s_or_b64 exec, exec, s[0:1]
	v_max_f32_e32 v29, v4, v4
	v_max_f32_e32 v32, v15, v15
	v_min_f32_e32 v30, v32, v29
	v_cmp_u_f16_e32 vcc, v31, v31
	v_max_f32_e32 v29, v32, v29
	v_cndmask_b32_e32 v30, v30, v15, vcc
	v_cndmask_b32_e32 v29, v29, v15, vcc
	v_cndmask_b32_e64 v30, v30, v4, s[58:59]
	v_cndmask_b32_e64 v29, v29, v4, s[58:59]
	v_cmp_neq_f32_e32 vcc, v30, v29
	v_cmp_class_f32_e64 s[0:1], v30, s4
	s_or_b64 s[2:3], vcc, s[0:1]
	v_mov_b32_e32 v4, v19
	s_and_saveexec_b64 s[0:1], s[2:3]
	s_cbranch_execz .LBB431_138
; %bb.137:
	v_sub_f32_e32 v4, v30, v29
	s_mov_b32 s2, 0x3fb8aa3b
	v_mul_f32_e32 v15, 0x3fb8aa3b, v4
	v_fma_f32 v30, v4, s2, -v15
	v_rndne_f32_e32 v31, v15
	v_fmac_f32_e32 v30, 0x32a5705f, v4
	v_sub_f32_e32 v15, v15, v31
	v_add_f32_e32 v15, v15, v30
	v_exp_f32_e32 v15, v15
	v_cvt_i32_f32_e32 v30, v31
	s_mov_b32 s2, 0xc2ce8ed0
	v_cmp_ngt_f32_e32 vcc, s2, v4
	s_mov_b32 s2, 0x42b17218
	v_ldexp_f32 v15, v15, v30
	v_cndmask_b32_e32 v15, 0, v15, vcc
	v_mov_b32_e32 v30, 0x7f800000
	v_cmp_nlt_f32_e32 vcc, s2, v4
	v_cndmask_b32_e32 v44, v30, v15, vcc
	v_add_f32_e32 v4, 1.0, v44
	v_add_f32_e32 v15, -1.0, v4
	v_sub_f32_e32 v30, v15, v4
	v_add_f32_e32 v30, 1.0, v30
	v_sub_f32_e32 v15, v44, v15
	v_add_f32_e32 v15, v15, v30
	v_frexp_mant_f32_e32 v32, v4
	s_mov_b32 s2, 0x3f2aaaab
	v_cvt_f64_f32_e32 v[30:31], v4
	v_frexp_exp_i32_f64_e32 v30, v[30:31]
	v_cmp_gt_f32_e32 vcc, s2, v32
	v_subbrev_co_u32_e32 v38, vcc, 0, v30, vcc
	v_sub_u32_e32 v30, 0, v38
	v_ldexp_f32 v4, v4, v30
	v_ldexp_f32 v15, v15, v30
	v_add_f32_e32 v30, -1.0, v4
	v_add_f32_e32 v31, 1.0, v30
	v_sub_f32_e32 v31, v4, v31
	v_add_f32_e32 v32, v15, v31
	v_add_f32_e32 v31, 1.0, v4
	v_add_f32_e32 v33, -1.0, v31
	v_sub_f32_e32 v4, v4, v33
	v_add_f32_e32 v4, v15, v4
	v_add_f32_e32 v15, v31, v4
	v_rcp_f32_e32 v39, v15
	v_sub_f32_e32 v31, v31, v15
	v_add_f32_e32 v4, v4, v31
	v_add_f32_e32 v31, v30, v32
	v_sub_f32_e32 v30, v30, v31
	v_mul_f32_e32 v41, v31, v39
	v_add_f32_e32 v40, v32, v30
	v_mul_f32_e32 v32, v15, v41
	v_fma_f32 v34, v41, v15, -v32
	v_fmac_f32_e32 v34, v41, v4
	v_add_f32_e32 v30, v32, v34
	v_sub_f32_e32 v33, v31, v30
	v_pk_add_f32 v[36:37], v[30:31], v[32:33] neg_lo:[0,1] neg_hi:[0,1]
	v_mov_b32_e32 v35, v30
	v_pk_add_f32 v[30:31], v[36:37], v[34:35] neg_lo:[0,1] neg_hi:[0,1]
	v_add_f32_e32 v31, v40, v31
	v_add_f32_e32 v30, v30, v31
	;; [unrolled: 1-line block ×3, first 2 shown]
	v_mul_f32_e32 v40, v39, v31
	v_mul_f32_e32 v32, v15, v40
	v_fma_f32 v34, v40, v15, -v32
	v_fmac_f32_e32 v34, v40, v4
	v_sub_f32_e32 v4, v33, v31
	v_add_f32_e32 v4, v30, v4
	v_add_f32_e32 v30, v32, v34
	v_sub_f32_e32 v33, v31, v30
	v_pk_add_f32 v[36:37], v[30:31], v[32:33] neg_lo:[0,1] neg_hi:[0,1]
	v_mov_b32_e32 v35, v30
	v_pk_add_f32 v[30:31], v[36:37], v[34:35] neg_lo:[0,1] neg_hi:[0,1]
	v_add_f32_e32 v4, v4, v31
	v_add_f32_e32 v4, v30, v4
	;; [unrolled: 1-line block ×4, first 2 shown]
	v_sub_f32_e32 v30, v15, v41
	v_mul_f32_e32 v4, v39, v4
	v_sub_f32_e32 v30, v40, v30
	v_add_f32_e32 v4, v30, v4
	v_add_f32_e32 v30, v15, v4
	v_mul_f32_e32 v33, v30, v30
	v_mov_b32_e32 v32, 0x3ecc95a3
	v_fmac_f32_e32 v32, 0x3e9b6dac, v33
	v_mov_b32_e32 v31, 0x3f2aaada
	v_fmac_f32_e32 v31, v33, v32
	v_cvt_f32_i32_e32 v32, v38
	v_sub_f32_e32 v15, v30, v15
	v_ldexp_f32 v35, v30, 1
	v_mul_f32_e32 v33, v30, v33
	v_mov_b32_e32 v30, 0x3f317218
	s_mov_b32 s2, 0x3f317218
	v_pk_mul_f32 v[30:31], v[32:33], v[30:31]
	v_fma_f32 v34, v32, s2, -v30
	v_fmac_f32_e32 v34, 0xb102e308, v32
	v_pk_add_f32 v[32:33], v[30:31], v[34:35]
	v_sub_f32_e32 v4, v4, v15
	v_sub_f32_e32 v15, v33, v35
	v_ldexp_f32 v4, v4, 1
	v_sub_f32_e32 v15, v31, v15
	v_add_f32_e32 v37, v4, v15
	v_mov_b32_e32 v36, v30
	v_pk_add_f32 v[30:31], v[32:33], v[30:31] neg_lo:[0,1] neg_hi:[0,1]
	v_pk_add_f32 v[38:39], v[32:33], v[36:37]
	v_mov_b32_e32 v31, v39
	v_mov_b32_e32 v35, v32
	v_pk_add_f32 v[40:41], v[34:35], v[30:31] neg_lo:[0,1] neg_hi:[0,1]
	v_pk_add_f32 v[30:31], v[34:35], v[30:31]
	v_mov_b32_e32 v4, v31
	v_pk_add_f32 v[34:35], v[4:5], v[32:33] neg_lo:[0,1] neg_hi:[0,1]
	v_mov_b32_e32 v15, v34
	v_pk_add_f32 v[42:43], v[38:39], v[14:15] neg_lo:[0,1] neg_hi:[0,1]
	v_mov_b32_e32 v30, v39
	v_mov_b32_e32 v38, v33
	;; [unrolled: 1-line block ×4, first 2 shown]
	v_pk_add_f32 v[30:31], v[30:31], v[38:39] neg_lo:[0,1] neg_hi:[0,1]
	v_mov_b32_e32 v34, v37
	v_mov_b32_e32 v35, v32
	v_pk_add_f32 v[30:31], v[34:35], v[30:31] neg_lo:[0,1] neg_hi:[0,1]
	v_mov_b32_e32 v42, v40
	v_pk_add_f32 v[32:33], v[42:43], v[30:31]
	v_mov_b32_e32 v34, v33
	v_pk_add_f32 v[34:35], v[32:33], v[34:35]
	v_pk_add_f32 v[36:37], v[4:5], v[34:35]
	v_mov_b32_e32 v33, v36
	v_pk_add_f32 v[38:39], v[32:33], v[40:41] neg_lo:[0,1] neg_hi:[0,1]
	v_mov_b32_e32 v31, v34
	v_sub_f32_e32 v4, v32, v38
	v_pk_add_f32 v[30:31], v[30:31], v[38:39] neg_lo:[0,1] neg_hi:[0,1]
	v_sub_f32_e32 v4, v40, v4
	s_mov_b32 s3, 0x7f800000
	v_add_f32_e32 v4, v30, v4
	s_mov_b32 s2, 0x33800000
	v_add_f32_e32 v4, v4, v31
	v_cmp_eq_f32_e32 vcc, s3, v44
	v_cmp_lt_f32_e64 s[2:3], |v44|, s2
	v_add_f32_e32 v4, v36, v4
	s_or_b64 vcc, vcc, s[2:3]
	v_cndmask_b32_e32 v4, v4, v44, vcc
	v_add_f32_e32 v4, v29, v4
	v_cvt_f16_f32_e32 v31, v4
	v_cvt_f32_f16_e32 v15, v31
	v_mov_b32_e32 v4, v31
.LBB431_138:
	s_or_b64 exec, exec, s[0:1]
	v_max_f32_e32 v29, v20, v20
	v_max_f32_e32 v32, v15, v15
	v_min_f32_e32 v30, v32, v29
	v_cmp_u_f16_e32 vcc, v31, v31
	v_max_f32_e32 v29, v32, v29
	v_cndmask_b32_e32 v30, v30, v15, vcc
	v_cndmask_b32_e32 v29, v29, v15, vcc
	v_cndmask_b32_e64 v30, v30, v20, s[60:61]
	v_cndmask_b32_e64 v29, v29, v20, s[60:61]
	v_cmp_neq_f32_e32 vcc, v30, v29
	v_cmp_class_f32_e64 s[0:1], v30, s4
	s_or_b64 s[2:3], vcc, s[0:1]
	v_mov_b32_e32 v20, v4
	s_and_saveexec_b64 s[0:1], s[2:3]
	s_cbranch_execz .LBB431_140
; %bb.139:
	v_sub_f32_e32 v15, v30, v29
	s_mov_b32 s2, 0x3fb8aa3b
	v_mul_f32_e32 v20, 0x3fb8aa3b, v15
	v_fma_f32 v30, v15, s2, -v20
	v_rndne_f32_e32 v31, v20
	v_fmac_f32_e32 v30, 0x32a5705f, v15
	v_sub_f32_e32 v20, v20, v31
	v_add_f32_e32 v20, v20, v30
	v_exp_f32_e32 v20, v20
	v_cvt_i32_f32_e32 v30, v31
	s_mov_b32 s2, 0xc2ce8ed0
	v_cmp_ngt_f32_e32 vcc, s2, v15
	s_mov_b32 s2, 0x42b17218
	v_ldexp_f32 v20, v20, v30
	v_cndmask_b32_e32 v20, 0, v20, vcc
	v_mov_b32_e32 v30, 0x7f800000
	v_cmp_nlt_f32_e32 vcc, s2, v15
	v_cndmask_b32_e32 v44, v30, v20, vcc
	v_add_f32_e32 v15, 1.0, v44
	v_add_f32_e32 v20, -1.0, v15
	v_sub_f32_e32 v30, v20, v15
	v_add_f32_e32 v30, 1.0, v30
	v_sub_f32_e32 v20, v44, v20
	v_add_f32_e32 v20, v20, v30
	v_frexp_mant_f32_e32 v32, v15
	s_mov_b32 s2, 0x3f2aaaab
	v_cvt_f64_f32_e32 v[30:31], v15
	v_frexp_exp_i32_f64_e32 v30, v[30:31]
	v_cmp_gt_f32_e32 vcc, s2, v32
	v_subbrev_co_u32_e32 v38, vcc, 0, v30, vcc
	v_sub_u32_e32 v30, 0, v38
	v_ldexp_f32 v15, v15, v30
	v_ldexp_f32 v20, v20, v30
	v_add_f32_e32 v30, -1.0, v15
	v_add_f32_e32 v31, 1.0, v30
	v_sub_f32_e32 v31, v15, v31
	v_add_f32_e32 v32, v20, v31
	v_add_f32_e32 v31, 1.0, v15
	v_add_f32_e32 v33, -1.0, v31
	v_sub_f32_e32 v15, v15, v33
	v_add_f32_e32 v15, v20, v15
	v_add_f32_e32 v20, v31, v15
	v_rcp_f32_e32 v39, v20
	v_sub_f32_e32 v31, v31, v20
	v_add_f32_e32 v15, v15, v31
	v_add_f32_e32 v31, v30, v32
	v_sub_f32_e32 v30, v30, v31
	v_mul_f32_e32 v41, v31, v39
	v_add_f32_e32 v40, v32, v30
	v_mul_f32_e32 v32, v20, v41
	v_fma_f32 v34, v41, v20, -v32
	v_fmac_f32_e32 v34, v41, v15
	v_add_f32_e32 v30, v32, v34
	v_sub_f32_e32 v33, v31, v30
	v_pk_add_f32 v[36:37], v[30:31], v[32:33] neg_lo:[0,1] neg_hi:[0,1]
	v_mov_b32_e32 v35, v30
	v_pk_add_f32 v[30:31], v[36:37], v[34:35] neg_lo:[0,1] neg_hi:[0,1]
	v_add_f32_e32 v31, v40, v31
	v_add_f32_e32 v30, v30, v31
	;; [unrolled: 1-line block ×3, first 2 shown]
	v_mul_f32_e32 v40, v39, v31
	v_mul_f32_e32 v32, v20, v40
	v_fma_f32 v34, v40, v20, -v32
	v_fmac_f32_e32 v34, v40, v15
	v_sub_f32_e32 v15, v33, v31
	v_add_f32_e32 v15, v30, v15
	v_add_f32_e32 v30, v32, v34
	v_sub_f32_e32 v33, v31, v30
	v_pk_add_f32 v[36:37], v[30:31], v[32:33] neg_lo:[0,1] neg_hi:[0,1]
	v_mov_b32_e32 v35, v30
	v_pk_add_f32 v[30:31], v[36:37], v[34:35] neg_lo:[0,1] neg_hi:[0,1]
	v_add_f32_e32 v15, v15, v31
	v_add_f32_e32 v15, v30, v15
	;; [unrolled: 1-line block ×4, first 2 shown]
	v_sub_f32_e32 v30, v20, v41
	v_mul_f32_e32 v15, v39, v15
	v_sub_f32_e32 v30, v40, v30
	v_add_f32_e32 v15, v30, v15
	v_add_f32_e32 v30, v20, v15
	v_mul_f32_e32 v33, v30, v30
	v_mov_b32_e32 v32, 0x3ecc95a3
	v_fmac_f32_e32 v32, 0x3e9b6dac, v33
	v_mov_b32_e32 v31, 0x3f2aaada
	v_fmac_f32_e32 v31, v33, v32
	v_cvt_f32_i32_e32 v32, v38
	v_sub_f32_e32 v20, v30, v20
	v_ldexp_f32 v35, v30, 1
	v_mul_f32_e32 v33, v30, v33
	v_mov_b32_e32 v30, 0x3f317218
	s_mov_b32 s2, 0x3f317218
	v_pk_mul_f32 v[30:31], v[32:33], v[30:31]
	v_fma_f32 v34, v32, s2, -v30
	v_fmac_f32_e32 v34, 0xb102e308, v32
	v_pk_add_f32 v[32:33], v[30:31], v[34:35]
	v_sub_f32_e32 v15, v15, v20
	v_sub_f32_e32 v20, v33, v35
	v_ldexp_f32 v15, v15, 1
	v_sub_f32_e32 v20, v31, v20
	v_add_f32_e32 v37, v15, v20
	v_mov_b32_e32 v36, v30
	v_pk_add_f32 v[30:31], v[32:33], v[30:31] neg_lo:[0,1] neg_hi:[0,1]
	v_pk_add_f32 v[38:39], v[32:33], v[36:37]
	v_mov_b32_e32 v31, v39
	v_mov_b32_e32 v35, v32
	v_pk_add_f32 v[40:41], v[34:35], v[30:31] neg_lo:[0,1] neg_hi:[0,1]
	v_pk_add_f32 v[30:31], v[34:35], v[30:31]
	v_mov_b32_e32 v20, v31
	v_pk_add_f32 v[34:35], v[20:21], v[32:33] neg_lo:[0,1] neg_hi:[0,1]
	v_mov_b32_e32 v15, v34
	v_pk_add_f32 v[42:43], v[38:39], v[14:15] neg_lo:[0,1] neg_hi:[0,1]
	v_mov_b32_e32 v30, v39
	v_mov_b32_e32 v38, v33
	;; [unrolled: 1-line block ×4, first 2 shown]
	v_pk_add_f32 v[30:31], v[30:31], v[38:39] neg_lo:[0,1] neg_hi:[0,1]
	v_mov_b32_e32 v34, v37
	v_mov_b32_e32 v35, v32
	v_pk_add_f32 v[30:31], v[34:35], v[30:31] neg_lo:[0,1] neg_hi:[0,1]
	v_mov_b32_e32 v42, v40
	v_pk_add_f32 v[32:33], v[42:43], v[30:31]
	v_mov_b32_e32 v34, v33
	v_pk_add_f32 v[34:35], v[32:33], v[34:35]
	v_pk_add_f32 v[36:37], v[20:21], v[34:35]
	v_mov_b32_e32 v33, v36
	v_pk_add_f32 v[38:39], v[32:33], v[40:41] neg_lo:[0,1] neg_hi:[0,1]
	v_mov_b32_e32 v31, v34
	v_sub_f32_e32 v15, v32, v38
	v_pk_add_f32 v[30:31], v[30:31], v[38:39] neg_lo:[0,1] neg_hi:[0,1]
	v_sub_f32_e32 v15, v40, v15
	s_mov_b32 s3, 0x7f800000
	v_add_f32_e32 v15, v30, v15
	s_mov_b32 s2, 0x33800000
	v_add_f32_e32 v15, v15, v31
	v_cmp_eq_f32_e32 vcc, s3, v44
	v_cmp_lt_f32_e64 s[2:3], |v44|, s2
	v_add_f32_e32 v15, v36, v15
	s_or_b64 vcc, vcc, s[2:3]
	v_cndmask_b32_e32 v15, v15, v44, vcc
	v_add_f32_e32 v15, v29, v15
	v_cvt_f16_f32_e32 v31, v15
	v_cvt_f32_f16_e32 v15, v31
	v_mov_b32_e32 v20, v31
.LBB431_140:
	s_or_b64 exec, exec, s[0:1]
	v_max_f32_e32 v29, v5, v5
	v_max_f32_e32 v32, v15, v15
	v_min_f32_e32 v30, v32, v29
	v_cmp_u_f16_e32 vcc, v31, v31
	v_max_f32_e32 v29, v32, v29
	v_cndmask_b32_e32 v30, v30, v15, vcc
	v_cndmask_b32_e32 v29, v29, v15, vcc
	v_cndmask_b32_e64 v30, v30, v5, s[62:63]
	v_cndmask_b32_e64 v29, v29, v5, s[62:63]
	v_cmp_neq_f32_e32 vcc, v30, v29
	v_cmp_class_f32_e64 s[0:1], v30, s4
	s_or_b64 s[2:3], vcc, s[0:1]
	v_mov_b32_e32 v5, v20
	s_and_saveexec_b64 s[0:1], s[2:3]
	s_cbranch_execz .LBB431_142
; %bb.141:
	v_sub_f32_e32 v5, v30, v29
	s_mov_b32 s2, 0x3fb8aa3b
	v_mul_f32_e32 v15, 0x3fb8aa3b, v5
	v_fma_f32 v30, v5, s2, -v15
	v_rndne_f32_e32 v31, v15
	v_fmac_f32_e32 v30, 0x32a5705f, v5
	v_sub_f32_e32 v15, v15, v31
	v_add_f32_e32 v15, v15, v30
	v_exp_f32_e32 v15, v15
	v_cvt_i32_f32_e32 v30, v31
	s_mov_b32 s2, 0xc2ce8ed0
	v_cmp_ngt_f32_e32 vcc, s2, v5
	s_mov_b32 s2, 0x42b17218
	v_ldexp_f32 v15, v15, v30
	v_cndmask_b32_e32 v15, 0, v15, vcc
	v_mov_b32_e32 v30, 0x7f800000
	v_cmp_nlt_f32_e32 vcc, s2, v5
	v_cndmask_b32_e32 v15, v30, v15, vcc
	v_add_f32_e32 v5, 1.0, v15
	v_add_f32_e32 v30, -1.0, v5
	v_sub_f32_e32 v31, v30, v5
	v_add_f32_e32 v31, 1.0, v31
	v_sub_f32_e32 v30, v15, v30
	v_add_f32_e32 v32, v30, v31
	v_frexp_mant_f32_e32 v33, v5
	s_mov_b32 s2, 0x3f2aaaab
	v_cvt_f64_f32_e32 v[30:31], v5
	v_frexp_exp_i32_f64_e32 v30, v[30:31]
	v_cmp_gt_f32_e32 vcc, s2, v33
	v_subbrev_co_u32_e32 v38, vcc, 0, v30, vcc
	v_sub_u32_e32 v30, 0, v38
	v_ldexp_f32 v5, v5, v30
	v_ldexp_f32 v30, v32, v30
	v_add_f32_e32 v32, -1.0, v5
	v_add_f32_e32 v31, 1.0, v32
	v_sub_f32_e32 v31, v5, v31
	v_add_f32_e32 v33, v30, v31
	v_add_f32_e32 v31, 1.0, v5
	v_add_f32_e32 v34, -1.0, v31
	v_sub_f32_e32 v5, v5, v34
	v_add_f32_e32 v5, v30, v5
	v_add_f32_e32 v39, v31, v5
	v_rcp_f32_e32 v40, v39
	v_sub_f32_e32 v30, v31, v39
	v_add_f32_e32 v31, v32, v33
	v_add_f32_e32 v5, v5, v30
	v_mul_f32_e32 v42, v31, v40
	v_sub_f32_e32 v30, v32, v31
	v_mul_f32_e32 v32, v39, v42
	v_fma_f32 v34, v42, v39, -v32
	v_fmac_f32_e32 v34, v42, v5
	v_add_f32_e32 v41, v33, v30
	v_add_f32_e32 v30, v32, v34
	v_sub_f32_e32 v33, v31, v30
	v_pk_add_f32 v[36:37], v[30:31], v[32:33] neg_lo:[0,1] neg_hi:[0,1]
	v_mov_b32_e32 v35, v30
	v_pk_add_f32 v[30:31], v[36:37], v[34:35] neg_lo:[0,1] neg_hi:[0,1]
	v_add_f32_e32 v31, v41, v31
	v_add_f32_e32 v30, v30, v31
	;; [unrolled: 1-line block ×3, first 2 shown]
	v_mul_f32_e32 v41, v40, v31
	v_mul_f32_e32 v32, v39, v41
	v_fma_f32 v34, v41, v39, -v32
	v_fmac_f32_e32 v34, v41, v5
	v_sub_f32_e32 v5, v33, v31
	v_add_f32_e32 v5, v30, v5
	v_add_f32_e32 v30, v32, v34
	v_sub_f32_e32 v33, v31, v30
	v_pk_add_f32 v[36:37], v[30:31], v[32:33] neg_lo:[0,1] neg_hi:[0,1]
	v_mov_b32_e32 v35, v30
	v_pk_add_f32 v[30:31], v[36:37], v[34:35] neg_lo:[0,1] neg_hi:[0,1]
	v_add_f32_e32 v5, v5, v31
	v_add_f32_e32 v5, v30, v5
	;; [unrolled: 1-line block ×4, first 2 shown]
	v_sub_f32_e32 v31, v30, v42
	v_mul_f32_e32 v5, v40, v5
	v_sub_f32_e32 v31, v41, v31
	v_add_f32_e32 v5, v31, v5
	v_add_f32_e32 v33, v30, v5
	v_mul_f32_e32 v34, v33, v33
	v_mov_b32_e32 v32, 0x3ecc95a3
	v_fmac_f32_e32 v32, 0x3e9b6dac, v34
	v_mov_b32_e32 v31, 0x3f2aaada
	v_fmac_f32_e32 v31, v34, v32
	v_cvt_f32_i32_e32 v32, v38
	v_sub_f32_e32 v30, v33, v30
	v_sub_f32_e32 v5, v5, v30
	v_ldexp_f32 v35, v33, 1
	v_mul_f32_e32 v33, v33, v34
	v_mov_b32_e32 v30, 0x3f317218
	s_mov_b32 s2, 0x3f317218
	v_pk_mul_f32 v[30:31], v[32:33], v[30:31]
	v_fma_f32 v34, v32, s2, -v30
	v_fmac_f32_e32 v34, 0xb102e308, v32
	v_pk_add_f32 v[32:33], v[30:31], v[34:35]
	v_sub_f32_e32 v35, v33, v35
	v_ldexp_f32 v5, v5, 1
	v_sub_f32_e32 v35, v31, v35
	v_add_f32_e32 v37, v5, v35
	v_mov_b32_e32 v36, v30
	v_pk_add_f32 v[30:31], v[32:33], v[30:31] neg_lo:[0,1] neg_hi:[0,1]
	v_pk_add_f32 v[38:39], v[32:33], v[36:37]
	v_mov_b32_e32 v31, v39
	v_mov_b32_e32 v35, v32
	v_pk_add_f32 v[40:41], v[34:35], v[30:31] neg_lo:[0,1] neg_hi:[0,1]
	v_pk_add_f32 v[30:31], v[34:35], v[30:31]
	v_mov_b32_e32 v34, v31
	v_pk_add_f32 v[42:43], v[34:35], v[32:33] neg_lo:[0,1] neg_hi:[0,1]
	v_mov_b32_e32 v5, v42
	v_pk_add_f32 v[44:45], v[38:39], v[4:5] neg_lo:[0,1] neg_hi:[0,1]
	v_mov_b32_e32 v30, v39
	v_mov_b32_e32 v38, v33
	;; [unrolled: 1-line block ×4, first 2 shown]
	v_pk_add_f32 v[30:31], v[30:31], v[38:39] neg_lo:[0,1] neg_hi:[0,1]
	v_mov_b32_e32 v36, v37
	v_mov_b32_e32 v37, v32
	v_pk_add_f32 v[30:31], v[36:37], v[30:31] neg_lo:[0,1] neg_hi:[0,1]
	v_mov_b32_e32 v44, v40
	v_pk_add_f32 v[32:33], v[44:45], v[30:31]
	v_mov_b32_e32 v36, v33
	v_pk_add_f32 v[36:37], v[32:33], v[36:37]
	v_pk_add_f32 v[34:35], v[34:35], v[36:37]
	v_mov_b32_e32 v33, v34
	v_pk_add_f32 v[38:39], v[32:33], v[40:41] neg_lo:[0,1] neg_hi:[0,1]
	v_mov_b32_e32 v31, v36
	v_sub_f32_e32 v5, v32, v38
	v_pk_add_f32 v[30:31], v[30:31], v[38:39] neg_lo:[0,1] neg_hi:[0,1]
	v_sub_f32_e32 v5, v40, v5
	s_mov_b32 s3, 0x7f800000
	v_add_f32_e32 v5, v30, v5
	s_mov_b32 s2, 0x33800000
	v_add_f32_e32 v5, v5, v31
	v_cmp_eq_f32_e32 vcc, s3, v15
	v_cmp_lt_f32_e64 s[2:3], |v15|, s2
	v_add_f32_e32 v5, v34, v5
	s_or_b64 vcc, vcc, s[2:3]
	v_cndmask_b32_e32 v5, v5, v15, vcc
	v_add_f32_e32 v5, v29, v5
	v_cvt_f16_f32_e32 v31, v5
	v_cvt_f32_f16_e32 v15, v31
	v_mov_b32_e32 v5, v31
.LBB431_142:
	s_or_b64 exec, exec, s[0:1]
	v_max_f32_e32 v29, v21, v21
	v_max_f32_e32 v32, v15, v15
	v_min_f32_e32 v30, v32, v29
	v_cmp_u_f16_e32 vcc, v31, v31
	v_max_f32_e32 v29, v32, v29
	v_cndmask_b32_e32 v30, v30, v15, vcc
	v_cndmask_b32_e32 v29, v29, v15, vcc
	v_cndmask_b32_e64 v30, v30, v21, s[64:65]
	v_cndmask_b32_e64 v29, v29, v21, s[64:65]
	v_cmp_neq_f32_e32 vcc, v30, v29
	v_cmp_class_f32_e64 s[0:1], v30, s4
	s_or_b64 s[2:3], vcc, s[0:1]
	v_mov_b32_e32 v21, v5
	s_and_saveexec_b64 s[0:1], s[2:3]
	s_cbranch_execz .LBB431_144
; %bb.143:
	v_sub_f32_e32 v15, v30, v29
	s_mov_b32 s2, 0x3fb8aa3b
	v_mul_f32_e32 v21, 0x3fb8aa3b, v15
	v_fma_f32 v30, v15, s2, -v21
	v_rndne_f32_e32 v31, v21
	v_fmac_f32_e32 v30, 0x32a5705f, v15
	v_sub_f32_e32 v21, v21, v31
	v_add_f32_e32 v21, v21, v30
	v_exp_f32_e32 v21, v21
	v_cvt_i32_f32_e32 v30, v31
	s_mov_b32 s2, 0xc2ce8ed0
	v_cmp_ngt_f32_e32 vcc, s2, v15
	s_mov_b32 s2, 0x42b17218
	v_ldexp_f32 v21, v21, v30
	v_cndmask_b32_e32 v21, 0, v21, vcc
	v_mov_b32_e32 v30, 0x7f800000
	v_cmp_nlt_f32_e32 vcc, s2, v15
	v_cndmask_b32_e32 v21, v30, v21, vcc
	v_add_f32_e32 v15, 1.0, v21
	v_add_f32_e32 v30, -1.0, v15
	v_sub_f32_e32 v31, v30, v15
	v_add_f32_e32 v31, 1.0, v31
	v_sub_f32_e32 v30, v21, v30
	v_add_f32_e32 v32, v30, v31
	v_frexp_mant_f32_e32 v33, v15
	s_mov_b32 s2, 0x3f2aaaab
	v_cvt_f64_f32_e32 v[30:31], v15
	v_frexp_exp_i32_f64_e32 v30, v[30:31]
	v_cmp_gt_f32_e32 vcc, s2, v33
	v_subbrev_co_u32_e32 v38, vcc, 0, v30, vcc
	v_sub_u32_e32 v30, 0, v38
	v_ldexp_f32 v15, v15, v30
	v_ldexp_f32 v30, v32, v30
	v_add_f32_e32 v32, -1.0, v15
	v_add_f32_e32 v31, 1.0, v32
	v_sub_f32_e32 v31, v15, v31
	v_add_f32_e32 v33, v30, v31
	v_add_f32_e32 v31, 1.0, v15
	v_add_f32_e32 v34, -1.0, v31
	v_sub_f32_e32 v15, v15, v34
	v_add_f32_e32 v15, v30, v15
	v_add_f32_e32 v39, v31, v15
	v_rcp_f32_e32 v40, v39
	v_sub_f32_e32 v30, v31, v39
	v_add_f32_e32 v31, v32, v33
	v_add_f32_e32 v15, v15, v30
	v_mul_f32_e32 v42, v31, v40
	v_sub_f32_e32 v30, v32, v31
	v_mul_f32_e32 v32, v39, v42
	v_fma_f32 v34, v42, v39, -v32
	v_fmac_f32_e32 v34, v42, v15
	v_add_f32_e32 v41, v33, v30
	v_add_f32_e32 v30, v32, v34
	v_sub_f32_e32 v33, v31, v30
	v_pk_add_f32 v[36:37], v[30:31], v[32:33] neg_lo:[0,1] neg_hi:[0,1]
	v_mov_b32_e32 v35, v30
	v_pk_add_f32 v[30:31], v[36:37], v[34:35] neg_lo:[0,1] neg_hi:[0,1]
	v_add_f32_e32 v31, v41, v31
	v_add_f32_e32 v30, v30, v31
	;; [unrolled: 1-line block ×3, first 2 shown]
	v_mul_f32_e32 v41, v40, v31
	v_mul_f32_e32 v32, v39, v41
	v_fma_f32 v34, v41, v39, -v32
	v_fmac_f32_e32 v34, v41, v15
	v_sub_f32_e32 v15, v33, v31
	v_add_f32_e32 v15, v30, v15
	v_add_f32_e32 v30, v32, v34
	v_sub_f32_e32 v33, v31, v30
	v_pk_add_f32 v[36:37], v[30:31], v[32:33] neg_lo:[0,1] neg_hi:[0,1]
	v_mov_b32_e32 v35, v30
	v_pk_add_f32 v[30:31], v[36:37], v[34:35] neg_lo:[0,1] neg_hi:[0,1]
	v_add_f32_e32 v15, v15, v31
	v_add_f32_e32 v15, v30, v15
	;; [unrolled: 1-line block ×4, first 2 shown]
	v_sub_f32_e32 v31, v30, v42
	v_mul_f32_e32 v15, v40, v15
	v_sub_f32_e32 v31, v41, v31
	v_add_f32_e32 v15, v31, v15
	v_add_f32_e32 v33, v30, v15
	v_mul_f32_e32 v34, v33, v33
	v_mov_b32_e32 v32, 0x3ecc95a3
	v_fmac_f32_e32 v32, 0x3e9b6dac, v34
	v_mov_b32_e32 v31, 0x3f2aaada
	v_fmac_f32_e32 v31, v34, v32
	v_cvt_f32_i32_e32 v32, v38
	v_sub_f32_e32 v30, v33, v30
	v_sub_f32_e32 v15, v15, v30
	v_ldexp_f32 v35, v33, 1
	v_mul_f32_e32 v33, v33, v34
	v_mov_b32_e32 v30, 0x3f317218
	s_mov_b32 s2, 0x3f317218
	v_pk_mul_f32 v[30:31], v[32:33], v[30:31]
	v_fma_f32 v34, v32, s2, -v30
	v_fmac_f32_e32 v34, 0xb102e308, v32
	v_pk_add_f32 v[32:33], v[30:31], v[34:35]
	v_sub_f32_e32 v35, v33, v35
	v_ldexp_f32 v15, v15, 1
	v_sub_f32_e32 v35, v31, v35
	v_add_f32_e32 v37, v15, v35
	v_mov_b32_e32 v36, v30
	v_pk_add_f32 v[30:31], v[32:33], v[30:31] neg_lo:[0,1] neg_hi:[0,1]
	v_pk_add_f32 v[38:39], v[32:33], v[36:37]
	v_mov_b32_e32 v31, v39
	v_mov_b32_e32 v35, v32
	v_pk_add_f32 v[40:41], v[34:35], v[30:31] neg_lo:[0,1] neg_hi:[0,1]
	v_pk_add_f32 v[30:31], v[34:35], v[30:31]
	v_mov_b32_e32 v34, v31
	v_pk_add_f32 v[42:43], v[34:35], v[32:33] neg_lo:[0,1] neg_hi:[0,1]
	v_mov_b32_e32 v15, v42
	v_pk_add_f32 v[44:45], v[38:39], v[14:15] neg_lo:[0,1] neg_hi:[0,1]
	v_mov_b32_e32 v30, v39
	v_mov_b32_e32 v38, v33
	;; [unrolled: 1-line block ×4, first 2 shown]
	v_pk_add_f32 v[30:31], v[30:31], v[38:39] neg_lo:[0,1] neg_hi:[0,1]
	v_mov_b32_e32 v36, v37
	v_mov_b32_e32 v37, v32
	v_pk_add_f32 v[30:31], v[36:37], v[30:31] neg_lo:[0,1] neg_hi:[0,1]
	v_mov_b32_e32 v44, v40
	v_pk_add_f32 v[32:33], v[44:45], v[30:31]
	v_mov_b32_e32 v36, v33
	v_pk_add_f32 v[36:37], v[32:33], v[36:37]
	v_pk_add_f32 v[34:35], v[34:35], v[36:37]
	v_mov_b32_e32 v33, v34
	v_pk_add_f32 v[38:39], v[32:33], v[40:41] neg_lo:[0,1] neg_hi:[0,1]
	v_mov_b32_e32 v31, v36
	v_sub_f32_e32 v15, v32, v38
	v_pk_add_f32 v[30:31], v[30:31], v[38:39] neg_lo:[0,1] neg_hi:[0,1]
	v_sub_f32_e32 v15, v40, v15
	s_mov_b32 s3, 0x7f800000
	v_add_f32_e32 v15, v30, v15
	s_mov_b32 s2, 0x33800000
	v_add_f32_e32 v15, v15, v31
	v_cmp_eq_f32_e32 vcc, s3, v21
	v_cmp_lt_f32_e64 s[2:3], |v21|, s2
	v_add_f32_e32 v15, v34, v15
	s_or_b64 vcc, vcc, s[2:3]
	v_cndmask_b32_e32 v15, v15, v21, vcc
	v_add_f32_e32 v15, v29, v15
	v_cvt_f16_f32_e32 v31, v15
	v_cvt_f32_f16_e32 v15, v31
	v_mov_b32_e32 v21, v31
.LBB431_144:
	s_or_b64 exec, exec, s[0:1]
	v_max_f32_e32 v29, v10, v10
	v_max_f32_e32 v32, v15, v15
	v_min_f32_e32 v30, v32, v29
	v_cmp_u_f16_e32 vcc, v31, v31
	v_max_f32_e32 v29, v32, v29
	v_cndmask_b32_e32 v30, v30, v15, vcc
	v_cndmask_b32_e32 v29, v29, v15, vcc
	v_cndmask_b32_e64 v30, v30, v10, s[66:67]
	v_cndmask_b32_e64 v29, v29, v10, s[66:67]
	v_cmp_neq_f32_e32 vcc, v30, v29
	v_cmp_class_f32_e64 s[0:1], v30, s4
	s_or_b64 s[2:3], vcc, s[0:1]
	v_mov_b32_e32 v10, v21
	s_and_saveexec_b64 s[0:1], s[2:3]
	s_cbranch_execz .LBB431_146
; %bb.145:
	v_sub_f32_e32 v10, v30, v29
	s_mov_b32 s2, 0x3fb8aa3b
	v_mul_f32_e32 v15, 0x3fb8aa3b, v10
	v_fma_f32 v30, v10, s2, -v15
	v_rndne_f32_e32 v31, v15
	v_fmac_f32_e32 v30, 0x32a5705f, v10
	v_sub_f32_e32 v15, v15, v31
	v_add_f32_e32 v15, v15, v30
	v_exp_f32_e32 v15, v15
	v_cvt_i32_f32_e32 v30, v31
	s_mov_b32 s2, 0xc2ce8ed0
	v_cmp_ngt_f32_e32 vcc, s2, v10
	s_mov_b32 s2, 0x42b17218
	v_ldexp_f32 v15, v15, v30
	v_cndmask_b32_e32 v15, 0, v15, vcc
	v_mov_b32_e32 v30, 0x7f800000
	v_cmp_nlt_f32_e32 vcc, s2, v10
	v_cndmask_b32_e32 v44, v30, v15, vcc
	v_add_f32_e32 v10, 1.0, v44
	v_add_f32_e32 v15, -1.0, v10
	v_sub_f32_e32 v30, v15, v10
	v_add_f32_e32 v30, 1.0, v30
	v_sub_f32_e32 v15, v44, v15
	v_add_f32_e32 v15, v15, v30
	v_frexp_mant_f32_e32 v32, v10
	s_mov_b32 s2, 0x3f2aaaab
	v_cvt_f64_f32_e32 v[30:31], v10
	v_frexp_exp_i32_f64_e32 v30, v[30:31]
	v_cmp_gt_f32_e32 vcc, s2, v32
	v_subbrev_co_u32_e32 v38, vcc, 0, v30, vcc
	v_sub_u32_e32 v30, 0, v38
	v_ldexp_f32 v10, v10, v30
	v_ldexp_f32 v15, v15, v30
	v_add_f32_e32 v30, -1.0, v10
	v_add_f32_e32 v31, 1.0, v30
	v_sub_f32_e32 v31, v10, v31
	v_add_f32_e32 v32, v15, v31
	v_add_f32_e32 v31, 1.0, v10
	v_add_f32_e32 v33, -1.0, v31
	v_sub_f32_e32 v10, v10, v33
	v_add_f32_e32 v10, v15, v10
	v_add_f32_e32 v15, v31, v10
	v_rcp_f32_e32 v39, v15
	v_sub_f32_e32 v31, v31, v15
	v_add_f32_e32 v10, v10, v31
	v_add_f32_e32 v31, v30, v32
	v_sub_f32_e32 v30, v30, v31
	v_mul_f32_e32 v41, v31, v39
	v_add_f32_e32 v40, v32, v30
	v_mul_f32_e32 v32, v15, v41
	v_fma_f32 v34, v41, v15, -v32
	v_fmac_f32_e32 v34, v41, v10
	v_add_f32_e32 v30, v32, v34
	v_sub_f32_e32 v33, v31, v30
	v_pk_add_f32 v[36:37], v[30:31], v[32:33] neg_lo:[0,1] neg_hi:[0,1]
	v_mov_b32_e32 v35, v30
	v_pk_add_f32 v[30:31], v[36:37], v[34:35] neg_lo:[0,1] neg_hi:[0,1]
	v_add_f32_e32 v31, v40, v31
	v_add_f32_e32 v30, v30, v31
	;; [unrolled: 1-line block ×3, first 2 shown]
	v_mul_f32_e32 v40, v39, v31
	v_mul_f32_e32 v32, v15, v40
	v_fma_f32 v34, v40, v15, -v32
	v_fmac_f32_e32 v34, v40, v10
	v_sub_f32_e32 v10, v33, v31
	v_add_f32_e32 v10, v30, v10
	v_add_f32_e32 v30, v32, v34
	v_sub_f32_e32 v33, v31, v30
	v_pk_add_f32 v[36:37], v[30:31], v[32:33] neg_lo:[0,1] neg_hi:[0,1]
	v_mov_b32_e32 v35, v30
	v_pk_add_f32 v[30:31], v[36:37], v[34:35] neg_lo:[0,1] neg_hi:[0,1]
	v_add_f32_e32 v10, v10, v31
	v_add_f32_e32 v10, v30, v10
	;; [unrolled: 1-line block ×4, first 2 shown]
	v_sub_f32_e32 v30, v15, v41
	v_mul_f32_e32 v10, v39, v10
	v_sub_f32_e32 v30, v40, v30
	v_add_f32_e32 v10, v30, v10
	v_add_f32_e32 v30, v15, v10
	v_mul_f32_e32 v33, v30, v30
	v_mov_b32_e32 v32, 0x3ecc95a3
	v_fmac_f32_e32 v32, 0x3e9b6dac, v33
	v_mov_b32_e32 v31, 0x3f2aaada
	v_fmac_f32_e32 v31, v33, v32
	v_cvt_f32_i32_e32 v32, v38
	v_sub_f32_e32 v15, v30, v15
	v_ldexp_f32 v35, v30, 1
	v_mul_f32_e32 v33, v30, v33
	v_mov_b32_e32 v30, 0x3f317218
	s_mov_b32 s2, 0x3f317218
	v_pk_mul_f32 v[30:31], v[32:33], v[30:31]
	v_fma_f32 v34, v32, s2, -v30
	v_fmac_f32_e32 v34, 0xb102e308, v32
	v_pk_add_f32 v[32:33], v[30:31], v[34:35]
	v_sub_f32_e32 v10, v10, v15
	v_sub_f32_e32 v15, v33, v35
	v_ldexp_f32 v10, v10, 1
	v_sub_f32_e32 v15, v31, v15
	v_add_f32_e32 v37, v10, v15
	v_mov_b32_e32 v36, v30
	v_pk_add_f32 v[30:31], v[32:33], v[30:31] neg_lo:[0,1] neg_hi:[0,1]
	v_pk_add_f32 v[38:39], v[32:33], v[36:37]
	v_mov_b32_e32 v31, v39
	v_mov_b32_e32 v35, v32
	v_pk_add_f32 v[40:41], v[34:35], v[30:31] neg_lo:[0,1] neg_hi:[0,1]
	v_pk_add_f32 v[30:31], v[34:35], v[30:31]
	v_mov_b32_e32 v10, v31
	v_pk_add_f32 v[34:35], v[10:11], v[32:33] neg_lo:[0,1] neg_hi:[0,1]
	v_mov_b32_e32 v15, v34
	v_pk_add_f32 v[42:43], v[38:39], v[14:15] neg_lo:[0,1] neg_hi:[0,1]
	v_mov_b32_e32 v30, v39
	v_mov_b32_e32 v38, v33
	;; [unrolled: 1-line block ×4, first 2 shown]
	v_pk_add_f32 v[30:31], v[30:31], v[38:39] neg_lo:[0,1] neg_hi:[0,1]
	v_mov_b32_e32 v34, v37
	v_mov_b32_e32 v35, v32
	v_pk_add_f32 v[30:31], v[34:35], v[30:31] neg_lo:[0,1] neg_hi:[0,1]
	v_mov_b32_e32 v42, v40
	v_pk_add_f32 v[32:33], v[42:43], v[30:31]
	v_mov_b32_e32 v34, v33
	v_pk_add_f32 v[34:35], v[32:33], v[34:35]
	v_pk_add_f32 v[36:37], v[10:11], v[34:35]
	v_mov_b32_e32 v33, v36
	v_pk_add_f32 v[38:39], v[32:33], v[40:41] neg_lo:[0,1] neg_hi:[0,1]
	v_mov_b32_e32 v31, v34
	v_sub_f32_e32 v10, v32, v38
	v_pk_add_f32 v[30:31], v[30:31], v[38:39] neg_lo:[0,1] neg_hi:[0,1]
	v_sub_f32_e32 v10, v40, v10
	s_mov_b32 s3, 0x7f800000
	v_add_f32_e32 v10, v30, v10
	s_mov_b32 s2, 0x33800000
	v_add_f32_e32 v10, v10, v31
	v_cmp_eq_f32_e32 vcc, s3, v44
	v_cmp_lt_f32_e64 s[2:3], |v44|, s2
	v_add_f32_e32 v10, v36, v10
	s_or_b64 vcc, vcc, s[2:3]
	v_cndmask_b32_e32 v10, v10, v44, vcc
	v_add_f32_e32 v10, v29, v10
	v_cvt_f16_f32_e32 v31, v10
	v_cvt_f32_f16_e32 v15, v31
	v_mov_b32_e32 v10, v31
.LBB431_146:
	s_or_b64 exec, exec, s[0:1]
	v_max_f32_e32 v29, v22, v22
	v_max_f32_e32 v32, v15, v15
	v_min_f32_e32 v30, v32, v29
	v_cmp_u_f16_e32 vcc, v31, v31
	v_max_f32_e32 v29, v32, v29
	v_cndmask_b32_e32 v30, v30, v15, vcc
	v_cndmask_b32_e32 v29, v29, v15, vcc
	v_cndmask_b32_e64 v30, v30, v22, s[68:69]
	v_cndmask_b32_e64 v29, v29, v22, s[68:69]
	v_cmp_neq_f32_e32 vcc, v30, v29
	v_cmp_class_f32_e64 s[0:1], v30, s4
	s_or_b64 s[2:3], vcc, s[0:1]
	v_mov_b32_e32 v22, v10
	s_and_saveexec_b64 s[0:1], s[2:3]
	s_cbranch_execz .LBB431_148
; %bb.147:
	v_sub_f32_e32 v15, v30, v29
	s_mov_b32 s2, 0x3fb8aa3b
	v_mul_f32_e32 v22, 0x3fb8aa3b, v15
	v_fma_f32 v30, v15, s2, -v22
	v_rndne_f32_e32 v31, v22
	v_fmac_f32_e32 v30, 0x32a5705f, v15
	v_sub_f32_e32 v22, v22, v31
	v_add_f32_e32 v22, v22, v30
	v_exp_f32_e32 v22, v22
	v_cvt_i32_f32_e32 v30, v31
	s_mov_b32 s2, 0xc2ce8ed0
	v_cmp_ngt_f32_e32 vcc, s2, v15
	s_mov_b32 s2, 0x42b17218
	v_ldexp_f32 v22, v22, v30
	v_cndmask_b32_e32 v22, 0, v22, vcc
	v_mov_b32_e32 v30, 0x7f800000
	v_cmp_nlt_f32_e32 vcc, s2, v15
	v_cndmask_b32_e32 v44, v30, v22, vcc
	v_add_f32_e32 v15, 1.0, v44
	v_add_f32_e32 v22, -1.0, v15
	v_sub_f32_e32 v30, v22, v15
	v_add_f32_e32 v30, 1.0, v30
	v_sub_f32_e32 v22, v44, v22
	v_add_f32_e32 v22, v22, v30
	v_frexp_mant_f32_e32 v32, v15
	s_mov_b32 s2, 0x3f2aaaab
	v_cvt_f64_f32_e32 v[30:31], v15
	v_frexp_exp_i32_f64_e32 v30, v[30:31]
	v_cmp_gt_f32_e32 vcc, s2, v32
	v_subbrev_co_u32_e32 v38, vcc, 0, v30, vcc
	v_sub_u32_e32 v30, 0, v38
	v_ldexp_f32 v15, v15, v30
	v_ldexp_f32 v22, v22, v30
	v_add_f32_e32 v30, -1.0, v15
	v_add_f32_e32 v31, 1.0, v30
	v_sub_f32_e32 v31, v15, v31
	v_add_f32_e32 v32, v22, v31
	v_add_f32_e32 v31, 1.0, v15
	v_add_f32_e32 v33, -1.0, v31
	v_sub_f32_e32 v15, v15, v33
	v_add_f32_e32 v15, v22, v15
	v_add_f32_e32 v22, v31, v15
	v_rcp_f32_e32 v39, v22
	v_sub_f32_e32 v31, v31, v22
	v_add_f32_e32 v15, v15, v31
	v_add_f32_e32 v31, v30, v32
	v_sub_f32_e32 v30, v30, v31
	v_mul_f32_e32 v41, v31, v39
	v_add_f32_e32 v40, v32, v30
	v_mul_f32_e32 v32, v22, v41
	v_fma_f32 v34, v41, v22, -v32
	v_fmac_f32_e32 v34, v41, v15
	v_add_f32_e32 v30, v32, v34
	v_sub_f32_e32 v33, v31, v30
	v_pk_add_f32 v[36:37], v[30:31], v[32:33] neg_lo:[0,1] neg_hi:[0,1]
	v_mov_b32_e32 v35, v30
	v_pk_add_f32 v[30:31], v[36:37], v[34:35] neg_lo:[0,1] neg_hi:[0,1]
	v_add_f32_e32 v31, v40, v31
	v_add_f32_e32 v30, v30, v31
	;; [unrolled: 1-line block ×3, first 2 shown]
	v_mul_f32_e32 v40, v39, v31
	v_mul_f32_e32 v32, v22, v40
	v_fma_f32 v34, v40, v22, -v32
	v_fmac_f32_e32 v34, v40, v15
	v_sub_f32_e32 v15, v33, v31
	v_add_f32_e32 v15, v30, v15
	v_add_f32_e32 v30, v32, v34
	v_sub_f32_e32 v33, v31, v30
	v_pk_add_f32 v[36:37], v[30:31], v[32:33] neg_lo:[0,1] neg_hi:[0,1]
	v_mov_b32_e32 v35, v30
	v_pk_add_f32 v[30:31], v[36:37], v[34:35] neg_lo:[0,1] neg_hi:[0,1]
	v_add_f32_e32 v15, v15, v31
	v_add_f32_e32 v15, v30, v15
	v_add_f32_e32 v22, v41, v40
	v_add_f32_e32 v15, v33, v15
	v_sub_f32_e32 v30, v22, v41
	v_mul_f32_e32 v15, v39, v15
	v_sub_f32_e32 v30, v40, v30
	v_add_f32_e32 v15, v30, v15
	v_add_f32_e32 v30, v22, v15
	v_mul_f32_e32 v33, v30, v30
	v_mov_b32_e32 v32, 0x3ecc95a3
	v_fmac_f32_e32 v32, 0x3e9b6dac, v33
	v_mov_b32_e32 v31, 0x3f2aaada
	v_fmac_f32_e32 v31, v33, v32
	v_cvt_f32_i32_e32 v32, v38
	v_sub_f32_e32 v22, v30, v22
	v_ldexp_f32 v35, v30, 1
	v_mul_f32_e32 v33, v30, v33
	v_mov_b32_e32 v30, 0x3f317218
	s_mov_b32 s2, 0x3f317218
	v_pk_mul_f32 v[30:31], v[32:33], v[30:31]
	v_fma_f32 v34, v32, s2, -v30
	v_fmac_f32_e32 v34, 0xb102e308, v32
	v_pk_add_f32 v[32:33], v[30:31], v[34:35]
	v_sub_f32_e32 v15, v15, v22
	v_sub_f32_e32 v22, v33, v35
	v_ldexp_f32 v15, v15, 1
	v_sub_f32_e32 v22, v31, v22
	v_add_f32_e32 v37, v15, v22
	v_mov_b32_e32 v36, v30
	v_pk_add_f32 v[30:31], v[32:33], v[30:31] neg_lo:[0,1] neg_hi:[0,1]
	v_pk_add_f32 v[38:39], v[32:33], v[36:37]
	v_mov_b32_e32 v31, v39
	v_mov_b32_e32 v35, v32
	v_pk_add_f32 v[40:41], v[34:35], v[30:31] neg_lo:[0,1] neg_hi:[0,1]
	v_pk_add_f32 v[30:31], v[34:35], v[30:31]
	v_mov_b32_e32 v22, v31
	v_pk_add_f32 v[34:35], v[22:23], v[32:33] neg_lo:[0,1] neg_hi:[0,1]
	v_mov_b32_e32 v15, v34
	v_pk_add_f32 v[42:43], v[38:39], v[14:15] neg_lo:[0,1] neg_hi:[0,1]
	v_mov_b32_e32 v30, v39
	v_mov_b32_e32 v38, v33
	;; [unrolled: 1-line block ×4, first 2 shown]
	v_pk_add_f32 v[30:31], v[30:31], v[38:39] neg_lo:[0,1] neg_hi:[0,1]
	v_mov_b32_e32 v34, v37
	v_mov_b32_e32 v35, v32
	v_pk_add_f32 v[30:31], v[34:35], v[30:31] neg_lo:[0,1] neg_hi:[0,1]
	v_mov_b32_e32 v42, v40
	v_pk_add_f32 v[32:33], v[42:43], v[30:31]
	v_mov_b32_e32 v34, v33
	v_pk_add_f32 v[34:35], v[32:33], v[34:35]
	v_pk_add_f32 v[36:37], v[22:23], v[34:35]
	v_mov_b32_e32 v33, v36
	v_pk_add_f32 v[38:39], v[32:33], v[40:41] neg_lo:[0,1] neg_hi:[0,1]
	v_mov_b32_e32 v31, v34
	v_sub_f32_e32 v15, v32, v38
	v_pk_add_f32 v[30:31], v[30:31], v[38:39] neg_lo:[0,1] neg_hi:[0,1]
	v_sub_f32_e32 v15, v40, v15
	s_mov_b32 s3, 0x7f800000
	v_add_f32_e32 v15, v30, v15
	s_mov_b32 s2, 0x33800000
	v_add_f32_e32 v15, v15, v31
	v_cmp_eq_f32_e32 vcc, s3, v44
	v_cmp_lt_f32_e64 s[2:3], |v44|, s2
	v_add_f32_e32 v15, v36, v15
	s_or_b64 vcc, vcc, s[2:3]
	v_cndmask_b32_e32 v15, v15, v44, vcc
	v_add_f32_e32 v15, v29, v15
	v_cvt_f16_f32_e32 v31, v15
	v_cvt_f32_f16_e32 v15, v31
	v_mov_b32_e32 v22, v31
.LBB431_148:
	s_or_b64 exec, exec, s[0:1]
	v_max_f32_e32 v29, v11, v11
	v_max_f32_e32 v32, v15, v15
	v_min_f32_e32 v30, v32, v29
	v_cmp_u_f16_e32 vcc, v31, v31
	v_max_f32_e32 v29, v32, v29
	v_cndmask_b32_e32 v30, v30, v15, vcc
	v_cndmask_b32_e32 v29, v29, v15, vcc
	v_cndmask_b32_e64 v30, v30, v11, s[70:71]
	v_cndmask_b32_e64 v29, v29, v11, s[70:71]
	v_cmp_neq_f32_e32 vcc, v30, v29
	v_cmp_class_f32_e64 s[0:1], v30, s4
	s_or_b64 s[2:3], vcc, s[0:1]
	v_mov_b32_e32 v11, v22
	s_and_saveexec_b64 s[0:1], s[2:3]
	s_cbranch_execz .LBB431_150
; %bb.149:
	v_sub_f32_e32 v11, v30, v29
	s_mov_b32 s2, 0x3fb8aa3b
	v_mul_f32_e32 v15, 0x3fb8aa3b, v11
	v_fma_f32 v30, v11, s2, -v15
	v_rndne_f32_e32 v31, v15
	v_fmac_f32_e32 v30, 0x32a5705f, v11
	v_sub_f32_e32 v15, v15, v31
	v_add_f32_e32 v15, v15, v30
	v_exp_f32_e32 v15, v15
	v_cvt_i32_f32_e32 v30, v31
	s_mov_b32 s2, 0xc2ce8ed0
	v_cmp_ngt_f32_e32 vcc, s2, v11
	s_mov_b32 s2, 0x42b17218
	v_ldexp_f32 v15, v15, v30
	v_cndmask_b32_e32 v15, 0, v15, vcc
	v_mov_b32_e32 v30, 0x7f800000
	v_cmp_nlt_f32_e32 vcc, s2, v11
	v_cndmask_b32_e32 v15, v30, v15, vcc
	v_add_f32_e32 v11, 1.0, v15
	v_add_f32_e32 v30, -1.0, v11
	v_sub_f32_e32 v31, v30, v11
	v_add_f32_e32 v31, 1.0, v31
	v_sub_f32_e32 v30, v15, v30
	v_add_f32_e32 v32, v30, v31
	v_frexp_mant_f32_e32 v33, v11
	s_mov_b32 s2, 0x3f2aaaab
	v_cvt_f64_f32_e32 v[30:31], v11
	v_frexp_exp_i32_f64_e32 v30, v[30:31]
	v_cmp_gt_f32_e32 vcc, s2, v33
	v_subbrev_co_u32_e32 v38, vcc, 0, v30, vcc
	v_sub_u32_e32 v30, 0, v38
	v_ldexp_f32 v11, v11, v30
	v_ldexp_f32 v30, v32, v30
	v_add_f32_e32 v32, -1.0, v11
	v_add_f32_e32 v31, 1.0, v32
	v_sub_f32_e32 v31, v11, v31
	v_add_f32_e32 v33, v30, v31
	v_add_f32_e32 v31, 1.0, v11
	v_add_f32_e32 v34, -1.0, v31
	v_sub_f32_e32 v11, v11, v34
	v_add_f32_e32 v11, v30, v11
	v_add_f32_e32 v39, v31, v11
	v_rcp_f32_e32 v40, v39
	v_sub_f32_e32 v30, v31, v39
	v_add_f32_e32 v31, v32, v33
	v_add_f32_e32 v11, v11, v30
	v_mul_f32_e32 v42, v31, v40
	v_sub_f32_e32 v30, v32, v31
	v_mul_f32_e32 v32, v39, v42
	v_fma_f32 v34, v42, v39, -v32
	v_fmac_f32_e32 v34, v42, v11
	v_add_f32_e32 v41, v33, v30
	v_add_f32_e32 v30, v32, v34
	v_sub_f32_e32 v33, v31, v30
	v_pk_add_f32 v[36:37], v[30:31], v[32:33] neg_lo:[0,1] neg_hi:[0,1]
	v_mov_b32_e32 v35, v30
	v_pk_add_f32 v[30:31], v[36:37], v[34:35] neg_lo:[0,1] neg_hi:[0,1]
	v_add_f32_e32 v31, v41, v31
	v_add_f32_e32 v30, v30, v31
	;; [unrolled: 1-line block ×3, first 2 shown]
	v_mul_f32_e32 v41, v40, v31
	v_mul_f32_e32 v32, v39, v41
	v_fma_f32 v34, v41, v39, -v32
	v_fmac_f32_e32 v34, v41, v11
	v_sub_f32_e32 v11, v33, v31
	v_add_f32_e32 v11, v30, v11
	v_add_f32_e32 v30, v32, v34
	v_sub_f32_e32 v33, v31, v30
	v_pk_add_f32 v[36:37], v[30:31], v[32:33] neg_lo:[0,1] neg_hi:[0,1]
	v_mov_b32_e32 v35, v30
	v_pk_add_f32 v[30:31], v[36:37], v[34:35] neg_lo:[0,1] neg_hi:[0,1]
	v_add_f32_e32 v11, v11, v31
	v_add_f32_e32 v11, v30, v11
	v_add_f32_e32 v30, v42, v41
	v_add_f32_e32 v11, v33, v11
	v_sub_f32_e32 v31, v30, v42
	v_mul_f32_e32 v11, v40, v11
	v_sub_f32_e32 v31, v41, v31
	v_add_f32_e32 v11, v31, v11
	v_add_f32_e32 v33, v30, v11
	v_mul_f32_e32 v34, v33, v33
	v_mov_b32_e32 v32, 0x3ecc95a3
	v_fmac_f32_e32 v32, 0x3e9b6dac, v34
	v_mov_b32_e32 v31, 0x3f2aaada
	v_fmac_f32_e32 v31, v34, v32
	v_cvt_f32_i32_e32 v32, v38
	v_sub_f32_e32 v30, v33, v30
	v_sub_f32_e32 v11, v11, v30
	v_ldexp_f32 v35, v33, 1
	v_mul_f32_e32 v33, v33, v34
	v_mov_b32_e32 v30, 0x3f317218
	s_mov_b32 s2, 0x3f317218
	v_pk_mul_f32 v[30:31], v[32:33], v[30:31]
	v_fma_f32 v34, v32, s2, -v30
	v_fmac_f32_e32 v34, 0xb102e308, v32
	v_pk_add_f32 v[32:33], v[30:31], v[34:35]
	v_sub_f32_e32 v35, v33, v35
	v_ldexp_f32 v11, v11, 1
	v_sub_f32_e32 v35, v31, v35
	v_add_f32_e32 v37, v11, v35
	v_mov_b32_e32 v36, v30
	v_pk_add_f32 v[30:31], v[32:33], v[30:31] neg_lo:[0,1] neg_hi:[0,1]
	v_pk_add_f32 v[38:39], v[32:33], v[36:37]
	v_mov_b32_e32 v31, v39
	v_mov_b32_e32 v35, v32
	v_pk_add_f32 v[40:41], v[34:35], v[30:31] neg_lo:[0,1] neg_hi:[0,1]
	v_pk_add_f32 v[30:31], v[34:35], v[30:31]
	v_mov_b32_e32 v34, v31
	v_pk_add_f32 v[42:43], v[34:35], v[32:33] neg_lo:[0,1] neg_hi:[0,1]
	v_mov_b32_e32 v11, v42
	v_pk_add_f32 v[44:45], v[38:39], v[10:11] neg_lo:[0,1] neg_hi:[0,1]
	v_mov_b32_e32 v30, v39
	v_mov_b32_e32 v38, v33
	;; [unrolled: 1-line block ×4, first 2 shown]
	v_pk_add_f32 v[30:31], v[30:31], v[38:39] neg_lo:[0,1] neg_hi:[0,1]
	v_mov_b32_e32 v36, v37
	v_mov_b32_e32 v37, v32
	v_pk_add_f32 v[30:31], v[36:37], v[30:31] neg_lo:[0,1] neg_hi:[0,1]
	v_mov_b32_e32 v44, v40
	v_pk_add_f32 v[32:33], v[44:45], v[30:31]
	v_mov_b32_e32 v36, v33
	v_pk_add_f32 v[36:37], v[32:33], v[36:37]
	v_pk_add_f32 v[34:35], v[34:35], v[36:37]
	v_mov_b32_e32 v33, v34
	v_pk_add_f32 v[38:39], v[32:33], v[40:41] neg_lo:[0,1] neg_hi:[0,1]
	v_mov_b32_e32 v31, v36
	v_sub_f32_e32 v11, v32, v38
	v_pk_add_f32 v[30:31], v[30:31], v[38:39] neg_lo:[0,1] neg_hi:[0,1]
	v_sub_f32_e32 v11, v40, v11
	s_mov_b32 s3, 0x7f800000
	v_add_f32_e32 v11, v30, v11
	s_mov_b32 s2, 0x33800000
	v_add_f32_e32 v11, v11, v31
	v_cmp_eq_f32_e32 vcc, s3, v15
	v_cmp_lt_f32_e64 s[2:3], |v15|, s2
	v_add_f32_e32 v11, v34, v11
	s_or_b64 vcc, vcc, s[2:3]
	v_cndmask_b32_e32 v11, v11, v15, vcc
	v_add_f32_e32 v11, v29, v11
	v_cvt_f16_f32_e32 v31, v11
	v_cvt_f32_f16_e32 v15, v31
	v_mov_b32_e32 v11, v31
.LBB431_150:
	s_or_b64 exec, exec, s[0:1]
	v_max_f32_e32 v29, v23, v23
	v_max_f32_e32 v32, v15, v15
	v_min_f32_e32 v30, v32, v29
	v_cmp_u_f16_e32 vcc, v31, v31
	v_max_f32_e32 v29, v32, v29
	v_cndmask_b32_e32 v30, v30, v15, vcc
	v_cndmask_b32_e32 v29, v29, v15, vcc
	v_cndmask_b32_e64 v30, v30, v23, s[72:73]
	v_cndmask_b32_e64 v29, v29, v23, s[72:73]
	v_cmp_neq_f32_e32 vcc, v30, v29
	v_cmp_class_f32_e64 s[0:1], v30, s4
	s_or_b64 s[2:3], vcc, s[0:1]
	v_mov_b32_e32 v23, v11
	s_and_saveexec_b64 s[0:1], s[2:3]
	s_cbranch_execz .LBB431_152
; %bb.151:
	v_sub_f32_e32 v15, v30, v29
	s_mov_b32 s2, 0x3fb8aa3b
	v_mul_f32_e32 v23, 0x3fb8aa3b, v15
	v_fma_f32 v30, v15, s2, -v23
	v_rndne_f32_e32 v31, v23
	v_fmac_f32_e32 v30, 0x32a5705f, v15
	v_sub_f32_e32 v23, v23, v31
	v_add_f32_e32 v23, v23, v30
	v_exp_f32_e32 v23, v23
	v_cvt_i32_f32_e32 v30, v31
	s_mov_b32 s2, 0xc2ce8ed0
	v_cmp_ngt_f32_e32 vcc, s2, v15
	s_mov_b32 s2, 0x42b17218
	v_ldexp_f32 v23, v23, v30
	v_cndmask_b32_e32 v23, 0, v23, vcc
	v_mov_b32_e32 v30, 0x7f800000
	v_cmp_nlt_f32_e32 vcc, s2, v15
	v_cndmask_b32_e32 v23, v30, v23, vcc
	v_add_f32_e32 v15, 1.0, v23
	v_add_f32_e32 v30, -1.0, v15
	v_sub_f32_e32 v31, v30, v15
	v_add_f32_e32 v31, 1.0, v31
	v_sub_f32_e32 v30, v23, v30
	v_add_f32_e32 v32, v30, v31
	v_frexp_mant_f32_e32 v33, v15
	s_mov_b32 s2, 0x3f2aaaab
	v_cvt_f64_f32_e32 v[30:31], v15
	v_frexp_exp_i32_f64_e32 v30, v[30:31]
	v_cmp_gt_f32_e32 vcc, s2, v33
	v_subbrev_co_u32_e32 v38, vcc, 0, v30, vcc
	v_sub_u32_e32 v30, 0, v38
	v_ldexp_f32 v15, v15, v30
	v_ldexp_f32 v30, v32, v30
	v_add_f32_e32 v32, -1.0, v15
	v_add_f32_e32 v31, 1.0, v32
	v_sub_f32_e32 v31, v15, v31
	v_add_f32_e32 v33, v30, v31
	v_add_f32_e32 v31, 1.0, v15
	v_add_f32_e32 v34, -1.0, v31
	v_sub_f32_e32 v15, v15, v34
	v_add_f32_e32 v15, v30, v15
	v_add_f32_e32 v39, v31, v15
	v_rcp_f32_e32 v40, v39
	v_sub_f32_e32 v30, v31, v39
	v_add_f32_e32 v31, v32, v33
	v_add_f32_e32 v15, v15, v30
	v_mul_f32_e32 v42, v31, v40
	v_sub_f32_e32 v30, v32, v31
	v_mul_f32_e32 v32, v39, v42
	v_fma_f32 v34, v42, v39, -v32
	v_fmac_f32_e32 v34, v42, v15
	v_add_f32_e32 v41, v33, v30
	v_add_f32_e32 v30, v32, v34
	v_sub_f32_e32 v33, v31, v30
	v_pk_add_f32 v[36:37], v[30:31], v[32:33] neg_lo:[0,1] neg_hi:[0,1]
	v_mov_b32_e32 v35, v30
	v_pk_add_f32 v[30:31], v[36:37], v[34:35] neg_lo:[0,1] neg_hi:[0,1]
	v_add_f32_e32 v31, v41, v31
	v_add_f32_e32 v30, v30, v31
	;; [unrolled: 1-line block ×3, first 2 shown]
	v_mul_f32_e32 v41, v40, v31
	v_mul_f32_e32 v32, v39, v41
	v_fma_f32 v34, v41, v39, -v32
	v_fmac_f32_e32 v34, v41, v15
	v_sub_f32_e32 v15, v33, v31
	v_add_f32_e32 v15, v30, v15
	v_add_f32_e32 v30, v32, v34
	v_sub_f32_e32 v33, v31, v30
	v_pk_add_f32 v[36:37], v[30:31], v[32:33] neg_lo:[0,1] neg_hi:[0,1]
	v_mov_b32_e32 v35, v30
	v_pk_add_f32 v[30:31], v[36:37], v[34:35] neg_lo:[0,1] neg_hi:[0,1]
	v_add_f32_e32 v15, v15, v31
	v_add_f32_e32 v15, v30, v15
	;; [unrolled: 1-line block ×4, first 2 shown]
	v_sub_f32_e32 v31, v30, v42
	v_mul_f32_e32 v15, v40, v15
	v_sub_f32_e32 v31, v41, v31
	v_add_f32_e32 v15, v31, v15
	v_add_f32_e32 v33, v30, v15
	v_mul_f32_e32 v34, v33, v33
	v_mov_b32_e32 v32, 0x3ecc95a3
	v_fmac_f32_e32 v32, 0x3e9b6dac, v34
	v_mov_b32_e32 v31, 0x3f2aaada
	v_fmac_f32_e32 v31, v34, v32
	v_cvt_f32_i32_e32 v32, v38
	v_sub_f32_e32 v30, v33, v30
	v_sub_f32_e32 v15, v15, v30
	v_ldexp_f32 v35, v33, 1
	v_mul_f32_e32 v33, v33, v34
	v_mov_b32_e32 v30, 0x3f317218
	s_mov_b32 s2, 0x3f317218
	v_pk_mul_f32 v[30:31], v[32:33], v[30:31]
	v_fma_f32 v34, v32, s2, -v30
	v_fmac_f32_e32 v34, 0xb102e308, v32
	v_pk_add_f32 v[32:33], v[30:31], v[34:35]
	v_sub_f32_e32 v35, v33, v35
	v_ldexp_f32 v15, v15, 1
	v_sub_f32_e32 v35, v31, v35
	v_add_f32_e32 v37, v15, v35
	v_mov_b32_e32 v36, v30
	v_pk_add_f32 v[30:31], v[32:33], v[30:31] neg_lo:[0,1] neg_hi:[0,1]
	v_pk_add_f32 v[38:39], v[32:33], v[36:37]
	v_mov_b32_e32 v31, v39
	v_mov_b32_e32 v35, v32
	v_pk_add_f32 v[40:41], v[34:35], v[30:31] neg_lo:[0,1] neg_hi:[0,1]
	v_pk_add_f32 v[30:31], v[34:35], v[30:31]
	v_mov_b32_e32 v34, v31
	v_pk_add_f32 v[42:43], v[34:35], v[32:33] neg_lo:[0,1] neg_hi:[0,1]
	v_mov_b32_e32 v15, v42
	v_pk_add_f32 v[44:45], v[38:39], v[14:15] neg_lo:[0,1] neg_hi:[0,1]
	v_mov_b32_e32 v30, v39
	v_mov_b32_e32 v38, v33
	;; [unrolled: 1-line block ×4, first 2 shown]
	v_pk_add_f32 v[30:31], v[30:31], v[38:39] neg_lo:[0,1] neg_hi:[0,1]
	v_mov_b32_e32 v36, v37
	v_mov_b32_e32 v37, v32
	v_pk_add_f32 v[30:31], v[36:37], v[30:31] neg_lo:[0,1] neg_hi:[0,1]
	v_mov_b32_e32 v44, v40
	v_pk_add_f32 v[32:33], v[44:45], v[30:31]
	v_mov_b32_e32 v36, v33
	v_pk_add_f32 v[36:37], v[32:33], v[36:37]
	v_pk_add_f32 v[34:35], v[34:35], v[36:37]
	v_mov_b32_e32 v33, v34
	v_pk_add_f32 v[38:39], v[32:33], v[40:41] neg_lo:[0,1] neg_hi:[0,1]
	v_mov_b32_e32 v31, v36
	v_sub_f32_e32 v15, v32, v38
	v_pk_add_f32 v[30:31], v[30:31], v[38:39] neg_lo:[0,1] neg_hi:[0,1]
	v_sub_f32_e32 v15, v40, v15
	s_mov_b32 s3, 0x7f800000
	v_add_f32_e32 v15, v30, v15
	s_mov_b32 s2, 0x33800000
	v_add_f32_e32 v15, v15, v31
	v_cmp_eq_f32_e32 vcc, s3, v23
	v_cmp_lt_f32_e64 s[2:3], |v23|, s2
	v_add_f32_e32 v15, v34, v15
	s_or_b64 vcc, vcc, s[2:3]
	v_cndmask_b32_e32 v15, v15, v23, vcc
	v_add_f32_e32 v15, v29, v15
	v_cvt_f16_f32_e32 v31, v15
	v_cvt_f32_f16_e32 v15, v31
	v_mov_b32_e32 v23, v31
.LBB431_152:
	s_or_b64 exec, exec, s[0:1]
	v_max_f32_e32 v29, v12, v12
	v_max_f32_e32 v32, v15, v15
	v_min_f32_e32 v30, v32, v29
	v_cmp_u_f16_e32 vcc, v31, v31
	v_max_f32_e32 v29, v32, v29
	v_cndmask_b32_e32 v30, v30, v15, vcc
	v_cndmask_b32_e32 v29, v29, v15, vcc
	v_cndmask_b32_e64 v30, v30, v12, s[74:75]
	v_cndmask_b32_e64 v29, v29, v12, s[74:75]
	v_cmp_neq_f32_e32 vcc, v30, v29
	v_cmp_class_f32_e64 s[0:1], v30, s4
	s_or_b64 s[2:3], vcc, s[0:1]
	v_mov_b32_e32 v12, v23
	s_and_saveexec_b64 s[0:1], s[2:3]
	s_cbranch_execz .LBB431_154
; %bb.153:
	v_sub_f32_e32 v12, v30, v29
	s_mov_b32 s2, 0x3fb8aa3b
	v_mul_f32_e32 v15, 0x3fb8aa3b, v12
	v_fma_f32 v30, v12, s2, -v15
	v_rndne_f32_e32 v31, v15
	v_fmac_f32_e32 v30, 0x32a5705f, v12
	v_sub_f32_e32 v15, v15, v31
	v_add_f32_e32 v15, v15, v30
	v_exp_f32_e32 v15, v15
	v_cvt_i32_f32_e32 v30, v31
	s_mov_b32 s2, 0xc2ce8ed0
	v_cmp_ngt_f32_e32 vcc, s2, v12
	s_mov_b32 s2, 0x42b17218
	v_ldexp_f32 v15, v15, v30
	v_cndmask_b32_e32 v15, 0, v15, vcc
	v_mov_b32_e32 v30, 0x7f800000
	v_cmp_nlt_f32_e32 vcc, s2, v12
	v_cndmask_b32_e32 v44, v30, v15, vcc
	v_add_f32_e32 v12, 1.0, v44
	v_add_f32_e32 v15, -1.0, v12
	v_sub_f32_e32 v30, v15, v12
	v_add_f32_e32 v30, 1.0, v30
	v_sub_f32_e32 v15, v44, v15
	v_add_f32_e32 v15, v15, v30
	v_frexp_mant_f32_e32 v32, v12
	s_mov_b32 s2, 0x3f2aaaab
	v_cvt_f64_f32_e32 v[30:31], v12
	v_frexp_exp_i32_f64_e32 v30, v[30:31]
	v_cmp_gt_f32_e32 vcc, s2, v32
	v_subbrev_co_u32_e32 v38, vcc, 0, v30, vcc
	v_sub_u32_e32 v30, 0, v38
	v_ldexp_f32 v12, v12, v30
	v_ldexp_f32 v15, v15, v30
	v_add_f32_e32 v30, -1.0, v12
	v_add_f32_e32 v31, 1.0, v30
	v_sub_f32_e32 v31, v12, v31
	v_add_f32_e32 v32, v15, v31
	v_add_f32_e32 v31, 1.0, v12
	v_add_f32_e32 v33, -1.0, v31
	v_sub_f32_e32 v12, v12, v33
	v_add_f32_e32 v12, v15, v12
	v_add_f32_e32 v15, v31, v12
	v_rcp_f32_e32 v39, v15
	v_sub_f32_e32 v31, v31, v15
	v_add_f32_e32 v12, v12, v31
	v_add_f32_e32 v31, v30, v32
	v_sub_f32_e32 v30, v30, v31
	v_mul_f32_e32 v41, v31, v39
	v_add_f32_e32 v40, v32, v30
	v_mul_f32_e32 v32, v15, v41
	v_fma_f32 v34, v41, v15, -v32
	v_fmac_f32_e32 v34, v41, v12
	v_add_f32_e32 v30, v32, v34
	v_sub_f32_e32 v33, v31, v30
	v_pk_add_f32 v[36:37], v[30:31], v[32:33] neg_lo:[0,1] neg_hi:[0,1]
	v_mov_b32_e32 v35, v30
	v_pk_add_f32 v[30:31], v[36:37], v[34:35] neg_lo:[0,1] neg_hi:[0,1]
	v_add_f32_e32 v31, v40, v31
	v_add_f32_e32 v30, v30, v31
	;; [unrolled: 1-line block ×3, first 2 shown]
	v_mul_f32_e32 v40, v39, v31
	v_mul_f32_e32 v32, v15, v40
	v_fma_f32 v34, v40, v15, -v32
	v_fmac_f32_e32 v34, v40, v12
	v_sub_f32_e32 v12, v33, v31
	v_add_f32_e32 v12, v30, v12
	v_add_f32_e32 v30, v32, v34
	v_sub_f32_e32 v33, v31, v30
	v_pk_add_f32 v[36:37], v[30:31], v[32:33] neg_lo:[0,1] neg_hi:[0,1]
	v_mov_b32_e32 v35, v30
	v_pk_add_f32 v[30:31], v[36:37], v[34:35] neg_lo:[0,1] neg_hi:[0,1]
	v_add_f32_e32 v12, v12, v31
	v_add_f32_e32 v12, v30, v12
	;; [unrolled: 1-line block ×4, first 2 shown]
	v_sub_f32_e32 v30, v15, v41
	v_mul_f32_e32 v12, v39, v12
	v_sub_f32_e32 v30, v40, v30
	v_add_f32_e32 v12, v30, v12
	v_add_f32_e32 v30, v15, v12
	v_mul_f32_e32 v33, v30, v30
	v_mov_b32_e32 v32, 0x3ecc95a3
	v_fmac_f32_e32 v32, 0x3e9b6dac, v33
	v_mov_b32_e32 v31, 0x3f2aaada
	v_fmac_f32_e32 v31, v33, v32
	v_cvt_f32_i32_e32 v32, v38
	v_sub_f32_e32 v15, v30, v15
	v_ldexp_f32 v35, v30, 1
	v_mul_f32_e32 v33, v30, v33
	v_mov_b32_e32 v30, 0x3f317218
	s_mov_b32 s2, 0x3f317218
	v_pk_mul_f32 v[30:31], v[32:33], v[30:31]
	v_fma_f32 v34, v32, s2, -v30
	v_fmac_f32_e32 v34, 0xb102e308, v32
	v_pk_add_f32 v[32:33], v[30:31], v[34:35]
	v_sub_f32_e32 v12, v12, v15
	v_sub_f32_e32 v15, v33, v35
	v_ldexp_f32 v12, v12, 1
	v_sub_f32_e32 v15, v31, v15
	v_add_f32_e32 v37, v12, v15
	v_mov_b32_e32 v36, v30
	v_pk_add_f32 v[30:31], v[32:33], v[30:31] neg_lo:[0,1] neg_hi:[0,1]
	v_pk_add_f32 v[38:39], v[32:33], v[36:37]
	v_mov_b32_e32 v31, v39
	v_mov_b32_e32 v35, v32
	v_pk_add_f32 v[40:41], v[34:35], v[30:31] neg_lo:[0,1] neg_hi:[0,1]
	v_pk_add_f32 v[30:31], v[34:35], v[30:31]
	v_mov_b32_e32 v12, v31
	v_pk_add_f32 v[34:35], v[12:13], v[32:33] neg_lo:[0,1] neg_hi:[0,1]
	v_mov_b32_e32 v15, v34
	v_pk_add_f32 v[42:43], v[38:39], v[14:15] neg_lo:[0,1] neg_hi:[0,1]
	v_mov_b32_e32 v30, v39
	v_mov_b32_e32 v38, v33
	v_mov_b32_e32 v39, v34
	v_mov_b32_e32 v41, v31
	v_pk_add_f32 v[30:31], v[30:31], v[38:39] neg_lo:[0,1] neg_hi:[0,1]
	v_mov_b32_e32 v34, v37
	v_mov_b32_e32 v35, v32
	v_pk_add_f32 v[30:31], v[34:35], v[30:31] neg_lo:[0,1] neg_hi:[0,1]
	v_mov_b32_e32 v42, v40
	v_pk_add_f32 v[32:33], v[42:43], v[30:31]
	v_mov_b32_e32 v34, v33
	v_pk_add_f32 v[34:35], v[32:33], v[34:35]
	v_pk_add_f32 v[36:37], v[12:13], v[34:35]
	v_mov_b32_e32 v33, v36
	v_pk_add_f32 v[38:39], v[32:33], v[40:41] neg_lo:[0,1] neg_hi:[0,1]
	v_mov_b32_e32 v31, v34
	v_sub_f32_e32 v12, v32, v38
	v_pk_add_f32 v[30:31], v[30:31], v[38:39] neg_lo:[0,1] neg_hi:[0,1]
	v_sub_f32_e32 v12, v40, v12
	s_mov_b32 s3, 0x7f800000
	v_add_f32_e32 v12, v30, v12
	s_mov_b32 s2, 0x33800000
	v_add_f32_e32 v12, v12, v31
	v_cmp_eq_f32_e32 vcc, s3, v44
	v_cmp_lt_f32_e64 s[2:3], |v44|, s2
	v_add_f32_e32 v12, v36, v12
	s_or_b64 vcc, vcc, s[2:3]
	v_cndmask_b32_e32 v12, v12, v44, vcc
	v_add_f32_e32 v12, v29, v12
	v_cvt_f16_f32_e32 v31, v12
	v_cvt_f32_f16_e32 v15, v31
	v_mov_b32_e32 v12, v31
.LBB431_154:
	s_or_b64 exec, exec, s[0:1]
	v_max_f32_e32 v29, v24, v24
	v_max_f32_e32 v32, v15, v15
	v_min_f32_e32 v30, v32, v29
	v_cmp_u_f16_e32 vcc, v31, v31
	v_max_f32_e32 v29, v32, v29
	v_cndmask_b32_e32 v30, v30, v15, vcc
	v_cndmask_b32_e32 v29, v29, v15, vcc
	v_cndmask_b32_e64 v30, v30, v24, s[76:77]
	v_cndmask_b32_e64 v29, v29, v24, s[76:77]
	v_cmp_neq_f32_e32 vcc, v30, v29
	v_cmp_class_f32_e64 s[0:1], v30, s4
	s_or_b64 s[2:3], vcc, s[0:1]
	v_mov_b32_e32 v24, v12
	s_and_saveexec_b64 s[0:1], s[2:3]
	s_cbranch_execz .LBB431_156
; %bb.155:
	v_sub_f32_e32 v15, v30, v29
	s_mov_b32 s2, 0x3fb8aa3b
	v_mul_f32_e32 v24, 0x3fb8aa3b, v15
	v_fma_f32 v30, v15, s2, -v24
	v_rndne_f32_e32 v31, v24
	v_fmac_f32_e32 v30, 0x32a5705f, v15
	v_sub_f32_e32 v24, v24, v31
	v_add_f32_e32 v24, v24, v30
	v_exp_f32_e32 v24, v24
	v_cvt_i32_f32_e32 v30, v31
	s_mov_b32 s2, 0xc2ce8ed0
	v_cmp_ngt_f32_e32 vcc, s2, v15
	s_mov_b32 s2, 0x42b17218
	v_ldexp_f32 v24, v24, v30
	v_cndmask_b32_e32 v24, 0, v24, vcc
	v_mov_b32_e32 v30, 0x7f800000
	v_cmp_nlt_f32_e32 vcc, s2, v15
	v_cndmask_b32_e32 v44, v30, v24, vcc
	v_add_f32_e32 v15, 1.0, v44
	v_add_f32_e32 v24, -1.0, v15
	v_sub_f32_e32 v30, v24, v15
	v_add_f32_e32 v30, 1.0, v30
	v_sub_f32_e32 v24, v44, v24
	v_add_f32_e32 v24, v24, v30
	v_frexp_mant_f32_e32 v32, v15
	s_mov_b32 s2, 0x3f2aaaab
	v_cvt_f64_f32_e32 v[30:31], v15
	v_frexp_exp_i32_f64_e32 v30, v[30:31]
	v_cmp_gt_f32_e32 vcc, s2, v32
	v_subbrev_co_u32_e32 v38, vcc, 0, v30, vcc
	v_sub_u32_e32 v30, 0, v38
	v_ldexp_f32 v15, v15, v30
	v_ldexp_f32 v24, v24, v30
	v_add_f32_e32 v30, -1.0, v15
	v_add_f32_e32 v31, 1.0, v30
	v_sub_f32_e32 v31, v15, v31
	v_add_f32_e32 v32, v24, v31
	v_add_f32_e32 v31, 1.0, v15
	v_add_f32_e32 v33, -1.0, v31
	v_sub_f32_e32 v15, v15, v33
	v_add_f32_e32 v15, v24, v15
	v_add_f32_e32 v24, v31, v15
	v_rcp_f32_e32 v39, v24
	v_sub_f32_e32 v31, v31, v24
	v_add_f32_e32 v15, v15, v31
	v_add_f32_e32 v31, v30, v32
	v_sub_f32_e32 v30, v30, v31
	v_mul_f32_e32 v41, v31, v39
	v_add_f32_e32 v40, v32, v30
	v_mul_f32_e32 v32, v24, v41
	v_fma_f32 v34, v41, v24, -v32
	v_fmac_f32_e32 v34, v41, v15
	v_add_f32_e32 v30, v32, v34
	v_sub_f32_e32 v33, v31, v30
	v_pk_add_f32 v[36:37], v[30:31], v[32:33] neg_lo:[0,1] neg_hi:[0,1]
	v_mov_b32_e32 v35, v30
	v_pk_add_f32 v[30:31], v[36:37], v[34:35] neg_lo:[0,1] neg_hi:[0,1]
	v_add_f32_e32 v31, v40, v31
	v_add_f32_e32 v30, v30, v31
	;; [unrolled: 1-line block ×3, first 2 shown]
	v_mul_f32_e32 v40, v39, v31
	v_mul_f32_e32 v32, v24, v40
	v_fma_f32 v34, v40, v24, -v32
	v_fmac_f32_e32 v34, v40, v15
	v_sub_f32_e32 v15, v33, v31
	v_add_f32_e32 v15, v30, v15
	v_add_f32_e32 v30, v32, v34
	v_sub_f32_e32 v33, v31, v30
	v_pk_add_f32 v[36:37], v[30:31], v[32:33] neg_lo:[0,1] neg_hi:[0,1]
	v_mov_b32_e32 v35, v30
	v_pk_add_f32 v[30:31], v[36:37], v[34:35] neg_lo:[0,1] neg_hi:[0,1]
	v_add_f32_e32 v15, v15, v31
	v_add_f32_e32 v15, v30, v15
	;; [unrolled: 1-line block ×4, first 2 shown]
	v_sub_f32_e32 v30, v24, v41
	v_mul_f32_e32 v15, v39, v15
	v_sub_f32_e32 v30, v40, v30
	v_add_f32_e32 v15, v30, v15
	v_add_f32_e32 v30, v24, v15
	v_mul_f32_e32 v33, v30, v30
	v_mov_b32_e32 v32, 0x3ecc95a3
	v_fmac_f32_e32 v32, 0x3e9b6dac, v33
	v_mov_b32_e32 v31, 0x3f2aaada
	v_fmac_f32_e32 v31, v33, v32
	v_cvt_f32_i32_e32 v32, v38
	v_sub_f32_e32 v24, v30, v24
	v_ldexp_f32 v35, v30, 1
	v_mul_f32_e32 v33, v30, v33
	v_mov_b32_e32 v30, 0x3f317218
	s_mov_b32 s2, 0x3f317218
	v_pk_mul_f32 v[30:31], v[32:33], v[30:31]
	v_fma_f32 v34, v32, s2, -v30
	v_fmac_f32_e32 v34, 0xb102e308, v32
	v_pk_add_f32 v[32:33], v[30:31], v[34:35]
	v_sub_f32_e32 v15, v15, v24
	v_sub_f32_e32 v24, v33, v35
	v_ldexp_f32 v15, v15, 1
	v_sub_f32_e32 v24, v31, v24
	v_add_f32_e32 v37, v15, v24
	v_mov_b32_e32 v36, v30
	v_pk_add_f32 v[30:31], v[32:33], v[30:31] neg_lo:[0,1] neg_hi:[0,1]
	v_pk_add_f32 v[38:39], v[32:33], v[36:37]
	v_mov_b32_e32 v31, v39
	v_mov_b32_e32 v35, v32
	v_pk_add_f32 v[40:41], v[34:35], v[30:31] neg_lo:[0,1] neg_hi:[0,1]
	v_pk_add_f32 v[30:31], v[34:35], v[30:31]
	v_mov_b32_e32 v24, v31
	v_pk_add_f32 v[34:35], v[24:25], v[32:33] neg_lo:[0,1] neg_hi:[0,1]
	v_mov_b32_e32 v15, v34
	v_pk_add_f32 v[42:43], v[38:39], v[14:15] neg_lo:[0,1] neg_hi:[0,1]
	v_mov_b32_e32 v30, v39
	v_mov_b32_e32 v38, v33
	;; [unrolled: 1-line block ×4, first 2 shown]
	v_pk_add_f32 v[30:31], v[30:31], v[38:39] neg_lo:[0,1] neg_hi:[0,1]
	v_mov_b32_e32 v34, v37
	v_mov_b32_e32 v35, v32
	v_pk_add_f32 v[30:31], v[34:35], v[30:31] neg_lo:[0,1] neg_hi:[0,1]
	v_mov_b32_e32 v42, v40
	v_pk_add_f32 v[32:33], v[42:43], v[30:31]
	v_mov_b32_e32 v34, v33
	v_pk_add_f32 v[34:35], v[32:33], v[34:35]
	v_pk_add_f32 v[36:37], v[24:25], v[34:35]
	v_mov_b32_e32 v33, v36
	v_pk_add_f32 v[38:39], v[32:33], v[40:41] neg_lo:[0,1] neg_hi:[0,1]
	v_mov_b32_e32 v31, v34
	v_sub_f32_e32 v15, v32, v38
	v_pk_add_f32 v[30:31], v[30:31], v[38:39] neg_lo:[0,1] neg_hi:[0,1]
	v_sub_f32_e32 v15, v40, v15
	s_mov_b32 s3, 0x7f800000
	v_add_f32_e32 v15, v30, v15
	s_mov_b32 s2, 0x33800000
	v_add_f32_e32 v15, v15, v31
	v_cmp_eq_f32_e32 vcc, s3, v44
	v_cmp_lt_f32_e64 s[2:3], |v44|, s2
	v_add_f32_e32 v15, v36, v15
	s_or_b64 vcc, vcc, s[2:3]
	v_cndmask_b32_e32 v15, v15, v44, vcc
	v_add_f32_e32 v15, v29, v15
	v_cvt_f16_f32_e32 v31, v15
	v_cvt_f32_f16_e32 v15, v31
	v_mov_b32_e32 v24, v31
.LBB431_156:
	s_or_b64 exec, exec, s[0:1]
	v_max_f32_e32 v29, v13, v13
	v_max_f32_e32 v32, v15, v15
	v_min_f32_e32 v30, v32, v29
	v_cmp_u_f16_e32 vcc, v31, v31
	v_max_f32_e32 v29, v32, v29
	v_cndmask_b32_e32 v30, v30, v15, vcc
	v_cndmask_b32_e32 v29, v29, v15, vcc
	v_cndmask_b32_e64 v30, v30, v13, s[78:79]
	v_cndmask_b32_e64 v29, v29, v13, s[78:79]
	v_cmp_neq_f32_e32 vcc, v30, v29
	v_cmp_class_f32_e64 s[0:1], v30, s4
	s_or_b64 s[2:3], vcc, s[0:1]
	v_mov_b32_e32 v13, v24
	s_and_saveexec_b64 s[0:1], s[2:3]
	s_cbranch_execz .LBB431_158
; %bb.157:
	v_sub_f32_e32 v13, v30, v29
	s_mov_b32 s2, 0x3fb8aa3b
	v_mul_f32_e32 v15, 0x3fb8aa3b, v13
	v_fma_f32 v30, v13, s2, -v15
	v_rndne_f32_e32 v31, v15
	v_fmac_f32_e32 v30, 0x32a5705f, v13
	v_sub_f32_e32 v15, v15, v31
	v_add_f32_e32 v15, v15, v30
	v_exp_f32_e32 v15, v15
	v_cvt_i32_f32_e32 v30, v31
	s_mov_b32 s2, 0xc2ce8ed0
	v_cmp_ngt_f32_e32 vcc, s2, v13
	s_mov_b32 s2, 0x42b17218
	v_ldexp_f32 v15, v15, v30
	v_cndmask_b32_e32 v15, 0, v15, vcc
	v_mov_b32_e32 v30, 0x7f800000
	v_cmp_nlt_f32_e32 vcc, s2, v13
	v_cndmask_b32_e32 v15, v30, v15, vcc
	v_add_f32_e32 v13, 1.0, v15
	v_add_f32_e32 v30, -1.0, v13
	v_sub_f32_e32 v31, v30, v13
	v_add_f32_e32 v31, 1.0, v31
	v_sub_f32_e32 v30, v15, v30
	v_add_f32_e32 v32, v30, v31
	v_frexp_mant_f32_e32 v33, v13
	s_mov_b32 s2, 0x3f2aaaab
	v_cvt_f64_f32_e32 v[30:31], v13
	v_frexp_exp_i32_f64_e32 v30, v[30:31]
	v_cmp_gt_f32_e32 vcc, s2, v33
	v_subbrev_co_u32_e32 v38, vcc, 0, v30, vcc
	v_sub_u32_e32 v30, 0, v38
	v_ldexp_f32 v13, v13, v30
	v_ldexp_f32 v30, v32, v30
	v_add_f32_e32 v32, -1.0, v13
	v_add_f32_e32 v31, 1.0, v32
	v_sub_f32_e32 v31, v13, v31
	v_add_f32_e32 v33, v30, v31
	v_add_f32_e32 v31, 1.0, v13
	v_add_f32_e32 v34, -1.0, v31
	v_sub_f32_e32 v13, v13, v34
	v_add_f32_e32 v13, v30, v13
	v_add_f32_e32 v39, v31, v13
	v_rcp_f32_e32 v40, v39
	v_sub_f32_e32 v30, v31, v39
	v_add_f32_e32 v31, v32, v33
	v_add_f32_e32 v13, v13, v30
	v_mul_f32_e32 v42, v31, v40
	v_sub_f32_e32 v30, v32, v31
	v_mul_f32_e32 v32, v39, v42
	v_fma_f32 v34, v42, v39, -v32
	v_fmac_f32_e32 v34, v42, v13
	v_add_f32_e32 v41, v33, v30
	v_add_f32_e32 v30, v32, v34
	v_sub_f32_e32 v33, v31, v30
	v_pk_add_f32 v[36:37], v[30:31], v[32:33] neg_lo:[0,1] neg_hi:[0,1]
	v_mov_b32_e32 v35, v30
	v_pk_add_f32 v[30:31], v[36:37], v[34:35] neg_lo:[0,1] neg_hi:[0,1]
	v_add_f32_e32 v31, v41, v31
	v_add_f32_e32 v30, v30, v31
	;; [unrolled: 1-line block ×3, first 2 shown]
	v_mul_f32_e32 v41, v40, v31
	v_mul_f32_e32 v32, v39, v41
	v_fma_f32 v34, v41, v39, -v32
	v_fmac_f32_e32 v34, v41, v13
	v_sub_f32_e32 v13, v33, v31
	v_add_f32_e32 v13, v30, v13
	v_add_f32_e32 v30, v32, v34
	v_sub_f32_e32 v33, v31, v30
	v_pk_add_f32 v[36:37], v[30:31], v[32:33] neg_lo:[0,1] neg_hi:[0,1]
	v_mov_b32_e32 v35, v30
	v_pk_add_f32 v[30:31], v[36:37], v[34:35] neg_lo:[0,1] neg_hi:[0,1]
	v_add_f32_e32 v13, v13, v31
	v_add_f32_e32 v13, v30, v13
	;; [unrolled: 1-line block ×4, first 2 shown]
	v_sub_f32_e32 v31, v30, v42
	v_mul_f32_e32 v13, v40, v13
	v_sub_f32_e32 v31, v41, v31
	v_add_f32_e32 v13, v31, v13
	v_add_f32_e32 v33, v30, v13
	v_mul_f32_e32 v34, v33, v33
	v_mov_b32_e32 v32, 0x3ecc95a3
	v_fmac_f32_e32 v32, 0x3e9b6dac, v34
	v_mov_b32_e32 v31, 0x3f2aaada
	v_fmac_f32_e32 v31, v34, v32
	v_cvt_f32_i32_e32 v32, v38
	v_sub_f32_e32 v30, v33, v30
	v_sub_f32_e32 v13, v13, v30
	v_ldexp_f32 v35, v33, 1
	v_mul_f32_e32 v33, v33, v34
	v_mov_b32_e32 v30, 0x3f317218
	s_mov_b32 s2, 0x3f317218
	v_pk_mul_f32 v[30:31], v[32:33], v[30:31]
	v_fma_f32 v34, v32, s2, -v30
	v_fmac_f32_e32 v34, 0xb102e308, v32
	v_pk_add_f32 v[32:33], v[30:31], v[34:35]
	v_sub_f32_e32 v35, v33, v35
	v_ldexp_f32 v13, v13, 1
	v_sub_f32_e32 v35, v31, v35
	v_add_f32_e32 v37, v13, v35
	v_mov_b32_e32 v36, v30
	v_pk_add_f32 v[30:31], v[32:33], v[30:31] neg_lo:[0,1] neg_hi:[0,1]
	v_pk_add_f32 v[38:39], v[32:33], v[36:37]
	v_mov_b32_e32 v31, v39
	v_mov_b32_e32 v35, v32
	v_pk_add_f32 v[40:41], v[34:35], v[30:31] neg_lo:[0,1] neg_hi:[0,1]
	v_pk_add_f32 v[30:31], v[34:35], v[30:31]
	v_mov_b32_e32 v34, v31
	v_pk_add_f32 v[42:43], v[34:35], v[32:33] neg_lo:[0,1] neg_hi:[0,1]
	v_mov_b32_e32 v13, v42
	v_pk_add_f32 v[44:45], v[38:39], v[12:13] neg_lo:[0,1] neg_hi:[0,1]
	v_mov_b32_e32 v30, v39
	v_mov_b32_e32 v38, v33
	;; [unrolled: 1-line block ×4, first 2 shown]
	v_pk_add_f32 v[30:31], v[30:31], v[38:39] neg_lo:[0,1] neg_hi:[0,1]
	v_mov_b32_e32 v36, v37
	v_mov_b32_e32 v37, v32
	v_pk_add_f32 v[30:31], v[36:37], v[30:31] neg_lo:[0,1] neg_hi:[0,1]
	v_mov_b32_e32 v44, v40
	v_pk_add_f32 v[32:33], v[44:45], v[30:31]
	v_mov_b32_e32 v36, v33
	v_pk_add_f32 v[36:37], v[32:33], v[36:37]
	v_pk_add_f32 v[34:35], v[34:35], v[36:37]
	v_mov_b32_e32 v33, v34
	v_pk_add_f32 v[38:39], v[32:33], v[40:41] neg_lo:[0,1] neg_hi:[0,1]
	v_mov_b32_e32 v31, v36
	v_sub_f32_e32 v13, v32, v38
	v_pk_add_f32 v[30:31], v[30:31], v[38:39] neg_lo:[0,1] neg_hi:[0,1]
	v_sub_f32_e32 v13, v40, v13
	s_mov_b32 s3, 0x7f800000
	v_add_f32_e32 v13, v30, v13
	s_mov_b32 s2, 0x33800000
	v_add_f32_e32 v13, v13, v31
	v_cmp_eq_f32_e32 vcc, s3, v15
	v_cmp_lt_f32_e64 s[2:3], |v15|, s2
	v_add_f32_e32 v13, v34, v13
	s_or_b64 vcc, vcc, s[2:3]
	v_cndmask_b32_e32 v13, v13, v15, vcc
	v_add_f32_e32 v13, v29, v13
	v_cvt_f16_f32_e32 v31, v13
	v_cvt_f32_f16_e32 v15, v31
	v_mov_b32_e32 v13, v31
.LBB431_158:
	s_or_b64 exec, exec, s[0:1]
	v_max_f32_e32 v29, v25, v25
	v_max_f32_e32 v32, v15, v15
	v_min_f32_e32 v30, v32, v29
	v_cmp_u_f16_e32 vcc, v31, v31
	v_max_f32_e32 v29, v32, v29
	v_cndmask_b32_e32 v30, v30, v15, vcc
	v_cndmask_b32_e32 v29, v29, v15, vcc
	v_cndmask_b32_e64 v30, v30, v25, s[80:81]
	v_cndmask_b32_e64 v29, v29, v25, s[80:81]
	v_cmp_neq_f32_e32 vcc, v30, v29
	v_cmp_class_f32_e64 s[0:1], v30, s4
	s_or_b64 s[2:3], vcc, s[0:1]
	v_mov_b32_e32 v25, v13
	s_and_saveexec_b64 s[0:1], s[2:3]
	s_cbranch_execz .LBB431_160
; %bb.159:
	v_sub_f32_e32 v15, v30, v29
	s_mov_b32 s2, 0x3fb8aa3b
	v_mul_f32_e32 v25, 0x3fb8aa3b, v15
	v_fma_f32 v30, v15, s2, -v25
	v_rndne_f32_e32 v31, v25
	v_fmac_f32_e32 v30, 0x32a5705f, v15
	v_sub_f32_e32 v25, v25, v31
	v_add_f32_e32 v25, v25, v30
	v_exp_f32_e32 v25, v25
	v_cvt_i32_f32_e32 v30, v31
	s_mov_b32 s2, 0xc2ce8ed0
	v_cmp_ngt_f32_e32 vcc, s2, v15
	s_mov_b32 s2, 0x42b17218
	v_ldexp_f32 v25, v25, v30
	v_cndmask_b32_e32 v25, 0, v25, vcc
	v_mov_b32_e32 v30, 0x7f800000
	v_cmp_nlt_f32_e32 vcc, s2, v15
	v_cndmask_b32_e32 v25, v30, v25, vcc
	v_add_f32_e32 v15, 1.0, v25
	v_add_f32_e32 v30, -1.0, v15
	v_sub_f32_e32 v31, v30, v15
	v_add_f32_e32 v31, 1.0, v31
	v_sub_f32_e32 v30, v25, v30
	v_add_f32_e32 v32, v30, v31
	v_frexp_mant_f32_e32 v33, v15
	s_mov_b32 s2, 0x3f2aaaab
	v_cvt_f64_f32_e32 v[30:31], v15
	v_frexp_exp_i32_f64_e32 v30, v[30:31]
	v_cmp_gt_f32_e32 vcc, s2, v33
	v_subbrev_co_u32_e32 v38, vcc, 0, v30, vcc
	v_sub_u32_e32 v30, 0, v38
	v_ldexp_f32 v15, v15, v30
	v_ldexp_f32 v30, v32, v30
	v_add_f32_e32 v32, -1.0, v15
	v_add_f32_e32 v31, 1.0, v32
	v_sub_f32_e32 v31, v15, v31
	v_add_f32_e32 v33, v30, v31
	v_add_f32_e32 v31, 1.0, v15
	v_add_f32_e32 v34, -1.0, v31
	v_sub_f32_e32 v15, v15, v34
	v_add_f32_e32 v15, v30, v15
	v_add_f32_e32 v39, v31, v15
	v_rcp_f32_e32 v40, v39
	v_sub_f32_e32 v30, v31, v39
	v_add_f32_e32 v31, v32, v33
	v_add_f32_e32 v15, v15, v30
	v_mul_f32_e32 v42, v31, v40
	v_sub_f32_e32 v30, v32, v31
	v_mul_f32_e32 v32, v39, v42
	v_fma_f32 v34, v42, v39, -v32
	v_fmac_f32_e32 v34, v42, v15
	v_add_f32_e32 v41, v33, v30
	v_add_f32_e32 v30, v32, v34
	v_sub_f32_e32 v33, v31, v30
	v_pk_add_f32 v[36:37], v[30:31], v[32:33] neg_lo:[0,1] neg_hi:[0,1]
	v_mov_b32_e32 v35, v30
	v_pk_add_f32 v[30:31], v[36:37], v[34:35] neg_lo:[0,1] neg_hi:[0,1]
	v_add_f32_e32 v31, v41, v31
	v_add_f32_e32 v30, v30, v31
	;; [unrolled: 1-line block ×3, first 2 shown]
	v_mul_f32_e32 v41, v40, v31
	v_mul_f32_e32 v32, v39, v41
	v_fma_f32 v34, v41, v39, -v32
	v_fmac_f32_e32 v34, v41, v15
	v_sub_f32_e32 v15, v33, v31
	v_add_f32_e32 v15, v30, v15
	v_add_f32_e32 v30, v32, v34
	v_sub_f32_e32 v33, v31, v30
	v_pk_add_f32 v[36:37], v[30:31], v[32:33] neg_lo:[0,1] neg_hi:[0,1]
	v_mov_b32_e32 v35, v30
	v_pk_add_f32 v[30:31], v[36:37], v[34:35] neg_lo:[0,1] neg_hi:[0,1]
	v_add_f32_e32 v15, v15, v31
	v_add_f32_e32 v15, v30, v15
	;; [unrolled: 1-line block ×4, first 2 shown]
	v_sub_f32_e32 v31, v30, v42
	v_mul_f32_e32 v15, v40, v15
	v_sub_f32_e32 v31, v41, v31
	v_add_f32_e32 v15, v31, v15
	v_add_f32_e32 v33, v30, v15
	v_mul_f32_e32 v34, v33, v33
	v_mov_b32_e32 v32, 0x3ecc95a3
	v_fmac_f32_e32 v32, 0x3e9b6dac, v34
	v_mov_b32_e32 v31, 0x3f2aaada
	v_fmac_f32_e32 v31, v34, v32
	v_cvt_f32_i32_e32 v32, v38
	v_sub_f32_e32 v30, v33, v30
	v_sub_f32_e32 v15, v15, v30
	v_ldexp_f32 v35, v33, 1
	v_mul_f32_e32 v33, v33, v34
	v_mov_b32_e32 v30, 0x3f317218
	s_mov_b32 s2, 0x3f317218
	v_pk_mul_f32 v[30:31], v[32:33], v[30:31]
	v_fma_f32 v34, v32, s2, -v30
	v_fmac_f32_e32 v34, 0xb102e308, v32
	v_pk_add_f32 v[32:33], v[30:31], v[34:35]
	v_sub_f32_e32 v35, v33, v35
	v_ldexp_f32 v15, v15, 1
	v_sub_f32_e32 v35, v31, v35
	v_add_f32_e32 v37, v15, v35
	v_mov_b32_e32 v36, v30
	v_pk_add_f32 v[30:31], v[32:33], v[30:31] neg_lo:[0,1] neg_hi:[0,1]
	v_pk_add_f32 v[38:39], v[32:33], v[36:37]
	v_mov_b32_e32 v31, v39
	v_mov_b32_e32 v35, v32
	v_pk_add_f32 v[40:41], v[34:35], v[30:31] neg_lo:[0,1] neg_hi:[0,1]
	v_pk_add_f32 v[30:31], v[34:35], v[30:31]
	v_mov_b32_e32 v34, v31
	v_pk_add_f32 v[42:43], v[34:35], v[32:33] neg_lo:[0,1] neg_hi:[0,1]
	v_mov_b32_e32 v15, v42
	v_pk_add_f32 v[44:45], v[38:39], v[14:15] neg_lo:[0,1] neg_hi:[0,1]
	v_mov_b32_e32 v30, v39
	v_mov_b32_e32 v38, v33
	;; [unrolled: 1-line block ×4, first 2 shown]
	v_pk_add_f32 v[30:31], v[30:31], v[38:39] neg_lo:[0,1] neg_hi:[0,1]
	v_mov_b32_e32 v36, v37
	v_mov_b32_e32 v37, v32
	v_pk_add_f32 v[30:31], v[36:37], v[30:31] neg_lo:[0,1] neg_hi:[0,1]
	v_mov_b32_e32 v44, v40
	v_pk_add_f32 v[32:33], v[44:45], v[30:31]
	v_mov_b32_e32 v36, v33
	v_pk_add_f32 v[36:37], v[32:33], v[36:37]
	v_pk_add_f32 v[34:35], v[34:35], v[36:37]
	v_mov_b32_e32 v33, v34
	v_pk_add_f32 v[38:39], v[32:33], v[40:41] neg_lo:[0,1] neg_hi:[0,1]
	v_mov_b32_e32 v31, v36
	v_sub_f32_e32 v15, v32, v38
	v_pk_add_f32 v[30:31], v[30:31], v[38:39] neg_lo:[0,1] neg_hi:[0,1]
	v_sub_f32_e32 v15, v40, v15
	s_mov_b32 s3, 0x7f800000
	v_add_f32_e32 v15, v30, v15
	s_mov_b32 s2, 0x33800000
	v_add_f32_e32 v15, v15, v31
	v_cmp_eq_f32_e32 vcc, s3, v25
	v_cmp_lt_f32_e64 s[2:3], |v25|, s2
	v_add_f32_e32 v15, v34, v15
	s_or_b64 vcc, vcc, s[2:3]
	v_cndmask_b32_e32 v15, v15, v25, vcc
	v_add_f32_e32 v15, v29, v15
	v_cvt_f16_f32_e32 v31, v15
	v_cvt_f32_f16_e32 v15, v31
	v_mov_b32_e32 v25, v31
.LBB431_160:
	s_or_b64 exec, exec, s[0:1]
	v_max_f32_e32 v29, v6, v6
	v_max_f32_e32 v32, v15, v15
	v_min_f32_e32 v30, v32, v29
	v_cmp_u_f16_e32 vcc, v31, v31
	v_max_f32_e32 v29, v32, v29
	v_cndmask_b32_e32 v30, v30, v15, vcc
	v_cndmask_b32_e32 v29, v29, v15, vcc
	v_cndmask_b32_e64 v30, v30, v6, s[82:83]
	v_cndmask_b32_e64 v29, v29, v6, s[82:83]
	v_cmp_neq_f32_e32 vcc, v30, v29
	v_cmp_class_f32_e64 s[0:1], v30, s4
	s_or_b64 s[2:3], vcc, s[0:1]
	v_mov_b32_e32 v6, v25
	s_and_saveexec_b64 s[0:1], s[2:3]
	s_cbranch_execz .LBB431_162
; %bb.161:
	v_sub_f32_e32 v6, v30, v29
	s_mov_b32 s2, 0x3fb8aa3b
	v_mul_f32_e32 v15, 0x3fb8aa3b, v6
	v_fma_f32 v30, v6, s2, -v15
	v_rndne_f32_e32 v31, v15
	v_fmac_f32_e32 v30, 0x32a5705f, v6
	v_sub_f32_e32 v15, v15, v31
	v_add_f32_e32 v15, v15, v30
	v_exp_f32_e32 v15, v15
	v_cvt_i32_f32_e32 v30, v31
	s_mov_b32 s2, 0xc2ce8ed0
	v_cmp_ngt_f32_e32 vcc, s2, v6
	s_mov_b32 s2, 0x42b17218
	v_ldexp_f32 v15, v15, v30
	v_cndmask_b32_e32 v15, 0, v15, vcc
	v_mov_b32_e32 v30, 0x7f800000
	v_cmp_nlt_f32_e32 vcc, s2, v6
	v_cndmask_b32_e32 v44, v30, v15, vcc
	v_add_f32_e32 v6, 1.0, v44
	v_add_f32_e32 v15, -1.0, v6
	v_sub_f32_e32 v30, v15, v6
	v_add_f32_e32 v30, 1.0, v30
	v_sub_f32_e32 v15, v44, v15
	v_add_f32_e32 v15, v15, v30
	v_frexp_mant_f32_e32 v32, v6
	s_mov_b32 s2, 0x3f2aaaab
	v_cvt_f64_f32_e32 v[30:31], v6
	v_frexp_exp_i32_f64_e32 v30, v[30:31]
	v_cmp_gt_f32_e32 vcc, s2, v32
	v_subbrev_co_u32_e32 v38, vcc, 0, v30, vcc
	v_sub_u32_e32 v30, 0, v38
	v_ldexp_f32 v6, v6, v30
	v_ldexp_f32 v15, v15, v30
	v_add_f32_e32 v30, -1.0, v6
	v_add_f32_e32 v31, 1.0, v30
	v_sub_f32_e32 v31, v6, v31
	v_add_f32_e32 v32, v15, v31
	v_add_f32_e32 v31, 1.0, v6
	v_add_f32_e32 v33, -1.0, v31
	v_sub_f32_e32 v6, v6, v33
	v_add_f32_e32 v6, v15, v6
	v_add_f32_e32 v15, v31, v6
	v_rcp_f32_e32 v39, v15
	v_sub_f32_e32 v31, v31, v15
	v_add_f32_e32 v6, v6, v31
	v_add_f32_e32 v31, v30, v32
	v_sub_f32_e32 v30, v30, v31
	v_mul_f32_e32 v41, v31, v39
	v_add_f32_e32 v40, v32, v30
	v_mul_f32_e32 v32, v15, v41
	v_fma_f32 v34, v41, v15, -v32
	v_fmac_f32_e32 v34, v41, v6
	v_add_f32_e32 v30, v32, v34
	v_sub_f32_e32 v33, v31, v30
	v_pk_add_f32 v[36:37], v[30:31], v[32:33] neg_lo:[0,1] neg_hi:[0,1]
	v_mov_b32_e32 v35, v30
	v_pk_add_f32 v[30:31], v[36:37], v[34:35] neg_lo:[0,1] neg_hi:[0,1]
	v_add_f32_e32 v31, v40, v31
	v_add_f32_e32 v30, v30, v31
	;; [unrolled: 1-line block ×3, first 2 shown]
	v_mul_f32_e32 v40, v39, v31
	v_mul_f32_e32 v32, v15, v40
	v_fma_f32 v34, v40, v15, -v32
	v_fmac_f32_e32 v34, v40, v6
	v_sub_f32_e32 v6, v33, v31
	v_add_f32_e32 v6, v30, v6
	v_add_f32_e32 v30, v32, v34
	v_sub_f32_e32 v33, v31, v30
	v_pk_add_f32 v[36:37], v[30:31], v[32:33] neg_lo:[0,1] neg_hi:[0,1]
	v_mov_b32_e32 v35, v30
	v_pk_add_f32 v[30:31], v[36:37], v[34:35] neg_lo:[0,1] neg_hi:[0,1]
	v_add_f32_e32 v6, v6, v31
	v_add_f32_e32 v6, v30, v6
	v_add_f32_e32 v15, v41, v40
	v_add_f32_e32 v6, v33, v6
	v_sub_f32_e32 v30, v15, v41
	v_mul_f32_e32 v6, v39, v6
	v_sub_f32_e32 v30, v40, v30
	v_add_f32_e32 v6, v30, v6
	v_add_f32_e32 v30, v15, v6
	v_mul_f32_e32 v33, v30, v30
	v_mov_b32_e32 v32, 0x3ecc95a3
	v_fmac_f32_e32 v32, 0x3e9b6dac, v33
	v_mov_b32_e32 v31, 0x3f2aaada
	v_fmac_f32_e32 v31, v33, v32
	v_cvt_f32_i32_e32 v32, v38
	v_sub_f32_e32 v15, v30, v15
	v_ldexp_f32 v35, v30, 1
	v_mul_f32_e32 v33, v30, v33
	v_mov_b32_e32 v30, 0x3f317218
	s_mov_b32 s2, 0x3f317218
	v_pk_mul_f32 v[30:31], v[32:33], v[30:31]
	v_fma_f32 v34, v32, s2, -v30
	v_fmac_f32_e32 v34, 0xb102e308, v32
	v_pk_add_f32 v[32:33], v[30:31], v[34:35]
	v_sub_f32_e32 v6, v6, v15
	v_sub_f32_e32 v15, v33, v35
	v_ldexp_f32 v6, v6, 1
	v_sub_f32_e32 v15, v31, v15
	v_add_f32_e32 v37, v6, v15
	v_mov_b32_e32 v36, v30
	v_pk_add_f32 v[30:31], v[32:33], v[30:31] neg_lo:[0,1] neg_hi:[0,1]
	v_pk_add_f32 v[38:39], v[32:33], v[36:37]
	v_mov_b32_e32 v31, v39
	v_mov_b32_e32 v35, v32
	v_pk_add_f32 v[40:41], v[34:35], v[30:31] neg_lo:[0,1] neg_hi:[0,1]
	v_pk_add_f32 v[30:31], v[34:35], v[30:31]
	v_mov_b32_e32 v6, v31
	v_pk_add_f32 v[34:35], v[6:7], v[32:33] neg_lo:[0,1] neg_hi:[0,1]
	v_mov_b32_e32 v15, v34
	v_pk_add_f32 v[42:43], v[38:39], v[14:15] neg_lo:[0,1] neg_hi:[0,1]
	v_mov_b32_e32 v30, v39
	v_mov_b32_e32 v38, v33
	;; [unrolled: 1-line block ×4, first 2 shown]
	v_pk_add_f32 v[30:31], v[30:31], v[38:39] neg_lo:[0,1] neg_hi:[0,1]
	v_mov_b32_e32 v34, v37
	v_mov_b32_e32 v35, v32
	v_pk_add_f32 v[30:31], v[34:35], v[30:31] neg_lo:[0,1] neg_hi:[0,1]
	v_mov_b32_e32 v42, v40
	v_pk_add_f32 v[32:33], v[42:43], v[30:31]
	v_mov_b32_e32 v34, v33
	v_pk_add_f32 v[34:35], v[32:33], v[34:35]
	v_pk_add_f32 v[36:37], v[6:7], v[34:35]
	v_mov_b32_e32 v33, v36
	v_pk_add_f32 v[38:39], v[32:33], v[40:41] neg_lo:[0,1] neg_hi:[0,1]
	v_mov_b32_e32 v31, v34
	v_sub_f32_e32 v6, v32, v38
	v_pk_add_f32 v[30:31], v[30:31], v[38:39] neg_lo:[0,1] neg_hi:[0,1]
	v_sub_f32_e32 v6, v40, v6
	s_mov_b32 s3, 0x7f800000
	v_add_f32_e32 v6, v30, v6
	s_mov_b32 s2, 0x33800000
	v_add_f32_e32 v6, v6, v31
	v_cmp_eq_f32_e32 vcc, s3, v44
	v_cmp_lt_f32_e64 s[2:3], |v44|, s2
	v_add_f32_e32 v6, v36, v6
	s_or_b64 vcc, vcc, s[2:3]
	v_cndmask_b32_e32 v6, v6, v44, vcc
	v_add_f32_e32 v6, v29, v6
	v_cvt_f16_f32_e32 v31, v6
	v_cvt_f32_f16_e32 v15, v31
	v_mov_b32_e32 v6, v31
.LBB431_162:
	s_or_b64 exec, exec, s[0:1]
	v_max_f32_e32 v29, v26, v26
	v_max_f32_e32 v32, v15, v15
	v_min_f32_e32 v30, v32, v29
	v_cmp_u_f16_e32 vcc, v31, v31
	v_max_f32_e32 v29, v32, v29
	v_cndmask_b32_e32 v30, v30, v15, vcc
	v_cndmask_b32_e32 v29, v29, v15, vcc
	v_cndmask_b32_e64 v30, v30, v26, s[84:85]
	v_cndmask_b32_e64 v29, v29, v26, s[84:85]
	v_cmp_neq_f32_e32 vcc, v30, v29
	v_cmp_class_f32_e64 s[0:1], v30, s4
	s_or_b64 s[2:3], vcc, s[0:1]
	v_mov_b32_e32 v26, v6
	s_and_saveexec_b64 s[0:1], s[2:3]
	s_cbranch_execz .LBB431_164
; %bb.163:
	v_sub_f32_e32 v15, v30, v29
	s_mov_b32 s2, 0x3fb8aa3b
	v_mul_f32_e32 v26, 0x3fb8aa3b, v15
	v_fma_f32 v30, v15, s2, -v26
	v_rndne_f32_e32 v31, v26
	v_fmac_f32_e32 v30, 0x32a5705f, v15
	v_sub_f32_e32 v26, v26, v31
	v_add_f32_e32 v26, v26, v30
	v_exp_f32_e32 v26, v26
	v_cvt_i32_f32_e32 v30, v31
	s_mov_b32 s2, 0xc2ce8ed0
	v_cmp_ngt_f32_e32 vcc, s2, v15
	s_mov_b32 s2, 0x42b17218
	v_ldexp_f32 v26, v26, v30
	v_cndmask_b32_e32 v26, 0, v26, vcc
	v_mov_b32_e32 v30, 0x7f800000
	v_cmp_nlt_f32_e32 vcc, s2, v15
	v_cndmask_b32_e32 v44, v30, v26, vcc
	v_add_f32_e32 v15, 1.0, v44
	v_add_f32_e32 v26, -1.0, v15
	v_sub_f32_e32 v30, v26, v15
	v_add_f32_e32 v30, 1.0, v30
	v_sub_f32_e32 v26, v44, v26
	v_add_f32_e32 v26, v26, v30
	v_frexp_mant_f32_e32 v32, v15
	s_mov_b32 s2, 0x3f2aaaab
	v_cvt_f64_f32_e32 v[30:31], v15
	v_frexp_exp_i32_f64_e32 v30, v[30:31]
	v_cmp_gt_f32_e32 vcc, s2, v32
	v_subbrev_co_u32_e32 v38, vcc, 0, v30, vcc
	v_sub_u32_e32 v30, 0, v38
	v_ldexp_f32 v15, v15, v30
	v_ldexp_f32 v26, v26, v30
	v_add_f32_e32 v30, -1.0, v15
	v_add_f32_e32 v31, 1.0, v30
	v_sub_f32_e32 v31, v15, v31
	v_add_f32_e32 v32, v26, v31
	v_add_f32_e32 v31, 1.0, v15
	v_add_f32_e32 v33, -1.0, v31
	v_sub_f32_e32 v15, v15, v33
	v_add_f32_e32 v15, v26, v15
	v_add_f32_e32 v26, v31, v15
	v_rcp_f32_e32 v39, v26
	v_sub_f32_e32 v31, v31, v26
	v_add_f32_e32 v15, v15, v31
	v_add_f32_e32 v31, v30, v32
	v_sub_f32_e32 v30, v30, v31
	v_mul_f32_e32 v41, v31, v39
	v_add_f32_e32 v40, v32, v30
	v_mul_f32_e32 v32, v26, v41
	v_fma_f32 v34, v41, v26, -v32
	v_fmac_f32_e32 v34, v41, v15
	v_add_f32_e32 v30, v32, v34
	v_sub_f32_e32 v33, v31, v30
	v_pk_add_f32 v[36:37], v[30:31], v[32:33] neg_lo:[0,1] neg_hi:[0,1]
	v_mov_b32_e32 v35, v30
	v_pk_add_f32 v[30:31], v[36:37], v[34:35] neg_lo:[0,1] neg_hi:[0,1]
	v_add_f32_e32 v31, v40, v31
	v_add_f32_e32 v30, v30, v31
	;; [unrolled: 1-line block ×3, first 2 shown]
	v_mul_f32_e32 v40, v39, v31
	v_mul_f32_e32 v32, v26, v40
	v_fma_f32 v34, v40, v26, -v32
	v_fmac_f32_e32 v34, v40, v15
	v_sub_f32_e32 v15, v33, v31
	v_add_f32_e32 v15, v30, v15
	v_add_f32_e32 v30, v32, v34
	v_sub_f32_e32 v33, v31, v30
	v_pk_add_f32 v[36:37], v[30:31], v[32:33] neg_lo:[0,1] neg_hi:[0,1]
	v_mov_b32_e32 v35, v30
	v_pk_add_f32 v[30:31], v[36:37], v[34:35] neg_lo:[0,1] neg_hi:[0,1]
	v_add_f32_e32 v15, v15, v31
	v_add_f32_e32 v15, v30, v15
	;; [unrolled: 1-line block ×4, first 2 shown]
	v_sub_f32_e32 v30, v26, v41
	v_mul_f32_e32 v15, v39, v15
	v_sub_f32_e32 v30, v40, v30
	v_add_f32_e32 v15, v30, v15
	v_add_f32_e32 v30, v26, v15
	v_mul_f32_e32 v33, v30, v30
	v_mov_b32_e32 v32, 0x3ecc95a3
	v_fmac_f32_e32 v32, 0x3e9b6dac, v33
	v_mov_b32_e32 v31, 0x3f2aaada
	v_fmac_f32_e32 v31, v33, v32
	v_cvt_f32_i32_e32 v32, v38
	v_sub_f32_e32 v26, v30, v26
	v_ldexp_f32 v35, v30, 1
	v_mul_f32_e32 v33, v30, v33
	v_mov_b32_e32 v30, 0x3f317218
	s_mov_b32 s2, 0x3f317218
	v_pk_mul_f32 v[30:31], v[32:33], v[30:31]
	v_fma_f32 v34, v32, s2, -v30
	v_fmac_f32_e32 v34, 0xb102e308, v32
	v_pk_add_f32 v[32:33], v[30:31], v[34:35]
	v_sub_f32_e32 v15, v15, v26
	v_sub_f32_e32 v26, v33, v35
	v_ldexp_f32 v15, v15, 1
	v_sub_f32_e32 v26, v31, v26
	v_add_f32_e32 v37, v15, v26
	v_mov_b32_e32 v36, v30
	v_pk_add_f32 v[30:31], v[32:33], v[30:31] neg_lo:[0,1] neg_hi:[0,1]
	v_pk_add_f32 v[38:39], v[32:33], v[36:37]
	v_mov_b32_e32 v31, v39
	v_mov_b32_e32 v35, v32
	v_pk_add_f32 v[40:41], v[34:35], v[30:31] neg_lo:[0,1] neg_hi:[0,1]
	v_pk_add_f32 v[30:31], v[34:35], v[30:31]
	v_mov_b32_e32 v26, v31
	v_pk_add_f32 v[34:35], v[26:27], v[32:33] neg_lo:[0,1] neg_hi:[0,1]
	v_mov_b32_e32 v15, v34
	v_pk_add_f32 v[42:43], v[38:39], v[14:15] neg_lo:[0,1] neg_hi:[0,1]
	v_mov_b32_e32 v30, v39
	v_mov_b32_e32 v38, v33
	v_mov_b32_e32 v39, v34
	v_mov_b32_e32 v41, v31
	v_pk_add_f32 v[30:31], v[30:31], v[38:39] neg_lo:[0,1] neg_hi:[0,1]
	v_mov_b32_e32 v34, v37
	v_mov_b32_e32 v35, v32
	v_pk_add_f32 v[30:31], v[34:35], v[30:31] neg_lo:[0,1] neg_hi:[0,1]
	v_mov_b32_e32 v42, v40
	v_pk_add_f32 v[32:33], v[42:43], v[30:31]
	v_mov_b32_e32 v34, v33
	v_pk_add_f32 v[34:35], v[32:33], v[34:35]
	v_pk_add_f32 v[36:37], v[26:27], v[34:35]
	v_mov_b32_e32 v33, v36
	v_pk_add_f32 v[38:39], v[32:33], v[40:41] neg_lo:[0,1] neg_hi:[0,1]
	v_mov_b32_e32 v31, v34
	v_sub_f32_e32 v15, v32, v38
	v_pk_add_f32 v[30:31], v[30:31], v[38:39] neg_lo:[0,1] neg_hi:[0,1]
	v_sub_f32_e32 v15, v40, v15
	s_mov_b32 s3, 0x7f800000
	v_add_f32_e32 v15, v30, v15
	s_mov_b32 s2, 0x33800000
	v_add_f32_e32 v15, v15, v31
	v_cmp_eq_f32_e32 vcc, s3, v44
	v_cmp_lt_f32_e64 s[2:3], |v44|, s2
	v_add_f32_e32 v15, v36, v15
	s_or_b64 vcc, vcc, s[2:3]
	v_cndmask_b32_e32 v15, v15, v44, vcc
	v_add_f32_e32 v15, v29, v15
	v_cvt_f16_f32_e32 v31, v15
	v_cvt_f32_f16_e32 v15, v31
	v_mov_b32_e32 v26, v31
.LBB431_164:
	s_or_b64 exec, exec, s[0:1]
	v_max_f32_e32 v29, v7, v7
	v_max_f32_e32 v32, v15, v15
	v_min_f32_e32 v30, v32, v29
	v_cmp_u_f16_e32 vcc, v31, v31
	v_max_f32_e32 v29, v32, v29
	v_cndmask_b32_e32 v30, v30, v15, vcc
	v_cndmask_b32_e32 v29, v29, v15, vcc
	v_cndmask_b32_e64 v30, v30, v7, s[86:87]
	v_cndmask_b32_e64 v29, v29, v7, s[86:87]
	v_cmp_neq_f32_e32 vcc, v30, v29
	v_cmp_class_f32_e64 s[0:1], v30, s4
	s_or_b64 s[2:3], vcc, s[0:1]
	v_mov_b32_e32 v7, v26
	s_and_saveexec_b64 s[0:1], s[2:3]
	s_cbranch_execz .LBB431_166
; %bb.165:
	v_sub_f32_e32 v7, v30, v29
	s_mov_b32 s2, 0x3fb8aa3b
	v_mul_f32_e32 v15, 0x3fb8aa3b, v7
	v_fma_f32 v30, v7, s2, -v15
	v_rndne_f32_e32 v31, v15
	v_fmac_f32_e32 v30, 0x32a5705f, v7
	v_sub_f32_e32 v15, v15, v31
	v_add_f32_e32 v15, v15, v30
	v_exp_f32_e32 v15, v15
	v_cvt_i32_f32_e32 v30, v31
	s_mov_b32 s2, 0xc2ce8ed0
	v_cmp_ngt_f32_e32 vcc, s2, v7
	s_mov_b32 s2, 0x42b17218
	v_ldexp_f32 v15, v15, v30
	v_cndmask_b32_e32 v15, 0, v15, vcc
	v_mov_b32_e32 v30, 0x7f800000
	v_cmp_nlt_f32_e32 vcc, s2, v7
	v_cndmask_b32_e32 v15, v30, v15, vcc
	v_add_f32_e32 v7, 1.0, v15
	v_add_f32_e32 v30, -1.0, v7
	v_sub_f32_e32 v31, v30, v7
	v_add_f32_e32 v31, 1.0, v31
	v_sub_f32_e32 v30, v15, v30
	v_add_f32_e32 v32, v30, v31
	v_frexp_mant_f32_e32 v33, v7
	s_mov_b32 s2, 0x3f2aaaab
	v_cvt_f64_f32_e32 v[30:31], v7
	v_frexp_exp_i32_f64_e32 v30, v[30:31]
	v_cmp_gt_f32_e32 vcc, s2, v33
	v_subbrev_co_u32_e32 v38, vcc, 0, v30, vcc
	v_sub_u32_e32 v30, 0, v38
	v_ldexp_f32 v7, v7, v30
	v_ldexp_f32 v30, v32, v30
	v_add_f32_e32 v32, -1.0, v7
	v_add_f32_e32 v31, 1.0, v32
	v_sub_f32_e32 v31, v7, v31
	v_add_f32_e32 v33, v30, v31
	v_add_f32_e32 v31, 1.0, v7
	v_add_f32_e32 v34, -1.0, v31
	v_sub_f32_e32 v7, v7, v34
	v_add_f32_e32 v7, v30, v7
	v_add_f32_e32 v39, v31, v7
	v_rcp_f32_e32 v40, v39
	v_sub_f32_e32 v30, v31, v39
	v_add_f32_e32 v31, v32, v33
	v_add_f32_e32 v7, v7, v30
	v_mul_f32_e32 v42, v31, v40
	v_sub_f32_e32 v30, v32, v31
	v_mul_f32_e32 v32, v39, v42
	v_fma_f32 v34, v42, v39, -v32
	v_fmac_f32_e32 v34, v42, v7
	v_add_f32_e32 v41, v33, v30
	v_add_f32_e32 v30, v32, v34
	v_sub_f32_e32 v33, v31, v30
	v_pk_add_f32 v[36:37], v[30:31], v[32:33] neg_lo:[0,1] neg_hi:[0,1]
	v_mov_b32_e32 v35, v30
	v_pk_add_f32 v[30:31], v[36:37], v[34:35] neg_lo:[0,1] neg_hi:[0,1]
	v_add_f32_e32 v31, v41, v31
	v_add_f32_e32 v30, v30, v31
	;; [unrolled: 1-line block ×3, first 2 shown]
	v_mul_f32_e32 v41, v40, v31
	v_mul_f32_e32 v32, v39, v41
	v_fma_f32 v34, v41, v39, -v32
	v_fmac_f32_e32 v34, v41, v7
	v_sub_f32_e32 v7, v33, v31
	v_add_f32_e32 v7, v30, v7
	v_add_f32_e32 v30, v32, v34
	v_sub_f32_e32 v33, v31, v30
	v_pk_add_f32 v[36:37], v[30:31], v[32:33] neg_lo:[0,1] neg_hi:[0,1]
	v_mov_b32_e32 v35, v30
	v_pk_add_f32 v[30:31], v[36:37], v[34:35] neg_lo:[0,1] neg_hi:[0,1]
	v_add_f32_e32 v7, v7, v31
	v_add_f32_e32 v7, v30, v7
	;; [unrolled: 1-line block ×4, first 2 shown]
	v_sub_f32_e32 v31, v30, v42
	v_mul_f32_e32 v7, v40, v7
	v_sub_f32_e32 v31, v41, v31
	v_add_f32_e32 v7, v31, v7
	v_add_f32_e32 v33, v30, v7
	v_mul_f32_e32 v34, v33, v33
	v_mov_b32_e32 v32, 0x3ecc95a3
	v_fmac_f32_e32 v32, 0x3e9b6dac, v34
	v_mov_b32_e32 v31, 0x3f2aaada
	v_fmac_f32_e32 v31, v34, v32
	v_cvt_f32_i32_e32 v32, v38
	v_sub_f32_e32 v30, v33, v30
	v_sub_f32_e32 v7, v7, v30
	v_ldexp_f32 v35, v33, 1
	v_mul_f32_e32 v33, v33, v34
	v_mov_b32_e32 v30, 0x3f317218
	s_mov_b32 s2, 0x3f317218
	v_pk_mul_f32 v[30:31], v[32:33], v[30:31]
	v_fma_f32 v34, v32, s2, -v30
	v_fmac_f32_e32 v34, 0xb102e308, v32
	v_pk_add_f32 v[32:33], v[30:31], v[34:35]
	v_sub_f32_e32 v35, v33, v35
	v_ldexp_f32 v7, v7, 1
	v_sub_f32_e32 v35, v31, v35
	v_add_f32_e32 v37, v7, v35
	v_mov_b32_e32 v36, v30
	v_pk_add_f32 v[30:31], v[32:33], v[30:31] neg_lo:[0,1] neg_hi:[0,1]
	v_pk_add_f32 v[38:39], v[32:33], v[36:37]
	v_mov_b32_e32 v31, v39
	v_mov_b32_e32 v35, v32
	v_pk_add_f32 v[40:41], v[34:35], v[30:31] neg_lo:[0,1] neg_hi:[0,1]
	v_pk_add_f32 v[30:31], v[34:35], v[30:31]
	v_mov_b32_e32 v34, v31
	v_pk_add_f32 v[42:43], v[34:35], v[32:33] neg_lo:[0,1] neg_hi:[0,1]
	v_mov_b32_e32 v7, v42
	v_pk_add_f32 v[44:45], v[38:39], v[6:7] neg_lo:[0,1] neg_hi:[0,1]
	v_mov_b32_e32 v30, v39
	v_mov_b32_e32 v38, v33
	;; [unrolled: 1-line block ×4, first 2 shown]
	v_pk_add_f32 v[30:31], v[30:31], v[38:39] neg_lo:[0,1] neg_hi:[0,1]
	v_mov_b32_e32 v36, v37
	v_mov_b32_e32 v37, v32
	v_pk_add_f32 v[30:31], v[36:37], v[30:31] neg_lo:[0,1] neg_hi:[0,1]
	v_mov_b32_e32 v44, v40
	v_pk_add_f32 v[32:33], v[44:45], v[30:31]
	v_mov_b32_e32 v36, v33
	v_pk_add_f32 v[36:37], v[32:33], v[36:37]
	v_pk_add_f32 v[34:35], v[34:35], v[36:37]
	v_mov_b32_e32 v33, v34
	v_pk_add_f32 v[38:39], v[32:33], v[40:41] neg_lo:[0,1] neg_hi:[0,1]
	v_mov_b32_e32 v31, v36
	v_sub_f32_e32 v7, v32, v38
	v_pk_add_f32 v[30:31], v[30:31], v[38:39] neg_lo:[0,1] neg_hi:[0,1]
	v_sub_f32_e32 v7, v40, v7
	s_mov_b32 s3, 0x7f800000
	v_add_f32_e32 v7, v30, v7
	s_mov_b32 s2, 0x33800000
	v_add_f32_e32 v7, v7, v31
	v_cmp_eq_f32_e32 vcc, s3, v15
	v_cmp_lt_f32_e64 s[2:3], |v15|, s2
	v_add_f32_e32 v7, v34, v7
	s_or_b64 vcc, vcc, s[2:3]
	v_cndmask_b32_e32 v7, v7, v15, vcc
	v_add_f32_e32 v7, v29, v7
	v_cvt_f16_f32_e32 v31, v7
	v_cvt_f32_f16_e32 v15, v31
	v_mov_b32_e32 v7, v31
.LBB431_166:
	s_or_b64 exec, exec, s[0:1]
	v_max_f32_e32 v29, v27, v27
	v_max_f32_e32 v32, v15, v15
	v_min_f32_e32 v30, v32, v29
	v_cmp_u_f16_e32 vcc, v31, v31
	v_max_f32_e32 v29, v32, v29
	v_cndmask_b32_e32 v30, v30, v15, vcc
	v_cndmask_b32_e32 v29, v29, v15, vcc
	v_cndmask_b32_e64 v30, v30, v27, s[88:89]
	v_cndmask_b32_e64 v29, v29, v27, s[88:89]
	v_cmp_neq_f32_e32 vcc, v30, v29
	v_cmp_class_f32_e64 s[0:1], v30, s4
	s_or_b64 s[2:3], vcc, s[0:1]
	v_mov_b32_e32 v27, v7
	s_and_saveexec_b64 s[0:1], s[2:3]
	s_cbranch_execz .LBB431_168
; %bb.167:
	v_sub_f32_e32 v15, v30, v29
	s_mov_b32 s2, 0x3fb8aa3b
	v_mul_f32_e32 v27, 0x3fb8aa3b, v15
	v_fma_f32 v30, v15, s2, -v27
	v_rndne_f32_e32 v31, v27
	v_fmac_f32_e32 v30, 0x32a5705f, v15
	v_sub_f32_e32 v27, v27, v31
	v_add_f32_e32 v27, v27, v30
	v_exp_f32_e32 v27, v27
	v_cvt_i32_f32_e32 v30, v31
	s_mov_b32 s2, 0xc2ce8ed0
	v_cmp_ngt_f32_e32 vcc, s2, v15
	s_mov_b32 s2, 0x42b17218
	v_ldexp_f32 v27, v27, v30
	v_cndmask_b32_e32 v27, 0, v27, vcc
	v_mov_b32_e32 v30, 0x7f800000
	v_cmp_nlt_f32_e32 vcc, s2, v15
	v_cndmask_b32_e32 v27, v30, v27, vcc
	v_add_f32_e32 v15, 1.0, v27
	v_add_f32_e32 v30, -1.0, v15
	v_sub_f32_e32 v31, v30, v15
	v_add_f32_e32 v31, 1.0, v31
	v_sub_f32_e32 v30, v27, v30
	v_add_f32_e32 v32, v30, v31
	v_frexp_mant_f32_e32 v33, v15
	s_mov_b32 s2, 0x3f2aaaab
	v_cvt_f64_f32_e32 v[30:31], v15
	v_frexp_exp_i32_f64_e32 v30, v[30:31]
	v_cmp_gt_f32_e32 vcc, s2, v33
	v_subbrev_co_u32_e32 v38, vcc, 0, v30, vcc
	v_sub_u32_e32 v30, 0, v38
	v_ldexp_f32 v15, v15, v30
	v_ldexp_f32 v30, v32, v30
	v_add_f32_e32 v32, -1.0, v15
	v_add_f32_e32 v31, 1.0, v32
	v_sub_f32_e32 v31, v15, v31
	v_add_f32_e32 v33, v30, v31
	v_add_f32_e32 v31, 1.0, v15
	v_add_f32_e32 v34, -1.0, v31
	v_sub_f32_e32 v15, v15, v34
	v_add_f32_e32 v15, v30, v15
	v_add_f32_e32 v39, v31, v15
	v_rcp_f32_e32 v40, v39
	v_sub_f32_e32 v30, v31, v39
	v_add_f32_e32 v31, v32, v33
	v_add_f32_e32 v15, v15, v30
	v_mul_f32_e32 v42, v31, v40
	v_sub_f32_e32 v30, v32, v31
	v_mul_f32_e32 v32, v39, v42
	v_fma_f32 v34, v42, v39, -v32
	v_fmac_f32_e32 v34, v42, v15
	v_add_f32_e32 v41, v33, v30
	v_add_f32_e32 v30, v32, v34
	v_sub_f32_e32 v33, v31, v30
	v_pk_add_f32 v[36:37], v[30:31], v[32:33] neg_lo:[0,1] neg_hi:[0,1]
	v_mov_b32_e32 v35, v30
	v_pk_add_f32 v[30:31], v[36:37], v[34:35] neg_lo:[0,1] neg_hi:[0,1]
	v_add_f32_e32 v31, v41, v31
	v_add_f32_e32 v30, v30, v31
	;; [unrolled: 1-line block ×3, first 2 shown]
	v_mul_f32_e32 v41, v40, v31
	v_mul_f32_e32 v32, v39, v41
	v_fma_f32 v34, v41, v39, -v32
	v_fmac_f32_e32 v34, v41, v15
	v_sub_f32_e32 v15, v33, v31
	v_add_f32_e32 v15, v30, v15
	v_add_f32_e32 v30, v32, v34
	v_sub_f32_e32 v33, v31, v30
	v_pk_add_f32 v[36:37], v[30:31], v[32:33] neg_lo:[0,1] neg_hi:[0,1]
	v_mov_b32_e32 v35, v30
	v_pk_add_f32 v[30:31], v[36:37], v[34:35] neg_lo:[0,1] neg_hi:[0,1]
	v_add_f32_e32 v15, v15, v31
	v_add_f32_e32 v15, v30, v15
	;; [unrolled: 1-line block ×4, first 2 shown]
	v_sub_f32_e32 v31, v30, v42
	v_mul_f32_e32 v15, v40, v15
	v_sub_f32_e32 v31, v41, v31
	v_add_f32_e32 v15, v31, v15
	v_add_f32_e32 v33, v30, v15
	v_mul_f32_e32 v34, v33, v33
	v_mov_b32_e32 v32, 0x3ecc95a3
	v_fmac_f32_e32 v32, 0x3e9b6dac, v34
	v_mov_b32_e32 v31, 0x3f2aaada
	v_fmac_f32_e32 v31, v34, v32
	v_cvt_f32_i32_e32 v32, v38
	v_sub_f32_e32 v30, v33, v30
	v_sub_f32_e32 v15, v15, v30
	v_ldexp_f32 v35, v33, 1
	v_mul_f32_e32 v33, v33, v34
	v_mov_b32_e32 v30, 0x3f317218
	s_mov_b32 s2, 0x3f317218
	v_pk_mul_f32 v[30:31], v[32:33], v[30:31]
	v_fma_f32 v34, v32, s2, -v30
	v_fmac_f32_e32 v34, 0xb102e308, v32
	v_pk_add_f32 v[32:33], v[30:31], v[34:35]
	v_sub_f32_e32 v35, v33, v35
	v_ldexp_f32 v15, v15, 1
	v_sub_f32_e32 v35, v31, v35
	v_add_f32_e32 v37, v15, v35
	v_mov_b32_e32 v36, v30
	v_pk_add_f32 v[30:31], v[32:33], v[30:31] neg_lo:[0,1] neg_hi:[0,1]
	v_pk_add_f32 v[38:39], v[32:33], v[36:37]
	v_mov_b32_e32 v31, v39
	v_mov_b32_e32 v35, v32
	v_pk_add_f32 v[40:41], v[34:35], v[30:31] neg_lo:[0,1] neg_hi:[0,1]
	v_pk_add_f32 v[30:31], v[34:35], v[30:31]
	v_mov_b32_e32 v34, v31
	v_pk_add_f32 v[42:43], v[34:35], v[32:33] neg_lo:[0,1] neg_hi:[0,1]
	v_mov_b32_e32 v15, v42
	v_pk_add_f32 v[44:45], v[38:39], v[14:15] neg_lo:[0,1] neg_hi:[0,1]
	v_mov_b32_e32 v30, v39
	v_mov_b32_e32 v38, v33
	v_mov_b32_e32 v39, v42
	v_mov_b32_e32 v41, v31
	v_pk_add_f32 v[30:31], v[30:31], v[38:39] neg_lo:[0,1] neg_hi:[0,1]
	v_mov_b32_e32 v36, v37
	v_mov_b32_e32 v37, v32
	v_pk_add_f32 v[30:31], v[36:37], v[30:31] neg_lo:[0,1] neg_hi:[0,1]
	v_mov_b32_e32 v44, v40
	v_pk_add_f32 v[32:33], v[44:45], v[30:31]
	v_mov_b32_e32 v36, v33
	v_pk_add_f32 v[36:37], v[32:33], v[36:37]
	v_pk_add_f32 v[34:35], v[34:35], v[36:37]
	v_mov_b32_e32 v33, v34
	v_pk_add_f32 v[38:39], v[32:33], v[40:41] neg_lo:[0,1] neg_hi:[0,1]
	v_mov_b32_e32 v31, v36
	v_sub_f32_e32 v15, v32, v38
	v_pk_add_f32 v[30:31], v[30:31], v[38:39] neg_lo:[0,1] neg_hi:[0,1]
	v_sub_f32_e32 v15, v40, v15
	s_mov_b32 s3, 0x7f800000
	v_add_f32_e32 v15, v30, v15
	s_mov_b32 s2, 0x33800000
	v_add_f32_e32 v15, v15, v31
	v_cmp_eq_f32_e32 vcc, s3, v27
	v_cmp_lt_f32_e64 s[2:3], |v27|, s2
	v_add_f32_e32 v15, v34, v15
	s_or_b64 vcc, vcc, s[2:3]
	v_cndmask_b32_e32 v15, v15, v27, vcc
	v_add_f32_e32 v15, v29, v15
	v_cvt_f16_f32_e32 v31, v15
	v_cvt_f32_f16_e32 v15, v31
	v_mov_b32_e32 v27, v31
.LBB431_168:
	s_or_b64 exec, exec, s[0:1]
	v_max_f32_e32 v29, v8, v8
	v_max_f32_e32 v32, v15, v15
	v_min_f32_e32 v30, v32, v29
	v_cmp_u_f16_e32 vcc, v31, v31
	v_max_f32_e32 v29, v32, v29
	v_cndmask_b32_e32 v30, v30, v15, vcc
	v_cndmask_b32_e32 v29, v29, v15, vcc
	v_cndmask_b32_e64 v30, v30, v8, s[90:91]
	v_cndmask_b32_e64 v29, v29, v8, s[90:91]
	v_cmp_neq_f32_e32 vcc, v30, v29
	v_cmp_class_f32_e64 s[0:1], v30, s4
	s_or_b64 s[2:3], vcc, s[0:1]
	v_mov_b32_e32 v8, v27
	s_and_saveexec_b64 s[0:1], s[2:3]
	s_cbranch_execz .LBB431_170
; %bb.169:
	v_sub_f32_e32 v8, v30, v29
	s_mov_b32 s2, 0x3fb8aa3b
	v_mul_f32_e32 v15, 0x3fb8aa3b, v8
	v_fma_f32 v30, v8, s2, -v15
	v_rndne_f32_e32 v31, v15
	v_fmac_f32_e32 v30, 0x32a5705f, v8
	v_sub_f32_e32 v15, v15, v31
	v_add_f32_e32 v15, v15, v30
	v_exp_f32_e32 v15, v15
	v_cvt_i32_f32_e32 v30, v31
	s_mov_b32 s2, 0xc2ce8ed0
	v_cmp_ngt_f32_e32 vcc, s2, v8
	s_mov_b32 s2, 0x42b17218
	v_ldexp_f32 v15, v15, v30
	v_cndmask_b32_e32 v15, 0, v15, vcc
	v_mov_b32_e32 v30, 0x7f800000
	v_cmp_nlt_f32_e32 vcc, s2, v8
	v_cndmask_b32_e32 v44, v30, v15, vcc
	v_add_f32_e32 v8, 1.0, v44
	v_add_f32_e32 v15, -1.0, v8
	v_sub_f32_e32 v30, v15, v8
	v_add_f32_e32 v30, 1.0, v30
	v_sub_f32_e32 v15, v44, v15
	v_add_f32_e32 v15, v15, v30
	v_frexp_mant_f32_e32 v32, v8
	s_mov_b32 s2, 0x3f2aaaab
	v_cvt_f64_f32_e32 v[30:31], v8
	v_frexp_exp_i32_f64_e32 v30, v[30:31]
	v_cmp_gt_f32_e32 vcc, s2, v32
	v_subbrev_co_u32_e32 v38, vcc, 0, v30, vcc
	v_sub_u32_e32 v30, 0, v38
	v_ldexp_f32 v8, v8, v30
	v_ldexp_f32 v15, v15, v30
	v_add_f32_e32 v30, -1.0, v8
	v_add_f32_e32 v31, 1.0, v30
	v_sub_f32_e32 v31, v8, v31
	v_add_f32_e32 v32, v15, v31
	v_add_f32_e32 v31, 1.0, v8
	v_add_f32_e32 v33, -1.0, v31
	v_sub_f32_e32 v8, v8, v33
	v_add_f32_e32 v8, v15, v8
	v_add_f32_e32 v15, v31, v8
	v_rcp_f32_e32 v39, v15
	v_sub_f32_e32 v31, v31, v15
	v_add_f32_e32 v8, v8, v31
	v_add_f32_e32 v31, v30, v32
	v_sub_f32_e32 v30, v30, v31
	v_mul_f32_e32 v41, v31, v39
	v_add_f32_e32 v40, v32, v30
	v_mul_f32_e32 v32, v15, v41
	v_fma_f32 v34, v41, v15, -v32
	v_fmac_f32_e32 v34, v41, v8
	v_add_f32_e32 v30, v32, v34
	v_sub_f32_e32 v33, v31, v30
	v_pk_add_f32 v[36:37], v[30:31], v[32:33] neg_lo:[0,1] neg_hi:[0,1]
	v_mov_b32_e32 v35, v30
	v_pk_add_f32 v[30:31], v[36:37], v[34:35] neg_lo:[0,1] neg_hi:[0,1]
	v_add_f32_e32 v31, v40, v31
	v_add_f32_e32 v30, v30, v31
	;; [unrolled: 1-line block ×3, first 2 shown]
	v_mul_f32_e32 v40, v39, v31
	v_mul_f32_e32 v32, v15, v40
	v_fma_f32 v34, v40, v15, -v32
	v_fmac_f32_e32 v34, v40, v8
	v_sub_f32_e32 v8, v33, v31
	v_add_f32_e32 v8, v30, v8
	v_add_f32_e32 v30, v32, v34
	v_sub_f32_e32 v33, v31, v30
	v_pk_add_f32 v[36:37], v[30:31], v[32:33] neg_lo:[0,1] neg_hi:[0,1]
	v_mov_b32_e32 v35, v30
	v_pk_add_f32 v[30:31], v[36:37], v[34:35] neg_lo:[0,1] neg_hi:[0,1]
	v_add_f32_e32 v8, v8, v31
	v_add_f32_e32 v8, v30, v8
	;; [unrolled: 1-line block ×4, first 2 shown]
	v_sub_f32_e32 v30, v15, v41
	v_mul_f32_e32 v8, v39, v8
	v_sub_f32_e32 v30, v40, v30
	v_add_f32_e32 v8, v30, v8
	v_add_f32_e32 v30, v15, v8
	v_mul_f32_e32 v33, v30, v30
	v_mov_b32_e32 v32, 0x3ecc95a3
	v_fmac_f32_e32 v32, 0x3e9b6dac, v33
	v_mov_b32_e32 v31, 0x3f2aaada
	v_fmac_f32_e32 v31, v33, v32
	v_cvt_f32_i32_e32 v32, v38
	v_sub_f32_e32 v15, v30, v15
	v_ldexp_f32 v35, v30, 1
	v_mul_f32_e32 v33, v30, v33
	v_mov_b32_e32 v30, 0x3f317218
	s_mov_b32 s2, 0x3f317218
	v_pk_mul_f32 v[30:31], v[32:33], v[30:31]
	v_fma_f32 v34, v32, s2, -v30
	v_fmac_f32_e32 v34, 0xb102e308, v32
	v_pk_add_f32 v[32:33], v[30:31], v[34:35]
	v_sub_f32_e32 v8, v8, v15
	v_sub_f32_e32 v15, v33, v35
	v_ldexp_f32 v8, v8, 1
	v_sub_f32_e32 v15, v31, v15
	v_add_f32_e32 v37, v8, v15
	v_mov_b32_e32 v36, v30
	v_pk_add_f32 v[30:31], v[32:33], v[30:31] neg_lo:[0,1] neg_hi:[0,1]
	v_pk_add_f32 v[38:39], v[32:33], v[36:37]
	v_mov_b32_e32 v31, v39
	v_mov_b32_e32 v35, v32
	v_pk_add_f32 v[40:41], v[34:35], v[30:31] neg_lo:[0,1] neg_hi:[0,1]
	v_pk_add_f32 v[30:31], v[34:35], v[30:31]
	v_mov_b32_e32 v8, v31
	v_pk_add_f32 v[34:35], v[8:9], v[32:33] neg_lo:[0,1] neg_hi:[0,1]
	v_mov_b32_e32 v15, v34
	v_pk_add_f32 v[42:43], v[38:39], v[14:15] neg_lo:[0,1] neg_hi:[0,1]
	v_mov_b32_e32 v30, v39
	v_mov_b32_e32 v38, v33
	;; [unrolled: 1-line block ×4, first 2 shown]
	v_pk_add_f32 v[30:31], v[30:31], v[38:39] neg_lo:[0,1] neg_hi:[0,1]
	v_mov_b32_e32 v34, v37
	v_mov_b32_e32 v35, v32
	v_pk_add_f32 v[30:31], v[34:35], v[30:31] neg_lo:[0,1] neg_hi:[0,1]
	v_mov_b32_e32 v42, v40
	v_pk_add_f32 v[32:33], v[42:43], v[30:31]
	v_mov_b32_e32 v34, v33
	v_pk_add_f32 v[34:35], v[32:33], v[34:35]
	v_pk_add_f32 v[36:37], v[8:9], v[34:35]
	v_mov_b32_e32 v33, v36
	v_pk_add_f32 v[38:39], v[32:33], v[40:41] neg_lo:[0,1] neg_hi:[0,1]
	v_mov_b32_e32 v31, v34
	v_sub_f32_e32 v8, v32, v38
	v_pk_add_f32 v[30:31], v[30:31], v[38:39] neg_lo:[0,1] neg_hi:[0,1]
	v_sub_f32_e32 v8, v40, v8
	s_mov_b32 s3, 0x7f800000
	v_add_f32_e32 v8, v30, v8
	s_mov_b32 s2, 0x33800000
	v_add_f32_e32 v8, v8, v31
	v_cmp_eq_f32_e32 vcc, s3, v44
	v_cmp_lt_f32_e64 s[2:3], |v44|, s2
	v_add_f32_e32 v8, v36, v8
	s_or_b64 vcc, vcc, s[2:3]
	v_cndmask_b32_e32 v8, v8, v44, vcc
	v_add_f32_e32 v8, v29, v8
	v_cvt_f16_f32_e32 v31, v8
	v_cvt_f32_f16_e32 v15, v31
	v_mov_b32_e32 v8, v31
.LBB431_170:
	s_or_b64 exec, exec, s[0:1]
	v_max_f32_e32 v30, v28, v28
	v_max_f32_e32 v32, v15, v15
	v_min_f32_e32 v29, v32, v30
	v_cmp_u_f16_e32 vcc, v31, v31
	v_max_f32_e32 v30, v32, v30
	v_cndmask_b32_e32 v29, v29, v15, vcc
	v_cndmask_b32_e32 v15, v30, v15, vcc
	v_cndmask_b32_e64 v29, v29, v28, s[92:93]
	v_cndmask_b32_e64 v15, v15, v28, s[92:93]
	s_movk_i32 s0, 0x1f8
	v_cmp_neq_f32_e32 vcc, v29, v15
	v_cmp_class_f32_e64 s[0:1], v29, s0
	s_or_b64 s[2:3], vcc, s[0:1]
	v_mov_b32_e32 v28, v8
	s_and_saveexec_b64 s[0:1], s[2:3]
	s_cbranch_execz .LBB431_172
; %bb.171:
	v_sub_f32_e32 v28, v29, v15
	s_mov_b32 s2, 0x3fb8aa3b
	v_mul_f32_e32 v29, 0x3fb8aa3b, v28
	v_fma_f32 v30, v28, s2, -v29
	v_rndne_f32_e32 v31, v29
	v_fmac_f32_e32 v30, 0x32a5705f, v28
	v_sub_f32_e32 v29, v29, v31
	v_add_f32_e32 v29, v29, v30
	v_exp_f32_e32 v29, v29
	v_cvt_i32_f32_e32 v30, v31
	s_mov_b32 s2, 0xc2ce8ed0
	v_cmp_ngt_f32_e32 vcc, s2, v28
	s_mov_b32 s2, 0x42b17218
	v_ldexp_f32 v29, v29, v30
	v_cndmask_b32_e32 v29, 0, v29, vcc
	v_mov_b32_e32 v30, 0x7f800000
	v_cmp_nlt_f32_e32 vcc, s2, v28
	v_cndmask_b32_e32 v44, v30, v29, vcc
	v_add_f32_e32 v30, 1.0, v44
	v_add_f32_e32 v28, -1.0, v30
	v_sub_f32_e32 v29, v28, v30
	v_add_f32_e32 v29, 1.0, v29
	v_sub_f32_e32 v28, v44, v28
	v_add_f32_e32 v31, v28, v29
	v_frexp_mant_f32_e32 v32, v30
	s_mov_b32 s2, 0x3f2aaaab
	v_cvt_f64_f32_e32 v[28:29], v30
	v_frexp_exp_i32_f64_e32 v28, v[28:29]
	v_cmp_gt_f32_e32 vcc, s2, v32
	v_subbrev_co_u32_e32 v36, vcc, 0, v28, vcc
	v_sub_u32_e32 v28, 0, v36
	v_ldexp_f32 v29, v30, v28
	v_add_f32_e32 v30, -1.0, v29
	v_add_f32_e32 v32, 1.0, v29
	v_ldexp_f32 v28, v31, v28
	v_add_f32_e32 v31, 1.0, v30
	v_add_f32_e32 v33, -1.0, v32
	v_sub_f32_e32 v31, v29, v31
	v_sub_f32_e32 v29, v29, v33
	v_add_f32_e32 v31, v28, v31
	v_add_f32_e32 v28, v28, v29
	;; [unrolled: 1-line block ×3, first 2 shown]
	v_rcp_f32_e32 v39, v37
	v_sub_f32_e32 v29, v32, v37
	v_add_f32_e32 v38, v28, v29
	v_add_f32_e32 v29, v30, v31
	v_mul_f32_e32 v41, v29, v39
	v_sub_f32_e32 v28, v30, v29
	v_mul_f32_e32 v30, v37, v41
	v_fma_f32 v32, v41, v37, -v30
	v_fmac_f32_e32 v32, v41, v38
	v_add_f32_e32 v40, v31, v28
	v_add_f32_e32 v28, v30, v32
	v_sub_f32_e32 v31, v29, v28
	v_pk_add_f32 v[34:35], v[28:29], v[30:31] neg_lo:[0,1] neg_hi:[0,1]
	v_mov_b32_e32 v33, v28
	v_pk_add_f32 v[28:29], v[34:35], v[32:33] neg_lo:[0,1] neg_hi:[0,1]
	v_add_f32_e32 v29, v40, v29
	v_add_f32_e32 v28, v28, v29
	;; [unrolled: 1-line block ×3, first 2 shown]
	v_mul_f32_e32 v40, v39, v29
	v_mul_f32_e32 v30, v37, v40
	v_fma_f32 v32, v40, v37, -v30
	v_fmac_f32_e32 v32, v40, v38
	v_sub_f32_e32 v31, v31, v29
	v_add_f32_e32 v37, v28, v31
	v_add_f32_e32 v28, v30, v32
	v_sub_f32_e32 v31, v29, v28
	v_pk_add_f32 v[34:35], v[28:29], v[30:31] neg_lo:[0,1] neg_hi:[0,1]
	v_mov_b32_e32 v33, v28
	v_pk_add_f32 v[28:29], v[34:35], v[32:33] neg_lo:[0,1] neg_hi:[0,1]
	v_add_f32_e32 v29, v37, v29
	v_add_f32_e32 v28, v28, v29
	;; [unrolled: 1-line block ×4, first 2 shown]
	v_sub_f32_e32 v29, v31, v41
	v_mul_f32_e32 v28, v39, v28
	v_sub_f32_e32 v29, v40, v29
	v_add_f32_e32 v28, v29, v28
	v_add_f32_e32 v32, v31, v28
	v_mul_f32_e32 v34, v32, v32
	v_mov_b32_e32 v30, 0x3ecc95a3
	v_fmac_f32_e32 v30, 0x3e9b6dac, v34
	v_mov_b32_e32 v29, 0x3f2aaada
	v_fmac_f32_e32 v29, v34, v30
	v_cvt_f32_i32_e32 v30, v36
	v_sub_f32_e32 v31, v32, v31
	v_sub_f32_e32 v28, v28, v31
	v_ldexp_f32 v35, v28, 1
	v_mul_f32_e32 v31, v32, v34
	v_mov_b32_e32 v28, 0x3f317218
	s_mov_b32 s2, 0x3f317218
	v_pk_mul_f32 v[28:29], v[30:31], v[28:29]
	v_ldexp_f32 v33, v32, 1
	v_fma_f32 v32, v30, s2, -v28
	v_fmac_f32_e32 v32, 0xb102e308, v30
	v_pk_add_f32 v[30:31], v[28:29], v[32:33]
	v_sub_f32_e32 v33, v31, v33
	v_sub_f32_e32 v33, v29, v33
	v_add_f32_e32 v35, v35, v33
	v_mov_b32_e32 v34, v28
	v_pk_add_f32 v[28:29], v[30:31], v[28:29] neg_lo:[0,1] neg_hi:[0,1]
	v_pk_add_f32 v[36:37], v[30:31], v[34:35]
	v_mov_b32_e32 v29, v37
	v_mov_b32_e32 v33, v30
	v_pk_add_f32 v[38:39], v[32:33], v[28:29] neg_lo:[0,1] neg_hi:[0,1]
	v_pk_add_f32 v[28:29], v[32:33], v[28:29]
	v_mov_b32_e32 v32, v29
	v_pk_add_f32 v[40:41], v[32:33], v[30:31] neg_lo:[0,1] neg_hi:[0,1]
	v_mov_b32_e32 v33, v40
	v_pk_add_f32 v[42:43], v[36:37], v[32:33] neg_lo:[0,1] neg_hi:[0,1]
	v_mov_b32_e32 v28, v37
	v_mov_b32_e32 v36, v31
	;; [unrolled: 1-line block ×4, first 2 shown]
	v_pk_add_f32 v[28:29], v[28:29], v[36:37] neg_lo:[0,1] neg_hi:[0,1]
	v_mov_b32_e32 v34, v35
	v_mov_b32_e32 v35, v30
	v_pk_add_f32 v[28:29], v[34:35], v[28:29] neg_lo:[0,1] neg_hi:[0,1]
	v_mov_b32_e32 v42, v38
	v_pk_add_f32 v[30:31], v[42:43], v[28:29]
	v_mov_b32_e32 v34, v31
	v_pk_add_f32 v[34:35], v[30:31], v[34:35]
	v_pk_add_f32 v[32:33], v[32:33], v[34:35]
	v_mov_b32_e32 v31, v32
	v_pk_add_f32 v[36:37], v[30:31], v[38:39] neg_lo:[0,1] neg_hi:[0,1]
	v_mov_b32_e32 v29, v34
	v_sub_f32_e32 v30, v30, v36
	v_pk_add_f32 v[28:29], v[28:29], v[36:37] neg_lo:[0,1] neg_hi:[0,1]
	v_sub_f32_e32 v30, v38, v30
	s_mov_b32 s3, 0x7f800000
	v_add_f32_e32 v28, v28, v30
	s_mov_b32 s2, 0x33800000
	v_add_f32_e32 v28, v28, v29
	v_cmp_eq_f32_e32 vcc, s3, v44
	v_cmp_lt_f32_e64 s[2:3], |v44|, s2
	v_add_f32_e32 v28, v32, v28
	s_or_b64 vcc, vcc, s[2:3]
	v_cndmask_b32_e32 v28, v28, v44, vcc
	v_add_f32_e32 v15, v15, v28
	v_cvt_f16_f32_e32 v28, v15
.LBB431_172:
	s_or_b64 exec, exec, s[0:1]
	s_mov_b32 s0, 0x5040100
	v_add_u32_e32 v9, v14, v9
	v_perm_b32 v33, v20, v4, s0
	v_perm_b32 v32, v19, v3, s0
	;; [unrolled: 1-line block ×12, first 2 shown]
	s_waitcnt lgkmcnt(0)
	; wave barrier
	ds_write_b128 v9, v[30:33]
	ds_write_b128 v9, v[16:19] offset:16
	ds_write_b128 v9, v[2:5] offset:32
	s_waitcnt lgkmcnt(0)
	; wave barrier
	s_waitcnt lgkmcnt(0)
	ds_read_u16 v25, v14 offset:128
	ds_read_u16 v24, v14 offset:256
	ds_read_u16 v23, v14 offset:384
	ds_read_u16 v22, v14 offset:512
	ds_read_u16 v21, v14 offset:640
	ds_read_u16 v20, v14 offset:768
	ds_read_u16 v19, v14 offset:896
	ds_read_u16 v18, v14 offset:1024
	ds_read_u16 v17, v14 offset:1152
	ds_read_u16 v16, v14 offset:1280
	ds_read_u16 v15, v14 offset:1408
	ds_read_u16 v13, v14 offset:1536
	ds_read_u16 v12, v14 offset:1664
	ds_read_u16 v11, v14 offset:1792
	ds_read_u16 v10, v14 offset:1920
	ds_read_u16 v9, v14 offset:2048
	ds_read_u16 v8, v14 offset:2176
	ds_read_u16 v7, v14 offset:2304
	ds_read_u16 v6, v14 offset:2432
	ds_read_u16 v5, v14 offset:2560
	ds_read_u16 v4, v14 offset:2688
	ds_read_u16 v3, v14 offset:2816
	ds_read_u16 v2, v14 offset:2944
	v_readlane_b32 s0, v51, 8
	v_lshlrev_b64 v[0:1], 1, v[0:1]
	v_readlane_b32 s1, v51, 9
	v_mov_b32_e32 v26, s1
	v_add_co_u32_e32 v0, vcc, s0, v0
	v_addc_co_u32_e32 v1, vcc, v26, v1, vcc
	s_mov_b64 s[0:1], exec
	v_readlane_b32 s2, v51, 0
	v_readlane_b32 s3, v51, 1
	s_and_b64 s[2:3], s[0:1], s[2:3]
	s_mov_b64 exec, s[2:3]
	s_cbranch_execz .LBB431_174
; %bb.173:
	ds_read_u16 v14, v14
	s_waitcnt lgkmcnt(0)
	global_store_short v[0:1], v14, off
.LBB431_174:
	s_or_b64 exec, exec, s[0:1]
	s_mov_b64 s[0:1], exec
	v_readlane_b32 s2, v51, 2
	v_readlane_b32 s3, v51, 3
	s_and_b64 s[2:3], s[0:1], s[2:3]
	s_mov_b64 exec, s[2:3]
	s_cbranch_execz .LBB431_176
; %bb.175:
	s_waitcnt lgkmcnt(14)
	global_store_short v[0:1], v25, off offset:128
.LBB431_176:
	s_or_b64 exec, exec, s[0:1]
	s_mov_b64 s[0:1], exec
	v_readlane_b32 s2, v51, 4
	v_readlane_b32 s3, v51, 5
	s_and_b64 s[2:3], s[0:1], s[2:3]
	s_mov_b64 exec, s[2:3]
	s_cbranch_execnz .LBB431_201
; %bb.177:
	s_or_b64 exec, exec, s[0:1]
	s_and_saveexec_b64 s[0:1], s[46:47]
	s_cbranch_execnz .LBB431_202
.LBB431_178:
	s_or_b64 exec, exec, s[0:1]
	s_and_saveexec_b64 s[0:1], s[6:7]
	s_cbranch_execnz .LBB431_203
.LBB431_179:
	s_or_b64 exec, exec, s[0:1]
	s_and_saveexec_b64 s[0:1], s[8:9]
	s_cbranch_execnz .LBB431_204
.LBB431_180:
	s_or_b64 exec, exec, s[0:1]
	s_and_saveexec_b64 s[0:1], s[10:11]
	s_cbranch_execnz .LBB431_205
.LBB431_181:
	s_or_b64 exec, exec, s[0:1]
	s_and_saveexec_b64 s[0:1], s[12:13]
	s_cbranch_execnz .LBB431_206
.LBB431_182:
	s_or_b64 exec, exec, s[0:1]
	s_and_saveexec_b64 s[0:1], s[14:15]
	s_cbranch_execnz .LBB431_207
.LBB431_183:
	s_or_b64 exec, exec, s[0:1]
	s_and_saveexec_b64 s[0:1], s[16:17]
	s_cbranch_execnz .LBB431_208
.LBB431_184:
	s_or_b64 exec, exec, s[0:1]
	s_and_saveexec_b64 s[0:1], s[18:19]
	s_cbranch_execnz .LBB431_209
.LBB431_185:
	s_or_b64 exec, exec, s[0:1]
	s_and_saveexec_b64 s[0:1], s[20:21]
	s_cbranch_execnz .LBB431_210
.LBB431_186:
	s_or_b64 exec, exec, s[0:1]
	s_and_saveexec_b64 s[0:1], s[22:23]
	s_cbranch_execnz .LBB431_211
.LBB431_187:
	s_or_b64 exec, exec, s[0:1]
	s_and_saveexec_b64 s[0:1], s[24:25]
	s_cbranch_execnz .LBB431_212
.LBB431_188:
	s_or_b64 exec, exec, s[0:1]
	s_and_saveexec_b64 s[0:1], s[26:27]
	s_cbranch_execnz .LBB431_213
.LBB431_189:
	s_or_b64 exec, exec, s[0:1]
	s_and_saveexec_b64 s[0:1], s[28:29]
	s_cbranch_execnz .LBB431_214
.LBB431_190:
	s_or_b64 exec, exec, s[0:1]
	s_and_saveexec_b64 s[0:1], s[30:31]
	s_cbranch_execnz .LBB431_215
.LBB431_191:
	s_or_b64 exec, exec, s[0:1]
	s_and_saveexec_b64 s[0:1], s[34:35]
	s_cbranch_execnz .LBB431_216
.LBB431_192:
	s_or_b64 exec, exec, s[0:1]
	s_and_saveexec_b64 s[0:1], s[36:37]
	s_cbranch_execnz .LBB431_217
.LBB431_193:
	s_or_b64 exec, exec, s[0:1]
	s_and_saveexec_b64 s[0:1], s[38:39]
	s_cbranch_execnz .LBB431_218
.LBB431_194:
	s_or_b64 exec, exec, s[0:1]
	s_and_saveexec_b64 s[0:1], s[40:41]
	s_cbranch_execnz .LBB431_219
.LBB431_195:
	s_or_b64 exec, exec, s[0:1]
	s_and_saveexec_b64 s[0:1], s[42:43]
	s_cbranch_execnz .LBB431_220
.LBB431_196:
	s_or_b64 exec, exec, s[0:1]
	s_and_saveexec_b64 s[0:1], s[44:45]
	s_cbranch_execz .LBB431_198
.LBB431_197:
	s_waitcnt lgkmcnt(1)
	global_store_short v[0:1], v3, off offset:2816
.LBB431_198:
	s_or_b64 exec, exec, s[0:1]
	v_readlane_b32 s2, v51, 6
	v_readlane_b32 s3, v51, 7
	s_and_saveexec_b64 s[0:1], s[2:3]
	s_cbranch_execz .LBB431_200
; %bb.199:
	s_waitcnt lgkmcnt(0)
	global_store_short v[0:1], v2, off offset:2944
.LBB431_200:
	s_endpgm
.LBB431_201:
	s_waitcnt lgkmcnt(14)
	global_store_short v[0:1], v24, off offset:256
	s_or_b64 exec, exec, s[0:1]
	s_and_saveexec_b64 s[0:1], s[46:47]
	s_cbranch_execz .LBB431_178
.LBB431_202:
	s_waitcnt lgkmcnt(14)
	global_store_short v[0:1], v23, off offset:384
	s_or_b64 exec, exec, s[0:1]
	s_and_saveexec_b64 s[0:1], s[6:7]
	s_cbranch_execz .LBB431_179
.LBB431_203:
	s_waitcnt lgkmcnt(14)
	global_store_short v[0:1], v22, off offset:512
	s_or_b64 exec, exec, s[0:1]
	s_and_saveexec_b64 s[0:1], s[8:9]
	s_cbranch_execz .LBB431_180
.LBB431_204:
	s_waitcnt lgkmcnt(14)
	global_store_short v[0:1], v21, off offset:640
	s_or_b64 exec, exec, s[0:1]
	s_and_saveexec_b64 s[0:1], s[10:11]
	s_cbranch_execz .LBB431_181
.LBB431_205:
	s_waitcnt lgkmcnt(14)
	global_store_short v[0:1], v20, off offset:768
	s_or_b64 exec, exec, s[0:1]
	s_and_saveexec_b64 s[0:1], s[12:13]
	s_cbranch_execz .LBB431_182
.LBB431_206:
	s_waitcnt lgkmcnt(14)
	global_store_short v[0:1], v19, off offset:896
	s_or_b64 exec, exec, s[0:1]
	s_and_saveexec_b64 s[0:1], s[14:15]
	s_cbranch_execz .LBB431_183
.LBB431_207:
	s_waitcnt lgkmcnt(14)
	global_store_short v[0:1], v18, off offset:1024
	s_or_b64 exec, exec, s[0:1]
	s_and_saveexec_b64 s[0:1], s[16:17]
	s_cbranch_execz .LBB431_184
.LBB431_208:
	s_waitcnt lgkmcnt(14)
	global_store_short v[0:1], v17, off offset:1152
	s_or_b64 exec, exec, s[0:1]
	s_and_saveexec_b64 s[0:1], s[18:19]
	s_cbranch_execz .LBB431_185
.LBB431_209:
	s_waitcnt lgkmcnt(13)
	global_store_short v[0:1], v16, off offset:1280
	s_or_b64 exec, exec, s[0:1]
	s_and_saveexec_b64 s[0:1], s[20:21]
	s_cbranch_execz .LBB431_186
.LBB431_210:
	s_waitcnt lgkmcnt(12)
	global_store_short v[0:1], v15, off offset:1408
	s_or_b64 exec, exec, s[0:1]
	s_and_saveexec_b64 s[0:1], s[22:23]
	s_cbranch_execz .LBB431_187
.LBB431_211:
	s_waitcnt lgkmcnt(11)
	global_store_short v[0:1], v13, off offset:1536
	s_or_b64 exec, exec, s[0:1]
	s_and_saveexec_b64 s[0:1], s[24:25]
	s_cbranch_execz .LBB431_188
.LBB431_212:
	s_waitcnt lgkmcnt(10)
	global_store_short v[0:1], v12, off offset:1664
	s_or_b64 exec, exec, s[0:1]
	s_and_saveexec_b64 s[0:1], s[26:27]
	s_cbranch_execz .LBB431_189
.LBB431_213:
	s_waitcnt lgkmcnt(9)
	global_store_short v[0:1], v11, off offset:1792
	s_or_b64 exec, exec, s[0:1]
	s_and_saveexec_b64 s[0:1], s[28:29]
	s_cbranch_execz .LBB431_190
.LBB431_214:
	s_waitcnt lgkmcnt(8)
	global_store_short v[0:1], v10, off offset:1920
	s_or_b64 exec, exec, s[0:1]
	s_and_saveexec_b64 s[0:1], s[30:31]
	s_cbranch_execz .LBB431_191
.LBB431_215:
	s_waitcnt lgkmcnt(7)
	global_store_short v[0:1], v9, off offset:2048
	s_or_b64 exec, exec, s[0:1]
	s_and_saveexec_b64 s[0:1], s[34:35]
	s_cbranch_execz .LBB431_192
.LBB431_216:
	s_waitcnt lgkmcnt(6)
	global_store_short v[0:1], v8, off offset:2176
	s_or_b64 exec, exec, s[0:1]
	s_and_saveexec_b64 s[0:1], s[36:37]
	s_cbranch_execz .LBB431_193
.LBB431_217:
	s_waitcnt lgkmcnt(5)
	global_store_short v[0:1], v7, off offset:2304
	s_or_b64 exec, exec, s[0:1]
	s_and_saveexec_b64 s[0:1], s[38:39]
	s_cbranch_execz .LBB431_194
.LBB431_218:
	s_waitcnt lgkmcnt(4)
	global_store_short v[0:1], v6, off offset:2432
	s_or_b64 exec, exec, s[0:1]
	s_and_saveexec_b64 s[0:1], s[40:41]
	s_cbranch_execz .LBB431_195
.LBB431_219:
	s_waitcnt lgkmcnt(3)
	global_store_short v[0:1], v5, off offset:2560
	s_or_b64 exec, exec, s[0:1]
	s_and_saveexec_b64 s[0:1], s[42:43]
	s_cbranch_execz .LBB431_196
.LBB431_220:
	s_waitcnt lgkmcnt(2)
	global_store_short v[0:1], v4, off offset:2688
	s_or_b64 exec, exec, s[0:1]
	s_and_saveexec_b64 s[0:1], s[44:45]
	s_cbranch_execnz .LBB431_197
	s_branch .LBB431_198
	.section	.rodata,"a",@progbits
	.p2align	6, 0x0
	.amdhsa_kernel _ZN7rocprim17ROCPRIM_400000_NS6detail17trampoline_kernelINS0_14default_configENS1_20scan_config_selectorIN3c104HalfEEEZZNS1_9scan_implILNS1_25lookback_scan_determinismE0ELb0ELb0ES3_PKS6_PS6_S6_ZZZN2at6native31launch_logcumsumexp_cuda_kernelERKNSD_10TensorBaseESH_lENKUlvE_clEvENKUlvE3_clEvEUlS6_S6_E_S6_EEDaPvRmT3_T4_T5_mT6_P12ihipStream_tbENKUlT_T0_E_clISt17integral_constantIbLb0EESX_IbLb1EEEEDaST_SU_EUlST_E0_NS1_11comp_targetILNS1_3genE4ELNS1_11target_archE910ELNS1_3gpuE8ELNS1_3repE0EEENS1_30default_config_static_selectorELNS0_4arch9wavefront6targetE1EEEvT1_
		.amdhsa_group_segment_fixed_size 3072
		.amdhsa_private_segment_fixed_size 0
		.amdhsa_kernarg_size 32
		.amdhsa_user_sgpr_count 6
		.amdhsa_user_sgpr_private_segment_buffer 1
		.amdhsa_user_sgpr_dispatch_ptr 0
		.amdhsa_user_sgpr_queue_ptr 0
		.amdhsa_user_sgpr_kernarg_segment_ptr 1
		.amdhsa_user_sgpr_dispatch_id 0
		.amdhsa_user_sgpr_flat_scratch_init 0
		.amdhsa_user_sgpr_kernarg_preload_length 0
		.amdhsa_user_sgpr_kernarg_preload_offset 0
		.amdhsa_user_sgpr_private_segment_size 0
		.amdhsa_uses_dynamic_stack 0
		.amdhsa_system_sgpr_private_segment_wavefront_offset 0
		.amdhsa_system_sgpr_workgroup_id_x 1
		.amdhsa_system_sgpr_workgroup_id_y 0
		.amdhsa_system_sgpr_workgroup_id_z 0
		.amdhsa_system_sgpr_workgroup_info 0
		.amdhsa_system_vgpr_workitem_id 0
		.amdhsa_next_free_vgpr 52
		.amdhsa_next_free_sgpr 96
		.amdhsa_accum_offset 52
		.amdhsa_reserve_vcc 1
		.amdhsa_reserve_flat_scratch 0
		.amdhsa_float_round_mode_32 0
		.amdhsa_float_round_mode_16_64 0
		.amdhsa_float_denorm_mode_32 3
		.amdhsa_float_denorm_mode_16_64 3
		.amdhsa_dx10_clamp 1
		.amdhsa_ieee_mode 1
		.amdhsa_fp16_overflow 0
		.amdhsa_tg_split 0
		.amdhsa_exception_fp_ieee_invalid_op 0
		.amdhsa_exception_fp_denorm_src 0
		.amdhsa_exception_fp_ieee_div_zero 0
		.amdhsa_exception_fp_ieee_overflow 0
		.amdhsa_exception_fp_ieee_underflow 0
		.amdhsa_exception_fp_ieee_inexact 0
		.amdhsa_exception_int_div_zero 0
	.end_amdhsa_kernel
	.section	.text._ZN7rocprim17ROCPRIM_400000_NS6detail17trampoline_kernelINS0_14default_configENS1_20scan_config_selectorIN3c104HalfEEEZZNS1_9scan_implILNS1_25lookback_scan_determinismE0ELb0ELb0ES3_PKS6_PS6_S6_ZZZN2at6native31launch_logcumsumexp_cuda_kernelERKNSD_10TensorBaseESH_lENKUlvE_clEvENKUlvE3_clEvEUlS6_S6_E_S6_EEDaPvRmT3_T4_T5_mT6_P12ihipStream_tbENKUlT_T0_E_clISt17integral_constantIbLb0EESX_IbLb1EEEEDaST_SU_EUlST_E0_NS1_11comp_targetILNS1_3genE4ELNS1_11target_archE910ELNS1_3gpuE8ELNS1_3repE0EEENS1_30default_config_static_selectorELNS0_4arch9wavefront6targetE1EEEvT1_,"axG",@progbits,_ZN7rocprim17ROCPRIM_400000_NS6detail17trampoline_kernelINS0_14default_configENS1_20scan_config_selectorIN3c104HalfEEEZZNS1_9scan_implILNS1_25lookback_scan_determinismE0ELb0ELb0ES3_PKS6_PS6_S6_ZZZN2at6native31launch_logcumsumexp_cuda_kernelERKNSD_10TensorBaseESH_lENKUlvE_clEvENKUlvE3_clEvEUlS6_S6_E_S6_EEDaPvRmT3_T4_T5_mT6_P12ihipStream_tbENKUlT_T0_E_clISt17integral_constantIbLb0EESX_IbLb1EEEEDaST_SU_EUlST_E0_NS1_11comp_targetILNS1_3genE4ELNS1_11target_archE910ELNS1_3gpuE8ELNS1_3repE0EEENS1_30default_config_static_selectorELNS0_4arch9wavefront6targetE1EEEvT1_,comdat
.Lfunc_end431:
	.size	_ZN7rocprim17ROCPRIM_400000_NS6detail17trampoline_kernelINS0_14default_configENS1_20scan_config_selectorIN3c104HalfEEEZZNS1_9scan_implILNS1_25lookback_scan_determinismE0ELb0ELb0ES3_PKS6_PS6_S6_ZZZN2at6native31launch_logcumsumexp_cuda_kernelERKNSD_10TensorBaseESH_lENKUlvE_clEvENKUlvE3_clEvEUlS6_S6_E_S6_EEDaPvRmT3_T4_T5_mT6_P12ihipStream_tbENKUlT_T0_E_clISt17integral_constantIbLb0EESX_IbLb1EEEEDaST_SU_EUlST_E0_NS1_11comp_targetILNS1_3genE4ELNS1_11target_archE910ELNS1_3gpuE8ELNS1_3repE0EEENS1_30default_config_static_selectorELNS0_4arch9wavefront6targetE1EEEvT1_, .Lfunc_end431-_ZN7rocprim17ROCPRIM_400000_NS6detail17trampoline_kernelINS0_14default_configENS1_20scan_config_selectorIN3c104HalfEEEZZNS1_9scan_implILNS1_25lookback_scan_determinismE0ELb0ELb0ES3_PKS6_PS6_S6_ZZZN2at6native31launch_logcumsumexp_cuda_kernelERKNSD_10TensorBaseESH_lENKUlvE_clEvENKUlvE3_clEvEUlS6_S6_E_S6_EEDaPvRmT3_T4_T5_mT6_P12ihipStream_tbENKUlT_T0_E_clISt17integral_constantIbLb0EESX_IbLb1EEEEDaST_SU_EUlST_E0_NS1_11comp_targetILNS1_3genE4ELNS1_11target_archE910ELNS1_3gpuE8ELNS1_3repE0EEENS1_30default_config_static_selectorELNS0_4arch9wavefront6targetE1EEEvT1_
                                        ; -- End function
	.section	.AMDGPU.csdata,"",@progbits
; Kernel info:
; codeLenInByte = 47852
; NumSgprs: 100
; NumVgprs: 52
; NumAgprs: 0
; TotalNumVgprs: 52
; ScratchSize: 0
; MemoryBound: 0
; FloatMode: 240
; IeeeMode: 1
; LDSByteSize: 3072 bytes/workgroup (compile time only)
; SGPRBlocks: 12
; VGPRBlocks: 6
; NumSGPRsForWavesPerEU: 100
; NumVGPRsForWavesPerEU: 52
; AccumOffset: 52
; Occupancy: 6
; WaveLimiterHint : 0
; COMPUTE_PGM_RSRC2:SCRATCH_EN: 0
; COMPUTE_PGM_RSRC2:USER_SGPR: 6
; COMPUTE_PGM_RSRC2:TRAP_HANDLER: 0
; COMPUTE_PGM_RSRC2:TGID_X_EN: 1
; COMPUTE_PGM_RSRC2:TGID_Y_EN: 0
; COMPUTE_PGM_RSRC2:TGID_Z_EN: 0
; COMPUTE_PGM_RSRC2:TIDIG_COMP_CNT: 0
; COMPUTE_PGM_RSRC3_GFX90A:ACCUM_OFFSET: 12
; COMPUTE_PGM_RSRC3_GFX90A:TG_SPLIT: 0
	.section	.text._ZN7rocprim17ROCPRIM_400000_NS6detail17trampoline_kernelINS0_14default_configENS1_20scan_config_selectorIN3c104HalfEEEZZNS1_9scan_implILNS1_25lookback_scan_determinismE0ELb0ELb0ES3_PKS6_PS6_S6_ZZZN2at6native31launch_logcumsumexp_cuda_kernelERKNSD_10TensorBaseESH_lENKUlvE_clEvENKUlvE3_clEvEUlS6_S6_E_S6_EEDaPvRmT3_T4_T5_mT6_P12ihipStream_tbENKUlT_T0_E_clISt17integral_constantIbLb0EESX_IbLb1EEEEDaST_SU_EUlST_E0_NS1_11comp_targetILNS1_3genE3ELNS1_11target_archE908ELNS1_3gpuE7ELNS1_3repE0EEENS1_30default_config_static_selectorELNS0_4arch9wavefront6targetE1EEEvT1_,"axG",@progbits,_ZN7rocprim17ROCPRIM_400000_NS6detail17trampoline_kernelINS0_14default_configENS1_20scan_config_selectorIN3c104HalfEEEZZNS1_9scan_implILNS1_25lookback_scan_determinismE0ELb0ELb0ES3_PKS6_PS6_S6_ZZZN2at6native31launch_logcumsumexp_cuda_kernelERKNSD_10TensorBaseESH_lENKUlvE_clEvENKUlvE3_clEvEUlS6_S6_E_S6_EEDaPvRmT3_T4_T5_mT6_P12ihipStream_tbENKUlT_T0_E_clISt17integral_constantIbLb0EESX_IbLb1EEEEDaST_SU_EUlST_E0_NS1_11comp_targetILNS1_3genE3ELNS1_11target_archE908ELNS1_3gpuE7ELNS1_3repE0EEENS1_30default_config_static_selectorELNS0_4arch9wavefront6targetE1EEEvT1_,comdat
	.globl	_ZN7rocprim17ROCPRIM_400000_NS6detail17trampoline_kernelINS0_14default_configENS1_20scan_config_selectorIN3c104HalfEEEZZNS1_9scan_implILNS1_25lookback_scan_determinismE0ELb0ELb0ES3_PKS6_PS6_S6_ZZZN2at6native31launch_logcumsumexp_cuda_kernelERKNSD_10TensorBaseESH_lENKUlvE_clEvENKUlvE3_clEvEUlS6_S6_E_S6_EEDaPvRmT3_T4_T5_mT6_P12ihipStream_tbENKUlT_T0_E_clISt17integral_constantIbLb0EESX_IbLb1EEEEDaST_SU_EUlST_E0_NS1_11comp_targetILNS1_3genE3ELNS1_11target_archE908ELNS1_3gpuE7ELNS1_3repE0EEENS1_30default_config_static_selectorELNS0_4arch9wavefront6targetE1EEEvT1_ ; -- Begin function _ZN7rocprim17ROCPRIM_400000_NS6detail17trampoline_kernelINS0_14default_configENS1_20scan_config_selectorIN3c104HalfEEEZZNS1_9scan_implILNS1_25lookback_scan_determinismE0ELb0ELb0ES3_PKS6_PS6_S6_ZZZN2at6native31launch_logcumsumexp_cuda_kernelERKNSD_10TensorBaseESH_lENKUlvE_clEvENKUlvE3_clEvEUlS6_S6_E_S6_EEDaPvRmT3_T4_T5_mT6_P12ihipStream_tbENKUlT_T0_E_clISt17integral_constantIbLb0EESX_IbLb1EEEEDaST_SU_EUlST_E0_NS1_11comp_targetILNS1_3genE3ELNS1_11target_archE908ELNS1_3gpuE7ELNS1_3repE0EEENS1_30default_config_static_selectorELNS0_4arch9wavefront6targetE1EEEvT1_
	.p2align	8
	.type	_ZN7rocprim17ROCPRIM_400000_NS6detail17trampoline_kernelINS0_14default_configENS1_20scan_config_selectorIN3c104HalfEEEZZNS1_9scan_implILNS1_25lookback_scan_determinismE0ELb0ELb0ES3_PKS6_PS6_S6_ZZZN2at6native31launch_logcumsumexp_cuda_kernelERKNSD_10TensorBaseESH_lENKUlvE_clEvENKUlvE3_clEvEUlS6_S6_E_S6_EEDaPvRmT3_T4_T5_mT6_P12ihipStream_tbENKUlT_T0_E_clISt17integral_constantIbLb0EESX_IbLb1EEEEDaST_SU_EUlST_E0_NS1_11comp_targetILNS1_3genE3ELNS1_11target_archE908ELNS1_3gpuE7ELNS1_3repE0EEENS1_30default_config_static_selectorELNS0_4arch9wavefront6targetE1EEEvT1_,@function
_ZN7rocprim17ROCPRIM_400000_NS6detail17trampoline_kernelINS0_14default_configENS1_20scan_config_selectorIN3c104HalfEEEZZNS1_9scan_implILNS1_25lookback_scan_determinismE0ELb0ELb0ES3_PKS6_PS6_S6_ZZZN2at6native31launch_logcumsumexp_cuda_kernelERKNSD_10TensorBaseESH_lENKUlvE_clEvENKUlvE3_clEvEUlS6_S6_E_S6_EEDaPvRmT3_T4_T5_mT6_P12ihipStream_tbENKUlT_T0_E_clISt17integral_constantIbLb0EESX_IbLb1EEEEDaST_SU_EUlST_E0_NS1_11comp_targetILNS1_3genE3ELNS1_11target_archE908ELNS1_3gpuE7ELNS1_3repE0EEENS1_30default_config_static_selectorELNS0_4arch9wavefront6targetE1EEEvT1_: ; @_ZN7rocprim17ROCPRIM_400000_NS6detail17trampoline_kernelINS0_14default_configENS1_20scan_config_selectorIN3c104HalfEEEZZNS1_9scan_implILNS1_25lookback_scan_determinismE0ELb0ELb0ES3_PKS6_PS6_S6_ZZZN2at6native31launch_logcumsumexp_cuda_kernelERKNSD_10TensorBaseESH_lENKUlvE_clEvENKUlvE3_clEvEUlS6_S6_E_S6_EEDaPvRmT3_T4_T5_mT6_P12ihipStream_tbENKUlT_T0_E_clISt17integral_constantIbLb0EESX_IbLb1EEEEDaST_SU_EUlST_E0_NS1_11comp_targetILNS1_3genE3ELNS1_11target_archE908ELNS1_3gpuE7ELNS1_3repE0EEENS1_30default_config_static_selectorELNS0_4arch9wavefront6targetE1EEEvT1_
; %bb.0:
	.section	.rodata,"a",@progbits
	.p2align	6, 0x0
	.amdhsa_kernel _ZN7rocprim17ROCPRIM_400000_NS6detail17trampoline_kernelINS0_14default_configENS1_20scan_config_selectorIN3c104HalfEEEZZNS1_9scan_implILNS1_25lookback_scan_determinismE0ELb0ELb0ES3_PKS6_PS6_S6_ZZZN2at6native31launch_logcumsumexp_cuda_kernelERKNSD_10TensorBaseESH_lENKUlvE_clEvENKUlvE3_clEvEUlS6_S6_E_S6_EEDaPvRmT3_T4_T5_mT6_P12ihipStream_tbENKUlT_T0_E_clISt17integral_constantIbLb0EESX_IbLb1EEEEDaST_SU_EUlST_E0_NS1_11comp_targetILNS1_3genE3ELNS1_11target_archE908ELNS1_3gpuE7ELNS1_3repE0EEENS1_30default_config_static_selectorELNS0_4arch9wavefront6targetE1EEEvT1_
		.amdhsa_group_segment_fixed_size 0
		.amdhsa_private_segment_fixed_size 0
		.amdhsa_kernarg_size 32
		.amdhsa_user_sgpr_count 6
		.amdhsa_user_sgpr_private_segment_buffer 1
		.amdhsa_user_sgpr_dispatch_ptr 0
		.amdhsa_user_sgpr_queue_ptr 0
		.amdhsa_user_sgpr_kernarg_segment_ptr 1
		.amdhsa_user_sgpr_dispatch_id 0
		.amdhsa_user_sgpr_flat_scratch_init 0
		.amdhsa_user_sgpr_kernarg_preload_length 0
		.amdhsa_user_sgpr_kernarg_preload_offset 0
		.amdhsa_user_sgpr_private_segment_size 0
		.amdhsa_uses_dynamic_stack 0
		.amdhsa_system_sgpr_private_segment_wavefront_offset 0
		.amdhsa_system_sgpr_workgroup_id_x 1
		.amdhsa_system_sgpr_workgroup_id_y 0
		.amdhsa_system_sgpr_workgroup_id_z 0
		.amdhsa_system_sgpr_workgroup_info 0
		.amdhsa_system_vgpr_workitem_id 0
		.amdhsa_next_free_vgpr 1
		.amdhsa_next_free_sgpr 0
		.amdhsa_accum_offset 4
		.amdhsa_reserve_vcc 0
		.amdhsa_reserve_flat_scratch 0
		.amdhsa_float_round_mode_32 0
		.amdhsa_float_round_mode_16_64 0
		.amdhsa_float_denorm_mode_32 3
		.amdhsa_float_denorm_mode_16_64 3
		.amdhsa_dx10_clamp 1
		.amdhsa_ieee_mode 1
		.amdhsa_fp16_overflow 0
		.amdhsa_tg_split 0
		.amdhsa_exception_fp_ieee_invalid_op 0
		.amdhsa_exception_fp_denorm_src 0
		.amdhsa_exception_fp_ieee_div_zero 0
		.amdhsa_exception_fp_ieee_overflow 0
		.amdhsa_exception_fp_ieee_underflow 0
		.amdhsa_exception_fp_ieee_inexact 0
		.amdhsa_exception_int_div_zero 0
	.end_amdhsa_kernel
	.section	.text._ZN7rocprim17ROCPRIM_400000_NS6detail17trampoline_kernelINS0_14default_configENS1_20scan_config_selectorIN3c104HalfEEEZZNS1_9scan_implILNS1_25lookback_scan_determinismE0ELb0ELb0ES3_PKS6_PS6_S6_ZZZN2at6native31launch_logcumsumexp_cuda_kernelERKNSD_10TensorBaseESH_lENKUlvE_clEvENKUlvE3_clEvEUlS6_S6_E_S6_EEDaPvRmT3_T4_T5_mT6_P12ihipStream_tbENKUlT_T0_E_clISt17integral_constantIbLb0EESX_IbLb1EEEEDaST_SU_EUlST_E0_NS1_11comp_targetILNS1_3genE3ELNS1_11target_archE908ELNS1_3gpuE7ELNS1_3repE0EEENS1_30default_config_static_selectorELNS0_4arch9wavefront6targetE1EEEvT1_,"axG",@progbits,_ZN7rocprim17ROCPRIM_400000_NS6detail17trampoline_kernelINS0_14default_configENS1_20scan_config_selectorIN3c104HalfEEEZZNS1_9scan_implILNS1_25lookback_scan_determinismE0ELb0ELb0ES3_PKS6_PS6_S6_ZZZN2at6native31launch_logcumsumexp_cuda_kernelERKNSD_10TensorBaseESH_lENKUlvE_clEvENKUlvE3_clEvEUlS6_S6_E_S6_EEDaPvRmT3_T4_T5_mT6_P12ihipStream_tbENKUlT_T0_E_clISt17integral_constantIbLb0EESX_IbLb1EEEEDaST_SU_EUlST_E0_NS1_11comp_targetILNS1_3genE3ELNS1_11target_archE908ELNS1_3gpuE7ELNS1_3repE0EEENS1_30default_config_static_selectorELNS0_4arch9wavefront6targetE1EEEvT1_,comdat
.Lfunc_end432:
	.size	_ZN7rocprim17ROCPRIM_400000_NS6detail17trampoline_kernelINS0_14default_configENS1_20scan_config_selectorIN3c104HalfEEEZZNS1_9scan_implILNS1_25lookback_scan_determinismE0ELb0ELb0ES3_PKS6_PS6_S6_ZZZN2at6native31launch_logcumsumexp_cuda_kernelERKNSD_10TensorBaseESH_lENKUlvE_clEvENKUlvE3_clEvEUlS6_S6_E_S6_EEDaPvRmT3_T4_T5_mT6_P12ihipStream_tbENKUlT_T0_E_clISt17integral_constantIbLb0EESX_IbLb1EEEEDaST_SU_EUlST_E0_NS1_11comp_targetILNS1_3genE3ELNS1_11target_archE908ELNS1_3gpuE7ELNS1_3repE0EEENS1_30default_config_static_selectorELNS0_4arch9wavefront6targetE1EEEvT1_, .Lfunc_end432-_ZN7rocprim17ROCPRIM_400000_NS6detail17trampoline_kernelINS0_14default_configENS1_20scan_config_selectorIN3c104HalfEEEZZNS1_9scan_implILNS1_25lookback_scan_determinismE0ELb0ELb0ES3_PKS6_PS6_S6_ZZZN2at6native31launch_logcumsumexp_cuda_kernelERKNSD_10TensorBaseESH_lENKUlvE_clEvENKUlvE3_clEvEUlS6_S6_E_S6_EEDaPvRmT3_T4_T5_mT6_P12ihipStream_tbENKUlT_T0_E_clISt17integral_constantIbLb0EESX_IbLb1EEEEDaST_SU_EUlST_E0_NS1_11comp_targetILNS1_3genE3ELNS1_11target_archE908ELNS1_3gpuE7ELNS1_3repE0EEENS1_30default_config_static_selectorELNS0_4arch9wavefront6targetE1EEEvT1_
                                        ; -- End function
	.section	.AMDGPU.csdata,"",@progbits
; Kernel info:
; codeLenInByte = 0
; NumSgprs: 4
; NumVgprs: 0
; NumAgprs: 0
; TotalNumVgprs: 0
; ScratchSize: 0
; MemoryBound: 0
; FloatMode: 240
; IeeeMode: 1
; LDSByteSize: 0 bytes/workgroup (compile time only)
; SGPRBlocks: 0
; VGPRBlocks: 0
; NumSGPRsForWavesPerEU: 4
; NumVGPRsForWavesPerEU: 1
; AccumOffset: 4
; Occupancy: 8
; WaveLimiterHint : 0
; COMPUTE_PGM_RSRC2:SCRATCH_EN: 0
; COMPUTE_PGM_RSRC2:USER_SGPR: 6
; COMPUTE_PGM_RSRC2:TRAP_HANDLER: 0
; COMPUTE_PGM_RSRC2:TGID_X_EN: 1
; COMPUTE_PGM_RSRC2:TGID_Y_EN: 0
; COMPUTE_PGM_RSRC2:TGID_Z_EN: 0
; COMPUTE_PGM_RSRC2:TIDIG_COMP_CNT: 0
; COMPUTE_PGM_RSRC3_GFX90A:ACCUM_OFFSET: 0
; COMPUTE_PGM_RSRC3_GFX90A:TG_SPLIT: 0
	.section	.text._ZN7rocprim17ROCPRIM_400000_NS6detail17trampoline_kernelINS0_14default_configENS1_20scan_config_selectorIN3c104HalfEEEZZNS1_9scan_implILNS1_25lookback_scan_determinismE0ELb0ELb0ES3_PKS6_PS6_S6_ZZZN2at6native31launch_logcumsumexp_cuda_kernelERKNSD_10TensorBaseESH_lENKUlvE_clEvENKUlvE3_clEvEUlS6_S6_E_S6_EEDaPvRmT3_T4_T5_mT6_P12ihipStream_tbENKUlT_T0_E_clISt17integral_constantIbLb0EESX_IbLb1EEEEDaST_SU_EUlST_E0_NS1_11comp_targetILNS1_3genE2ELNS1_11target_archE906ELNS1_3gpuE6ELNS1_3repE0EEENS1_30default_config_static_selectorELNS0_4arch9wavefront6targetE1EEEvT1_,"axG",@progbits,_ZN7rocprim17ROCPRIM_400000_NS6detail17trampoline_kernelINS0_14default_configENS1_20scan_config_selectorIN3c104HalfEEEZZNS1_9scan_implILNS1_25lookback_scan_determinismE0ELb0ELb0ES3_PKS6_PS6_S6_ZZZN2at6native31launch_logcumsumexp_cuda_kernelERKNSD_10TensorBaseESH_lENKUlvE_clEvENKUlvE3_clEvEUlS6_S6_E_S6_EEDaPvRmT3_T4_T5_mT6_P12ihipStream_tbENKUlT_T0_E_clISt17integral_constantIbLb0EESX_IbLb1EEEEDaST_SU_EUlST_E0_NS1_11comp_targetILNS1_3genE2ELNS1_11target_archE906ELNS1_3gpuE6ELNS1_3repE0EEENS1_30default_config_static_selectorELNS0_4arch9wavefront6targetE1EEEvT1_,comdat
	.globl	_ZN7rocprim17ROCPRIM_400000_NS6detail17trampoline_kernelINS0_14default_configENS1_20scan_config_selectorIN3c104HalfEEEZZNS1_9scan_implILNS1_25lookback_scan_determinismE0ELb0ELb0ES3_PKS6_PS6_S6_ZZZN2at6native31launch_logcumsumexp_cuda_kernelERKNSD_10TensorBaseESH_lENKUlvE_clEvENKUlvE3_clEvEUlS6_S6_E_S6_EEDaPvRmT3_T4_T5_mT6_P12ihipStream_tbENKUlT_T0_E_clISt17integral_constantIbLb0EESX_IbLb1EEEEDaST_SU_EUlST_E0_NS1_11comp_targetILNS1_3genE2ELNS1_11target_archE906ELNS1_3gpuE6ELNS1_3repE0EEENS1_30default_config_static_selectorELNS0_4arch9wavefront6targetE1EEEvT1_ ; -- Begin function _ZN7rocprim17ROCPRIM_400000_NS6detail17trampoline_kernelINS0_14default_configENS1_20scan_config_selectorIN3c104HalfEEEZZNS1_9scan_implILNS1_25lookback_scan_determinismE0ELb0ELb0ES3_PKS6_PS6_S6_ZZZN2at6native31launch_logcumsumexp_cuda_kernelERKNSD_10TensorBaseESH_lENKUlvE_clEvENKUlvE3_clEvEUlS6_S6_E_S6_EEDaPvRmT3_T4_T5_mT6_P12ihipStream_tbENKUlT_T0_E_clISt17integral_constantIbLb0EESX_IbLb1EEEEDaST_SU_EUlST_E0_NS1_11comp_targetILNS1_3genE2ELNS1_11target_archE906ELNS1_3gpuE6ELNS1_3repE0EEENS1_30default_config_static_selectorELNS0_4arch9wavefront6targetE1EEEvT1_
	.p2align	8
	.type	_ZN7rocprim17ROCPRIM_400000_NS6detail17trampoline_kernelINS0_14default_configENS1_20scan_config_selectorIN3c104HalfEEEZZNS1_9scan_implILNS1_25lookback_scan_determinismE0ELb0ELb0ES3_PKS6_PS6_S6_ZZZN2at6native31launch_logcumsumexp_cuda_kernelERKNSD_10TensorBaseESH_lENKUlvE_clEvENKUlvE3_clEvEUlS6_S6_E_S6_EEDaPvRmT3_T4_T5_mT6_P12ihipStream_tbENKUlT_T0_E_clISt17integral_constantIbLb0EESX_IbLb1EEEEDaST_SU_EUlST_E0_NS1_11comp_targetILNS1_3genE2ELNS1_11target_archE906ELNS1_3gpuE6ELNS1_3repE0EEENS1_30default_config_static_selectorELNS0_4arch9wavefront6targetE1EEEvT1_,@function
_ZN7rocprim17ROCPRIM_400000_NS6detail17trampoline_kernelINS0_14default_configENS1_20scan_config_selectorIN3c104HalfEEEZZNS1_9scan_implILNS1_25lookback_scan_determinismE0ELb0ELb0ES3_PKS6_PS6_S6_ZZZN2at6native31launch_logcumsumexp_cuda_kernelERKNSD_10TensorBaseESH_lENKUlvE_clEvENKUlvE3_clEvEUlS6_S6_E_S6_EEDaPvRmT3_T4_T5_mT6_P12ihipStream_tbENKUlT_T0_E_clISt17integral_constantIbLb0EESX_IbLb1EEEEDaST_SU_EUlST_E0_NS1_11comp_targetILNS1_3genE2ELNS1_11target_archE906ELNS1_3gpuE6ELNS1_3repE0EEENS1_30default_config_static_selectorELNS0_4arch9wavefront6targetE1EEEvT1_: ; @_ZN7rocprim17ROCPRIM_400000_NS6detail17trampoline_kernelINS0_14default_configENS1_20scan_config_selectorIN3c104HalfEEEZZNS1_9scan_implILNS1_25lookback_scan_determinismE0ELb0ELb0ES3_PKS6_PS6_S6_ZZZN2at6native31launch_logcumsumexp_cuda_kernelERKNSD_10TensorBaseESH_lENKUlvE_clEvENKUlvE3_clEvEUlS6_S6_E_S6_EEDaPvRmT3_T4_T5_mT6_P12ihipStream_tbENKUlT_T0_E_clISt17integral_constantIbLb0EESX_IbLb1EEEEDaST_SU_EUlST_E0_NS1_11comp_targetILNS1_3genE2ELNS1_11target_archE906ELNS1_3gpuE6ELNS1_3repE0EEENS1_30default_config_static_selectorELNS0_4arch9wavefront6targetE1EEEvT1_
; %bb.0:
	.section	.rodata,"a",@progbits
	.p2align	6, 0x0
	.amdhsa_kernel _ZN7rocprim17ROCPRIM_400000_NS6detail17trampoline_kernelINS0_14default_configENS1_20scan_config_selectorIN3c104HalfEEEZZNS1_9scan_implILNS1_25lookback_scan_determinismE0ELb0ELb0ES3_PKS6_PS6_S6_ZZZN2at6native31launch_logcumsumexp_cuda_kernelERKNSD_10TensorBaseESH_lENKUlvE_clEvENKUlvE3_clEvEUlS6_S6_E_S6_EEDaPvRmT3_T4_T5_mT6_P12ihipStream_tbENKUlT_T0_E_clISt17integral_constantIbLb0EESX_IbLb1EEEEDaST_SU_EUlST_E0_NS1_11comp_targetILNS1_3genE2ELNS1_11target_archE906ELNS1_3gpuE6ELNS1_3repE0EEENS1_30default_config_static_selectorELNS0_4arch9wavefront6targetE1EEEvT1_
		.amdhsa_group_segment_fixed_size 0
		.amdhsa_private_segment_fixed_size 0
		.amdhsa_kernarg_size 32
		.amdhsa_user_sgpr_count 6
		.amdhsa_user_sgpr_private_segment_buffer 1
		.amdhsa_user_sgpr_dispatch_ptr 0
		.amdhsa_user_sgpr_queue_ptr 0
		.amdhsa_user_sgpr_kernarg_segment_ptr 1
		.amdhsa_user_sgpr_dispatch_id 0
		.amdhsa_user_sgpr_flat_scratch_init 0
		.amdhsa_user_sgpr_kernarg_preload_length 0
		.amdhsa_user_sgpr_kernarg_preload_offset 0
		.amdhsa_user_sgpr_private_segment_size 0
		.amdhsa_uses_dynamic_stack 0
		.amdhsa_system_sgpr_private_segment_wavefront_offset 0
		.amdhsa_system_sgpr_workgroup_id_x 1
		.amdhsa_system_sgpr_workgroup_id_y 0
		.amdhsa_system_sgpr_workgroup_id_z 0
		.amdhsa_system_sgpr_workgroup_info 0
		.amdhsa_system_vgpr_workitem_id 0
		.amdhsa_next_free_vgpr 1
		.amdhsa_next_free_sgpr 0
		.amdhsa_accum_offset 4
		.amdhsa_reserve_vcc 0
		.amdhsa_reserve_flat_scratch 0
		.amdhsa_float_round_mode_32 0
		.amdhsa_float_round_mode_16_64 0
		.amdhsa_float_denorm_mode_32 3
		.amdhsa_float_denorm_mode_16_64 3
		.amdhsa_dx10_clamp 1
		.amdhsa_ieee_mode 1
		.amdhsa_fp16_overflow 0
		.amdhsa_tg_split 0
		.amdhsa_exception_fp_ieee_invalid_op 0
		.amdhsa_exception_fp_denorm_src 0
		.amdhsa_exception_fp_ieee_div_zero 0
		.amdhsa_exception_fp_ieee_overflow 0
		.amdhsa_exception_fp_ieee_underflow 0
		.amdhsa_exception_fp_ieee_inexact 0
		.amdhsa_exception_int_div_zero 0
	.end_amdhsa_kernel
	.section	.text._ZN7rocprim17ROCPRIM_400000_NS6detail17trampoline_kernelINS0_14default_configENS1_20scan_config_selectorIN3c104HalfEEEZZNS1_9scan_implILNS1_25lookback_scan_determinismE0ELb0ELb0ES3_PKS6_PS6_S6_ZZZN2at6native31launch_logcumsumexp_cuda_kernelERKNSD_10TensorBaseESH_lENKUlvE_clEvENKUlvE3_clEvEUlS6_S6_E_S6_EEDaPvRmT3_T4_T5_mT6_P12ihipStream_tbENKUlT_T0_E_clISt17integral_constantIbLb0EESX_IbLb1EEEEDaST_SU_EUlST_E0_NS1_11comp_targetILNS1_3genE2ELNS1_11target_archE906ELNS1_3gpuE6ELNS1_3repE0EEENS1_30default_config_static_selectorELNS0_4arch9wavefront6targetE1EEEvT1_,"axG",@progbits,_ZN7rocprim17ROCPRIM_400000_NS6detail17trampoline_kernelINS0_14default_configENS1_20scan_config_selectorIN3c104HalfEEEZZNS1_9scan_implILNS1_25lookback_scan_determinismE0ELb0ELb0ES3_PKS6_PS6_S6_ZZZN2at6native31launch_logcumsumexp_cuda_kernelERKNSD_10TensorBaseESH_lENKUlvE_clEvENKUlvE3_clEvEUlS6_S6_E_S6_EEDaPvRmT3_T4_T5_mT6_P12ihipStream_tbENKUlT_T0_E_clISt17integral_constantIbLb0EESX_IbLb1EEEEDaST_SU_EUlST_E0_NS1_11comp_targetILNS1_3genE2ELNS1_11target_archE906ELNS1_3gpuE6ELNS1_3repE0EEENS1_30default_config_static_selectorELNS0_4arch9wavefront6targetE1EEEvT1_,comdat
.Lfunc_end433:
	.size	_ZN7rocprim17ROCPRIM_400000_NS6detail17trampoline_kernelINS0_14default_configENS1_20scan_config_selectorIN3c104HalfEEEZZNS1_9scan_implILNS1_25lookback_scan_determinismE0ELb0ELb0ES3_PKS6_PS6_S6_ZZZN2at6native31launch_logcumsumexp_cuda_kernelERKNSD_10TensorBaseESH_lENKUlvE_clEvENKUlvE3_clEvEUlS6_S6_E_S6_EEDaPvRmT3_T4_T5_mT6_P12ihipStream_tbENKUlT_T0_E_clISt17integral_constantIbLb0EESX_IbLb1EEEEDaST_SU_EUlST_E0_NS1_11comp_targetILNS1_3genE2ELNS1_11target_archE906ELNS1_3gpuE6ELNS1_3repE0EEENS1_30default_config_static_selectorELNS0_4arch9wavefront6targetE1EEEvT1_, .Lfunc_end433-_ZN7rocprim17ROCPRIM_400000_NS6detail17trampoline_kernelINS0_14default_configENS1_20scan_config_selectorIN3c104HalfEEEZZNS1_9scan_implILNS1_25lookback_scan_determinismE0ELb0ELb0ES3_PKS6_PS6_S6_ZZZN2at6native31launch_logcumsumexp_cuda_kernelERKNSD_10TensorBaseESH_lENKUlvE_clEvENKUlvE3_clEvEUlS6_S6_E_S6_EEDaPvRmT3_T4_T5_mT6_P12ihipStream_tbENKUlT_T0_E_clISt17integral_constantIbLb0EESX_IbLb1EEEEDaST_SU_EUlST_E0_NS1_11comp_targetILNS1_3genE2ELNS1_11target_archE906ELNS1_3gpuE6ELNS1_3repE0EEENS1_30default_config_static_selectorELNS0_4arch9wavefront6targetE1EEEvT1_
                                        ; -- End function
	.section	.AMDGPU.csdata,"",@progbits
; Kernel info:
; codeLenInByte = 0
; NumSgprs: 4
; NumVgprs: 0
; NumAgprs: 0
; TotalNumVgprs: 0
; ScratchSize: 0
; MemoryBound: 0
; FloatMode: 240
; IeeeMode: 1
; LDSByteSize: 0 bytes/workgroup (compile time only)
; SGPRBlocks: 0
; VGPRBlocks: 0
; NumSGPRsForWavesPerEU: 4
; NumVGPRsForWavesPerEU: 1
; AccumOffset: 4
; Occupancy: 8
; WaveLimiterHint : 0
; COMPUTE_PGM_RSRC2:SCRATCH_EN: 0
; COMPUTE_PGM_RSRC2:USER_SGPR: 6
; COMPUTE_PGM_RSRC2:TRAP_HANDLER: 0
; COMPUTE_PGM_RSRC2:TGID_X_EN: 1
; COMPUTE_PGM_RSRC2:TGID_Y_EN: 0
; COMPUTE_PGM_RSRC2:TGID_Z_EN: 0
; COMPUTE_PGM_RSRC2:TIDIG_COMP_CNT: 0
; COMPUTE_PGM_RSRC3_GFX90A:ACCUM_OFFSET: 0
; COMPUTE_PGM_RSRC3_GFX90A:TG_SPLIT: 0
	.section	.text._ZN7rocprim17ROCPRIM_400000_NS6detail17trampoline_kernelINS0_14default_configENS1_20scan_config_selectorIN3c104HalfEEEZZNS1_9scan_implILNS1_25lookback_scan_determinismE0ELb0ELb0ES3_PKS6_PS6_S6_ZZZN2at6native31launch_logcumsumexp_cuda_kernelERKNSD_10TensorBaseESH_lENKUlvE_clEvENKUlvE3_clEvEUlS6_S6_E_S6_EEDaPvRmT3_T4_T5_mT6_P12ihipStream_tbENKUlT_T0_E_clISt17integral_constantIbLb0EESX_IbLb1EEEEDaST_SU_EUlST_E0_NS1_11comp_targetILNS1_3genE10ELNS1_11target_archE1201ELNS1_3gpuE5ELNS1_3repE0EEENS1_30default_config_static_selectorELNS0_4arch9wavefront6targetE1EEEvT1_,"axG",@progbits,_ZN7rocprim17ROCPRIM_400000_NS6detail17trampoline_kernelINS0_14default_configENS1_20scan_config_selectorIN3c104HalfEEEZZNS1_9scan_implILNS1_25lookback_scan_determinismE0ELb0ELb0ES3_PKS6_PS6_S6_ZZZN2at6native31launch_logcumsumexp_cuda_kernelERKNSD_10TensorBaseESH_lENKUlvE_clEvENKUlvE3_clEvEUlS6_S6_E_S6_EEDaPvRmT3_T4_T5_mT6_P12ihipStream_tbENKUlT_T0_E_clISt17integral_constantIbLb0EESX_IbLb1EEEEDaST_SU_EUlST_E0_NS1_11comp_targetILNS1_3genE10ELNS1_11target_archE1201ELNS1_3gpuE5ELNS1_3repE0EEENS1_30default_config_static_selectorELNS0_4arch9wavefront6targetE1EEEvT1_,comdat
	.globl	_ZN7rocprim17ROCPRIM_400000_NS6detail17trampoline_kernelINS0_14default_configENS1_20scan_config_selectorIN3c104HalfEEEZZNS1_9scan_implILNS1_25lookback_scan_determinismE0ELb0ELb0ES3_PKS6_PS6_S6_ZZZN2at6native31launch_logcumsumexp_cuda_kernelERKNSD_10TensorBaseESH_lENKUlvE_clEvENKUlvE3_clEvEUlS6_S6_E_S6_EEDaPvRmT3_T4_T5_mT6_P12ihipStream_tbENKUlT_T0_E_clISt17integral_constantIbLb0EESX_IbLb1EEEEDaST_SU_EUlST_E0_NS1_11comp_targetILNS1_3genE10ELNS1_11target_archE1201ELNS1_3gpuE5ELNS1_3repE0EEENS1_30default_config_static_selectorELNS0_4arch9wavefront6targetE1EEEvT1_ ; -- Begin function _ZN7rocprim17ROCPRIM_400000_NS6detail17trampoline_kernelINS0_14default_configENS1_20scan_config_selectorIN3c104HalfEEEZZNS1_9scan_implILNS1_25lookback_scan_determinismE0ELb0ELb0ES3_PKS6_PS6_S6_ZZZN2at6native31launch_logcumsumexp_cuda_kernelERKNSD_10TensorBaseESH_lENKUlvE_clEvENKUlvE3_clEvEUlS6_S6_E_S6_EEDaPvRmT3_T4_T5_mT6_P12ihipStream_tbENKUlT_T0_E_clISt17integral_constantIbLb0EESX_IbLb1EEEEDaST_SU_EUlST_E0_NS1_11comp_targetILNS1_3genE10ELNS1_11target_archE1201ELNS1_3gpuE5ELNS1_3repE0EEENS1_30default_config_static_selectorELNS0_4arch9wavefront6targetE1EEEvT1_
	.p2align	8
	.type	_ZN7rocprim17ROCPRIM_400000_NS6detail17trampoline_kernelINS0_14default_configENS1_20scan_config_selectorIN3c104HalfEEEZZNS1_9scan_implILNS1_25lookback_scan_determinismE0ELb0ELb0ES3_PKS6_PS6_S6_ZZZN2at6native31launch_logcumsumexp_cuda_kernelERKNSD_10TensorBaseESH_lENKUlvE_clEvENKUlvE3_clEvEUlS6_S6_E_S6_EEDaPvRmT3_T4_T5_mT6_P12ihipStream_tbENKUlT_T0_E_clISt17integral_constantIbLb0EESX_IbLb1EEEEDaST_SU_EUlST_E0_NS1_11comp_targetILNS1_3genE10ELNS1_11target_archE1201ELNS1_3gpuE5ELNS1_3repE0EEENS1_30default_config_static_selectorELNS0_4arch9wavefront6targetE1EEEvT1_,@function
_ZN7rocprim17ROCPRIM_400000_NS6detail17trampoline_kernelINS0_14default_configENS1_20scan_config_selectorIN3c104HalfEEEZZNS1_9scan_implILNS1_25lookback_scan_determinismE0ELb0ELb0ES3_PKS6_PS6_S6_ZZZN2at6native31launch_logcumsumexp_cuda_kernelERKNSD_10TensorBaseESH_lENKUlvE_clEvENKUlvE3_clEvEUlS6_S6_E_S6_EEDaPvRmT3_T4_T5_mT6_P12ihipStream_tbENKUlT_T0_E_clISt17integral_constantIbLb0EESX_IbLb1EEEEDaST_SU_EUlST_E0_NS1_11comp_targetILNS1_3genE10ELNS1_11target_archE1201ELNS1_3gpuE5ELNS1_3repE0EEENS1_30default_config_static_selectorELNS0_4arch9wavefront6targetE1EEEvT1_: ; @_ZN7rocprim17ROCPRIM_400000_NS6detail17trampoline_kernelINS0_14default_configENS1_20scan_config_selectorIN3c104HalfEEEZZNS1_9scan_implILNS1_25lookback_scan_determinismE0ELb0ELb0ES3_PKS6_PS6_S6_ZZZN2at6native31launch_logcumsumexp_cuda_kernelERKNSD_10TensorBaseESH_lENKUlvE_clEvENKUlvE3_clEvEUlS6_S6_E_S6_EEDaPvRmT3_T4_T5_mT6_P12ihipStream_tbENKUlT_T0_E_clISt17integral_constantIbLb0EESX_IbLb1EEEEDaST_SU_EUlST_E0_NS1_11comp_targetILNS1_3genE10ELNS1_11target_archE1201ELNS1_3gpuE5ELNS1_3repE0EEENS1_30default_config_static_selectorELNS0_4arch9wavefront6targetE1EEEvT1_
; %bb.0:
	.section	.rodata,"a",@progbits
	.p2align	6, 0x0
	.amdhsa_kernel _ZN7rocprim17ROCPRIM_400000_NS6detail17trampoline_kernelINS0_14default_configENS1_20scan_config_selectorIN3c104HalfEEEZZNS1_9scan_implILNS1_25lookback_scan_determinismE0ELb0ELb0ES3_PKS6_PS6_S6_ZZZN2at6native31launch_logcumsumexp_cuda_kernelERKNSD_10TensorBaseESH_lENKUlvE_clEvENKUlvE3_clEvEUlS6_S6_E_S6_EEDaPvRmT3_T4_T5_mT6_P12ihipStream_tbENKUlT_T0_E_clISt17integral_constantIbLb0EESX_IbLb1EEEEDaST_SU_EUlST_E0_NS1_11comp_targetILNS1_3genE10ELNS1_11target_archE1201ELNS1_3gpuE5ELNS1_3repE0EEENS1_30default_config_static_selectorELNS0_4arch9wavefront6targetE1EEEvT1_
		.amdhsa_group_segment_fixed_size 0
		.amdhsa_private_segment_fixed_size 0
		.amdhsa_kernarg_size 32
		.amdhsa_user_sgpr_count 6
		.amdhsa_user_sgpr_private_segment_buffer 1
		.amdhsa_user_sgpr_dispatch_ptr 0
		.amdhsa_user_sgpr_queue_ptr 0
		.amdhsa_user_sgpr_kernarg_segment_ptr 1
		.amdhsa_user_sgpr_dispatch_id 0
		.amdhsa_user_sgpr_flat_scratch_init 0
		.amdhsa_user_sgpr_kernarg_preload_length 0
		.amdhsa_user_sgpr_kernarg_preload_offset 0
		.amdhsa_user_sgpr_private_segment_size 0
		.amdhsa_uses_dynamic_stack 0
		.amdhsa_system_sgpr_private_segment_wavefront_offset 0
		.amdhsa_system_sgpr_workgroup_id_x 1
		.amdhsa_system_sgpr_workgroup_id_y 0
		.amdhsa_system_sgpr_workgroup_id_z 0
		.amdhsa_system_sgpr_workgroup_info 0
		.amdhsa_system_vgpr_workitem_id 0
		.amdhsa_next_free_vgpr 1
		.amdhsa_next_free_sgpr 0
		.amdhsa_accum_offset 4
		.amdhsa_reserve_vcc 0
		.amdhsa_reserve_flat_scratch 0
		.amdhsa_float_round_mode_32 0
		.amdhsa_float_round_mode_16_64 0
		.amdhsa_float_denorm_mode_32 3
		.amdhsa_float_denorm_mode_16_64 3
		.amdhsa_dx10_clamp 1
		.amdhsa_ieee_mode 1
		.amdhsa_fp16_overflow 0
		.amdhsa_tg_split 0
		.amdhsa_exception_fp_ieee_invalid_op 0
		.amdhsa_exception_fp_denorm_src 0
		.amdhsa_exception_fp_ieee_div_zero 0
		.amdhsa_exception_fp_ieee_overflow 0
		.amdhsa_exception_fp_ieee_underflow 0
		.amdhsa_exception_fp_ieee_inexact 0
		.amdhsa_exception_int_div_zero 0
	.end_amdhsa_kernel
	.section	.text._ZN7rocprim17ROCPRIM_400000_NS6detail17trampoline_kernelINS0_14default_configENS1_20scan_config_selectorIN3c104HalfEEEZZNS1_9scan_implILNS1_25lookback_scan_determinismE0ELb0ELb0ES3_PKS6_PS6_S6_ZZZN2at6native31launch_logcumsumexp_cuda_kernelERKNSD_10TensorBaseESH_lENKUlvE_clEvENKUlvE3_clEvEUlS6_S6_E_S6_EEDaPvRmT3_T4_T5_mT6_P12ihipStream_tbENKUlT_T0_E_clISt17integral_constantIbLb0EESX_IbLb1EEEEDaST_SU_EUlST_E0_NS1_11comp_targetILNS1_3genE10ELNS1_11target_archE1201ELNS1_3gpuE5ELNS1_3repE0EEENS1_30default_config_static_selectorELNS0_4arch9wavefront6targetE1EEEvT1_,"axG",@progbits,_ZN7rocprim17ROCPRIM_400000_NS6detail17trampoline_kernelINS0_14default_configENS1_20scan_config_selectorIN3c104HalfEEEZZNS1_9scan_implILNS1_25lookback_scan_determinismE0ELb0ELb0ES3_PKS6_PS6_S6_ZZZN2at6native31launch_logcumsumexp_cuda_kernelERKNSD_10TensorBaseESH_lENKUlvE_clEvENKUlvE3_clEvEUlS6_S6_E_S6_EEDaPvRmT3_T4_T5_mT6_P12ihipStream_tbENKUlT_T0_E_clISt17integral_constantIbLb0EESX_IbLb1EEEEDaST_SU_EUlST_E0_NS1_11comp_targetILNS1_3genE10ELNS1_11target_archE1201ELNS1_3gpuE5ELNS1_3repE0EEENS1_30default_config_static_selectorELNS0_4arch9wavefront6targetE1EEEvT1_,comdat
.Lfunc_end434:
	.size	_ZN7rocprim17ROCPRIM_400000_NS6detail17trampoline_kernelINS0_14default_configENS1_20scan_config_selectorIN3c104HalfEEEZZNS1_9scan_implILNS1_25lookback_scan_determinismE0ELb0ELb0ES3_PKS6_PS6_S6_ZZZN2at6native31launch_logcumsumexp_cuda_kernelERKNSD_10TensorBaseESH_lENKUlvE_clEvENKUlvE3_clEvEUlS6_S6_E_S6_EEDaPvRmT3_T4_T5_mT6_P12ihipStream_tbENKUlT_T0_E_clISt17integral_constantIbLb0EESX_IbLb1EEEEDaST_SU_EUlST_E0_NS1_11comp_targetILNS1_3genE10ELNS1_11target_archE1201ELNS1_3gpuE5ELNS1_3repE0EEENS1_30default_config_static_selectorELNS0_4arch9wavefront6targetE1EEEvT1_, .Lfunc_end434-_ZN7rocprim17ROCPRIM_400000_NS6detail17trampoline_kernelINS0_14default_configENS1_20scan_config_selectorIN3c104HalfEEEZZNS1_9scan_implILNS1_25lookback_scan_determinismE0ELb0ELb0ES3_PKS6_PS6_S6_ZZZN2at6native31launch_logcumsumexp_cuda_kernelERKNSD_10TensorBaseESH_lENKUlvE_clEvENKUlvE3_clEvEUlS6_S6_E_S6_EEDaPvRmT3_T4_T5_mT6_P12ihipStream_tbENKUlT_T0_E_clISt17integral_constantIbLb0EESX_IbLb1EEEEDaST_SU_EUlST_E0_NS1_11comp_targetILNS1_3genE10ELNS1_11target_archE1201ELNS1_3gpuE5ELNS1_3repE0EEENS1_30default_config_static_selectorELNS0_4arch9wavefront6targetE1EEEvT1_
                                        ; -- End function
	.section	.AMDGPU.csdata,"",@progbits
; Kernel info:
; codeLenInByte = 0
; NumSgprs: 4
; NumVgprs: 0
; NumAgprs: 0
; TotalNumVgprs: 0
; ScratchSize: 0
; MemoryBound: 0
; FloatMode: 240
; IeeeMode: 1
; LDSByteSize: 0 bytes/workgroup (compile time only)
; SGPRBlocks: 0
; VGPRBlocks: 0
; NumSGPRsForWavesPerEU: 4
; NumVGPRsForWavesPerEU: 1
; AccumOffset: 4
; Occupancy: 8
; WaveLimiterHint : 0
; COMPUTE_PGM_RSRC2:SCRATCH_EN: 0
; COMPUTE_PGM_RSRC2:USER_SGPR: 6
; COMPUTE_PGM_RSRC2:TRAP_HANDLER: 0
; COMPUTE_PGM_RSRC2:TGID_X_EN: 1
; COMPUTE_PGM_RSRC2:TGID_Y_EN: 0
; COMPUTE_PGM_RSRC2:TGID_Z_EN: 0
; COMPUTE_PGM_RSRC2:TIDIG_COMP_CNT: 0
; COMPUTE_PGM_RSRC3_GFX90A:ACCUM_OFFSET: 0
; COMPUTE_PGM_RSRC3_GFX90A:TG_SPLIT: 0
	.section	.text._ZN7rocprim17ROCPRIM_400000_NS6detail17trampoline_kernelINS0_14default_configENS1_20scan_config_selectorIN3c104HalfEEEZZNS1_9scan_implILNS1_25lookback_scan_determinismE0ELb0ELb0ES3_PKS6_PS6_S6_ZZZN2at6native31launch_logcumsumexp_cuda_kernelERKNSD_10TensorBaseESH_lENKUlvE_clEvENKUlvE3_clEvEUlS6_S6_E_S6_EEDaPvRmT3_T4_T5_mT6_P12ihipStream_tbENKUlT_T0_E_clISt17integral_constantIbLb0EESX_IbLb1EEEEDaST_SU_EUlST_E0_NS1_11comp_targetILNS1_3genE10ELNS1_11target_archE1200ELNS1_3gpuE4ELNS1_3repE0EEENS1_30default_config_static_selectorELNS0_4arch9wavefront6targetE1EEEvT1_,"axG",@progbits,_ZN7rocprim17ROCPRIM_400000_NS6detail17trampoline_kernelINS0_14default_configENS1_20scan_config_selectorIN3c104HalfEEEZZNS1_9scan_implILNS1_25lookback_scan_determinismE0ELb0ELb0ES3_PKS6_PS6_S6_ZZZN2at6native31launch_logcumsumexp_cuda_kernelERKNSD_10TensorBaseESH_lENKUlvE_clEvENKUlvE3_clEvEUlS6_S6_E_S6_EEDaPvRmT3_T4_T5_mT6_P12ihipStream_tbENKUlT_T0_E_clISt17integral_constantIbLb0EESX_IbLb1EEEEDaST_SU_EUlST_E0_NS1_11comp_targetILNS1_3genE10ELNS1_11target_archE1200ELNS1_3gpuE4ELNS1_3repE0EEENS1_30default_config_static_selectorELNS0_4arch9wavefront6targetE1EEEvT1_,comdat
	.globl	_ZN7rocprim17ROCPRIM_400000_NS6detail17trampoline_kernelINS0_14default_configENS1_20scan_config_selectorIN3c104HalfEEEZZNS1_9scan_implILNS1_25lookback_scan_determinismE0ELb0ELb0ES3_PKS6_PS6_S6_ZZZN2at6native31launch_logcumsumexp_cuda_kernelERKNSD_10TensorBaseESH_lENKUlvE_clEvENKUlvE3_clEvEUlS6_S6_E_S6_EEDaPvRmT3_T4_T5_mT6_P12ihipStream_tbENKUlT_T0_E_clISt17integral_constantIbLb0EESX_IbLb1EEEEDaST_SU_EUlST_E0_NS1_11comp_targetILNS1_3genE10ELNS1_11target_archE1200ELNS1_3gpuE4ELNS1_3repE0EEENS1_30default_config_static_selectorELNS0_4arch9wavefront6targetE1EEEvT1_ ; -- Begin function _ZN7rocprim17ROCPRIM_400000_NS6detail17trampoline_kernelINS0_14default_configENS1_20scan_config_selectorIN3c104HalfEEEZZNS1_9scan_implILNS1_25lookback_scan_determinismE0ELb0ELb0ES3_PKS6_PS6_S6_ZZZN2at6native31launch_logcumsumexp_cuda_kernelERKNSD_10TensorBaseESH_lENKUlvE_clEvENKUlvE3_clEvEUlS6_S6_E_S6_EEDaPvRmT3_T4_T5_mT6_P12ihipStream_tbENKUlT_T0_E_clISt17integral_constantIbLb0EESX_IbLb1EEEEDaST_SU_EUlST_E0_NS1_11comp_targetILNS1_3genE10ELNS1_11target_archE1200ELNS1_3gpuE4ELNS1_3repE0EEENS1_30default_config_static_selectorELNS0_4arch9wavefront6targetE1EEEvT1_
	.p2align	8
	.type	_ZN7rocprim17ROCPRIM_400000_NS6detail17trampoline_kernelINS0_14default_configENS1_20scan_config_selectorIN3c104HalfEEEZZNS1_9scan_implILNS1_25lookback_scan_determinismE0ELb0ELb0ES3_PKS6_PS6_S6_ZZZN2at6native31launch_logcumsumexp_cuda_kernelERKNSD_10TensorBaseESH_lENKUlvE_clEvENKUlvE3_clEvEUlS6_S6_E_S6_EEDaPvRmT3_T4_T5_mT6_P12ihipStream_tbENKUlT_T0_E_clISt17integral_constantIbLb0EESX_IbLb1EEEEDaST_SU_EUlST_E0_NS1_11comp_targetILNS1_3genE10ELNS1_11target_archE1200ELNS1_3gpuE4ELNS1_3repE0EEENS1_30default_config_static_selectorELNS0_4arch9wavefront6targetE1EEEvT1_,@function
_ZN7rocprim17ROCPRIM_400000_NS6detail17trampoline_kernelINS0_14default_configENS1_20scan_config_selectorIN3c104HalfEEEZZNS1_9scan_implILNS1_25lookback_scan_determinismE0ELb0ELb0ES3_PKS6_PS6_S6_ZZZN2at6native31launch_logcumsumexp_cuda_kernelERKNSD_10TensorBaseESH_lENKUlvE_clEvENKUlvE3_clEvEUlS6_S6_E_S6_EEDaPvRmT3_T4_T5_mT6_P12ihipStream_tbENKUlT_T0_E_clISt17integral_constantIbLb0EESX_IbLb1EEEEDaST_SU_EUlST_E0_NS1_11comp_targetILNS1_3genE10ELNS1_11target_archE1200ELNS1_3gpuE4ELNS1_3repE0EEENS1_30default_config_static_selectorELNS0_4arch9wavefront6targetE1EEEvT1_: ; @_ZN7rocprim17ROCPRIM_400000_NS6detail17trampoline_kernelINS0_14default_configENS1_20scan_config_selectorIN3c104HalfEEEZZNS1_9scan_implILNS1_25lookback_scan_determinismE0ELb0ELb0ES3_PKS6_PS6_S6_ZZZN2at6native31launch_logcumsumexp_cuda_kernelERKNSD_10TensorBaseESH_lENKUlvE_clEvENKUlvE3_clEvEUlS6_S6_E_S6_EEDaPvRmT3_T4_T5_mT6_P12ihipStream_tbENKUlT_T0_E_clISt17integral_constantIbLb0EESX_IbLb1EEEEDaST_SU_EUlST_E0_NS1_11comp_targetILNS1_3genE10ELNS1_11target_archE1200ELNS1_3gpuE4ELNS1_3repE0EEENS1_30default_config_static_selectorELNS0_4arch9wavefront6targetE1EEEvT1_
; %bb.0:
	.section	.rodata,"a",@progbits
	.p2align	6, 0x0
	.amdhsa_kernel _ZN7rocprim17ROCPRIM_400000_NS6detail17trampoline_kernelINS0_14default_configENS1_20scan_config_selectorIN3c104HalfEEEZZNS1_9scan_implILNS1_25lookback_scan_determinismE0ELb0ELb0ES3_PKS6_PS6_S6_ZZZN2at6native31launch_logcumsumexp_cuda_kernelERKNSD_10TensorBaseESH_lENKUlvE_clEvENKUlvE3_clEvEUlS6_S6_E_S6_EEDaPvRmT3_T4_T5_mT6_P12ihipStream_tbENKUlT_T0_E_clISt17integral_constantIbLb0EESX_IbLb1EEEEDaST_SU_EUlST_E0_NS1_11comp_targetILNS1_3genE10ELNS1_11target_archE1200ELNS1_3gpuE4ELNS1_3repE0EEENS1_30default_config_static_selectorELNS0_4arch9wavefront6targetE1EEEvT1_
		.amdhsa_group_segment_fixed_size 0
		.amdhsa_private_segment_fixed_size 0
		.amdhsa_kernarg_size 32
		.amdhsa_user_sgpr_count 6
		.amdhsa_user_sgpr_private_segment_buffer 1
		.amdhsa_user_sgpr_dispatch_ptr 0
		.amdhsa_user_sgpr_queue_ptr 0
		.amdhsa_user_sgpr_kernarg_segment_ptr 1
		.amdhsa_user_sgpr_dispatch_id 0
		.amdhsa_user_sgpr_flat_scratch_init 0
		.amdhsa_user_sgpr_kernarg_preload_length 0
		.amdhsa_user_sgpr_kernarg_preload_offset 0
		.amdhsa_user_sgpr_private_segment_size 0
		.amdhsa_uses_dynamic_stack 0
		.amdhsa_system_sgpr_private_segment_wavefront_offset 0
		.amdhsa_system_sgpr_workgroup_id_x 1
		.amdhsa_system_sgpr_workgroup_id_y 0
		.amdhsa_system_sgpr_workgroup_id_z 0
		.amdhsa_system_sgpr_workgroup_info 0
		.amdhsa_system_vgpr_workitem_id 0
		.amdhsa_next_free_vgpr 1
		.amdhsa_next_free_sgpr 0
		.amdhsa_accum_offset 4
		.amdhsa_reserve_vcc 0
		.amdhsa_reserve_flat_scratch 0
		.amdhsa_float_round_mode_32 0
		.amdhsa_float_round_mode_16_64 0
		.amdhsa_float_denorm_mode_32 3
		.amdhsa_float_denorm_mode_16_64 3
		.amdhsa_dx10_clamp 1
		.amdhsa_ieee_mode 1
		.amdhsa_fp16_overflow 0
		.amdhsa_tg_split 0
		.amdhsa_exception_fp_ieee_invalid_op 0
		.amdhsa_exception_fp_denorm_src 0
		.amdhsa_exception_fp_ieee_div_zero 0
		.amdhsa_exception_fp_ieee_overflow 0
		.amdhsa_exception_fp_ieee_underflow 0
		.amdhsa_exception_fp_ieee_inexact 0
		.amdhsa_exception_int_div_zero 0
	.end_amdhsa_kernel
	.section	.text._ZN7rocprim17ROCPRIM_400000_NS6detail17trampoline_kernelINS0_14default_configENS1_20scan_config_selectorIN3c104HalfEEEZZNS1_9scan_implILNS1_25lookback_scan_determinismE0ELb0ELb0ES3_PKS6_PS6_S6_ZZZN2at6native31launch_logcumsumexp_cuda_kernelERKNSD_10TensorBaseESH_lENKUlvE_clEvENKUlvE3_clEvEUlS6_S6_E_S6_EEDaPvRmT3_T4_T5_mT6_P12ihipStream_tbENKUlT_T0_E_clISt17integral_constantIbLb0EESX_IbLb1EEEEDaST_SU_EUlST_E0_NS1_11comp_targetILNS1_3genE10ELNS1_11target_archE1200ELNS1_3gpuE4ELNS1_3repE0EEENS1_30default_config_static_selectorELNS0_4arch9wavefront6targetE1EEEvT1_,"axG",@progbits,_ZN7rocprim17ROCPRIM_400000_NS6detail17trampoline_kernelINS0_14default_configENS1_20scan_config_selectorIN3c104HalfEEEZZNS1_9scan_implILNS1_25lookback_scan_determinismE0ELb0ELb0ES3_PKS6_PS6_S6_ZZZN2at6native31launch_logcumsumexp_cuda_kernelERKNSD_10TensorBaseESH_lENKUlvE_clEvENKUlvE3_clEvEUlS6_S6_E_S6_EEDaPvRmT3_T4_T5_mT6_P12ihipStream_tbENKUlT_T0_E_clISt17integral_constantIbLb0EESX_IbLb1EEEEDaST_SU_EUlST_E0_NS1_11comp_targetILNS1_3genE10ELNS1_11target_archE1200ELNS1_3gpuE4ELNS1_3repE0EEENS1_30default_config_static_selectorELNS0_4arch9wavefront6targetE1EEEvT1_,comdat
.Lfunc_end435:
	.size	_ZN7rocprim17ROCPRIM_400000_NS6detail17trampoline_kernelINS0_14default_configENS1_20scan_config_selectorIN3c104HalfEEEZZNS1_9scan_implILNS1_25lookback_scan_determinismE0ELb0ELb0ES3_PKS6_PS6_S6_ZZZN2at6native31launch_logcumsumexp_cuda_kernelERKNSD_10TensorBaseESH_lENKUlvE_clEvENKUlvE3_clEvEUlS6_S6_E_S6_EEDaPvRmT3_T4_T5_mT6_P12ihipStream_tbENKUlT_T0_E_clISt17integral_constantIbLb0EESX_IbLb1EEEEDaST_SU_EUlST_E0_NS1_11comp_targetILNS1_3genE10ELNS1_11target_archE1200ELNS1_3gpuE4ELNS1_3repE0EEENS1_30default_config_static_selectorELNS0_4arch9wavefront6targetE1EEEvT1_, .Lfunc_end435-_ZN7rocprim17ROCPRIM_400000_NS6detail17trampoline_kernelINS0_14default_configENS1_20scan_config_selectorIN3c104HalfEEEZZNS1_9scan_implILNS1_25lookback_scan_determinismE0ELb0ELb0ES3_PKS6_PS6_S6_ZZZN2at6native31launch_logcumsumexp_cuda_kernelERKNSD_10TensorBaseESH_lENKUlvE_clEvENKUlvE3_clEvEUlS6_S6_E_S6_EEDaPvRmT3_T4_T5_mT6_P12ihipStream_tbENKUlT_T0_E_clISt17integral_constantIbLb0EESX_IbLb1EEEEDaST_SU_EUlST_E0_NS1_11comp_targetILNS1_3genE10ELNS1_11target_archE1200ELNS1_3gpuE4ELNS1_3repE0EEENS1_30default_config_static_selectorELNS0_4arch9wavefront6targetE1EEEvT1_
                                        ; -- End function
	.section	.AMDGPU.csdata,"",@progbits
; Kernel info:
; codeLenInByte = 0
; NumSgprs: 4
; NumVgprs: 0
; NumAgprs: 0
; TotalNumVgprs: 0
; ScratchSize: 0
; MemoryBound: 0
; FloatMode: 240
; IeeeMode: 1
; LDSByteSize: 0 bytes/workgroup (compile time only)
; SGPRBlocks: 0
; VGPRBlocks: 0
; NumSGPRsForWavesPerEU: 4
; NumVGPRsForWavesPerEU: 1
; AccumOffset: 4
; Occupancy: 8
; WaveLimiterHint : 0
; COMPUTE_PGM_RSRC2:SCRATCH_EN: 0
; COMPUTE_PGM_RSRC2:USER_SGPR: 6
; COMPUTE_PGM_RSRC2:TRAP_HANDLER: 0
; COMPUTE_PGM_RSRC2:TGID_X_EN: 1
; COMPUTE_PGM_RSRC2:TGID_Y_EN: 0
; COMPUTE_PGM_RSRC2:TGID_Z_EN: 0
; COMPUTE_PGM_RSRC2:TIDIG_COMP_CNT: 0
; COMPUTE_PGM_RSRC3_GFX90A:ACCUM_OFFSET: 0
; COMPUTE_PGM_RSRC3_GFX90A:TG_SPLIT: 0
	.section	.text._ZN7rocprim17ROCPRIM_400000_NS6detail17trampoline_kernelINS0_14default_configENS1_20scan_config_selectorIN3c104HalfEEEZZNS1_9scan_implILNS1_25lookback_scan_determinismE0ELb0ELb0ES3_PKS6_PS6_S6_ZZZN2at6native31launch_logcumsumexp_cuda_kernelERKNSD_10TensorBaseESH_lENKUlvE_clEvENKUlvE3_clEvEUlS6_S6_E_S6_EEDaPvRmT3_T4_T5_mT6_P12ihipStream_tbENKUlT_T0_E_clISt17integral_constantIbLb0EESX_IbLb1EEEEDaST_SU_EUlST_E0_NS1_11comp_targetILNS1_3genE9ELNS1_11target_archE1100ELNS1_3gpuE3ELNS1_3repE0EEENS1_30default_config_static_selectorELNS0_4arch9wavefront6targetE1EEEvT1_,"axG",@progbits,_ZN7rocprim17ROCPRIM_400000_NS6detail17trampoline_kernelINS0_14default_configENS1_20scan_config_selectorIN3c104HalfEEEZZNS1_9scan_implILNS1_25lookback_scan_determinismE0ELb0ELb0ES3_PKS6_PS6_S6_ZZZN2at6native31launch_logcumsumexp_cuda_kernelERKNSD_10TensorBaseESH_lENKUlvE_clEvENKUlvE3_clEvEUlS6_S6_E_S6_EEDaPvRmT3_T4_T5_mT6_P12ihipStream_tbENKUlT_T0_E_clISt17integral_constantIbLb0EESX_IbLb1EEEEDaST_SU_EUlST_E0_NS1_11comp_targetILNS1_3genE9ELNS1_11target_archE1100ELNS1_3gpuE3ELNS1_3repE0EEENS1_30default_config_static_selectorELNS0_4arch9wavefront6targetE1EEEvT1_,comdat
	.globl	_ZN7rocprim17ROCPRIM_400000_NS6detail17trampoline_kernelINS0_14default_configENS1_20scan_config_selectorIN3c104HalfEEEZZNS1_9scan_implILNS1_25lookback_scan_determinismE0ELb0ELb0ES3_PKS6_PS6_S6_ZZZN2at6native31launch_logcumsumexp_cuda_kernelERKNSD_10TensorBaseESH_lENKUlvE_clEvENKUlvE3_clEvEUlS6_S6_E_S6_EEDaPvRmT3_T4_T5_mT6_P12ihipStream_tbENKUlT_T0_E_clISt17integral_constantIbLb0EESX_IbLb1EEEEDaST_SU_EUlST_E0_NS1_11comp_targetILNS1_3genE9ELNS1_11target_archE1100ELNS1_3gpuE3ELNS1_3repE0EEENS1_30default_config_static_selectorELNS0_4arch9wavefront6targetE1EEEvT1_ ; -- Begin function _ZN7rocprim17ROCPRIM_400000_NS6detail17trampoline_kernelINS0_14default_configENS1_20scan_config_selectorIN3c104HalfEEEZZNS1_9scan_implILNS1_25lookback_scan_determinismE0ELb0ELb0ES3_PKS6_PS6_S6_ZZZN2at6native31launch_logcumsumexp_cuda_kernelERKNSD_10TensorBaseESH_lENKUlvE_clEvENKUlvE3_clEvEUlS6_S6_E_S6_EEDaPvRmT3_T4_T5_mT6_P12ihipStream_tbENKUlT_T0_E_clISt17integral_constantIbLb0EESX_IbLb1EEEEDaST_SU_EUlST_E0_NS1_11comp_targetILNS1_3genE9ELNS1_11target_archE1100ELNS1_3gpuE3ELNS1_3repE0EEENS1_30default_config_static_selectorELNS0_4arch9wavefront6targetE1EEEvT1_
	.p2align	8
	.type	_ZN7rocprim17ROCPRIM_400000_NS6detail17trampoline_kernelINS0_14default_configENS1_20scan_config_selectorIN3c104HalfEEEZZNS1_9scan_implILNS1_25lookback_scan_determinismE0ELb0ELb0ES3_PKS6_PS6_S6_ZZZN2at6native31launch_logcumsumexp_cuda_kernelERKNSD_10TensorBaseESH_lENKUlvE_clEvENKUlvE3_clEvEUlS6_S6_E_S6_EEDaPvRmT3_T4_T5_mT6_P12ihipStream_tbENKUlT_T0_E_clISt17integral_constantIbLb0EESX_IbLb1EEEEDaST_SU_EUlST_E0_NS1_11comp_targetILNS1_3genE9ELNS1_11target_archE1100ELNS1_3gpuE3ELNS1_3repE0EEENS1_30default_config_static_selectorELNS0_4arch9wavefront6targetE1EEEvT1_,@function
_ZN7rocprim17ROCPRIM_400000_NS6detail17trampoline_kernelINS0_14default_configENS1_20scan_config_selectorIN3c104HalfEEEZZNS1_9scan_implILNS1_25lookback_scan_determinismE0ELb0ELb0ES3_PKS6_PS6_S6_ZZZN2at6native31launch_logcumsumexp_cuda_kernelERKNSD_10TensorBaseESH_lENKUlvE_clEvENKUlvE3_clEvEUlS6_S6_E_S6_EEDaPvRmT3_T4_T5_mT6_P12ihipStream_tbENKUlT_T0_E_clISt17integral_constantIbLb0EESX_IbLb1EEEEDaST_SU_EUlST_E0_NS1_11comp_targetILNS1_3genE9ELNS1_11target_archE1100ELNS1_3gpuE3ELNS1_3repE0EEENS1_30default_config_static_selectorELNS0_4arch9wavefront6targetE1EEEvT1_: ; @_ZN7rocprim17ROCPRIM_400000_NS6detail17trampoline_kernelINS0_14default_configENS1_20scan_config_selectorIN3c104HalfEEEZZNS1_9scan_implILNS1_25lookback_scan_determinismE0ELb0ELb0ES3_PKS6_PS6_S6_ZZZN2at6native31launch_logcumsumexp_cuda_kernelERKNSD_10TensorBaseESH_lENKUlvE_clEvENKUlvE3_clEvEUlS6_S6_E_S6_EEDaPvRmT3_T4_T5_mT6_P12ihipStream_tbENKUlT_T0_E_clISt17integral_constantIbLb0EESX_IbLb1EEEEDaST_SU_EUlST_E0_NS1_11comp_targetILNS1_3genE9ELNS1_11target_archE1100ELNS1_3gpuE3ELNS1_3repE0EEENS1_30default_config_static_selectorELNS0_4arch9wavefront6targetE1EEEvT1_
; %bb.0:
	.section	.rodata,"a",@progbits
	.p2align	6, 0x0
	.amdhsa_kernel _ZN7rocprim17ROCPRIM_400000_NS6detail17trampoline_kernelINS0_14default_configENS1_20scan_config_selectorIN3c104HalfEEEZZNS1_9scan_implILNS1_25lookback_scan_determinismE0ELb0ELb0ES3_PKS6_PS6_S6_ZZZN2at6native31launch_logcumsumexp_cuda_kernelERKNSD_10TensorBaseESH_lENKUlvE_clEvENKUlvE3_clEvEUlS6_S6_E_S6_EEDaPvRmT3_T4_T5_mT6_P12ihipStream_tbENKUlT_T0_E_clISt17integral_constantIbLb0EESX_IbLb1EEEEDaST_SU_EUlST_E0_NS1_11comp_targetILNS1_3genE9ELNS1_11target_archE1100ELNS1_3gpuE3ELNS1_3repE0EEENS1_30default_config_static_selectorELNS0_4arch9wavefront6targetE1EEEvT1_
		.amdhsa_group_segment_fixed_size 0
		.amdhsa_private_segment_fixed_size 0
		.amdhsa_kernarg_size 32
		.amdhsa_user_sgpr_count 6
		.amdhsa_user_sgpr_private_segment_buffer 1
		.amdhsa_user_sgpr_dispatch_ptr 0
		.amdhsa_user_sgpr_queue_ptr 0
		.amdhsa_user_sgpr_kernarg_segment_ptr 1
		.amdhsa_user_sgpr_dispatch_id 0
		.amdhsa_user_sgpr_flat_scratch_init 0
		.amdhsa_user_sgpr_kernarg_preload_length 0
		.amdhsa_user_sgpr_kernarg_preload_offset 0
		.amdhsa_user_sgpr_private_segment_size 0
		.amdhsa_uses_dynamic_stack 0
		.amdhsa_system_sgpr_private_segment_wavefront_offset 0
		.amdhsa_system_sgpr_workgroup_id_x 1
		.amdhsa_system_sgpr_workgroup_id_y 0
		.amdhsa_system_sgpr_workgroup_id_z 0
		.amdhsa_system_sgpr_workgroup_info 0
		.amdhsa_system_vgpr_workitem_id 0
		.amdhsa_next_free_vgpr 1
		.amdhsa_next_free_sgpr 0
		.amdhsa_accum_offset 4
		.amdhsa_reserve_vcc 0
		.amdhsa_reserve_flat_scratch 0
		.amdhsa_float_round_mode_32 0
		.amdhsa_float_round_mode_16_64 0
		.amdhsa_float_denorm_mode_32 3
		.amdhsa_float_denorm_mode_16_64 3
		.amdhsa_dx10_clamp 1
		.amdhsa_ieee_mode 1
		.amdhsa_fp16_overflow 0
		.amdhsa_tg_split 0
		.amdhsa_exception_fp_ieee_invalid_op 0
		.amdhsa_exception_fp_denorm_src 0
		.amdhsa_exception_fp_ieee_div_zero 0
		.amdhsa_exception_fp_ieee_overflow 0
		.amdhsa_exception_fp_ieee_underflow 0
		.amdhsa_exception_fp_ieee_inexact 0
		.amdhsa_exception_int_div_zero 0
	.end_amdhsa_kernel
	.section	.text._ZN7rocprim17ROCPRIM_400000_NS6detail17trampoline_kernelINS0_14default_configENS1_20scan_config_selectorIN3c104HalfEEEZZNS1_9scan_implILNS1_25lookback_scan_determinismE0ELb0ELb0ES3_PKS6_PS6_S6_ZZZN2at6native31launch_logcumsumexp_cuda_kernelERKNSD_10TensorBaseESH_lENKUlvE_clEvENKUlvE3_clEvEUlS6_S6_E_S6_EEDaPvRmT3_T4_T5_mT6_P12ihipStream_tbENKUlT_T0_E_clISt17integral_constantIbLb0EESX_IbLb1EEEEDaST_SU_EUlST_E0_NS1_11comp_targetILNS1_3genE9ELNS1_11target_archE1100ELNS1_3gpuE3ELNS1_3repE0EEENS1_30default_config_static_selectorELNS0_4arch9wavefront6targetE1EEEvT1_,"axG",@progbits,_ZN7rocprim17ROCPRIM_400000_NS6detail17trampoline_kernelINS0_14default_configENS1_20scan_config_selectorIN3c104HalfEEEZZNS1_9scan_implILNS1_25lookback_scan_determinismE0ELb0ELb0ES3_PKS6_PS6_S6_ZZZN2at6native31launch_logcumsumexp_cuda_kernelERKNSD_10TensorBaseESH_lENKUlvE_clEvENKUlvE3_clEvEUlS6_S6_E_S6_EEDaPvRmT3_T4_T5_mT6_P12ihipStream_tbENKUlT_T0_E_clISt17integral_constantIbLb0EESX_IbLb1EEEEDaST_SU_EUlST_E0_NS1_11comp_targetILNS1_3genE9ELNS1_11target_archE1100ELNS1_3gpuE3ELNS1_3repE0EEENS1_30default_config_static_selectorELNS0_4arch9wavefront6targetE1EEEvT1_,comdat
.Lfunc_end436:
	.size	_ZN7rocprim17ROCPRIM_400000_NS6detail17trampoline_kernelINS0_14default_configENS1_20scan_config_selectorIN3c104HalfEEEZZNS1_9scan_implILNS1_25lookback_scan_determinismE0ELb0ELb0ES3_PKS6_PS6_S6_ZZZN2at6native31launch_logcumsumexp_cuda_kernelERKNSD_10TensorBaseESH_lENKUlvE_clEvENKUlvE3_clEvEUlS6_S6_E_S6_EEDaPvRmT3_T4_T5_mT6_P12ihipStream_tbENKUlT_T0_E_clISt17integral_constantIbLb0EESX_IbLb1EEEEDaST_SU_EUlST_E0_NS1_11comp_targetILNS1_3genE9ELNS1_11target_archE1100ELNS1_3gpuE3ELNS1_3repE0EEENS1_30default_config_static_selectorELNS0_4arch9wavefront6targetE1EEEvT1_, .Lfunc_end436-_ZN7rocprim17ROCPRIM_400000_NS6detail17trampoline_kernelINS0_14default_configENS1_20scan_config_selectorIN3c104HalfEEEZZNS1_9scan_implILNS1_25lookback_scan_determinismE0ELb0ELb0ES3_PKS6_PS6_S6_ZZZN2at6native31launch_logcumsumexp_cuda_kernelERKNSD_10TensorBaseESH_lENKUlvE_clEvENKUlvE3_clEvEUlS6_S6_E_S6_EEDaPvRmT3_T4_T5_mT6_P12ihipStream_tbENKUlT_T0_E_clISt17integral_constantIbLb0EESX_IbLb1EEEEDaST_SU_EUlST_E0_NS1_11comp_targetILNS1_3genE9ELNS1_11target_archE1100ELNS1_3gpuE3ELNS1_3repE0EEENS1_30default_config_static_selectorELNS0_4arch9wavefront6targetE1EEEvT1_
                                        ; -- End function
	.section	.AMDGPU.csdata,"",@progbits
; Kernel info:
; codeLenInByte = 0
; NumSgprs: 4
; NumVgprs: 0
; NumAgprs: 0
; TotalNumVgprs: 0
; ScratchSize: 0
; MemoryBound: 0
; FloatMode: 240
; IeeeMode: 1
; LDSByteSize: 0 bytes/workgroup (compile time only)
; SGPRBlocks: 0
; VGPRBlocks: 0
; NumSGPRsForWavesPerEU: 4
; NumVGPRsForWavesPerEU: 1
; AccumOffset: 4
; Occupancy: 8
; WaveLimiterHint : 0
; COMPUTE_PGM_RSRC2:SCRATCH_EN: 0
; COMPUTE_PGM_RSRC2:USER_SGPR: 6
; COMPUTE_PGM_RSRC2:TRAP_HANDLER: 0
; COMPUTE_PGM_RSRC2:TGID_X_EN: 1
; COMPUTE_PGM_RSRC2:TGID_Y_EN: 0
; COMPUTE_PGM_RSRC2:TGID_Z_EN: 0
; COMPUTE_PGM_RSRC2:TIDIG_COMP_CNT: 0
; COMPUTE_PGM_RSRC3_GFX90A:ACCUM_OFFSET: 0
; COMPUTE_PGM_RSRC3_GFX90A:TG_SPLIT: 0
	.section	.text._ZN7rocprim17ROCPRIM_400000_NS6detail17trampoline_kernelINS0_14default_configENS1_20scan_config_selectorIN3c104HalfEEEZZNS1_9scan_implILNS1_25lookback_scan_determinismE0ELb0ELb0ES3_PKS6_PS6_S6_ZZZN2at6native31launch_logcumsumexp_cuda_kernelERKNSD_10TensorBaseESH_lENKUlvE_clEvENKUlvE3_clEvEUlS6_S6_E_S6_EEDaPvRmT3_T4_T5_mT6_P12ihipStream_tbENKUlT_T0_E_clISt17integral_constantIbLb0EESX_IbLb1EEEEDaST_SU_EUlST_E0_NS1_11comp_targetILNS1_3genE8ELNS1_11target_archE1030ELNS1_3gpuE2ELNS1_3repE0EEENS1_30default_config_static_selectorELNS0_4arch9wavefront6targetE1EEEvT1_,"axG",@progbits,_ZN7rocprim17ROCPRIM_400000_NS6detail17trampoline_kernelINS0_14default_configENS1_20scan_config_selectorIN3c104HalfEEEZZNS1_9scan_implILNS1_25lookback_scan_determinismE0ELb0ELb0ES3_PKS6_PS6_S6_ZZZN2at6native31launch_logcumsumexp_cuda_kernelERKNSD_10TensorBaseESH_lENKUlvE_clEvENKUlvE3_clEvEUlS6_S6_E_S6_EEDaPvRmT3_T4_T5_mT6_P12ihipStream_tbENKUlT_T0_E_clISt17integral_constantIbLb0EESX_IbLb1EEEEDaST_SU_EUlST_E0_NS1_11comp_targetILNS1_3genE8ELNS1_11target_archE1030ELNS1_3gpuE2ELNS1_3repE0EEENS1_30default_config_static_selectorELNS0_4arch9wavefront6targetE1EEEvT1_,comdat
	.globl	_ZN7rocprim17ROCPRIM_400000_NS6detail17trampoline_kernelINS0_14default_configENS1_20scan_config_selectorIN3c104HalfEEEZZNS1_9scan_implILNS1_25lookback_scan_determinismE0ELb0ELb0ES3_PKS6_PS6_S6_ZZZN2at6native31launch_logcumsumexp_cuda_kernelERKNSD_10TensorBaseESH_lENKUlvE_clEvENKUlvE3_clEvEUlS6_S6_E_S6_EEDaPvRmT3_T4_T5_mT6_P12ihipStream_tbENKUlT_T0_E_clISt17integral_constantIbLb0EESX_IbLb1EEEEDaST_SU_EUlST_E0_NS1_11comp_targetILNS1_3genE8ELNS1_11target_archE1030ELNS1_3gpuE2ELNS1_3repE0EEENS1_30default_config_static_selectorELNS0_4arch9wavefront6targetE1EEEvT1_ ; -- Begin function _ZN7rocprim17ROCPRIM_400000_NS6detail17trampoline_kernelINS0_14default_configENS1_20scan_config_selectorIN3c104HalfEEEZZNS1_9scan_implILNS1_25lookback_scan_determinismE0ELb0ELb0ES3_PKS6_PS6_S6_ZZZN2at6native31launch_logcumsumexp_cuda_kernelERKNSD_10TensorBaseESH_lENKUlvE_clEvENKUlvE3_clEvEUlS6_S6_E_S6_EEDaPvRmT3_T4_T5_mT6_P12ihipStream_tbENKUlT_T0_E_clISt17integral_constantIbLb0EESX_IbLb1EEEEDaST_SU_EUlST_E0_NS1_11comp_targetILNS1_3genE8ELNS1_11target_archE1030ELNS1_3gpuE2ELNS1_3repE0EEENS1_30default_config_static_selectorELNS0_4arch9wavefront6targetE1EEEvT1_
	.p2align	8
	.type	_ZN7rocprim17ROCPRIM_400000_NS6detail17trampoline_kernelINS0_14default_configENS1_20scan_config_selectorIN3c104HalfEEEZZNS1_9scan_implILNS1_25lookback_scan_determinismE0ELb0ELb0ES3_PKS6_PS6_S6_ZZZN2at6native31launch_logcumsumexp_cuda_kernelERKNSD_10TensorBaseESH_lENKUlvE_clEvENKUlvE3_clEvEUlS6_S6_E_S6_EEDaPvRmT3_T4_T5_mT6_P12ihipStream_tbENKUlT_T0_E_clISt17integral_constantIbLb0EESX_IbLb1EEEEDaST_SU_EUlST_E0_NS1_11comp_targetILNS1_3genE8ELNS1_11target_archE1030ELNS1_3gpuE2ELNS1_3repE0EEENS1_30default_config_static_selectorELNS0_4arch9wavefront6targetE1EEEvT1_,@function
_ZN7rocprim17ROCPRIM_400000_NS6detail17trampoline_kernelINS0_14default_configENS1_20scan_config_selectorIN3c104HalfEEEZZNS1_9scan_implILNS1_25lookback_scan_determinismE0ELb0ELb0ES3_PKS6_PS6_S6_ZZZN2at6native31launch_logcumsumexp_cuda_kernelERKNSD_10TensorBaseESH_lENKUlvE_clEvENKUlvE3_clEvEUlS6_S6_E_S6_EEDaPvRmT3_T4_T5_mT6_P12ihipStream_tbENKUlT_T0_E_clISt17integral_constantIbLb0EESX_IbLb1EEEEDaST_SU_EUlST_E0_NS1_11comp_targetILNS1_3genE8ELNS1_11target_archE1030ELNS1_3gpuE2ELNS1_3repE0EEENS1_30default_config_static_selectorELNS0_4arch9wavefront6targetE1EEEvT1_: ; @_ZN7rocprim17ROCPRIM_400000_NS6detail17trampoline_kernelINS0_14default_configENS1_20scan_config_selectorIN3c104HalfEEEZZNS1_9scan_implILNS1_25lookback_scan_determinismE0ELb0ELb0ES3_PKS6_PS6_S6_ZZZN2at6native31launch_logcumsumexp_cuda_kernelERKNSD_10TensorBaseESH_lENKUlvE_clEvENKUlvE3_clEvEUlS6_S6_E_S6_EEDaPvRmT3_T4_T5_mT6_P12ihipStream_tbENKUlT_T0_E_clISt17integral_constantIbLb0EESX_IbLb1EEEEDaST_SU_EUlST_E0_NS1_11comp_targetILNS1_3genE8ELNS1_11target_archE1030ELNS1_3gpuE2ELNS1_3repE0EEENS1_30default_config_static_selectorELNS0_4arch9wavefront6targetE1EEEvT1_
; %bb.0:
	.section	.rodata,"a",@progbits
	.p2align	6, 0x0
	.amdhsa_kernel _ZN7rocprim17ROCPRIM_400000_NS6detail17trampoline_kernelINS0_14default_configENS1_20scan_config_selectorIN3c104HalfEEEZZNS1_9scan_implILNS1_25lookback_scan_determinismE0ELb0ELb0ES3_PKS6_PS6_S6_ZZZN2at6native31launch_logcumsumexp_cuda_kernelERKNSD_10TensorBaseESH_lENKUlvE_clEvENKUlvE3_clEvEUlS6_S6_E_S6_EEDaPvRmT3_T4_T5_mT6_P12ihipStream_tbENKUlT_T0_E_clISt17integral_constantIbLb0EESX_IbLb1EEEEDaST_SU_EUlST_E0_NS1_11comp_targetILNS1_3genE8ELNS1_11target_archE1030ELNS1_3gpuE2ELNS1_3repE0EEENS1_30default_config_static_selectorELNS0_4arch9wavefront6targetE1EEEvT1_
		.amdhsa_group_segment_fixed_size 0
		.amdhsa_private_segment_fixed_size 0
		.amdhsa_kernarg_size 32
		.amdhsa_user_sgpr_count 6
		.amdhsa_user_sgpr_private_segment_buffer 1
		.amdhsa_user_sgpr_dispatch_ptr 0
		.amdhsa_user_sgpr_queue_ptr 0
		.amdhsa_user_sgpr_kernarg_segment_ptr 1
		.amdhsa_user_sgpr_dispatch_id 0
		.amdhsa_user_sgpr_flat_scratch_init 0
		.amdhsa_user_sgpr_kernarg_preload_length 0
		.amdhsa_user_sgpr_kernarg_preload_offset 0
		.amdhsa_user_sgpr_private_segment_size 0
		.amdhsa_uses_dynamic_stack 0
		.amdhsa_system_sgpr_private_segment_wavefront_offset 0
		.amdhsa_system_sgpr_workgroup_id_x 1
		.amdhsa_system_sgpr_workgroup_id_y 0
		.amdhsa_system_sgpr_workgroup_id_z 0
		.amdhsa_system_sgpr_workgroup_info 0
		.amdhsa_system_vgpr_workitem_id 0
		.amdhsa_next_free_vgpr 1
		.amdhsa_next_free_sgpr 0
		.amdhsa_accum_offset 4
		.amdhsa_reserve_vcc 0
		.amdhsa_reserve_flat_scratch 0
		.amdhsa_float_round_mode_32 0
		.amdhsa_float_round_mode_16_64 0
		.amdhsa_float_denorm_mode_32 3
		.amdhsa_float_denorm_mode_16_64 3
		.amdhsa_dx10_clamp 1
		.amdhsa_ieee_mode 1
		.amdhsa_fp16_overflow 0
		.amdhsa_tg_split 0
		.amdhsa_exception_fp_ieee_invalid_op 0
		.amdhsa_exception_fp_denorm_src 0
		.amdhsa_exception_fp_ieee_div_zero 0
		.amdhsa_exception_fp_ieee_overflow 0
		.amdhsa_exception_fp_ieee_underflow 0
		.amdhsa_exception_fp_ieee_inexact 0
		.amdhsa_exception_int_div_zero 0
	.end_amdhsa_kernel
	.section	.text._ZN7rocprim17ROCPRIM_400000_NS6detail17trampoline_kernelINS0_14default_configENS1_20scan_config_selectorIN3c104HalfEEEZZNS1_9scan_implILNS1_25lookback_scan_determinismE0ELb0ELb0ES3_PKS6_PS6_S6_ZZZN2at6native31launch_logcumsumexp_cuda_kernelERKNSD_10TensorBaseESH_lENKUlvE_clEvENKUlvE3_clEvEUlS6_S6_E_S6_EEDaPvRmT3_T4_T5_mT6_P12ihipStream_tbENKUlT_T0_E_clISt17integral_constantIbLb0EESX_IbLb1EEEEDaST_SU_EUlST_E0_NS1_11comp_targetILNS1_3genE8ELNS1_11target_archE1030ELNS1_3gpuE2ELNS1_3repE0EEENS1_30default_config_static_selectorELNS0_4arch9wavefront6targetE1EEEvT1_,"axG",@progbits,_ZN7rocprim17ROCPRIM_400000_NS6detail17trampoline_kernelINS0_14default_configENS1_20scan_config_selectorIN3c104HalfEEEZZNS1_9scan_implILNS1_25lookback_scan_determinismE0ELb0ELb0ES3_PKS6_PS6_S6_ZZZN2at6native31launch_logcumsumexp_cuda_kernelERKNSD_10TensorBaseESH_lENKUlvE_clEvENKUlvE3_clEvEUlS6_S6_E_S6_EEDaPvRmT3_T4_T5_mT6_P12ihipStream_tbENKUlT_T0_E_clISt17integral_constantIbLb0EESX_IbLb1EEEEDaST_SU_EUlST_E0_NS1_11comp_targetILNS1_3genE8ELNS1_11target_archE1030ELNS1_3gpuE2ELNS1_3repE0EEENS1_30default_config_static_selectorELNS0_4arch9wavefront6targetE1EEEvT1_,comdat
.Lfunc_end437:
	.size	_ZN7rocprim17ROCPRIM_400000_NS6detail17trampoline_kernelINS0_14default_configENS1_20scan_config_selectorIN3c104HalfEEEZZNS1_9scan_implILNS1_25lookback_scan_determinismE0ELb0ELb0ES3_PKS6_PS6_S6_ZZZN2at6native31launch_logcumsumexp_cuda_kernelERKNSD_10TensorBaseESH_lENKUlvE_clEvENKUlvE3_clEvEUlS6_S6_E_S6_EEDaPvRmT3_T4_T5_mT6_P12ihipStream_tbENKUlT_T0_E_clISt17integral_constantIbLb0EESX_IbLb1EEEEDaST_SU_EUlST_E0_NS1_11comp_targetILNS1_3genE8ELNS1_11target_archE1030ELNS1_3gpuE2ELNS1_3repE0EEENS1_30default_config_static_selectorELNS0_4arch9wavefront6targetE1EEEvT1_, .Lfunc_end437-_ZN7rocprim17ROCPRIM_400000_NS6detail17trampoline_kernelINS0_14default_configENS1_20scan_config_selectorIN3c104HalfEEEZZNS1_9scan_implILNS1_25lookback_scan_determinismE0ELb0ELb0ES3_PKS6_PS6_S6_ZZZN2at6native31launch_logcumsumexp_cuda_kernelERKNSD_10TensorBaseESH_lENKUlvE_clEvENKUlvE3_clEvEUlS6_S6_E_S6_EEDaPvRmT3_T4_T5_mT6_P12ihipStream_tbENKUlT_T0_E_clISt17integral_constantIbLb0EESX_IbLb1EEEEDaST_SU_EUlST_E0_NS1_11comp_targetILNS1_3genE8ELNS1_11target_archE1030ELNS1_3gpuE2ELNS1_3repE0EEENS1_30default_config_static_selectorELNS0_4arch9wavefront6targetE1EEEvT1_
                                        ; -- End function
	.section	.AMDGPU.csdata,"",@progbits
; Kernel info:
; codeLenInByte = 0
; NumSgprs: 4
; NumVgprs: 0
; NumAgprs: 0
; TotalNumVgprs: 0
; ScratchSize: 0
; MemoryBound: 0
; FloatMode: 240
; IeeeMode: 1
; LDSByteSize: 0 bytes/workgroup (compile time only)
; SGPRBlocks: 0
; VGPRBlocks: 0
; NumSGPRsForWavesPerEU: 4
; NumVGPRsForWavesPerEU: 1
; AccumOffset: 4
; Occupancy: 8
; WaveLimiterHint : 0
; COMPUTE_PGM_RSRC2:SCRATCH_EN: 0
; COMPUTE_PGM_RSRC2:USER_SGPR: 6
; COMPUTE_PGM_RSRC2:TRAP_HANDLER: 0
; COMPUTE_PGM_RSRC2:TGID_X_EN: 1
; COMPUTE_PGM_RSRC2:TGID_Y_EN: 0
; COMPUTE_PGM_RSRC2:TGID_Z_EN: 0
; COMPUTE_PGM_RSRC2:TIDIG_COMP_CNT: 0
; COMPUTE_PGM_RSRC3_GFX90A:ACCUM_OFFSET: 0
; COMPUTE_PGM_RSRC3_GFX90A:TG_SPLIT: 0
	.section	.text._ZN2at6native32tensor_kernel_scan_innermost_dimIN3c104HalfEZZZNS0_31launch_logcumsumexp_cuda_kernelERKNS_10TensorBaseES6_lENKUlvE_clEvENKUlvE3_clEvEUlS3_S3_E_EEvPT_PKSA_jjjSA_T0_,"axG",@progbits,_ZN2at6native32tensor_kernel_scan_innermost_dimIN3c104HalfEZZZNS0_31launch_logcumsumexp_cuda_kernelERKNS_10TensorBaseES6_lENKUlvE_clEvENKUlvE3_clEvEUlS3_S3_E_EEvPT_PKSA_jjjSA_T0_,comdat
	.globl	_ZN2at6native32tensor_kernel_scan_innermost_dimIN3c104HalfEZZZNS0_31launch_logcumsumexp_cuda_kernelERKNS_10TensorBaseES6_lENKUlvE_clEvENKUlvE3_clEvEUlS3_S3_E_EEvPT_PKSA_jjjSA_T0_ ; -- Begin function _ZN2at6native32tensor_kernel_scan_innermost_dimIN3c104HalfEZZZNS0_31launch_logcumsumexp_cuda_kernelERKNS_10TensorBaseES6_lENKUlvE_clEvENKUlvE3_clEvEUlS3_S3_E_EEvPT_PKSA_jjjSA_T0_
	.p2align	8
	.type	_ZN2at6native32tensor_kernel_scan_innermost_dimIN3c104HalfEZZZNS0_31launch_logcumsumexp_cuda_kernelERKNS_10TensorBaseES6_lENKUlvE_clEvENKUlvE3_clEvEUlS3_S3_E_EEvPT_PKSA_jjjSA_T0_,@function
_ZN2at6native32tensor_kernel_scan_innermost_dimIN3c104HalfEZZZNS0_31launch_logcumsumexp_cuda_kernelERKNS_10TensorBaseES6_lENKUlvE_clEvENKUlvE3_clEvEUlS3_S3_E_EEvPT_PKSA_jjjSA_T0_: ; @_ZN2at6native32tensor_kernel_scan_innermost_dimIN3c104HalfEZZZNS0_31launch_logcumsumexp_cuda_kernelERKNS_10TensorBaseES6_lENKUlvE_clEvENKUlvE3_clEvEUlS3_S3_E_EEvPT_PKSA_jjjSA_T0_
; %bb.0:
	s_load_dwordx8 s[16:23], s[4:5], 0x0
	v_bfe_u32 v2, v0, 10, 10
	s_waitcnt lgkmcnt(0)
	s_lshl_b32 s7, 2, s22
	v_mul_lo_u32 v1, s7, v2
	s_mul_hi_u32 s0, s20, s21
	s_mov_b32 s14, s20
	v_lshl_add_u32 v3, v1, 1, 0
	s_cmp_lg_u32 s0, 0
	s_mov_b64 s[0:1], -1
	s_cbranch_scc1 .LBB438_30
; %bb.1:
	s_load_dword s2, s[4:5], 0x2c
	s_add_u32 s0, s4, 32
	s_addc_u32 s1, s5, 0
	s_waitcnt lgkmcnt(0)
	s_lshr_b32 s2, s2, 16
	s_mul_i32 s15, s6, s2
	s_cmp_ge_u32 s15, s20
	s_cbranch_scc1 .LBB438_29
; %bb.2:
	s_load_dword s29, s[0:1], 0x0
	s_lshl_b32 s28, 1, s22
	s_cmp_lg_u32 s21, 0
	v_and_b32_e32 v1, 0x3ff, v0
	v_lshl_add_u32 v10, v1, 1, v3
	s_waitcnt lgkmcnt(0)
	s_mul_i32 s29, s29, s2
	s_cselect_b64 s[2:3], -1, 0
	v_add_u32_e32 v12, -2, v3
	v_cndmask_b32_e64 v4, 0, 1, s[2:3]
	v_lshl_add_u32 v11, s28, 1, v10
	v_cmp_eq_u32_e64 s[0:1], 0, v1
	v_lshl_add_u32 v13, s7, 1, v12
	s_add_i32 s30, s22, 1
	v_cmp_ne_u32_e64 s[2:3], 1, v4
	v_mov_b32_e32 v5, 0
	s_movk_i32 s31, 0x1f8
	s_mov_b32 s33, 0x3fb8aa3b
	s_mov_b32 s34, 0xc2ce8ed0
	;; [unrolled: 1-line block ×5, first 2 shown]
	v_mov_b32_e32 v14, 0x3f2aaada
	s_mov_b32 s38, 0x3f317218
	s_mov_b32 s39, 0x33800000
	v_mov_b32_e32 v15, 0x7f800000
	v_mov_b32_e32 v6, 0x3f317218
	s_branch .LBB438_4
.LBB438_3:                              ;   in Loop: Header=BB438_4 Depth=1
	s_add_i32 s15, s15, s29
	s_cmp_ge_u32 s15, s20
	s_cbranch_scc1 .LBB438_29
.LBB438_4:                              ; =>This Loop Header: Depth=1
                                        ;     Child Loop BB438_7 Depth 2
                                        ;       Child Loop BB438_19 Depth 3
	s_and_b64 vcc, exec, s[2:3]
	s_cbranch_vccnz .LBB438_3
; %bb.5:                                ;   in Loop: Header=BB438_4 Depth=1
	v_add_u32_e32 v7, s15, v2
	v_mul_lo_u32 v4, v7, s21
	v_lshlrev_b64 v[8:9], 1, v[4:5]
	v_mov_b32_e32 v4, s19
	v_add_co_u32_e32 v16, vcc, s18, v8
	v_addc_co_u32_e32 v17, vcc, v4, v9, vcc
	v_mov_b32_e32 v4, s17
	v_add_co_u32_e32 v18, vcc, s16, v8
	v_addc_co_u32_e32 v19, vcc, v4, v9, vcc
	v_cmp_gt_u32_e32 vcc, s20, v7
	v_cmp_le_u32_e64 s[8:9], s20, v7
	s_mov_b32 s40, 0
	v_mov_b32_e32 v7, s23
	s_branch .LBB438_7
.LBB438_6:                              ;   in Loop: Header=BB438_7 Depth=2
	s_or_b64 exec, exec, s[12:13]
	ds_read_u16 v7, v13
	s_add_i32 s40, s40, s7
	s_cmp_ge_u32 s40, s21
	s_waitcnt lgkmcnt(0)
	s_barrier
	s_cbranch_scc1 .LBB438_3
.LBB438_7:                              ;   Parent Loop BB438_4 Depth=1
                                        ; =>  This Loop Header: Depth=2
                                        ;       Child Loop BB438_19 Depth 3
	v_add_u32_e32 v4, s40, v1
	v_add_u32_e32 v8, s28, v4
	s_and_saveexec_b64 s[12:13], vcc
	s_cbranch_execz .LBB438_16
; %bb.8:                                ;   in Loop: Header=BB438_7 Depth=2
	v_cmp_gt_u32_e64 s[10:11], s21, v4
	v_mov_b32_e32 v9, s23
	s_and_saveexec_b64 s[24:25], s[10:11]
	s_cbranch_execz .LBB438_10
; %bb.9:                                ;   in Loop: Header=BB438_7 Depth=2
	v_lshlrev_b64 v[20:21], 1, v[4:5]
	v_add_co_u32_e64 v20, s[10:11], v16, v20
	v_addc_co_u32_e64 v21, s[10:11], v17, v21, s[10:11]
	global_load_ushort v9, v[20:21], off
.LBB438_10:                             ;   in Loop: Header=BB438_7 Depth=2
	s_or_b64 exec, exec, s[24:25]
	s_waitcnt vmcnt(0)
	ds_write_b16 v10, v9
	v_cmp_gt_u32_e64 s[10:11], s21, v8
	v_mov_b32_e32 v9, s23
	s_and_saveexec_b64 s[24:25], s[10:11]
	s_cbranch_execz .LBB438_12
; %bb.11:                               ;   in Loop: Header=BB438_7 Depth=2
	v_mov_b32_e32 v9, v5
	v_lshlrev_b64 v[20:21], 1, v[8:9]
	v_add_co_u32_e64 v20, s[10:11], v16, v20
	v_addc_co_u32_e64 v21, s[10:11], v17, v21, s[10:11]
	global_load_ushort v9, v[20:21], off
.LBB438_12:                             ;   in Loop: Header=BB438_7 Depth=2
	s_or_b64 exec, exec, s[24:25]
	s_waitcnt vmcnt(0)
	ds_write_b16 v11, v9
	s_and_b64 exec, exec, s[0:1]
	s_cbranch_execz .LBB438_16
; %bb.13:                               ;   in Loop: Header=BB438_7 Depth=2
	ds_read_u16 v20, v3
	v_cvt_f32_f16_e32 v9, v7
	s_waitcnt lgkmcnt(0)
	v_cvt_f32_f16_e32 v21, v20
	v_cmp_u_f16_e64 s[10:11], v20, v20
	v_min_f32_e32 v22, v21, v9
	v_max_f32_e32 v23, v21, v9
	v_cndmask_b32_e64 v22, v22, v21, s[10:11]
	v_cndmask_b32_e64 v21, v23, v21, s[10:11]
	v_cmp_u_f16_e64 s[10:11], v7, v7
	v_cndmask_b32_e64 v7, v22, v9, s[10:11]
	v_cndmask_b32_e64 v9, v21, v9, s[10:11]
	v_cmp_neq_f32_e64 s[10:11], v7, v9
	v_cmp_class_f32_e64 s[24:25], v7, s31
	s_or_b64 s[10:11], s[10:11], s[24:25]
	s_and_saveexec_b64 s[24:25], s[10:11]
	s_cbranch_execz .LBB438_15
; %bb.14:                               ;   in Loop: Header=BB438_7 Depth=2
	v_sub_f32_e32 v7, v7, v9
	v_mul_f32_e32 v20, 0x3fb8aa3b, v7
	v_fma_f32 v21, v7, s33, -v20
	v_rndne_f32_e32 v22, v20
	v_fmac_f32_e32 v21, 0x32a5705f, v7
	v_sub_f32_e32 v20, v20, v22
	v_add_f32_e32 v20, v20, v21
	v_cvt_i32_f32_e32 v21, v22
	v_exp_f32_e32 v20, v20
	v_cmp_ngt_f32_e64 s[10:11], s34, v7
	v_ldexp_f32 v20, v20, v21
	v_cndmask_b32_e64 v20, 0, v20, s[10:11]
	v_cmp_nlt_f32_e64 s[10:11], s35, v7
	v_cndmask_b32_e64 v36, v15, v20, s[10:11]
	v_add_f32_e32 v7, 1.0, v36
	v_add_f32_e32 v20, -1.0, v7
	v_sub_f32_e32 v21, v20, v7
	v_add_f32_e32 v21, 1.0, v21
	v_sub_f32_e32 v20, v36, v20
	v_add_f32_e32 v22, v20, v21
	v_frexp_mant_f32_e32 v23, v7
	v_cvt_f64_f32_e32 v[20:21], v7
	v_frexp_exp_i32_f64_e32 v20, v[20:21]
	v_cmp_gt_f32_e64 s[10:11], s37, v23
	v_subbrev_co_u32_e64 v28, s[10:11], 0, v20, s[10:11]
	v_sub_u32_e32 v20, 0, v28
	v_ldexp_f32 v7, v7, v20
	v_ldexp_f32 v20, v22, v20
	v_add_f32_e32 v22, -1.0, v7
	v_add_f32_e32 v21, 1.0, v22
	v_sub_f32_e32 v21, v7, v21
	v_add_f32_e32 v23, v20, v21
	v_add_f32_e32 v21, 1.0, v7
	v_add_f32_e32 v24, -1.0, v21
	v_sub_f32_e32 v7, v7, v24
	v_add_f32_e32 v7, v20, v7
	v_add_f32_e32 v29, v21, v7
	v_rcp_f32_e32 v30, v29
	v_sub_f32_e32 v20, v21, v29
	v_add_f32_e32 v21, v22, v23
	v_add_f32_e32 v7, v7, v20
	v_mul_f32_e32 v32, v21, v30
	v_sub_f32_e32 v20, v22, v21
	v_mul_f32_e32 v22, v29, v32
	v_fma_f32 v24, v32, v29, -v22
	v_fmac_f32_e32 v24, v32, v7
	v_add_f32_e32 v31, v23, v20
	v_add_f32_e32 v20, v22, v24
	v_sub_f32_e32 v23, v21, v20
	v_pk_add_f32 v[26:27], v[20:21], v[22:23] neg_lo:[0,1] neg_hi:[0,1]
	v_mov_b32_e32 v25, v20
	v_pk_add_f32 v[20:21], v[26:27], v[24:25] neg_lo:[0,1] neg_hi:[0,1]
	v_add_f32_e32 v21, v31, v21
	v_add_f32_e32 v20, v20, v21
	v_add_f32_e32 v21, v23, v20
	v_mul_f32_e32 v31, v30, v21
	v_mul_f32_e32 v22, v29, v31
	v_fma_f32 v24, v31, v29, -v22
	v_fmac_f32_e32 v24, v31, v7
	v_sub_f32_e32 v7, v23, v21
	v_add_f32_e32 v7, v20, v7
	v_add_f32_e32 v20, v22, v24
	v_sub_f32_e32 v23, v21, v20
	v_pk_add_f32 v[26:27], v[20:21], v[22:23] neg_lo:[0,1] neg_hi:[0,1]
	v_mov_b32_e32 v25, v20
	v_pk_add_f32 v[20:21], v[26:27], v[24:25] neg_lo:[0,1] neg_hi:[0,1]
	v_add_f32_e32 v7, v7, v21
	v_add_f32_e32 v7, v20, v7
	;; [unrolled: 1-line block ×4, first 2 shown]
	v_sub_f32_e32 v20, v21, v32
	v_mul_f32_e32 v7, v30, v7
	v_sub_f32_e32 v20, v31, v20
	v_add_f32_e32 v22, v20, v7
	v_add_f32_e32 v24, v21, v22
	v_cvt_f32_i32_e32 v20, v28
	v_mul_f32_e32 v25, v24, v24
	v_mov_b32_e32 v7, 0x3ecc95a3
	v_sub_f32_e32 v21, v24, v21
	v_fmac_f32_e32 v7, 0x3e9b6dac, v25
	v_sub_f32_e32 v21, v22, v21
	v_fma_f32 v7, v25, v7, v14
	v_ldexp_f32 v26, v21, 1
	v_mul_f32_e32 v21, v24, v25
	v_ldexp_f32 v23, v24, 1
	v_pk_mul_f32 v[24:25], v[20:21], v[6:7]
	v_fma_f32 v22, v20, s38, -v24
	v_fmac_f32_e32 v22, 0xb102e308, v20
	v_pk_add_f32 v[20:21], v[24:25], v[22:23]
	v_sub_f32_e32 v7, v21, v23
	v_sub_f32_e32 v7, v25, v7
	v_add_f32_e32 v27, v26, v7
	v_mov_b32_e32 v26, v24
	v_pk_add_f32 v[24:25], v[20:21], v[24:25] neg_lo:[0,1] neg_hi:[0,1]
	v_pk_add_f32 v[28:29], v[20:21], v[26:27]
	v_mov_b32_e32 v25, v29
	v_mov_b32_e32 v23, v20
	v_pk_add_f32 v[30:31], v[22:23], v[24:25] neg_lo:[0,1] neg_hi:[0,1]
	v_pk_add_f32 v[22:23], v[22:23], v[24:25]
	v_mov_b32_e32 v24, v23
	v_pk_add_f32 v[32:33], v[24:25], v[20:21] neg_lo:[0,1] neg_hi:[0,1]
	v_mov_b32_e32 v7, v32
	v_pk_add_f32 v[34:35], v[28:29], v[6:7] neg_lo:[0,1] neg_hi:[0,1]
	v_mov_b32_e32 v22, v29
	v_mov_b32_e32 v28, v21
	;; [unrolled: 1-line block ×4, first 2 shown]
	v_pk_add_f32 v[22:23], v[22:23], v[28:29] neg_lo:[0,1] neg_hi:[0,1]
	v_mov_b32_e32 v26, v27
	v_mov_b32_e32 v27, v20
	v_pk_add_f32 v[20:21], v[26:27], v[22:23] neg_lo:[0,1] neg_hi:[0,1]
	v_mov_b32_e32 v34, v30
	v_pk_add_f32 v[22:23], v[34:35], v[20:21]
	v_mov_b32_e32 v26, v23
	v_pk_add_f32 v[26:27], v[22:23], v[26:27]
	v_pk_add_f32 v[24:25], v[24:25], v[26:27]
	v_mov_b32_e32 v23, v24
	v_pk_add_f32 v[28:29], v[22:23], v[30:31] neg_lo:[0,1] neg_hi:[0,1]
	v_mov_b32_e32 v21, v26
	v_sub_f32_e32 v7, v22, v28
	v_pk_add_f32 v[20:21], v[20:21], v[28:29] neg_lo:[0,1] neg_hi:[0,1]
	v_sub_f32_e32 v7, v30, v7
	v_add_f32_e32 v7, v20, v7
	v_add_f32_e32 v7, v7, v21
	v_cmp_eq_f32_e64 s[10:11], s36, v36
	v_cmp_lt_f32_e64 s[26:27], |v36|, s39
	v_add_f32_e32 v7, v24, v7
	s_or_b64 s[10:11], s[10:11], s[26:27]
	v_cndmask_b32_e64 v7, v7, v36, s[10:11]
	v_add_f32_e32 v7, v9, v7
	v_cvt_f16_f32_e32 v20, v7
.LBB438_15:                             ;   in Loop: Header=BB438_7 Depth=2
	s_or_b64 exec, exec, s[24:25]
	ds_write_b16 v3, v20
.LBB438_16:                             ;   in Loop: Header=BB438_7 Depth=2
	s_or_b64 exec, exec, s[12:13]
	s_mov_b64 s[24:25], 0
	v_mov_b32_e32 v7, 0
	s_waitcnt lgkmcnt(0)
	s_barrier
	s_branch .LBB438_19
.LBB438_17:                             ;   in Loop: Header=BB438_19 Depth=3
	s_or_b64 exec, exec, s[12:13]
	ds_write_b16 v20, v7
.LBB438_18:                             ;   in Loop: Header=BB438_19 Depth=3
	s_or_b64 exec, exec, s[26:27]
	v_cmp_eq_u32_e64 s[10:11], s30, v9
	s_or_b64 s[24:25], s[10:11], s[24:25]
	v_mov_b32_e32 v7, v9
	s_waitcnt lgkmcnt(0)
	s_barrier
	s_andn2_b64 exec, exec, s[24:25]
	s_cbranch_execz .LBB438_24
.LBB438_19:                             ;   Parent Loop BB438_4 Depth=1
                                        ;     Parent Loop BB438_7 Depth=2
                                        ; =>    This Inner Loop Header: Depth=3
	v_add_u32_e32 v9, 1, v7
	s_and_saveexec_b64 s[10:11], s[8:9]
	s_xor_b64 s[10:11], exec, s[10:11]
; %bb.20:                               ;   in Loop: Header=BB438_19 Depth=3
	v_add_u32_e32 v9, 1, v7
                                        ; implicit-def: $vgpr7
; %bb.21:                               ;   in Loop: Header=BB438_19 Depth=3
	s_andn2_saveexec_b64 s[26:27], s[10:11]
	s_cbranch_execz .LBB438_18
; %bb.22:                               ;   in Loop: Header=BB438_19 Depth=3
	v_lshlrev_b32_e64 v20, v7, 1
	v_lshrrev_b32_e32 v21, v7, v1
	v_bfm_b32 v7, v7, 0
	v_lshl_or_b32 v20, v21, v9, v20
	v_and_b32_e32 v7, v7, v1
	v_lshlrev_b32_e32 v21, 1, v20
	v_lshlrev_b32_e32 v7, 1, v7
	v_add3_u32 v20, v3, v21, v7
	v_add_u32_e32 v21, v12, v21
	ds_read_u16 v7, v20
	ds_read_u16 v21, v21
	s_waitcnt lgkmcnt(1)
	v_cvt_f32_f16_e32 v23, v7
	s_waitcnt lgkmcnt(0)
	v_cvt_f32_f16_e32 v24, v21
	v_cmp_u_f16_e64 s[10:11], v7, v7
	v_cmp_u_f16_e64 s[12:13], v21, v21
	v_min_f32_e32 v22, v23, v24
	v_max_f32_e32 v21, v23, v24
	v_cndmask_b32_e64 v22, v22, v23, s[10:11]
	v_cndmask_b32_e64 v21, v21, v23, s[10:11]
	;; [unrolled: 1-line block ×4, first 2 shown]
	v_cmp_neq_f32_e64 s[10:11], v22, v21
	v_cmp_class_f32_e64 s[12:13], v22, s31
	s_or_b64 s[10:11], s[10:11], s[12:13]
	s_and_saveexec_b64 s[12:13], s[10:11]
	s_cbranch_execz .LBB438_17
; %bb.23:                               ;   in Loop: Header=BB438_19 Depth=3
	v_sub_f32_e32 v7, v22, v21
	v_mul_f32_e32 v22, 0x3fb8aa3b, v7
	v_fma_f32 v23, v7, s33, -v22
	v_rndne_f32_e32 v24, v22
	v_fmac_f32_e32 v23, 0x32a5705f, v7
	v_sub_f32_e32 v22, v22, v24
	v_add_f32_e32 v22, v22, v23
	v_cvt_i32_f32_e32 v23, v24
	v_exp_f32_e32 v22, v22
	v_cmp_ngt_f32_e64 s[10:11], s34, v7
	v_ldexp_f32 v22, v22, v23
	v_cndmask_b32_e64 v22, 0, v22, s[10:11]
	v_cmp_nlt_f32_e64 s[10:11], s35, v7
	v_cndmask_b32_e64 v38, v15, v22, s[10:11]
	v_add_f32_e32 v7, 1.0, v38
	v_add_f32_e32 v22, -1.0, v7
	v_sub_f32_e32 v23, v22, v7
	v_add_f32_e32 v23, 1.0, v23
	v_sub_f32_e32 v22, v38, v22
	v_add_f32_e32 v24, v22, v23
	v_frexp_mant_f32_e32 v25, v7
	v_cvt_f64_f32_e32 v[22:23], v7
	v_frexp_exp_i32_f64_e32 v22, v[22:23]
	v_cmp_gt_f32_e64 s[10:11], s37, v25
	v_subbrev_co_u32_e64 v30, s[10:11], 0, v22, s[10:11]
	v_sub_u32_e32 v22, 0, v30
	v_ldexp_f32 v7, v7, v22
	v_ldexp_f32 v22, v24, v22
	v_add_f32_e32 v24, -1.0, v7
	v_add_f32_e32 v23, 1.0, v24
	v_sub_f32_e32 v23, v7, v23
	v_add_f32_e32 v25, v22, v23
	v_add_f32_e32 v23, 1.0, v7
	v_add_f32_e32 v26, -1.0, v23
	v_sub_f32_e32 v7, v7, v26
	v_add_f32_e32 v7, v22, v7
	v_add_f32_e32 v31, v23, v7
	v_rcp_f32_e32 v32, v31
	v_sub_f32_e32 v22, v23, v31
	v_add_f32_e32 v23, v24, v25
	v_add_f32_e32 v7, v7, v22
	v_mul_f32_e32 v34, v23, v32
	v_sub_f32_e32 v22, v24, v23
	v_mul_f32_e32 v24, v31, v34
	v_fma_f32 v26, v34, v31, -v24
	v_fmac_f32_e32 v26, v34, v7
	v_add_f32_e32 v33, v25, v22
	v_add_f32_e32 v22, v24, v26
	v_sub_f32_e32 v25, v23, v22
	v_pk_add_f32 v[28:29], v[22:23], v[24:25] neg_lo:[0,1] neg_hi:[0,1]
	v_mov_b32_e32 v27, v22
	v_pk_add_f32 v[22:23], v[28:29], v[26:27] neg_lo:[0,1] neg_hi:[0,1]
	v_add_f32_e32 v23, v33, v23
	v_add_f32_e32 v22, v22, v23
	;; [unrolled: 1-line block ×3, first 2 shown]
	v_mul_f32_e32 v33, v32, v23
	v_mul_f32_e32 v24, v31, v33
	v_fma_f32 v26, v33, v31, -v24
	v_fmac_f32_e32 v26, v33, v7
	v_sub_f32_e32 v7, v25, v23
	v_add_f32_e32 v7, v22, v7
	v_add_f32_e32 v22, v24, v26
	v_sub_f32_e32 v25, v23, v22
	v_pk_add_f32 v[28:29], v[22:23], v[24:25] neg_lo:[0,1] neg_hi:[0,1]
	v_mov_b32_e32 v27, v22
	v_pk_add_f32 v[22:23], v[28:29], v[26:27] neg_lo:[0,1] neg_hi:[0,1]
	v_add_f32_e32 v7, v7, v23
	v_add_f32_e32 v7, v22, v7
	;; [unrolled: 1-line block ×4, first 2 shown]
	v_sub_f32_e32 v22, v23, v34
	v_mul_f32_e32 v7, v32, v7
	v_sub_f32_e32 v22, v33, v22
	v_add_f32_e32 v24, v22, v7
	v_add_f32_e32 v26, v23, v24
	v_cvt_f32_i32_e32 v22, v30
	v_mul_f32_e32 v27, v26, v26
	v_mov_b32_e32 v7, 0x3ecc95a3
	v_sub_f32_e32 v23, v26, v23
	v_fmac_f32_e32 v7, 0x3e9b6dac, v27
	v_sub_f32_e32 v23, v24, v23
	v_fma_f32 v7, v27, v7, v14
	v_ldexp_f32 v28, v23, 1
	v_mul_f32_e32 v23, v26, v27
	v_ldexp_f32 v25, v26, 1
	v_pk_mul_f32 v[26:27], v[22:23], v[6:7]
	v_fma_f32 v24, v22, s38, -v26
	v_fmac_f32_e32 v24, 0xb102e308, v22
	v_pk_add_f32 v[22:23], v[26:27], v[24:25]
	v_sub_f32_e32 v7, v23, v25
	v_sub_f32_e32 v7, v27, v7
	v_add_f32_e32 v29, v28, v7
	v_mov_b32_e32 v28, v26
	v_pk_add_f32 v[26:27], v[22:23], v[26:27] neg_lo:[0,1] neg_hi:[0,1]
	v_pk_add_f32 v[30:31], v[22:23], v[28:29]
	v_mov_b32_e32 v27, v31
	v_mov_b32_e32 v25, v22
	v_pk_add_f32 v[32:33], v[24:25], v[26:27] neg_lo:[0,1] neg_hi:[0,1]
	v_pk_add_f32 v[24:25], v[24:25], v[26:27]
	v_mov_b32_e32 v26, v25
	v_pk_add_f32 v[34:35], v[26:27], v[22:23] neg_lo:[0,1] neg_hi:[0,1]
	v_mov_b32_e32 v7, v34
	v_pk_add_f32 v[36:37], v[30:31], v[6:7] neg_lo:[0,1] neg_hi:[0,1]
	v_mov_b32_e32 v24, v31
	v_mov_b32_e32 v30, v23
	;; [unrolled: 1-line block ×4, first 2 shown]
	v_pk_add_f32 v[24:25], v[24:25], v[30:31] neg_lo:[0,1] neg_hi:[0,1]
	v_mov_b32_e32 v28, v29
	v_mov_b32_e32 v29, v22
	v_pk_add_f32 v[22:23], v[28:29], v[24:25] neg_lo:[0,1] neg_hi:[0,1]
	v_mov_b32_e32 v36, v32
	v_pk_add_f32 v[24:25], v[36:37], v[22:23]
	v_mov_b32_e32 v28, v25
	v_pk_add_f32 v[28:29], v[24:25], v[28:29]
	v_pk_add_f32 v[26:27], v[26:27], v[28:29]
	v_mov_b32_e32 v25, v26
	v_pk_add_f32 v[30:31], v[24:25], v[32:33] neg_lo:[0,1] neg_hi:[0,1]
	v_mov_b32_e32 v23, v28
	v_sub_f32_e32 v7, v24, v30
	v_pk_add_f32 v[22:23], v[22:23], v[30:31] neg_lo:[0,1] neg_hi:[0,1]
	v_sub_f32_e32 v7, v32, v7
	v_add_f32_e32 v7, v22, v7
	v_add_f32_e32 v7, v7, v23
	v_cmp_eq_f32_e64 s[10:11], s36, v38
	v_cmp_lt_f32_e64 s[42:43], |v38|, s39
	v_add_f32_e32 v7, v26, v7
	s_or_b64 s[10:11], s[10:11], s[42:43]
	v_cndmask_b32_e64 v7, v7, v38, s[10:11]
	v_add_f32_e32 v7, v21, v7
	v_cvt_f16_f32_e32 v7, v7
	s_branch .LBB438_17
.LBB438_24:                             ;   in Loop: Header=BB438_7 Depth=2
	s_or_b64 exec, exec, s[24:25]
	s_and_saveexec_b64 s[12:13], vcc
	s_cbranch_execz .LBB438_6
; %bb.25:                               ;   in Loop: Header=BB438_7 Depth=2
	v_cmp_gt_u32_e64 s[10:11], s21, v4
	s_and_saveexec_b64 s[24:25], s[10:11]
	s_cbranch_execz .LBB438_27
; %bb.26:                               ;   in Loop: Header=BB438_7 Depth=2
	v_lshlrev_b64 v[20:21], 1, v[4:5]
	ds_read_u16 v4, v10
	v_add_co_u32_e64 v20, s[10:11], v18, v20
	v_addc_co_u32_e64 v21, s[10:11], v19, v21, s[10:11]
	s_waitcnt lgkmcnt(0)
	global_store_short v[20:21], v4, off
.LBB438_27:                             ;   in Loop: Header=BB438_7 Depth=2
	s_or_b64 exec, exec, s[24:25]
	v_cmp_gt_u32_e64 s[10:11], s21, v8
	s_and_b64 exec, exec, s[10:11]
	s_cbranch_execz .LBB438_6
; %bb.28:                               ;   in Loop: Header=BB438_7 Depth=2
	ds_read_u16 v4, v11
	v_mov_b32_e32 v9, v5
	v_lshlrev_b64 v[8:9], 1, v[8:9]
	v_add_co_u32_e64 v8, s[10:11], v18, v8
	v_addc_co_u32_e64 v9, s[10:11], v19, v9, s[10:11]
	s_waitcnt lgkmcnt(0)
	global_store_short v[8:9], v4, off
	s_branch .LBB438_6
.LBB438_29:
	s_mov_b64 s[0:1], 0
.LBB438_30:
	s_andn2_b64 vcc, exec, s[0:1]
	s_cbranch_vccnz .LBB438_61
; %bb.31:
	s_load_dword s0, s[4:5], 0x2c
	s_add_u32 s2, s4, 32
	s_mov_b32 s15, 0
	s_addc_u32 s3, s5, 0
	v_pk_mov_b32 v[4:5], s[14:15], s[14:15] op_sel:[0,1]
	s_waitcnt lgkmcnt(0)
	s_lshr_b32 s0, s0, 16
	s_mul_hi_u32 s9, s0, s6
	s_mul_i32 s8, s0, s6
	v_cmp_ge_u64_e32 vcc, s[8:9], v[4:5]
	s_cbranch_vccnz .LBB438_61
; %bb.32:
	s_lshl_b32 s10, 1, s22
	s_load_dword s5, s[2:3], 0x0
	s_and_b32 s4, 0xffff, s0
	s_ashr_i32 s11, s10, 31
	s_cmp_lg_u32 s21, 0
	s_mov_b32 s12, s21
	v_and_b32_e32 v0, 0x3ff, v0
	s_cselect_b64 s[2:3], -1, 0
	s_lshl_b64 s[20:21], s[10:11], 1
	v_lshl_add_u32 v14, v0, 1, v3
	s_lshl_b32 s6, s20, 1
	v_cndmask_b32_e64 v4, 0, 1, s[2:3]
	v_mov_b32_e32 v1, 0
	s_mov_b32 s13, s15
	v_lshl_add_u32 v15, s10, 1, v14
	v_cmp_eq_u32_e64 s[0:1], 0, v0
	v_add3_u32 v16, v3, s6, -2
	s_waitcnt lgkmcnt(0)
	s_mul_i32 s33, s5, s4
	s_add_i32 s22, s22, 1
	v_cmp_ne_u32_e64 s[2:3], 1, v4
	s_movk_i32 s34, 0x1f8
	s_mov_b32 s35, 0x3fb8aa3b
	s_mov_b32 s36, 0xc2ce8ed0
	;; [unrolled: 1-line block ×5, first 2 shown]
	v_mov_b32_e32 v17, 0x3f2aaada
	s_mov_b32 s40, 0x3f317218
	s_mov_b32 s41, 0x33800000
	v_mov_b32_e32 v18, 0x7f800000
	v_mov_b32_e32 v4, 0x3f317218
	s_branch .LBB438_34
.LBB438_33:                             ;   in Loop: Header=BB438_34 Depth=1
	s_add_u32 s8, s8, s33
	s_addc_u32 s9, s9, 0
	v_pk_mov_b32 v[6:7], s[14:15], s[14:15] op_sel:[0,1]
	v_cmp_ge_u64_e32 vcc, s[8:9], v[6:7]
	s_cbranch_vccnz .LBB438_61
.LBB438_34:                             ; =>This Loop Header: Depth=1
                                        ;     Child Loop BB438_37 Depth 2
                                        ;       Child Loop BB438_49 Depth 3
	s_and_b64 vcc, exec, s[2:3]
	s_cbranch_vccnz .LBB438_33
; %bb.35:                               ;   in Loop: Header=BB438_34 Depth=1
	v_add_co_u32_e32 v6, vcc, s8, v2
	v_mov_b32_e32 v5, s9
	v_mad_u64_u32 v[8:9], s[4:5], v6, s12, 0
	v_addc_co_u32_e32 v7, vcc, 0, v5, vcc
	v_mov_b32_e32 v10, v9
	v_mad_u64_u32 v[10:11], s[4:5], v7, s12, v[10:11]
	v_mov_b32_e32 v9, v10
	v_lshlrev_b64 v[8:9], 1, v[8:9]
	v_mov_b32_e32 v5, s19
	v_add_co_u32_e32 v19, vcc, s18, v8
	v_addc_co_u32_e32 v20, vcc, v5, v9, vcc
	v_mov_b32_e32 v5, s17
	v_add_co_u32_e32 v21, vcc, s16, v8
	v_addc_co_u32_e32 v22, vcc, v5, v9, vcc
	v_cmp_gt_u64_e64 s[4:5], s[14:15], v[6:7]
	v_cmp_le_u64_e64 s[6:7], s[14:15], v[6:7]
	s_mov_b64 s[24:25], 0
	v_mov_b32_e32 v5, s23
	s_branch .LBB438_37
.LBB438_36:                             ;   in Loop: Header=BB438_37 Depth=2
	s_or_b64 exec, exec, s[26:27]
	ds_read_u16 v5, v16
	s_add_u32 s24, s24, s20
	s_addc_u32 s25, s25, s21
	v_pk_mov_b32 v[6:7], s[12:13], s[12:13] op_sel:[0,1]
	v_cmp_ge_u64_e32 vcc, s[24:25], v[6:7]
	s_waitcnt lgkmcnt(0)
	s_barrier
	s_cbranch_vccnz .LBB438_33
.LBB438_37:                             ;   Parent Loop BB438_34 Depth=1
                                        ; =>  This Loop Header: Depth=2
                                        ;       Child Loop BB438_49 Depth 3
	v_mov_b32_e32 v6, s25
	v_add_co_u32_e32 v8, vcc, s24, v0
	v_addc_co_u32_e32 v9, vcc, 0, v6, vcc
	v_mov_b32_e32 v7, s11
	v_add_co_u32_e32 v6, vcc, s10, v8
	v_addc_co_u32_e32 v7, vcc, v9, v7, vcc
	s_and_saveexec_b64 s[26:27], s[4:5]
	s_cbranch_execz .LBB438_46
; %bb.38:                               ;   in Loop: Header=BB438_37 Depth=2
	v_cmp_gt_u64_e32 vcc, s[12:13], v[8:9]
	v_mov_b32_e32 v10, s23
	s_and_saveexec_b64 s[28:29], vcc
	s_cbranch_execz .LBB438_40
; %bb.39:                               ;   in Loop: Header=BB438_37 Depth=2
	v_lshlrev_b64 v[10:11], 1, v[8:9]
	v_add_co_u32_e32 v10, vcc, v19, v10
	v_addc_co_u32_e32 v11, vcc, v20, v11, vcc
	global_load_ushort v10, v[10:11], off
.LBB438_40:                             ;   in Loop: Header=BB438_37 Depth=2
	s_or_b64 exec, exec, s[28:29]
	s_waitcnt vmcnt(0)
	ds_write_b16 v14, v10
	v_cmp_gt_u64_e32 vcc, s[12:13], v[6:7]
	v_mov_b32_e32 v10, s23
	s_and_saveexec_b64 s[28:29], vcc
	s_cbranch_execz .LBB438_42
; %bb.41:                               ;   in Loop: Header=BB438_37 Depth=2
	v_lshlrev_b64 v[10:11], 1, v[6:7]
	v_add_co_u32_e32 v10, vcc, v19, v10
	v_addc_co_u32_e32 v11, vcc, v20, v11, vcc
	global_load_ushort v10, v[10:11], off
.LBB438_42:                             ;   in Loop: Header=BB438_37 Depth=2
	s_or_b64 exec, exec, s[28:29]
	s_waitcnt vmcnt(0)
	ds_write_b16 v15, v10
	s_and_b64 exec, exec, s[0:1]
	s_cbranch_execz .LBB438_46
; %bb.43:                               ;   in Loop: Header=BB438_37 Depth=2
	ds_read_u16 v11, v3
	v_cvt_f32_f16_e32 v10, v5
	s_waitcnt lgkmcnt(0)
	v_cvt_f32_f16_e32 v12, v11
	v_cmp_u_f16_e32 vcc, v11, v11
	v_min_f32_e32 v13, v12, v10
	v_max_f32_e32 v23, v12, v10
	v_cndmask_b32_e32 v13, v13, v12, vcc
	v_cndmask_b32_e32 v12, v23, v12, vcc
	v_cmp_u_f16_e32 vcc, v5, v5
	v_cndmask_b32_e32 v5, v13, v10, vcc
	v_cndmask_b32_e32 v10, v12, v10, vcc
	v_cmp_neq_f32_e32 vcc, v5, v10
	v_cmp_class_f32_e64 s[28:29], v5, s34
	s_or_b64 s[30:31], vcc, s[28:29]
	s_and_saveexec_b64 s[28:29], s[30:31]
	s_cbranch_execz .LBB438_45
; %bb.44:                               ;   in Loop: Header=BB438_37 Depth=2
	v_sub_f32_e32 v5, v5, v10
	v_mul_f32_e32 v11, 0x3fb8aa3b, v5
	v_fma_f32 v12, v5, s35, -v11
	v_rndne_f32_e32 v13, v11
	v_fmac_f32_e32 v12, 0x32a5705f, v5
	v_sub_f32_e32 v11, v11, v13
	v_add_f32_e32 v11, v11, v12
	v_cvt_i32_f32_e32 v12, v13
	v_exp_f32_e32 v11, v11
	v_cmp_ngt_f32_e32 vcc, s36, v5
	v_ldexp_f32 v11, v11, v12
	v_cndmask_b32_e32 v11, 0, v11, vcc
	v_cmp_nlt_f32_e32 vcc, s37, v5
	v_cndmask_b32_e32 v11, v18, v11, vcc
	v_add_f32_e32 v5, 1.0, v11
	v_add_f32_e32 v12, -1.0, v5
	v_sub_f32_e32 v13, v12, v5
	v_add_f32_e32 v13, 1.0, v13
	v_sub_f32_e32 v12, v11, v12
	v_add_f32_e32 v23, v12, v13
	v_frexp_mant_f32_e32 v24, v5
	v_cvt_f64_f32_e32 v[12:13], v5
	v_frexp_exp_i32_f64_e32 v12, v[12:13]
	v_cmp_gt_f32_e32 vcc, s39, v24
	v_subbrev_co_u32_e32 v30, vcc, 0, v12, vcc
	v_sub_u32_e32 v12, 0, v30
	v_ldexp_f32 v5, v5, v12
	v_ldexp_f32 v12, v23, v12
	v_add_f32_e32 v23, -1.0, v5
	v_add_f32_e32 v13, 1.0, v23
	v_sub_f32_e32 v13, v5, v13
	v_add_f32_e32 v24, v12, v13
	v_add_f32_e32 v13, 1.0, v5
	v_add_f32_e32 v25, -1.0, v13
	v_sub_f32_e32 v5, v5, v25
	v_add_f32_e32 v5, v12, v5
	v_add_f32_e32 v31, v13, v5
	v_rcp_f32_e32 v32, v31
	v_sub_f32_e32 v12, v13, v31
	v_add_f32_e32 v13, v23, v24
	v_add_f32_e32 v5, v5, v12
	v_sub_f32_e32 v12, v23, v13
	v_mul_f32_e32 v33, v13, v32
	v_add_f32_e32 v23, v24, v12
	v_mul_f32_e32 v24, v31, v33
	v_fma_f32 v26, v33, v31, -v24
	v_fmac_f32_e32 v26, v33, v5
	v_add_f32_e32 v12, v24, v26
	v_sub_f32_e32 v25, v13, v12
	v_pk_add_f32 v[28:29], v[12:13], v[24:25] neg_lo:[0,1] neg_hi:[0,1]
	v_mov_b32_e32 v27, v12
	v_pk_add_f32 v[12:13], v[28:29], v[26:27] neg_lo:[0,1] neg_hi:[0,1]
	v_add_f32_e32 v13, v23, v13
	v_add_f32_e32 v12, v12, v13
	;; [unrolled: 1-line block ×3, first 2 shown]
	v_mul_f32_e32 v23, v32, v13
	v_mul_f32_e32 v24, v31, v23
	v_fma_f32 v26, v23, v31, -v24
	v_fmac_f32_e32 v26, v23, v5
	v_sub_f32_e32 v5, v25, v13
	v_add_f32_e32 v5, v12, v5
	v_add_f32_e32 v12, v24, v26
	v_sub_f32_e32 v25, v13, v12
	v_pk_add_f32 v[28:29], v[12:13], v[24:25] neg_lo:[0,1] neg_hi:[0,1]
	v_mov_b32_e32 v27, v12
	v_pk_add_f32 v[12:13], v[28:29], v[26:27] neg_lo:[0,1] neg_hi:[0,1]
	v_add_f32_e32 v5, v5, v13
	v_add_f32_e32 v5, v12, v5
	;; [unrolled: 1-line block ×4, first 2 shown]
	v_sub_f32_e32 v12, v13, v33
	v_mul_f32_e32 v5, v32, v5
	v_sub_f32_e32 v12, v23, v12
	v_add_f32_e32 v23, v12, v5
	v_add_f32_e32 v24, v13, v23
	v_cvt_f32_i32_e32 v12, v30
	v_mul_f32_e32 v26, v24, v24
	v_mov_b32_e32 v5, 0x3ecc95a3
	v_sub_f32_e32 v13, v24, v13
	v_fmac_f32_e32 v5, 0x3e9b6dac, v26
	v_sub_f32_e32 v13, v23, v13
	v_fma_f32 v5, v26, v5, v17
	v_ldexp_f32 v23, v13, 1
	v_mul_f32_e32 v13, v24, v26
	v_pk_mul_f32 v[26:27], v[12:13], v[4:5]
	v_ldexp_f32 v25, v24, 1
	v_fma_f32 v24, v12, s40, -v26
	v_fmac_f32_e32 v24, 0xb102e308, v12
	v_pk_add_f32 v[12:13], v[26:27], v[24:25]
	v_sub_f32_e32 v5, v13, v25
	v_sub_f32_e32 v5, v27, v5
	v_add_f32_e32 v29, v23, v5
	v_mov_b32_e32 v28, v26
	v_pk_add_f32 v[26:27], v[12:13], v[26:27] neg_lo:[0,1] neg_hi:[0,1]
	v_pk_add_f32 v[30:31], v[12:13], v[28:29]
	v_mov_b32_e32 v27, v31
	v_mov_b32_e32 v25, v12
	v_pk_add_f32 v[32:33], v[24:25], v[26:27] neg_lo:[0,1] neg_hi:[0,1]
	v_pk_add_f32 v[24:25], v[24:25], v[26:27]
	v_mov_b32_e32 v26, v25
	v_pk_add_f32 v[34:35], v[26:27], v[12:13] neg_lo:[0,1] neg_hi:[0,1]
	v_mov_b32_e32 v5, v34
	v_pk_add_f32 v[36:37], v[30:31], v[4:5] neg_lo:[0,1] neg_hi:[0,1]
	v_mov_b32_e32 v24, v31
	v_mov_b32_e32 v30, v13
	;; [unrolled: 1-line block ×4, first 2 shown]
	v_pk_add_f32 v[24:25], v[24:25], v[30:31] neg_lo:[0,1] neg_hi:[0,1]
	v_mov_b32_e32 v28, v29
	v_mov_b32_e32 v29, v12
	v_pk_add_f32 v[12:13], v[28:29], v[24:25] neg_lo:[0,1] neg_hi:[0,1]
	v_mov_b32_e32 v36, v32
	v_pk_add_f32 v[24:25], v[36:37], v[12:13]
	v_mov_b32_e32 v28, v25
	v_pk_add_f32 v[28:29], v[24:25], v[28:29]
	v_pk_add_f32 v[26:27], v[26:27], v[28:29]
	v_mov_b32_e32 v25, v26
	v_pk_add_f32 v[30:31], v[24:25], v[32:33] neg_lo:[0,1] neg_hi:[0,1]
	v_mov_b32_e32 v13, v28
	v_sub_f32_e32 v5, v24, v30
	v_pk_add_f32 v[12:13], v[12:13], v[30:31] neg_lo:[0,1] neg_hi:[0,1]
	v_sub_f32_e32 v5, v32, v5
	v_add_f32_e32 v5, v12, v5
	v_add_f32_e32 v5, v5, v13
	v_cmp_eq_f32_e32 vcc, s38, v11
	v_cmp_lt_f32_e64 s[30:31], |v11|, s41
	v_add_f32_e32 v5, v26, v5
	s_or_b64 vcc, vcc, s[30:31]
	v_cndmask_b32_e32 v5, v5, v11, vcc
	v_add_f32_e32 v5, v10, v5
	v_cvt_f16_f32_e32 v11, v5
.LBB438_45:                             ;   in Loop: Header=BB438_37 Depth=2
	s_or_b64 exec, exec, s[28:29]
	ds_write_b16 v3, v11
.LBB438_46:                             ;   in Loop: Header=BB438_37 Depth=2
	s_or_b64 exec, exec, s[26:27]
	s_mov_b64 s[26:27], 0
	v_mov_b32_e32 v5, 0
	s_waitcnt lgkmcnt(0)
	s_barrier
	s_branch .LBB438_49
.LBB438_47:                             ;   in Loop: Header=BB438_49 Depth=3
	s_or_b64 exec, exec, s[30:31]
	ds_write_b16 v10, v5
.LBB438_48:                             ;   in Loop: Header=BB438_49 Depth=3
	s_or_b64 exec, exec, s[28:29]
	v_cmp_eq_u32_e32 vcc, s22, v23
	s_or_b64 s[26:27], vcc, s[26:27]
	v_mov_b32_e32 v5, v23
	s_waitcnt lgkmcnt(0)
	s_barrier
	s_andn2_b64 exec, exec, s[26:27]
	s_cbranch_execz .LBB438_56
.LBB438_49:                             ;   Parent Loop BB438_34 Depth=1
                                        ;     Parent Loop BB438_37 Depth=2
                                        ; =>    This Inner Loop Header: Depth=3
	v_add_u32_e32 v23, 1, v5
	s_and_saveexec_b64 s[28:29], s[6:7]
	s_xor_b64 s[28:29], exec, s[28:29]
; %bb.50:                               ;   in Loop: Header=BB438_49 Depth=3
	v_add_u32_e32 v23, 1, v5
                                        ; implicit-def: $vgpr5
; %bb.51:                               ;   in Loop: Header=BB438_49 Depth=3
	s_andn2_saveexec_b64 s[28:29], s[28:29]
	s_cbranch_execz .LBB438_48
; %bb.52:                               ;   in Loop: Header=BB438_49 Depth=3
	v_lshlrev_b32_e64 v10, v5, 1
	v_ashrrev_i32_e32 v11, 31, v10
	v_cmp_ge_u64_e32 vcc, v[0:1], v[10:11]
	v_pk_mov_b32 v[12:13], v[0:1], v[0:1] op_sel:[0,1]
	s_and_saveexec_b64 s[30:31], vcc
	s_cbranch_execz .LBB438_54
; %bb.53:                               ;   in Loop: Header=BB438_49 Depth=3
	v_cvt_f32_u32_e32 v11, v10
	v_sub_u32_e32 v12, 0, v10
	v_rcp_iflag_f32_e32 v11, v11
	v_mul_f32_e32 v11, 0x4f7ffffe, v11
	v_cvt_u32_f32_e32 v11, v11
	v_mul_lo_u32 v12, v12, v11
	v_mul_hi_u32 v12, v11, v12
	v_add_u32_e32 v11, v11, v12
	v_mul_hi_u32 v11, v0, v11
	v_mul_lo_u32 v11, v11, v10
	v_sub_u32_e32 v11, v0, v11
	v_sub_u32_e32 v12, v11, v10
	v_cmp_ge_u32_e32 vcc, v11, v10
	v_cndmask_b32_e32 v11, v11, v12, vcc
	v_sub_u32_e32 v12, v11, v10
	v_cmp_ge_u32_e32 vcc, v11, v10
	v_cndmask_b32_e32 v12, v11, v12, vcc
.LBB438_54:                             ;   in Loop: Header=BB438_49 Depth=3
	s_or_b64 exec, exec, s[30:31]
	v_lshrrev_b32_e32 v5, v5, v0
	v_lshl_or_b32 v5, v5, v23, v10
	v_lshl_add_u32 v5, v5, 1, v3
	v_lshl_add_u32 v10, v12, 1, v5
	v_add_u32_e32 v11, -2, v5
	ds_read_u16 v5, v10
	ds_read_u16 v11, v11
	s_waitcnt lgkmcnt(1)
	v_cvt_f32_f16_e32 v12, v5
	s_waitcnt lgkmcnt(0)
	v_cvt_f32_f16_e32 v13, v11
	v_cmp_u_f16_e32 vcc, v5, v5
	v_min_f32_e32 v24, v12, v13
	v_max_f32_e32 v25, v12, v13
	v_cndmask_b32_e32 v24, v24, v12, vcc
	v_cndmask_b32_e32 v25, v25, v12, vcc
	v_cmp_u_f16_e32 vcc, v11, v11
	v_cndmask_b32_e32 v12, v24, v13, vcc
	v_cndmask_b32_e32 v11, v25, v13, vcc
	v_cmp_neq_f32_e32 vcc, v12, v11
	v_cmp_class_f32_e64 s[30:31], v12, s34
	s_or_b64 s[42:43], vcc, s[30:31]
	s_and_saveexec_b64 s[30:31], s[42:43]
	s_cbranch_execz .LBB438_47
; %bb.55:                               ;   in Loop: Header=BB438_49 Depth=3
	v_sub_f32_e32 v5, v12, v11
	v_mul_f32_e32 v12, 0x3fb8aa3b, v5
	v_fma_f32 v13, v5, s35, -v12
	v_rndne_f32_e32 v24, v12
	v_fmac_f32_e32 v13, 0x32a5705f, v5
	v_sub_f32_e32 v12, v12, v24
	v_add_f32_e32 v12, v12, v13
	v_cvt_i32_f32_e32 v13, v24
	v_exp_f32_e32 v12, v12
	v_cmp_ngt_f32_e32 vcc, s36, v5
	v_ldexp_f32 v12, v12, v13
	v_cndmask_b32_e32 v12, 0, v12, vcc
	v_cmp_nlt_f32_e32 vcc, s37, v5
	v_cndmask_b32_e32 v38, v18, v12, vcc
	v_add_f32_e32 v5, 1.0, v38
	v_add_f32_e32 v12, -1.0, v5
	v_sub_f32_e32 v13, v12, v5
	v_add_f32_e32 v13, 1.0, v13
	v_sub_f32_e32 v12, v38, v12
	v_add_f32_e32 v24, v12, v13
	v_frexp_mant_f32_e32 v25, v5
	v_cvt_f64_f32_e32 v[12:13], v5
	v_frexp_exp_i32_f64_e32 v12, v[12:13]
	v_cmp_gt_f32_e32 vcc, s39, v25
	v_subbrev_co_u32_e32 v30, vcc, 0, v12, vcc
	v_sub_u32_e32 v12, 0, v30
	v_ldexp_f32 v5, v5, v12
	v_ldexp_f32 v12, v24, v12
	v_add_f32_e32 v24, -1.0, v5
	v_add_f32_e32 v13, 1.0, v24
	v_sub_f32_e32 v13, v5, v13
	v_add_f32_e32 v25, v12, v13
	v_add_f32_e32 v13, 1.0, v5
	v_add_f32_e32 v26, -1.0, v13
	v_sub_f32_e32 v5, v5, v26
	v_add_f32_e32 v5, v12, v5
	v_add_f32_e32 v31, v13, v5
	v_rcp_f32_e32 v32, v31
	v_sub_f32_e32 v12, v13, v31
	v_add_f32_e32 v13, v24, v25
	v_add_f32_e32 v5, v5, v12
	v_mul_f32_e32 v34, v13, v32
	v_sub_f32_e32 v12, v24, v13
	v_mul_f32_e32 v24, v31, v34
	v_fma_f32 v26, v34, v31, -v24
	v_fmac_f32_e32 v26, v34, v5
	v_add_f32_e32 v33, v25, v12
	v_add_f32_e32 v12, v24, v26
	v_sub_f32_e32 v25, v13, v12
	v_pk_add_f32 v[28:29], v[12:13], v[24:25] neg_lo:[0,1] neg_hi:[0,1]
	v_mov_b32_e32 v27, v12
	v_pk_add_f32 v[12:13], v[28:29], v[26:27] neg_lo:[0,1] neg_hi:[0,1]
	v_add_f32_e32 v13, v33, v13
	v_add_f32_e32 v12, v12, v13
	;; [unrolled: 1-line block ×3, first 2 shown]
	v_mul_f32_e32 v33, v32, v13
	v_mul_f32_e32 v24, v31, v33
	v_fma_f32 v26, v33, v31, -v24
	v_fmac_f32_e32 v26, v33, v5
	v_sub_f32_e32 v5, v25, v13
	v_add_f32_e32 v5, v12, v5
	v_add_f32_e32 v12, v24, v26
	v_sub_f32_e32 v25, v13, v12
	v_pk_add_f32 v[28:29], v[12:13], v[24:25] neg_lo:[0,1] neg_hi:[0,1]
	v_mov_b32_e32 v27, v12
	v_pk_add_f32 v[12:13], v[28:29], v[26:27] neg_lo:[0,1] neg_hi:[0,1]
	v_add_f32_e32 v5, v5, v13
	v_add_f32_e32 v5, v12, v5
	;; [unrolled: 1-line block ×4, first 2 shown]
	v_sub_f32_e32 v12, v13, v34
	v_mul_f32_e32 v5, v32, v5
	v_sub_f32_e32 v12, v33, v12
	v_add_f32_e32 v24, v12, v5
	v_add_f32_e32 v26, v13, v24
	v_cvt_f32_i32_e32 v12, v30
	v_mul_f32_e32 v27, v26, v26
	v_mov_b32_e32 v5, 0x3ecc95a3
	v_sub_f32_e32 v13, v26, v13
	v_fmac_f32_e32 v5, 0x3e9b6dac, v27
	v_sub_f32_e32 v13, v24, v13
	v_fma_f32 v5, v27, v5, v17
	v_ldexp_f32 v28, v13, 1
	v_mul_f32_e32 v13, v26, v27
	v_ldexp_f32 v25, v26, 1
	v_pk_mul_f32 v[26:27], v[12:13], v[4:5]
	v_fma_f32 v24, v12, s40, -v26
	v_fmac_f32_e32 v24, 0xb102e308, v12
	v_pk_add_f32 v[12:13], v[26:27], v[24:25]
	v_sub_f32_e32 v5, v13, v25
	v_sub_f32_e32 v5, v27, v5
	v_add_f32_e32 v29, v28, v5
	v_mov_b32_e32 v28, v26
	v_pk_add_f32 v[26:27], v[12:13], v[26:27] neg_lo:[0,1] neg_hi:[0,1]
	v_pk_add_f32 v[30:31], v[12:13], v[28:29]
	v_mov_b32_e32 v27, v31
	v_mov_b32_e32 v25, v12
	v_pk_add_f32 v[32:33], v[24:25], v[26:27] neg_lo:[0,1] neg_hi:[0,1]
	v_pk_add_f32 v[24:25], v[24:25], v[26:27]
	v_mov_b32_e32 v26, v25
	v_pk_add_f32 v[34:35], v[26:27], v[12:13] neg_lo:[0,1] neg_hi:[0,1]
	v_mov_b32_e32 v5, v34
	v_pk_add_f32 v[36:37], v[30:31], v[4:5] neg_lo:[0,1] neg_hi:[0,1]
	v_mov_b32_e32 v24, v31
	v_mov_b32_e32 v30, v13
	;; [unrolled: 1-line block ×4, first 2 shown]
	v_pk_add_f32 v[24:25], v[24:25], v[30:31] neg_lo:[0,1] neg_hi:[0,1]
	v_mov_b32_e32 v28, v29
	v_mov_b32_e32 v29, v12
	v_pk_add_f32 v[12:13], v[28:29], v[24:25] neg_lo:[0,1] neg_hi:[0,1]
	v_mov_b32_e32 v36, v32
	v_pk_add_f32 v[24:25], v[36:37], v[12:13]
	v_mov_b32_e32 v28, v25
	v_pk_add_f32 v[28:29], v[24:25], v[28:29]
	v_pk_add_f32 v[26:27], v[26:27], v[28:29]
	v_mov_b32_e32 v25, v26
	v_pk_add_f32 v[30:31], v[24:25], v[32:33] neg_lo:[0,1] neg_hi:[0,1]
	v_mov_b32_e32 v13, v28
	v_sub_f32_e32 v5, v24, v30
	v_pk_add_f32 v[12:13], v[12:13], v[30:31] neg_lo:[0,1] neg_hi:[0,1]
	v_sub_f32_e32 v5, v32, v5
	v_add_f32_e32 v5, v12, v5
	v_add_f32_e32 v5, v5, v13
	v_cmp_eq_f32_e32 vcc, s38, v38
	v_cmp_lt_f32_e64 s[42:43], |v38|, s41
	v_add_f32_e32 v5, v26, v5
	s_or_b64 vcc, vcc, s[42:43]
	v_cndmask_b32_e32 v5, v5, v38, vcc
	v_add_f32_e32 v5, v11, v5
	v_cvt_f16_f32_e32 v5, v5
	s_branch .LBB438_47
.LBB438_56:                             ;   in Loop: Header=BB438_37 Depth=2
	s_or_b64 exec, exec, s[26:27]
	s_and_saveexec_b64 s[26:27], s[4:5]
	s_cbranch_execz .LBB438_36
; %bb.57:                               ;   in Loop: Header=BB438_37 Depth=2
	v_cmp_gt_u64_e32 vcc, s[12:13], v[8:9]
	s_and_saveexec_b64 s[28:29], vcc
	s_cbranch_execz .LBB438_59
; %bb.58:                               ;   in Loop: Header=BB438_37 Depth=2
	ds_read_u16 v5, v14
	v_lshlrev_b64 v[8:9], 1, v[8:9]
	v_add_co_u32_e32 v8, vcc, v21, v8
	v_addc_co_u32_e32 v9, vcc, v22, v9, vcc
	s_waitcnt lgkmcnt(0)
	global_store_short v[8:9], v5, off
.LBB438_59:                             ;   in Loop: Header=BB438_37 Depth=2
	s_or_b64 exec, exec, s[28:29]
	v_cmp_gt_u64_e32 vcc, s[12:13], v[6:7]
	s_and_b64 exec, exec, vcc
	s_cbranch_execz .LBB438_36
; %bb.60:                               ;   in Loop: Header=BB438_37 Depth=2
	ds_read_u16 v5, v15
	v_lshlrev_b64 v[6:7], 1, v[6:7]
	v_add_co_u32_e32 v6, vcc, v21, v6
	v_addc_co_u32_e32 v7, vcc, v22, v7, vcc
	s_waitcnt lgkmcnt(0)
	global_store_short v[6:7], v5, off
	s_branch .LBB438_36
.LBB438_61:
	s_endpgm
	.section	.rodata,"a",@progbits
	.p2align	6, 0x0
	.amdhsa_kernel _ZN2at6native32tensor_kernel_scan_innermost_dimIN3c104HalfEZZZNS0_31launch_logcumsumexp_cuda_kernelERKNS_10TensorBaseES6_lENKUlvE_clEvENKUlvE3_clEvEUlS3_S3_E_EEvPT_PKSA_jjjSA_T0_
		.amdhsa_group_segment_fixed_size 0
		.amdhsa_private_segment_fixed_size 0
		.amdhsa_kernarg_size 288
		.amdhsa_user_sgpr_count 6
		.amdhsa_user_sgpr_private_segment_buffer 1
		.amdhsa_user_sgpr_dispatch_ptr 0
		.amdhsa_user_sgpr_queue_ptr 0
		.amdhsa_user_sgpr_kernarg_segment_ptr 1
		.amdhsa_user_sgpr_dispatch_id 0
		.amdhsa_user_sgpr_flat_scratch_init 0
		.amdhsa_user_sgpr_kernarg_preload_length 0
		.amdhsa_user_sgpr_kernarg_preload_offset 0
		.amdhsa_user_sgpr_private_segment_size 0
		.amdhsa_uses_dynamic_stack 0
		.amdhsa_system_sgpr_private_segment_wavefront_offset 0
		.amdhsa_system_sgpr_workgroup_id_x 1
		.amdhsa_system_sgpr_workgroup_id_y 0
		.amdhsa_system_sgpr_workgroup_id_z 0
		.amdhsa_system_sgpr_workgroup_info 0
		.amdhsa_system_vgpr_workitem_id 1
		.amdhsa_next_free_vgpr 39
		.amdhsa_next_free_sgpr 44
		.amdhsa_accum_offset 40
		.amdhsa_reserve_vcc 1
		.amdhsa_reserve_flat_scratch 0
		.amdhsa_float_round_mode_32 0
		.amdhsa_float_round_mode_16_64 0
		.amdhsa_float_denorm_mode_32 3
		.amdhsa_float_denorm_mode_16_64 3
		.amdhsa_dx10_clamp 1
		.amdhsa_ieee_mode 1
		.amdhsa_fp16_overflow 0
		.amdhsa_tg_split 0
		.amdhsa_exception_fp_ieee_invalid_op 0
		.amdhsa_exception_fp_denorm_src 0
		.amdhsa_exception_fp_ieee_div_zero 0
		.amdhsa_exception_fp_ieee_overflow 0
		.amdhsa_exception_fp_ieee_underflow 0
		.amdhsa_exception_fp_ieee_inexact 0
		.amdhsa_exception_int_div_zero 0
	.end_amdhsa_kernel
	.section	.text._ZN2at6native32tensor_kernel_scan_innermost_dimIN3c104HalfEZZZNS0_31launch_logcumsumexp_cuda_kernelERKNS_10TensorBaseES6_lENKUlvE_clEvENKUlvE3_clEvEUlS3_S3_E_EEvPT_PKSA_jjjSA_T0_,"axG",@progbits,_ZN2at6native32tensor_kernel_scan_innermost_dimIN3c104HalfEZZZNS0_31launch_logcumsumexp_cuda_kernelERKNS_10TensorBaseES6_lENKUlvE_clEvENKUlvE3_clEvEUlS3_S3_E_EEvPT_PKSA_jjjSA_T0_,comdat
.Lfunc_end438:
	.size	_ZN2at6native32tensor_kernel_scan_innermost_dimIN3c104HalfEZZZNS0_31launch_logcumsumexp_cuda_kernelERKNS_10TensorBaseES6_lENKUlvE_clEvENKUlvE3_clEvEUlS3_S3_E_EEvPT_PKSA_jjjSA_T0_, .Lfunc_end438-_ZN2at6native32tensor_kernel_scan_innermost_dimIN3c104HalfEZZZNS0_31launch_logcumsumexp_cuda_kernelERKNS_10TensorBaseES6_lENKUlvE_clEvENKUlvE3_clEvEUlS3_S3_E_EEvPT_PKSA_jjjSA_T0_
                                        ; -- End function
	.section	.AMDGPU.csdata,"",@progbits
; Kernel info:
; codeLenInByte = 4956
; NumSgprs: 48
; NumVgprs: 39
; NumAgprs: 0
; TotalNumVgprs: 39
; ScratchSize: 0
; MemoryBound: 0
; FloatMode: 240
; IeeeMode: 1
; LDSByteSize: 0 bytes/workgroup (compile time only)
; SGPRBlocks: 5
; VGPRBlocks: 4
; NumSGPRsForWavesPerEU: 48
; NumVGPRsForWavesPerEU: 39
; AccumOffset: 40
; Occupancy: 8
; WaveLimiterHint : 0
; COMPUTE_PGM_RSRC2:SCRATCH_EN: 0
; COMPUTE_PGM_RSRC2:USER_SGPR: 6
; COMPUTE_PGM_RSRC2:TRAP_HANDLER: 0
; COMPUTE_PGM_RSRC2:TGID_X_EN: 1
; COMPUTE_PGM_RSRC2:TGID_Y_EN: 0
; COMPUTE_PGM_RSRC2:TGID_Z_EN: 0
; COMPUTE_PGM_RSRC2:TIDIG_COMP_CNT: 1
; COMPUTE_PGM_RSRC3_GFX90A:ACCUM_OFFSET: 9
; COMPUTE_PGM_RSRC3_GFX90A:TG_SPLIT: 0
	.section	.text._ZN2at6native28tensor_kernel_scan_outer_dimIN3c104HalfEjZZZNS0_31launch_logcumsumexp_cuda_kernelERKNS_10TensorBaseES6_lENKUlvE_clEvENKUlvE3_clEvEUlS3_S3_E_EEvPT_PKSA_jjjSA_T1_,"axG",@progbits,_ZN2at6native28tensor_kernel_scan_outer_dimIN3c104HalfEjZZZNS0_31launch_logcumsumexp_cuda_kernelERKNS_10TensorBaseES6_lENKUlvE_clEvENKUlvE3_clEvEUlS3_S3_E_EEvPT_PKSA_jjjSA_T1_,comdat
	.globl	_ZN2at6native28tensor_kernel_scan_outer_dimIN3c104HalfEjZZZNS0_31launch_logcumsumexp_cuda_kernelERKNS_10TensorBaseES6_lENKUlvE_clEvENKUlvE3_clEvEUlS3_S3_E_EEvPT_PKSA_jjjSA_T1_ ; -- Begin function _ZN2at6native28tensor_kernel_scan_outer_dimIN3c104HalfEjZZZNS0_31launch_logcumsumexp_cuda_kernelERKNS_10TensorBaseES6_lENKUlvE_clEvENKUlvE3_clEvEUlS3_S3_E_EEvPT_PKSA_jjjSA_T1_
	.p2align	8
	.type	_ZN2at6native28tensor_kernel_scan_outer_dimIN3c104HalfEjZZZNS0_31launch_logcumsumexp_cuda_kernelERKNS_10TensorBaseES6_lENKUlvE_clEvENKUlvE3_clEvEUlS3_S3_E_EEvPT_PKSA_jjjSA_T1_,@function
_ZN2at6native28tensor_kernel_scan_outer_dimIN3c104HalfEjZZZNS0_31launch_logcumsumexp_cuda_kernelERKNS_10TensorBaseES6_lENKUlvE_clEvENKUlvE3_clEvEUlS3_S3_E_EEvPT_PKSA_jjjSA_T1_: ; @_ZN2at6native28tensor_kernel_scan_outer_dimIN3c104HalfEjZZZNS0_31launch_logcumsumexp_cuda_kernelERKNS_10TensorBaseES6_lENKUlvE_clEvENKUlvE3_clEvEUlS3_S3_E_EEvPT_PKSA_jjjSA_T1_
; %bb.0:
	s_load_dwordx4 s[8:11], s[4:5], 0x10
	s_waitcnt lgkmcnt(0)
	s_cmp_ge_u32 s6, s8
	s_cbranch_scc1 .LBB439_11
; %bb.1:
	s_load_dword s0, s[4:5], 0x2c
	s_load_dwordx4 s[12:15], s[4:5], 0x0
	s_load_dword s28, s[4:5], 0x20
	s_add_u32 s4, s4, 32
	s_addc_u32 s5, s5, 0
	s_waitcnt lgkmcnt(0)
	s_and_b32 s29, s0, 0xffff
	s_cmp_lg_u32 s10, 0
	s_mul_i32 s2, s6, s10
	s_mul_i32 s7, s7, s29
	;; [unrolled: 1-line block ×3, first 2 shown]
	s_cselect_b64 s[2:3], -1, 0
	v_add_u32_e32 v6, s7, v0
	s_mov_b32 s17, 0
	s_mov_b32 s16, s9
	s_mul_i32 s7, s28, s10
	v_cndmask_b32_e64 v0, 0, 1, s[2:3]
	v_cmp_gt_u32_e64 s[0:1], s9, v6
	s_mul_i32 s7, s7, s9
	s_lshl_b64 s[18:19], s[16:17], 1
	v_cmp_ne_u32_e64 s[2:3], 1, v0
	v_mov_b32_e32 v1, 0
	s_movk_i32 s30, 0x1f8
	s_mov_b32 s31, 0x3fb8aa3b
	s_mov_b32 s33, 0xc2ce8ed0
	;; [unrolled: 1-line block ×5, first 2 shown]
	v_mov_b32_e32 v7, 0x3f2aaada
	s_mov_b32 s37, 0x3f317218
	s_mov_b32 s38, 0x33800000
	v_mov_b32_e32 v8, 0x7f800000
	v_mov_b32_e32 v2, 0x3f317218
	s_mov_b32 s16, s20
	s_branch .LBB439_3
.LBB439_2:                              ;   in Loop: Header=BB439_3 Depth=1
	s_or_b64 exec, exec, s[20:21]
	s_add_i32 s6, s28, s6
	s_add_i32 s16, s16, s7
	s_cmp_ge_u32 s6, s8
	s_cbranch_scc1 .LBB439_11
.LBB439_3:                              ; =>This Loop Header: Depth=1
                                        ;     Child Loop BB439_6 Depth 2
                                        ;       Child Loop BB439_9 Depth 3
	s_and_saveexec_b64 s[20:21], s[0:1]
	s_cbranch_execz .LBB439_2
; %bb.4:                                ;   in Loop: Header=BB439_3 Depth=1
	s_load_dword s39, s[4:5], 0x4
	s_lshl_b64 s[22:23], s[16:17], 1
	s_mov_b64 s[24:25], 0
	v_mov_b32_e32 v0, v6
	s_waitcnt lgkmcnt(0)
	s_mul_i32 s39, s39, s29
	s_branch .LBB439_6
.LBB439_5:                              ;   in Loop: Header=BB439_6 Depth=2
	v_add_u32_e32 v0, s39, v0
	v_cmp_le_u32_e32 vcc, s9, v0
	s_or_b64 s[24:25], vcc, s[24:25]
	s_andn2_b64 exec, exec, s[24:25]
	s_cbranch_execz .LBB439_2
.LBB439_6:                              ;   Parent Loop BB439_3 Depth=1
                                        ; =>  This Loop Header: Depth=2
                                        ;       Child Loop BB439_9 Depth 3
	s_and_b64 vcc, exec, s[2:3]
	s_cbranch_vccnz .LBB439_5
; %bb.7:                                ;   in Loop: Header=BB439_6 Depth=2
	v_lshlrev_b64 v[4:5], 1, v[0:1]
	v_mov_b32_e32 v3, s23
	v_add_co_u32_e32 v4, vcc, s22, v4
	v_addc_co_u32_e32 v5, vcc, v3, v5, vcc
	v_mov_b32_e32 v3, s11
	s_mov_b32 s40, s10
	s_branch .LBB439_9
.LBB439_8:                              ;   in Loop: Header=BB439_9 Depth=3
	s_or_b64 exec, exec, s[26:27]
	v_mov_b32_e32 v9, s13
	v_add_co_u32_e32 v10, vcc, s12, v4
	v_addc_co_u32_e32 v11, vcc, v9, v5, vcc
	s_add_i32 s40, s40, -1
	v_mov_b32_e32 v9, s19
	v_add_co_u32_e32 v4, vcc, s18, v4
	s_cmp_eq_u32 s40, 0
	v_addc_co_u32_e32 v5, vcc, v5, v9, vcc
	global_store_short v[10:11], v3, off
	s_cbranch_scc1 .LBB439_5
.LBB439_9:                              ;   Parent Loop BB439_3 Depth=1
                                        ;     Parent Loop BB439_6 Depth=2
                                        ; =>    This Inner Loop Header: Depth=3
	v_mov_b32_e32 v9, s15
	v_add_co_u32_e32 v10, vcc, s14, v4
	v_addc_co_u32_e32 v11, vcc, v9, v5, vcc
	global_load_ushort v9, v[10:11], off
	v_cvt_f32_f16_e32 v10, v3
	v_cmp_u_f16_e32 vcc, v3, v3
	s_waitcnt vmcnt(0)
	v_cvt_f32_f16_e32 v11, v9
	v_min_f32_e32 v12, v10, v11
	v_max_f32_e32 v13, v10, v11
	v_cndmask_b32_e32 v12, v12, v10, vcc
	v_cndmask_b32_e32 v13, v13, v10, vcc
	v_cmp_u_f16_e32 vcc, v9, v9
	v_cndmask_b32_e32 v10, v12, v11, vcc
	v_cndmask_b32_e32 v9, v13, v11, vcc
	v_cmp_neq_f32_e32 vcc, v10, v9
	v_cmp_class_f32_e64 s[26:27], v10, s30
	s_or_b64 s[42:43], vcc, s[26:27]
	s_and_saveexec_b64 s[26:27], s[42:43]
	s_cbranch_execz .LBB439_8
; %bb.10:                               ;   in Loop: Header=BB439_9 Depth=3
	v_sub_f32_e32 v3, v10, v9
	v_mul_f32_e32 v10, 0x3fb8aa3b, v3
	v_fma_f32 v11, v3, s31, -v10
	v_rndne_f32_e32 v12, v10
	v_fmac_f32_e32 v11, 0x32a5705f, v3
	v_sub_f32_e32 v10, v10, v12
	v_add_f32_e32 v10, v10, v11
	v_cvt_i32_f32_e32 v11, v12
	v_exp_f32_e32 v10, v10
	v_cmp_ngt_f32_e32 vcc, s33, v3
	v_ldexp_f32 v10, v10, v11
	v_cndmask_b32_e32 v10, 0, v10, vcc
	v_cmp_nlt_f32_e32 vcc, s34, v3
	v_cndmask_b32_e32 v26, v8, v10, vcc
	v_add_f32_e32 v3, 1.0, v26
	v_add_f32_e32 v10, -1.0, v3
	v_sub_f32_e32 v11, v10, v3
	v_add_f32_e32 v11, 1.0, v11
	v_sub_f32_e32 v10, v26, v10
	v_add_f32_e32 v12, v10, v11
	v_frexp_mant_f32_e32 v13, v3
	v_cvt_f64_f32_e32 v[10:11], v3
	v_frexp_exp_i32_f64_e32 v10, v[10:11]
	v_cmp_gt_f32_e32 vcc, s36, v13
	v_subbrev_co_u32_e32 v18, vcc, 0, v10, vcc
	v_sub_u32_e32 v10, 0, v18
	v_ldexp_f32 v3, v3, v10
	v_ldexp_f32 v10, v12, v10
	v_add_f32_e32 v12, -1.0, v3
	v_add_f32_e32 v11, 1.0, v12
	v_sub_f32_e32 v11, v3, v11
	v_add_f32_e32 v13, v10, v11
	v_add_f32_e32 v11, 1.0, v3
	v_add_f32_e32 v14, -1.0, v11
	v_sub_f32_e32 v3, v3, v14
	v_add_f32_e32 v3, v10, v3
	v_add_f32_e32 v19, v11, v3
	v_rcp_f32_e32 v20, v19
	v_sub_f32_e32 v10, v11, v19
	v_add_f32_e32 v11, v12, v13
	v_add_f32_e32 v3, v3, v10
	v_mul_f32_e32 v22, v11, v20
	v_sub_f32_e32 v10, v12, v11
	v_mul_f32_e32 v12, v19, v22
	v_fma_f32 v14, v22, v19, -v12
	v_fmac_f32_e32 v14, v22, v3
	v_add_f32_e32 v21, v13, v10
	v_add_f32_e32 v10, v12, v14
	v_sub_f32_e32 v13, v11, v10
	v_pk_add_f32 v[16:17], v[10:11], v[12:13] neg_lo:[0,1] neg_hi:[0,1]
	v_mov_b32_e32 v15, v10
	v_pk_add_f32 v[10:11], v[16:17], v[14:15] neg_lo:[0,1] neg_hi:[0,1]
	v_add_f32_e32 v11, v21, v11
	v_add_f32_e32 v10, v10, v11
	;; [unrolled: 1-line block ×3, first 2 shown]
	v_mul_f32_e32 v21, v20, v11
	v_mul_f32_e32 v12, v19, v21
	v_fma_f32 v14, v21, v19, -v12
	v_fmac_f32_e32 v14, v21, v3
	v_sub_f32_e32 v3, v13, v11
	v_add_f32_e32 v3, v10, v3
	v_add_f32_e32 v10, v12, v14
	v_sub_f32_e32 v13, v11, v10
	v_pk_add_f32 v[16:17], v[10:11], v[12:13] neg_lo:[0,1] neg_hi:[0,1]
	v_mov_b32_e32 v15, v10
	v_pk_add_f32 v[10:11], v[16:17], v[14:15] neg_lo:[0,1] neg_hi:[0,1]
	v_add_f32_e32 v3, v3, v11
	v_add_f32_e32 v3, v10, v3
	;; [unrolled: 1-line block ×4, first 2 shown]
	v_sub_f32_e32 v10, v11, v22
	v_mul_f32_e32 v3, v20, v3
	v_sub_f32_e32 v10, v21, v10
	v_add_f32_e32 v12, v10, v3
	v_add_f32_e32 v14, v11, v12
	v_cvt_f32_i32_e32 v10, v18
	v_mul_f32_e32 v15, v14, v14
	v_mov_b32_e32 v3, 0x3ecc95a3
	v_sub_f32_e32 v11, v14, v11
	v_fmac_f32_e32 v3, 0x3e9b6dac, v15
	v_sub_f32_e32 v11, v12, v11
	v_fma_f32 v3, v15, v3, v7
	v_ldexp_f32 v16, v11, 1
	v_mul_f32_e32 v11, v14, v15
	v_ldexp_f32 v13, v14, 1
	v_pk_mul_f32 v[14:15], v[10:11], v[2:3]
	v_fma_f32 v12, v10, s37, -v14
	v_fmac_f32_e32 v12, 0xb102e308, v10
	v_pk_add_f32 v[10:11], v[14:15], v[12:13]
	v_sub_f32_e32 v3, v11, v13
	v_sub_f32_e32 v3, v15, v3
	v_add_f32_e32 v17, v16, v3
	v_mov_b32_e32 v16, v14
	v_pk_add_f32 v[14:15], v[10:11], v[14:15] neg_lo:[0,1] neg_hi:[0,1]
	v_pk_add_f32 v[18:19], v[10:11], v[16:17]
	v_mov_b32_e32 v15, v19
	v_mov_b32_e32 v13, v10
	v_pk_add_f32 v[20:21], v[12:13], v[14:15] neg_lo:[0,1] neg_hi:[0,1]
	v_pk_add_f32 v[12:13], v[12:13], v[14:15]
	v_mov_b32_e32 v14, v13
	v_pk_add_f32 v[22:23], v[14:15], v[10:11] neg_lo:[0,1] neg_hi:[0,1]
	v_mov_b32_e32 v3, v22
	v_pk_add_f32 v[24:25], v[18:19], v[2:3] neg_lo:[0,1] neg_hi:[0,1]
	v_mov_b32_e32 v12, v19
	v_mov_b32_e32 v18, v11
	;; [unrolled: 1-line block ×4, first 2 shown]
	v_pk_add_f32 v[12:13], v[12:13], v[18:19] neg_lo:[0,1] neg_hi:[0,1]
	v_mov_b32_e32 v16, v17
	v_mov_b32_e32 v17, v10
	v_pk_add_f32 v[10:11], v[16:17], v[12:13] neg_lo:[0,1] neg_hi:[0,1]
	v_mov_b32_e32 v24, v20
	v_pk_add_f32 v[12:13], v[24:25], v[10:11]
	v_mov_b32_e32 v16, v13
	v_pk_add_f32 v[16:17], v[12:13], v[16:17]
	v_pk_add_f32 v[14:15], v[14:15], v[16:17]
	v_mov_b32_e32 v13, v14
	v_pk_add_f32 v[18:19], v[12:13], v[20:21] neg_lo:[0,1] neg_hi:[0,1]
	v_mov_b32_e32 v11, v16
	v_sub_f32_e32 v3, v12, v18
	v_pk_add_f32 v[10:11], v[10:11], v[18:19] neg_lo:[0,1] neg_hi:[0,1]
	v_sub_f32_e32 v3, v20, v3
	v_add_f32_e32 v3, v10, v3
	v_add_f32_e32 v3, v3, v11
	v_cmp_eq_f32_e32 vcc, s35, v26
	v_cmp_lt_f32_e64 s[42:43], |v26|, s38
	v_add_f32_e32 v3, v14, v3
	s_or_b64 vcc, vcc, s[42:43]
	v_cndmask_b32_e32 v3, v3, v26, vcc
	v_add_f32_e32 v3, v9, v3
	v_cvt_f16_f32_e32 v3, v3
	s_branch .LBB439_8
.LBB439_11:
	s_endpgm
	.section	.rodata,"a",@progbits
	.p2align	6, 0x0
	.amdhsa_kernel _ZN2at6native28tensor_kernel_scan_outer_dimIN3c104HalfEjZZZNS0_31launch_logcumsumexp_cuda_kernelERKNS_10TensorBaseES6_lENKUlvE_clEvENKUlvE3_clEvEUlS3_S3_E_EEvPT_PKSA_jjjSA_T1_
		.amdhsa_group_segment_fixed_size 0
		.amdhsa_private_segment_fixed_size 0
		.amdhsa_kernarg_size 288
		.amdhsa_user_sgpr_count 6
		.amdhsa_user_sgpr_private_segment_buffer 1
		.amdhsa_user_sgpr_dispatch_ptr 0
		.amdhsa_user_sgpr_queue_ptr 0
		.amdhsa_user_sgpr_kernarg_segment_ptr 1
		.amdhsa_user_sgpr_dispatch_id 0
		.amdhsa_user_sgpr_flat_scratch_init 0
		.amdhsa_user_sgpr_kernarg_preload_length 0
		.amdhsa_user_sgpr_kernarg_preload_offset 0
		.amdhsa_user_sgpr_private_segment_size 0
		.amdhsa_uses_dynamic_stack 0
		.amdhsa_system_sgpr_private_segment_wavefront_offset 0
		.amdhsa_system_sgpr_workgroup_id_x 1
		.amdhsa_system_sgpr_workgroup_id_y 1
		.amdhsa_system_sgpr_workgroup_id_z 0
		.amdhsa_system_sgpr_workgroup_info 0
		.amdhsa_system_vgpr_workitem_id 0
		.amdhsa_next_free_vgpr 27
		.amdhsa_next_free_sgpr 44
		.amdhsa_accum_offset 28
		.amdhsa_reserve_vcc 1
		.amdhsa_reserve_flat_scratch 0
		.amdhsa_float_round_mode_32 0
		.amdhsa_float_round_mode_16_64 0
		.amdhsa_float_denorm_mode_32 3
		.amdhsa_float_denorm_mode_16_64 3
		.amdhsa_dx10_clamp 1
		.amdhsa_ieee_mode 1
		.amdhsa_fp16_overflow 0
		.amdhsa_tg_split 0
		.amdhsa_exception_fp_ieee_invalid_op 0
		.amdhsa_exception_fp_denorm_src 0
		.amdhsa_exception_fp_ieee_div_zero 0
		.amdhsa_exception_fp_ieee_overflow 0
		.amdhsa_exception_fp_ieee_underflow 0
		.amdhsa_exception_fp_ieee_inexact 0
		.amdhsa_exception_int_div_zero 0
	.end_amdhsa_kernel
	.section	.text._ZN2at6native28tensor_kernel_scan_outer_dimIN3c104HalfEjZZZNS0_31launch_logcumsumexp_cuda_kernelERKNS_10TensorBaseES6_lENKUlvE_clEvENKUlvE3_clEvEUlS3_S3_E_EEvPT_PKSA_jjjSA_T1_,"axG",@progbits,_ZN2at6native28tensor_kernel_scan_outer_dimIN3c104HalfEjZZZNS0_31launch_logcumsumexp_cuda_kernelERKNS_10TensorBaseES6_lENKUlvE_clEvENKUlvE3_clEvEUlS3_S3_E_EEvPT_PKSA_jjjSA_T1_,comdat
.Lfunc_end439:
	.size	_ZN2at6native28tensor_kernel_scan_outer_dimIN3c104HalfEjZZZNS0_31launch_logcumsumexp_cuda_kernelERKNS_10TensorBaseES6_lENKUlvE_clEvENKUlvE3_clEvEUlS3_S3_E_EEvPT_PKSA_jjjSA_T1_, .Lfunc_end439-_ZN2at6native28tensor_kernel_scan_outer_dimIN3c104HalfEjZZZNS0_31launch_logcumsumexp_cuda_kernelERKNS_10TensorBaseES6_lENKUlvE_clEvENKUlvE3_clEvEUlS3_S3_E_EEvPT_PKSA_jjjSA_T1_
                                        ; -- End function
	.section	.AMDGPU.csdata,"",@progbits
; Kernel info:
; codeLenInByte = 1156
; NumSgprs: 48
; NumVgprs: 27
; NumAgprs: 0
; TotalNumVgprs: 27
; ScratchSize: 0
; MemoryBound: 0
; FloatMode: 240
; IeeeMode: 1
; LDSByteSize: 0 bytes/workgroup (compile time only)
; SGPRBlocks: 5
; VGPRBlocks: 3
; NumSGPRsForWavesPerEU: 48
; NumVGPRsForWavesPerEU: 27
; AccumOffset: 28
; Occupancy: 8
; WaveLimiterHint : 0
; COMPUTE_PGM_RSRC2:SCRATCH_EN: 0
; COMPUTE_PGM_RSRC2:USER_SGPR: 6
; COMPUTE_PGM_RSRC2:TRAP_HANDLER: 0
; COMPUTE_PGM_RSRC2:TGID_X_EN: 1
; COMPUTE_PGM_RSRC2:TGID_Y_EN: 1
; COMPUTE_PGM_RSRC2:TGID_Z_EN: 0
; COMPUTE_PGM_RSRC2:TIDIG_COMP_CNT: 0
; COMPUTE_PGM_RSRC3_GFX90A:ACCUM_OFFSET: 6
; COMPUTE_PGM_RSRC3_GFX90A:TG_SPLIT: 0
	.section	.text._ZN2at6native28tensor_kernel_scan_outer_dimIN3c104HalfEmZZZNS0_31launch_logcumsumexp_cuda_kernelERKNS_10TensorBaseES6_lENKUlvE_clEvENKUlvE3_clEvEUlS3_S3_E_EEvPT_PKSA_jjjSA_T1_,"axG",@progbits,_ZN2at6native28tensor_kernel_scan_outer_dimIN3c104HalfEmZZZNS0_31launch_logcumsumexp_cuda_kernelERKNS_10TensorBaseES6_lENKUlvE_clEvENKUlvE3_clEvEUlS3_S3_E_EEvPT_PKSA_jjjSA_T1_,comdat
	.globl	_ZN2at6native28tensor_kernel_scan_outer_dimIN3c104HalfEmZZZNS0_31launch_logcumsumexp_cuda_kernelERKNS_10TensorBaseES6_lENKUlvE_clEvENKUlvE3_clEvEUlS3_S3_E_EEvPT_PKSA_jjjSA_T1_ ; -- Begin function _ZN2at6native28tensor_kernel_scan_outer_dimIN3c104HalfEmZZZNS0_31launch_logcumsumexp_cuda_kernelERKNS_10TensorBaseES6_lENKUlvE_clEvENKUlvE3_clEvEUlS3_S3_E_EEvPT_PKSA_jjjSA_T1_
	.p2align	8
	.type	_ZN2at6native28tensor_kernel_scan_outer_dimIN3c104HalfEmZZZNS0_31launch_logcumsumexp_cuda_kernelERKNS_10TensorBaseES6_lENKUlvE_clEvENKUlvE3_clEvEUlS3_S3_E_EEvPT_PKSA_jjjSA_T1_,@function
_ZN2at6native28tensor_kernel_scan_outer_dimIN3c104HalfEmZZZNS0_31launch_logcumsumexp_cuda_kernelERKNS_10TensorBaseES6_lENKUlvE_clEvENKUlvE3_clEvEUlS3_S3_E_EEvPT_PKSA_jjjSA_T1_: ; @_ZN2at6native28tensor_kernel_scan_outer_dimIN3c104HalfEmZZZNS0_31launch_logcumsumexp_cuda_kernelERKNS_10TensorBaseES6_lENKUlvE_clEvENKUlvE3_clEvEUlS3_S3_E_EEvPT_PKSA_jjjSA_T1_
; %bb.0:
	s_load_dwordx4 s[8:11], s[4:5], 0x10
	s_waitcnt lgkmcnt(0)
	s_cmp_ge_u32 s6, s8
	s_cbranch_scc1 .LBB440_11
; %bb.1:
	s_load_dword s0, s[4:5], 0x2c
	s_load_dwordx4 s[12:15], s[4:5], 0x0
	s_load_dword s26, s[4:5], 0x20
	s_add_u32 s4, s4, 32
	s_addc_u32 s5, s5, 0
	s_waitcnt lgkmcnt(0)
	s_and_b32 s27, s0, 0xffff
	s_cmp_lg_u32 s10, 0
	s_mul_i32 s7, s7, s27
	s_cselect_b64 s[20:21], -1, 0
	v_add_u32_e32 v6, s7, v0
	s_mov_b32 s3, 0
	s_mov_b32 s2, s9
	s_mul_hi_u32 s17, s10, s9
	s_mul_i32 s16, s10, s9
	v_cndmask_b32_e64 v0, 0, 1, s[20:21]
	v_cmp_gt_u32_e64 s[0:1], s9, v6
	s_lshl_b64 s[16:17], s[16:17], 1
	s_lshl_b64 s[18:19], s[2:3], 1
	v_cmp_ne_u32_e64 s[2:3], 1, v0
	v_mov_b32_e32 v1, 0
	s_movk_i32 s7, 0x1f8
	s_mov_b32 s28, 0x3fb8aa3b
	s_mov_b32 s29, 0xc2ce8ed0
	s_mov_b32 s30, 0x42b17218
	s_mov_b32 s31, 0x7f800000
	s_mov_b32 s33, 0x3f2aaaab
	v_mov_b32_e32 v7, 0x3f2aaada
	s_mov_b32 s34, 0x3f317218
	s_mov_b32 s35, 0x33800000
	v_mov_b32_e32 v8, 0x7f800000
	v_mov_b32_e32 v2, 0x3f317218
	s_branch .LBB440_3
.LBB440_2:                              ;   in Loop: Header=BB440_3 Depth=1
	s_or_b64 exec, exec, s[20:21]
	s_add_i32 s6, s6, s26
	s_cmp_ge_u32 s6, s8
	s_cbranch_scc1 .LBB440_11
.LBB440_3:                              ; =>This Loop Header: Depth=1
                                        ;     Child Loop BB440_6 Depth 2
                                        ;       Child Loop BB440_9 Depth 3
	s_and_saveexec_b64 s[20:21], s[0:1]
	s_cbranch_execz .LBB440_2
; %bb.4:                                ;   in Loop: Header=BB440_3 Depth=1
	s_load_dword s38, s[4:5], 0x4
	s_mul_i32 s22, s17, s6
	s_mul_hi_u32 s23, s16, s6
	s_mul_i32 s36, s16, s6
	s_add_i32 s37, s23, s22
	s_waitcnt lgkmcnt(0)
	s_mul_i32 s38, s38, s27
	s_mov_b64 s[22:23], 0
	v_mov_b32_e32 v0, v6
	s_branch .LBB440_6
.LBB440_5:                              ;   in Loop: Header=BB440_6 Depth=2
	v_add_u32_e32 v0, s38, v0
	v_cmp_le_u32_e32 vcc, s9, v0
	s_or_b64 s[22:23], vcc, s[22:23]
	s_andn2_b64 exec, exec, s[22:23]
	s_cbranch_execz .LBB440_2
.LBB440_6:                              ;   Parent Loop BB440_3 Depth=1
                                        ; =>  This Loop Header: Depth=2
                                        ;       Child Loop BB440_9 Depth 3
	s_and_b64 vcc, exec, s[2:3]
	s_cbranch_vccnz .LBB440_5
; %bb.7:                                ;   in Loop: Header=BB440_6 Depth=2
	v_lshlrev_b64 v[4:5], 1, v[0:1]
	v_mov_b32_e32 v3, s37
	v_add_co_u32_e32 v4, vcc, s36, v4
	v_addc_co_u32_e32 v5, vcc, v3, v5, vcc
	v_mov_b32_e32 v3, s11
	s_mov_b32 s39, s10
	s_branch .LBB440_9
.LBB440_8:                              ;   in Loop: Header=BB440_9 Depth=3
	s_or_b64 exec, exec, s[24:25]
	v_mov_b32_e32 v9, s13
	v_add_co_u32_e32 v10, vcc, s12, v4
	v_addc_co_u32_e32 v11, vcc, v9, v5, vcc
	s_add_i32 s39, s39, -1
	v_mov_b32_e32 v9, s19
	v_add_co_u32_e32 v4, vcc, s18, v4
	s_cmp_eq_u32 s39, 0
	v_addc_co_u32_e32 v5, vcc, v5, v9, vcc
	global_store_short v[10:11], v3, off
	s_cbranch_scc1 .LBB440_5
.LBB440_9:                              ;   Parent Loop BB440_3 Depth=1
                                        ;     Parent Loop BB440_6 Depth=2
                                        ; =>    This Inner Loop Header: Depth=3
	v_mov_b32_e32 v9, s15
	v_add_co_u32_e32 v10, vcc, s14, v4
	v_addc_co_u32_e32 v11, vcc, v9, v5, vcc
	global_load_ushort v9, v[10:11], off
	v_cvt_f32_f16_e32 v10, v3
	v_cmp_u_f16_e32 vcc, v3, v3
	s_waitcnt vmcnt(0)
	v_cvt_f32_f16_e32 v11, v9
	v_min_f32_e32 v12, v10, v11
	v_max_f32_e32 v13, v10, v11
	v_cndmask_b32_e32 v12, v12, v10, vcc
	v_cndmask_b32_e32 v13, v13, v10, vcc
	v_cmp_u_f16_e32 vcc, v9, v9
	v_cndmask_b32_e32 v10, v12, v11, vcc
	v_cndmask_b32_e32 v9, v13, v11, vcc
	v_cmp_neq_f32_e32 vcc, v10, v9
	v_cmp_class_f32_e64 s[24:25], v10, s7
	s_or_b64 s[40:41], vcc, s[24:25]
	s_and_saveexec_b64 s[24:25], s[40:41]
	s_cbranch_execz .LBB440_8
; %bb.10:                               ;   in Loop: Header=BB440_9 Depth=3
	v_sub_f32_e32 v3, v10, v9
	v_mul_f32_e32 v10, 0x3fb8aa3b, v3
	v_fma_f32 v11, v3, s28, -v10
	v_rndne_f32_e32 v12, v10
	v_fmac_f32_e32 v11, 0x32a5705f, v3
	v_sub_f32_e32 v10, v10, v12
	v_add_f32_e32 v10, v10, v11
	v_cvt_i32_f32_e32 v11, v12
	v_exp_f32_e32 v10, v10
	v_cmp_ngt_f32_e32 vcc, s29, v3
	v_ldexp_f32 v10, v10, v11
	v_cndmask_b32_e32 v10, 0, v10, vcc
	v_cmp_nlt_f32_e32 vcc, s30, v3
	v_cndmask_b32_e32 v26, v8, v10, vcc
	v_add_f32_e32 v3, 1.0, v26
	v_add_f32_e32 v10, -1.0, v3
	v_sub_f32_e32 v11, v10, v3
	v_add_f32_e32 v11, 1.0, v11
	v_sub_f32_e32 v10, v26, v10
	v_add_f32_e32 v12, v10, v11
	v_frexp_mant_f32_e32 v13, v3
	v_cvt_f64_f32_e32 v[10:11], v3
	v_frexp_exp_i32_f64_e32 v10, v[10:11]
	v_cmp_gt_f32_e32 vcc, s33, v13
	v_subbrev_co_u32_e32 v18, vcc, 0, v10, vcc
	v_sub_u32_e32 v10, 0, v18
	v_ldexp_f32 v3, v3, v10
	v_ldexp_f32 v10, v12, v10
	v_add_f32_e32 v12, -1.0, v3
	v_add_f32_e32 v11, 1.0, v12
	v_sub_f32_e32 v11, v3, v11
	v_add_f32_e32 v13, v10, v11
	v_add_f32_e32 v11, 1.0, v3
	v_add_f32_e32 v14, -1.0, v11
	v_sub_f32_e32 v3, v3, v14
	v_add_f32_e32 v3, v10, v3
	v_add_f32_e32 v19, v11, v3
	v_rcp_f32_e32 v20, v19
	v_sub_f32_e32 v10, v11, v19
	v_add_f32_e32 v11, v12, v13
	v_add_f32_e32 v3, v3, v10
	v_mul_f32_e32 v22, v11, v20
	v_sub_f32_e32 v10, v12, v11
	v_mul_f32_e32 v12, v19, v22
	v_fma_f32 v14, v22, v19, -v12
	v_fmac_f32_e32 v14, v22, v3
	v_add_f32_e32 v21, v13, v10
	v_add_f32_e32 v10, v12, v14
	v_sub_f32_e32 v13, v11, v10
	v_pk_add_f32 v[16:17], v[10:11], v[12:13] neg_lo:[0,1] neg_hi:[0,1]
	v_mov_b32_e32 v15, v10
	v_pk_add_f32 v[10:11], v[16:17], v[14:15] neg_lo:[0,1] neg_hi:[0,1]
	v_add_f32_e32 v11, v21, v11
	v_add_f32_e32 v10, v10, v11
	;; [unrolled: 1-line block ×3, first 2 shown]
	v_mul_f32_e32 v21, v20, v11
	v_mul_f32_e32 v12, v19, v21
	v_fma_f32 v14, v21, v19, -v12
	v_fmac_f32_e32 v14, v21, v3
	v_sub_f32_e32 v3, v13, v11
	v_add_f32_e32 v3, v10, v3
	v_add_f32_e32 v10, v12, v14
	v_sub_f32_e32 v13, v11, v10
	v_pk_add_f32 v[16:17], v[10:11], v[12:13] neg_lo:[0,1] neg_hi:[0,1]
	v_mov_b32_e32 v15, v10
	v_pk_add_f32 v[10:11], v[16:17], v[14:15] neg_lo:[0,1] neg_hi:[0,1]
	v_add_f32_e32 v3, v3, v11
	v_add_f32_e32 v3, v10, v3
	;; [unrolled: 1-line block ×4, first 2 shown]
	v_sub_f32_e32 v10, v11, v22
	v_mul_f32_e32 v3, v20, v3
	v_sub_f32_e32 v10, v21, v10
	v_add_f32_e32 v12, v10, v3
	v_add_f32_e32 v14, v11, v12
	v_cvt_f32_i32_e32 v10, v18
	v_mul_f32_e32 v15, v14, v14
	v_mov_b32_e32 v3, 0x3ecc95a3
	v_sub_f32_e32 v11, v14, v11
	v_fmac_f32_e32 v3, 0x3e9b6dac, v15
	v_sub_f32_e32 v11, v12, v11
	v_fma_f32 v3, v15, v3, v7
	v_ldexp_f32 v16, v11, 1
	v_mul_f32_e32 v11, v14, v15
	v_ldexp_f32 v13, v14, 1
	v_pk_mul_f32 v[14:15], v[10:11], v[2:3]
	v_fma_f32 v12, v10, s34, -v14
	v_fmac_f32_e32 v12, 0xb102e308, v10
	v_pk_add_f32 v[10:11], v[14:15], v[12:13]
	v_sub_f32_e32 v3, v11, v13
	v_sub_f32_e32 v3, v15, v3
	v_add_f32_e32 v17, v16, v3
	v_mov_b32_e32 v16, v14
	v_pk_add_f32 v[14:15], v[10:11], v[14:15] neg_lo:[0,1] neg_hi:[0,1]
	v_pk_add_f32 v[18:19], v[10:11], v[16:17]
	v_mov_b32_e32 v15, v19
	v_mov_b32_e32 v13, v10
	v_pk_add_f32 v[20:21], v[12:13], v[14:15] neg_lo:[0,1] neg_hi:[0,1]
	v_pk_add_f32 v[12:13], v[12:13], v[14:15]
	v_mov_b32_e32 v14, v13
	v_pk_add_f32 v[22:23], v[14:15], v[10:11] neg_lo:[0,1] neg_hi:[0,1]
	v_mov_b32_e32 v3, v22
	v_pk_add_f32 v[24:25], v[18:19], v[2:3] neg_lo:[0,1] neg_hi:[0,1]
	v_mov_b32_e32 v12, v19
	v_mov_b32_e32 v18, v11
	;; [unrolled: 1-line block ×4, first 2 shown]
	v_pk_add_f32 v[12:13], v[12:13], v[18:19] neg_lo:[0,1] neg_hi:[0,1]
	v_mov_b32_e32 v16, v17
	v_mov_b32_e32 v17, v10
	v_pk_add_f32 v[10:11], v[16:17], v[12:13] neg_lo:[0,1] neg_hi:[0,1]
	v_mov_b32_e32 v24, v20
	v_pk_add_f32 v[12:13], v[24:25], v[10:11]
	v_mov_b32_e32 v16, v13
	v_pk_add_f32 v[16:17], v[12:13], v[16:17]
	v_pk_add_f32 v[14:15], v[14:15], v[16:17]
	v_mov_b32_e32 v13, v14
	v_pk_add_f32 v[18:19], v[12:13], v[20:21] neg_lo:[0,1] neg_hi:[0,1]
	v_mov_b32_e32 v11, v16
	v_sub_f32_e32 v3, v12, v18
	v_pk_add_f32 v[10:11], v[10:11], v[18:19] neg_lo:[0,1] neg_hi:[0,1]
	v_sub_f32_e32 v3, v20, v3
	v_add_f32_e32 v3, v10, v3
	v_add_f32_e32 v3, v3, v11
	v_cmp_eq_f32_e32 vcc, s31, v26
	v_cmp_lt_f32_e64 s[40:41], |v26|, s35
	v_add_f32_e32 v3, v14, v3
	s_or_b64 vcc, vcc, s[40:41]
	v_cndmask_b32_e32 v3, v3, v26, vcc
	v_add_f32_e32 v3, v9, v3
	v_cvt_f16_f32_e32 v3, v3
	s_branch .LBB440_8
.LBB440_11:
	s_endpgm
	.section	.rodata,"a",@progbits
	.p2align	6, 0x0
	.amdhsa_kernel _ZN2at6native28tensor_kernel_scan_outer_dimIN3c104HalfEmZZZNS0_31launch_logcumsumexp_cuda_kernelERKNS_10TensorBaseES6_lENKUlvE_clEvENKUlvE3_clEvEUlS3_S3_E_EEvPT_PKSA_jjjSA_T1_
		.amdhsa_group_segment_fixed_size 0
		.amdhsa_private_segment_fixed_size 0
		.amdhsa_kernarg_size 288
		.amdhsa_user_sgpr_count 6
		.amdhsa_user_sgpr_private_segment_buffer 1
		.amdhsa_user_sgpr_dispatch_ptr 0
		.amdhsa_user_sgpr_queue_ptr 0
		.amdhsa_user_sgpr_kernarg_segment_ptr 1
		.amdhsa_user_sgpr_dispatch_id 0
		.amdhsa_user_sgpr_flat_scratch_init 0
		.amdhsa_user_sgpr_kernarg_preload_length 0
		.amdhsa_user_sgpr_kernarg_preload_offset 0
		.amdhsa_user_sgpr_private_segment_size 0
		.amdhsa_uses_dynamic_stack 0
		.amdhsa_system_sgpr_private_segment_wavefront_offset 0
		.amdhsa_system_sgpr_workgroup_id_x 1
		.amdhsa_system_sgpr_workgroup_id_y 1
		.amdhsa_system_sgpr_workgroup_id_z 0
		.amdhsa_system_sgpr_workgroup_info 0
		.amdhsa_system_vgpr_workitem_id 0
		.amdhsa_next_free_vgpr 27
		.amdhsa_next_free_sgpr 42
		.amdhsa_accum_offset 28
		.amdhsa_reserve_vcc 1
		.amdhsa_reserve_flat_scratch 0
		.amdhsa_float_round_mode_32 0
		.amdhsa_float_round_mode_16_64 0
		.amdhsa_float_denorm_mode_32 3
		.amdhsa_float_denorm_mode_16_64 3
		.amdhsa_dx10_clamp 1
		.amdhsa_ieee_mode 1
		.amdhsa_fp16_overflow 0
		.amdhsa_tg_split 0
		.amdhsa_exception_fp_ieee_invalid_op 0
		.amdhsa_exception_fp_denorm_src 0
		.amdhsa_exception_fp_ieee_div_zero 0
		.amdhsa_exception_fp_ieee_overflow 0
		.amdhsa_exception_fp_ieee_underflow 0
		.amdhsa_exception_fp_ieee_inexact 0
		.amdhsa_exception_int_div_zero 0
	.end_amdhsa_kernel
	.section	.text._ZN2at6native28tensor_kernel_scan_outer_dimIN3c104HalfEmZZZNS0_31launch_logcumsumexp_cuda_kernelERKNS_10TensorBaseES6_lENKUlvE_clEvENKUlvE3_clEvEUlS3_S3_E_EEvPT_PKSA_jjjSA_T1_,"axG",@progbits,_ZN2at6native28tensor_kernel_scan_outer_dimIN3c104HalfEmZZZNS0_31launch_logcumsumexp_cuda_kernelERKNS_10TensorBaseES6_lENKUlvE_clEvENKUlvE3_clEvEUlS3_S3_E_EEvPT_PKSA_jjjSA_T1_,comdat
.Lfunc_end440:
	.size	_ZN2at6native28tensor_kernel_scan_outer_dimIN3c104HalfEmZZZNS0_31launch_logcumsumexp_cuda_kernelERKNS_10TensorBaseES6_lENKUlvE_clEvENKUlvE3_clEvEUlS3_S3_E_EEvPT_PKSA_jjjSA_T1_, .Lfunc_end440-_ZN2at6native28tensor_kernel_scan_outer_dimIN3c104HalfEmZZZNS0_31launch_logcumsumexp_cuda_kernelERKNS_10TensorBaseES6_lENKUlvE_clEvENKUlvE3_clEvEUlS3_S3_E_EEvPT_PKSA_jjjSA_T1_
                                        ; -- End function
	.section	.AMDGPU.csdata,"",@progbits
; Kernel info:
; codeLenInByte = 1156
; NumSgprs: 46
; NumVgprs: 27
; NumAgprs: 0
; TotalNumVgprs: 27
; ScratchSize: 0
; MemoryBound: 0
; FloatMode: 240
; IeeeMode: 1
; LDSByteSize: 0 bytes/workgroup (compile time only)
; SGPRBlocks: 5
; VGPRBlocks: 3
; NumSGPRsForWavesPerEU: 46
; NumVGPRsForWavesPerEU: 27
; AccumOffset: 28
; Occupancy: 8
; WaveLimiterHint : 0
; COMPUTE_PGM_RSRC2:SCRATCH_EN: 0
; COMPUTE_PGM_RSRC2:USER_SGPR: 6
; COMPUTE_PGM_RSRC2:TRAP_HANDLER: 0
; COMPUTE_PGM_RSRC2:TGID_X_EN: 1
; COMPUTE_PGM_RSRC2:TGID_Y_EN: 1
; COMPUTE_PGM_RSRC2:TGID_Z_EN: 0
; COMPUTE_PGM_RSRC2:TIDIG_COMP_CNT: 0
; COMPUTE_PGM_RSRC3_GFX90A:ACCUM_OFFSET: 6
; COMPUTE_PGM_RSRC3_GFX90A:TG_SPLIT: 0
	.section	.text._ZN7rocprim17ROCPRIM_400000_NS6detail31init_lookback_scan_state_kernelINS1_19lookback_scan_stateIN3c108BFloat16ELb0ELb1EEENS1_16block_id_wrapperIjLb0EEEEEvT_jT0_jPNS9_10value_typeE,"axG",@progbits,_ZN7rocprim17ROCPRIM_400000_NS6detail31init_lookback_scan_state_kernelINS1_19lookback_scan_stateIN3c108BFloat16ELb0ELb1EEENS1_16block_id_wrapperIjLb0EEEEEvT_jT0_jPNS9_10value_typeE,comdat
	.protected	_ZN7rocprim17ROCPRIM_400000_NS6detail31init_lookback_scan_state_kernelINS1_19lookback_scan_stateIN3c108BFloat16ELb0ELb1EEENS1_16block_id_wrapperIjLb0EEEEEvT_jT0_jPNS9_10value_typeE ; -- Begin function _ZN7rocprim17ROCPRIM_400000_NS6detail31init_lookback_scan_state_kernelINS1_19lookback_scan_stateIN3c108BFloat16ELb0ELb1EEENS1_16block_id_wrapperIjLb0EEEEEvT_jT0_jPNS9_10value_typeE
	.globl	_ZN7rocprim17ROCPRIM_400000_NS6detail31init_lookback_scan_state_kernelINS1_19lookback_scan_stateIN3c108BFloat16ELb0ELb1EEENS1_16block_id_wrapperIjLb0EEEEEvT_jT0_jPNS9_10value_typeE
	.p2align	8
	.type	_ZN7rocprim17ROCPRIM_400000_NS6detail31init_lookback_scan_state_kernelINS1_19lookback_scan_stateIN3c108BFloat16ELb0ELb1EEENS1_16block_id_wrapperIjLb0EEEEEvT_jT0_jPNS9_10value_typeE,@function
_ZN7rocprim17ROCPRIM_400000_NS6detail31init_lookback_scan_state_kernelINS1_19lookback_scan_stateIN3c108BFloat16ELb0ELb1EEENS1_16block_id_wrapperIjLb0EEEEEvT_jT0_jPNS9_10value_typeE: ; @_ZN7rocprim17ROCPRIM_400000_NS6detail31init_lookback_scan_state_kernelINS1_19lookback_scan_stateIN3c108BFloat16ELb0ELb1EEENS1_16block_id_wrapperIjLb0EEEEEvT_jT0_jPNS9_10value_typeE
; %bb.0:
	s_load_dword s7, s[4:5], 0x2c
	s_load_dwordx2 s[2:3], s[4:5], 0x18
	s_load_dwordx2 s[0:1], s[4:5], 0x0
	s_load_dword s8, s[4:5], 0x8
	s_waitcnt lgkmcnt(0)
	s_and_b32 s7, s7, 0xffff
	s_mul_i32 s6, s6, s7
	s_cmp_eq_u64 s[2:3], 0
	v_add_u32_e32 v0, s6, v0
	s_cbranch_scc1 .LBB441_6
; %bb.1:
	s_load_dword s6, s[4:5], 0x10
	s_mov_b32 s7, 0
	s_waitcnt lgkmcnt(0)
	s_cmp_lt_u32 s6, s8
	s_cselect_b32 s4, s6, 0
	v_cmp_eq_u32_e32 vcc, s4, v0
	s_and_saveexec_b64 s[4:5], vcc
	s_cbranch_execz .LBB441_5
; %bb.2:
	s_add_i32 s6, s6, 64
	s_lshl_b64 s[6:7], s[6:7], 2
	s_add_u32 s6, s0, s6
	s_addc_u32 s7, s1, s7
	v_mov_b32_e32 v2, 0
	global_load_dword v1, v2, s[6:7] glc
	s_waitcnt vmcnt(0)
	v_and_b32_e32 v3, 0xff0000, v1
	v_cmp_ne_u32_e32 vcc, 0, v3
	s_cbranch_vccnz .LBB441_4
.LBB441_3:                              ; =>This Inner Loop Header: Depth=1
	global_load_dword v1, v2, s[6:7] glc
	s_waitcnt vmcnt(0)
	v_and_b32_e32 v3, 0xff0000, v1
	v_cmp_eq_u32_e32 vcc, 0, v3
	s_cbranch_vccnz .LBB441_3
.LBB441_4:
	v_mov_b32_e32 v2, 0
	global_store_short v2, v1, s[2:3]
.LBB441_5:
	s_or_b64 exec, exec, s[4:5]
.LBB441_6:
	v_cmp_gt_u32_e32 vcc, s8, v0
	s_and_saveexec_b64 s[2:3], vcc
	s_cbranch_execnz .LBB441_9
; %bb.7:
	s_or_b64 exec, exec, s[2:3]
	v_cmp_gt_u32_e32 vcc, 64, v0
	s_and_saveexec_b64 s[2:3], vcc
	s_cbranch_execnz .LBB441_10
.LBB441_8:
	s_endpgm
.LBB441_9:
	v_add_u32_e32 v2, 64, v0
	v_mov_b32_e32 v3, 0
	v_lshlrev_b64 v[4:5], 2, v[2:3]
	v_mov_b32_e32 v1, s1
	v_add_co_u32_e32 v4, vcc, s0, v4
	v_addc_co_u32_e32 v5, vcc, v1, v5, vcc
	global_store_dword v[4:5], v3, off
	s_or_b64 exec, exec, s[2:3]
	v_cmp_gt_u32_e32 vcc, 64, v0
	s_and_saveexec_b64 s[2:3], vcc
	s_cbranch_execz .LBB441_8
.LBB441_10:
	v_mov_b32_e32 v1, 0
	v_lshlrev_b64 v[0:1], 2, v[0:1]
	v_mov_b32_e32 v2, s1
	v_add_co_u32_e32 v0, vcc, s0, v0
	v_addc_co_u32_e32 v1, vcc, v2, v1, vcc
	v_mov_b32_e32 v2, 0xff0000
	global_store_dword v[0:1], v2, off
	s_endpgm
	.section	.rodata,"a",@progbits
	.p2align	6, 0x0
	.amdhsa_kernel _ZN7rocprim17ROCPRIM_400000_NS6detail31init_lookback_scan_state_kernelINS1_19lookback_scan_stateIN3c108BFloat16ELb0ELb1EEENS1_16block_id_wrapperIjLb0EEEEEvT_jT0_jPNS9_10value_typeE
		.amdhsa_group_segment_fixed_size 0
		.amdhsa_private_segment_fixed_size 0
		.amdhsa_kernarg_size 288
		.amdhsa_user_sgpr_count 6
		.amdhsa_user_sgpr_private_segment_buffer 1
		.amdhsa_user_sgpr_dispatch_ptr 0
		.amdhsa_user_sgpr_queue_ptr 0
		.amdhsa_user_sgpr_kernarg_segment_ptr 1
		.amdhsa_user_sgpr_dispatch_id 0
		.amdhsa_user_sgpr_flat_scratch_init 0
		.amdhsa_user_sgpr_kernarg_preload_length 0
		.amdhsa_user_sgpr_kernarg_preload_offset 0
		.amdhsa_user_sgpr_private_segment_size 0
		.amdhsa_uses_dynamic_stack 0
		.amdhsa_system_sgpr_private_segment_wavefront_offset 0
		.amdhsa_system_sgpr_workgroup_id_x 1
		.amdhsa_system_sgpr_workgroup_id_y 0
		.amdhsa_system_sgpr_workgroup_id_z 0
		.amdhsa_system_sgpr_workgroup_info 0
		.amdhsa_system_vgpr_workitem_id 0
		.amdhsa_next_free_vgpr 6
		.amdhsa_next_free_sgpr 9
		.amdhsa_accum_offset 8
		.amdhsa_reserve_vcc 1
		.amdhsa_reserve_flat_scratch 0
		.amdhsa_float_round_mode_32 0
		.amdhsa_float_round_mode_16_64 0
		.amdhsa_float_denorm_mode_32 3
		.amdhsa_float_denorm_mode_16_64 3
		.amdhsa_dx10_clamp 1
		.amdhsa_ieee_mode 1
		.amdhsa_fp16_overflow 0
		.amdhsa_tg_split 0
		.amdhsa_exception_fp_ieee_invalid_op 0
		.amdhsa_exception_fp_denorm_src 0
		.amdhsa_exception_fp_ieee_div_zero 0
		.amdhsa_exception_fp_ieee_overflow 0
		.amdhsa_exception_fp_ieee_underflow 0
		.amdhsa_exception_fp_ieee_inexact 0
		.amdhsa_exception_int_div_zero 0
	.end_amdhsa_kernel
	.section	.text._ZN7rocprim17ROCPRIM_400000_NS6detail31init_lookback_scan_state_kernelINS1_19lookback_scan_stateIN3c108BFloat16ELb0ELb1EEENS1_16block_id_wrapperIjLb0EEEEEvT_jT0_jPNS9_10value_typeE,"axG",@progbits,_ZN7rocprim17ROCPRIM_400000_NS6detail31init_lookback_scan_state_kernelINS1_19lookback_scan_stateIN3c108BFloat16ELb0ELb1EEENS1_16block_id_wrapperIjLb0EEEEEvT_jT0_jPNS9_10value_typeE,comdat
.Lfunc_end441:
	.size	_ZN7rocprim17ROCPRIM_400000_NS6detail31init_lookback_scan_state_kernelINS1_19lookback_scan_stateIN3c108BFloat16ELb0ELb1EEENS1_16block_id_wrapperIjLb0EEEEEvT_jT0_jPNS9_10value_typeE, .Lfunc_end441-_ZN7rocprim17ROCPRIM_400000_NS6detail31init_lookback_scan_state_kernelINS1_19lookback_scan_stateIN3c108BFloat16ELb0ELb1EEENS1_16block_id_wrapperIjLb0EEEEEvT_jT0_jPNS9_10value_typeE
                                        ; -- End function
	.section	.AMDGPU.csdata,"",@progbits
; Kernel info:
; codeLenInByte = 316
; NumSgprs: 13
; NumVgprs: 6
; NumAgprs: 0
; TotalNumVgprs: 6
; ScratchSize: 0
; MemoryBound: 0
; FloatMode: 240
; IeeeMode: 1
; LDSByteSize: 0 bytes/workgroup (compile time only)
; SGPRBlocks: 1
; VGPRBlocks: 0
; NumSGPRsForWavesPerEU: 13
; NumVGPRsForWavesPerEU: 6
; AccumOffset: 8
; Occupancy: 8
; WaveLimiterHint : 0
; COMPUTE_PGM_RSRC2:SCRATCH_EN: 0
; COMPUTE_PGM_RSRC2:USER_SGPR: 6
; COMPUTE_PGM_RSRC2:TRAP_HANDLER: 0
; COMPUTE_PGM_RSRC2:TGID_X_EN: 1
; COMPUTE_PGM_RSRC2:TGID_Y_EN: 0
; COMPUTE_PGM_RSRC2:TGID_Z_EN: 0
; COMPUTE_PGM_RSRC2:TIDIG_COMP_CNT: 0
; COMPUTE_PGM_RSRC3_GFX90A:ACCUM_OFFSET: 1
; COMPUTE_PGM_RSRC3_GFX90A:TG_SPLIT: 0
	.section	.text._ZN7rocprim17ROCPRIM_400000_NS6detail17trampoline_kernelINS0_14default_configENS1_20scan_config_selectorIN3c108BFloat16EEEZZNS1_9scan_implILNS1_25lookback_scan_determinismE0ELb0ELb0ES3_PKS6_PS6_S6_ZZZN2at6native31launch_logcumsumexp_cuda_kernelERKNSD_10TensorBaseESH_lENKUlvE_clEvENKUlvE4_clEvEUlS6_S6_E_S6_EEDaPvRmT3_T4_T5_mT6_P12ihipStream_tbENKUlT_T0_E_clISt17integral_constantIbLb0EESY_EEDaST_SU_EUlST_E_NS1_11comp_targetILNS1_3genE0ELNS1_11target_archE4294967295ELNS1_3gpuE0ELNS1_3repE0EEENS1_30default_config_static_selectorELNS0_4arch9wavefront6targetE1EEEvT1_,"axG",@progbits,_ZN7rocprim17ROCPRIM_400000_NS6detail17trampoline_kernelINS0_14default_configENS1_20scan_config_selectorIN3c108BFloat16EEEZZNS1_9scan_implILNS1_25lookback_scan_determinismE0ELb0ELb0ES3_PKS6_PS6_S6_ZZZN2at6native31launch_logcumsumexp_cuda_kernelERKNSD_10TensorBaseESH_lENKUlvE_clEvENKUlvE4_clEvEUlS6_S6_E_S6_EEDaPvRmT3_T4_T5_mT6_P12ihipStream_tbENKUlT_T0_E_clISt17integral_constantIbLb0EESY_EEDaST_SU_EUlST_E_NS1_11comp_targetILNS1_3genE0ELNS1_11target_archE4294967295ELNS1_3gpuE0ELNS1_3repE0EEENS1_30default_config_static_selectorELNS0_4arch9wavefront6targetE1EEEvT1_,comdat
	.globl	_ZN7rocprim17ROCPRIM_400000_NS6detail17trampoline_kernelINS0_14default_configENS1_20scan_config_selectorIN3c108BFloat16EEEZZNS1_9scan_implILNS1_25lookback_scan_determinismE0ELb0ELb0ES3_PKS6_PS6_S6_ZZZN2at6native31launch_logcumsumexp_cuda_kernelERKNSD_10TensorBaseESH_lENKUlvE_clEvENKUlvE4_clEvEUlS6_S6_E_S6_EEDaPvRmT3_T4_T5_mT6_P12ihipStream_tbENKUlT_T0_E_clISt17integral_constantIbLb0EESY_EEDaST_SU_EUlST_E_NS1_11comp_targetILNS1_3genE0ELNS1_11target_archE4294967295ELNS1_3gpuE0ELNS1_3repE0EEENS1_30default_config_static_selectorELNS0_4arch9wavefront6targetE1EEEvT1_ ; -- Begin function _ZN7rocprim17ROCPRIM_400000_NS6detail17trampoline_kernelINS0_14default_configENS1_20scan_config_selectorIN3c108BFloat16EEEZZNS1_9scan_implILNS1_25lookback_scan_determinismE0ELb0ELb0ES3_PKS6_PS6_S6_ZZZN2at6native31launch_logcumsumexp_cuda_kernelERKNSD_10TensorBaseESH_lENKUlvE_clEvENKUlvE4_clEvEUlS6_S6_E_S6_EEDaPvRmT3_T4_T5_mT6_P12ihipStream_tbENKUlT_T0_E_clISt17integral_constantIbLb0EESY_EEDaST_SU_EUlST_E_NS1_11comp_targetILNS1_3genE0ELNS1_11target_archE4294967295ELNS1_3gpuE0ELNS1_3repE0EEENS1_30default_config_static_selectorELNS0_4arch9wavefront6targetE1EEEvT1_
	.p2align	8
	.type	_ZN7rocprim17ROCPRIM_400000_NS6detail17trampoline_kernelINS0_14default_configENS1_20scan_config_selectorIN3c108BFloat16EEEZZNS1_9scan_implILNS1_25lookback_scan_determinismE0ELb0ELb0ES3_PKS6_PS6_S6_ZZZN2at6native31launch_logcumsumexp_cuda_kernelERKNSD_10TensorBaseESH_lENKUlvE_clEvENKUlvE4_clEvEUlS6_S6_E_S6_EEDaPvRmT3_T4_T5_mT6_P12ihipStream_tbENKUlT_T0_E_clISt17integral_constantIbLb0EESY_EEDaST_SU_EUlST_E_NS1_11comp_targetILNS1_3genE0ELNS1_11target_archE4294967295ELNS1_3gpuE0ELNS1_3repE0EEENS1_30default_config_static_selectorELNS0_4arch9wavefront6targetE1EEEvT1_,@function
_ZN7rocprim17ROCPRIM_400000_NS6detail17trampoline_kernelINS0_14default_configENS1_20scan_config_selectorIN3c108BFloat16EEEZZNS1_9scan_implILNS1_25lookback_scan_determinismE0ELb0ELb0ES3_PKS6_PS6_S6_ZZZN2at6native31launch_logcumsumexp_cuda_kernelERKNSD_10TensorBaseESH_lENKUlvE_clEvENKUlvE4_clEvEUlS6_S6_E_S6_EEDaPvRmT3_T4_T5_mT6_P12ihipStream_tbENKUlT_T0_E_clISt17integral_constantIbLb0EESY_EEDaST_SU_EUlST_E_NS1_11comp_targetILNS1_3genE0ELNS1_11target_archE4294967295ELNS1_3gpuE0ELNS1_3repE0EEENS1_30default_config_static_selectorELNS0_4arch9wavefront6targetE1EEEvT1_: ; @_ZN7rocprim17ROCPRIM_400000_NS6detail17trampoline_kernelINS0_14default_configENS1_20scan_config_selectorIN3c108BFloat16EEEZZNS1_9scan_implILNS1_25lookback_scan_determinismE0ELb0ELb0ES3_PKS6_PS6_S6_ZZZN2at6native31launch_logcumsumexp_cuda_kernelERKNSD_10TensorBaseESH_lENKUlvE_clEvENKUlvE4_clEvEUlS6_S6_E_S6_EEDaPvRmT3_T4_T5_mT6_P12ihipStream_tbENKUlT_T0_E_clISt17integral_constantIbLb0EESY_EEDaST_SU_EUlST_E_NS1_11comp_targetILNS1_3genE0ELNS1_11target_archE4294967295ELNS1_3gpuE0ELNS1_3repE0EEENS1_30default_config_static_selectorELNS0_4arch9wavefront6targetE1EEEvT1_
; %bb.0:
	.section	.rodata,"a",@progbits
	.p2align	6, 0x0
	.amdhsa_kernel _ZN7rocprim17ROCPRIM_400000_NS6detail17trampoline_kernelINS0_14default_configENS1_20scan_config_selectorIN3c108BFloat16EEEZZNS1_9scan_implILNS1_25lookback_scan_determinismE0ELb0ELb0ES3_PKS6_PS6_S6_ZZZN2at6native31launch_logcumsumexp_cuda_kernelERKNSD_10TensorBaseESH_lENKUlvE_clEvENKUlvE4_clEvEUlS6_S6_E_S6_EEDaPvRmT3_T4_T5_mT6_P12ihipStream_tbENKUlT_T0_E_clISt17integral_constantIbLb0EESY_EEDaST_SU_EUlST_E_NS1_11comp_targetILNS1_3genE0ELNS1_11target_archE4294967295ELNS1_3gpuE0ELNS1_3repE0EEENS1_30default_config_static_selectorELNS0_4arch9wavefront6targetE1EEEvT1_
		.amdhsa_group_segment_fixed_size 0
		.amdhsa_private_segment_fixed_size 0
		.amdhsa_kernarg_size 96
		.amdhsa_user_sgpr_count 6
		.amdhsa_user_sgpr_private_segment_buffer 1
		.amdhsa_user_sgpr_dispatch_ptr 0
		.amdhsa_user_sgpr_queue_ptr 0
		.amdhsa_user_sgpr_kernarg_segment_ptr 1
		.amdhsa_user_sgpr_dispatch_id 0
		.amdhsa_user_sgpr_flat_scratch_init 0
		.amdhsa_user_sgpr_kernarg_preload_length 0
		.amdhsa_user_sgpr_kernarg_preload_offset 0
		.amdhsa_user_sgpr_private_segment_size 0
		.amdhsa_uses_dynamic_stack 0
		.amdhsa_system_sgpr_private_segment_wavefront_offset 0
		.amdhsa_system_sgpr_workgroup_id_x 1
		.amdhsa_system_sgpr_workgroup_id_y 0
		.amdhsa_system_sgpr_workgroup_id_z 0
		.amdhsa_system_sgpr_workgroup_info 0
		.amdhsa_system_vgpr_workitem_id 0
		.amdhsa_next_free_vgpr 1
		.amdhsa_next_free_sgpr 0
		.amdhsa_accum_offset 4
		.amdhsa_reserve_vcc 0
		.amdhsa_reserve_flat_scratch 0
		.amdhsa_float_round_mode_32 0
		.amdhsa_float_round_mode_16_64 0
		.amdhsa_float_denorm_mode_32 3
		.amdhsa_float_denorm_mode_16_64 3
		.amdhsa_dx10_clamp 1
		.amdhsa_ieee_mode 1
		.amdhsa_fp16_overflow 0
		.amdhsa_tg_split 0
		.amdhsa_exception_fp_ieee_invalid_op 0
		.amdhsa_exception_fp_denorm_src 0
		.amdhsa_exception_fp_ieee_div_zero 0
		.amdhsa_exception_fp_ieee_overflow 0
		.amdhsa_exception_fp_ieee_underflow 0
		.amdhsa_exception_fp_ieee_inexact 0
		.amdhsa_exception_int_div_zero 0
	.end_amdhsa_kernel
	.section	.text._ZN7rocprim17ROCPRIM_400000_NS6detail17trampoline_kernelINS0_14default_configENS1_20scan_config_selectorIN3c108BFloat16EEEZZNS1_9scan_implILNS1_25lookback_scan_determinismE0ELb0ELb0ES3_PKS6_PS6_S6_ZZZN2at6native31launch_logcumsumexp_cuda_kernelERKNSD_10TensorBaseESH_lENKUlvE_clEvENKUlvE4_clEvEUlS6_S6_E_S6_EEDaPvRmT3_T4_T5_mT6_P12ihipStream_tbENKUlT_T0_E_clISt17integral_constantIbLb0EESY_EEDaST_SU_EUlST_E_NS1_11comp_targetILNS1_3genE0ELNS1_11target_archE4294967295ELNS1_3gpuE0ELNS1_3repE0EEENS1_30default_config_static_selectorELNS0_4arch9wavefront6targetE1EEEvT1_,"axG",@progbits,_ZN7rocprim17ROCPRIM_400000_NS6detail17trampoline_kernelINS0_14default_configENS1_20scan_config_selectorIN3c108BFloat16EEEZZNS1_9scan_implILNS1_25lookback_scan_determinismE0ELb0ELb0ES3_PKS6_PS6_S6_ZZZN2at6native31launch_logcumsumexp_cuda_kernelERKNSD_10TensorBaseESH_lENKUlvE_clEvENKUlvE4_clEvEUlS6_S6_E_S6_EEDaPvRmT3_T4_T5_mT6_P12ihipStream_tbENKUlT_T0_E_clISt17integral_constantIbLb0EESY_EEDaST_SU_EUlST_E_NS1_11comp_targetILNS1_3genE0ELNS1_11target_archE4294967295ELNS1_3gpuE0ELNS1_3repE0EEENS1_30default_config_static_selectorELNS0_4arch9wavefront6targetE1EEEvT1_,comdat
.Lfunc_end442:
	.size	_ZN7rocprim17ROCPRIM_400000_NS6detail17trampoline_kernelINS0_14default_configENS1_20scan_config_selectorIN3c108BFloat16EEEZZNS1_9scan_implILNS1_25lookback_scan_determinismE0ELb0ELb0ES3_PKS6_PS6_S6_ZZZN2at6native31launch_logcumsumexp_cuda_kernelERKNSD_10TensorBaseESH_lENKUlvE_clEvENKUlvE4_clEvEUlS6_S6_E_S6_EEDaPvRmT3_T4_T5_mT6_P12ihipStream_tbENKUlT_T0_E_clISt17integral_constantIbLb0EESY_EEDaST_SU_EUlST_E_NS1_11comp_targetILNS1_3genE0ELNS1_11target_archE4294967295ELNS1_3gpuE0ELNS1_3repE0EEENS1_30default_config_static_selectorELNS0_4arch9wavefront6targetE1EEEvT1_, .Lfunc_end442-_ZN7rocprim17ROCPRIM_400000_NS6detail17trampoline_kernelINS0_14default_configENS1_20scan_config_selectorIN3c108BFloat16EEEZZNS1_9scan_implILNS1_25lookback_scan_determinismE0ELb0ELb0ES3_PKS6_PS6_S6_ZZZN2at6native31launch_logcumsumexp_cuda_kernelERKNSD_10TensorBaseESH_lENKUlvE_clEvENKUlvE4_clEvEUlS6_S6_E_S6_EEDaPvRmT3_T4_T5_mT6_P12ihipStream_tbENKUlT_T0_E_clISt17integral_constantIbLb0EESY_EEDaST_SU_EUlST_E_NS1_11comp_targetILNS1_3genE0ELNS1_11target_archE4294967295ELNS1_3gpuE0ELNS1_3repE0EEENS1_30default_config_static_selectorELNS0_4arch9wavefront6targetE1EEEvT1_
                                        ; -- End function
	.section	.AMDGPU.csdata,"",@progbits
; Kernel info:
; codeLenInByte = 0
; NumSgprs: 4
; NumVgprs: 0
; NumAgprs: 0
; TotalNumVgprs: 0
; ScratchSize: 0
; MemoryBound: 0
; FloatMode: 240
; IeeeMode: 1
; LDSByteSize: 0 bytes/workgroup (compile time only)
; SGPRBlocks: 0
; VGPRBlocks: 0
; NumSGPRsForWavesPerEU: 4
; NumVGPRsForWavesPerEU: 1
; AccumOffset: 4
; Occupancy: 8
; WaveLimiterHint : 0
; COMPUTE_PGM_RSRC2:SCRATCH_EN: 0
; COMPUTE_PGM_RSRC2:USER_SGPR: 6
; COMPUTE_PGM_RSRC2:TRAP_HANDLER: 0
; COMPUTE_PGM_RSRC2:TGID_X_EN: 1
; COMPUTE_PGM_RSRC2:TGID_Y_EN: 0
; COMPUTE_PGM_RSRC2:TGID_Z_EN: 0
; COMPUTE_PGM_RSRC2:TIDIG_COMP_CNT: 0
; COMPUTE_PGM_RSRC3_GFX90A:ACCUM_OFFSET: 0
; COMPUTE_PGM_RSRC3_GFX90A:TG_SPLIT: 0
	.section	.text._ZN7rocprim17ROCPRIM_400000_NS6detail17trampoline_kernelINS0_14default_configENS1_20scan_config_selectorIN3c108BFloat16EEEZZNS1_9scan_implILNS1_25lookback_scan_determinismE0ELb0ELb0ES3_PKS6_PS6_S6_ZZZN2at6native31launch_logcumsumexp_cuda_kernelERKNSD_10TensorBaseESH_lENKUlvE_clEvENKUlvE4_clEvEUlS6_S6_E_S6_EEDaPvRmT3_T4_T5_mT6_P12ihipStream_tbENKUlT_T0_E_clISt17integral_constantIbLb0EESY_EEDaST_SU_EUlST_E_NS1_11comp_targetILNS1_3genE5ELNS1_11target_archE942ELNS1_3gpuE9ELNS1_3repE0EEENS1_30default_config_static_selectorELNS0_4arch9wavefront6targetE1EEEvT1_,"axG",@progbits,_ZN7rocprim17ROCPRIM_400000_NS6detail17trampoline_kernelINS0_14default_configENS1_20scan_config_selectorIN3c108BFloat16EEEZZNS1_9scan_implILNS1_25lookback_scan_determinismE0ELb0ELb0ES3_PKS6_PS6_S6_ZZZN2at6native31launch_logcumsumexp_cuda_kernelERKNSD_10TensorBaseESH_lENKUlvE_clEvENKUlvE4_clEvEUlS6_S6_E_S6_EEDaPvRmT3_T4_T5_mT6_P12ihipStream_tbENKUlT_T0_E_clISt17integral_constantIbLb0EESY_EEDaST_SU_EUlST_E_NS1_11comp_targetILNS1_3genE5ELNS1_11target_archE942ELNS1_3gpuE9ELNS1_3repE0EEENS1_30default_config_static_selectorELNS0_4arch9wavefront6targetE1EEEvT1_,comdat
	.globl	_ZN7rocprim17ROCPRIM_400000_NS6detail17trampoline_kernelINS0_14default_configENS1_20scan_config_selectorIN3c108BFloat16EEEZZNS1_9scan_implILNS1_25lookback_scan_determinismE0ELb0ELb0ES3_PKS6_PS6_S6_ZZZN2at6native31launch_logcumsumexp_cuda_kernelERKNSD_10TensorBaseESH_lENKUlvE_clEvENKUlvE4_clEvEUlS6_S6_E_S6_EEDaPvRmT3_T4_T5_mT6_P12ihipStream_tbENKUlT_T0_E_clISt17integral_constantIbLb0EESY_EEDaST_SU_EUlST_E_NS1_11comp_targetILNS1_3genE5ELNS1_11target_archE942ELNS1_3gpuE9ELNS1_3repE0EEENS1_30default_config_static_selectorELNS0_4arch9wavefront6targetE1EEEvT1_ ; -- Begin function _ZN7rocprim17ROCPRIM_400000_NS6detail17trampoline_kernelINS0_14default_configENS1_20scan_config_selectorIN3c108BFloat16EEEZZNS1_9scan_implILNS1_25lookback_scan_determinismE0ELb0ELb0ES3_PKS6_PS6_S6_ZZZN2at6native31launch_logcumsumexp_cuda_kernelERKNSD_10TensorBaseESH_lENKUlvE_clEvENKUlvE4_clEvEUlS6_S6_E_S6_EEDaPvRmT3_T4_T5_mT6_P12ihipStream_tbENKUlT_T0_E_clISt17integral_constantIbLb0EESY_EEDaST_SU_EUlST_E_NS1_11comp_targetILNS1_3genE5ELNS1_11target_archE942ELNS1_3gpuE9ELNS1_3repE0EEENS1_30default_config_static_selectorELNS0_4arch9wavefront6targetE1EEEvT1_
	.p2align	8
	.type	_ZN7rocprim17ROCPRIM_400000_NS6detail17trampoline_kernelINS0_14default_configENS1_20scan_config_selectorIN3c108BFloat16EEEZZNS1_9scan_implILNS1_25lookback_scan_determinismE0ELb0ELb0ES3_PKS6_PS6_S6_ZZZN2at6native31launch_logcumsumexp_cuda_kernelERKNSD_10TensorBaseESH_lENKUlvE_clEvENKUlvE4_clEvEUlS6_S6_E_S6_EEDaPvRmT3_T4_T5_mT6_P12ihipStream_tbENKUlT_T0_E_clISt17integral_constantIbLb0EESY_EEDaST_SU_EUlST_E_NS1_11comp_targetILNS1_3genE5ELNS1_11target_archE942ELNS1_3gpuE9ELNS1_3repE0EEENS1_30default_config_static_selectorELNS0_4arch9wavefront6targetE1EEEvT1_,@function
_ZN7rocprim17ROCPRIM_400000_NS6detail17trampoline_kernelINS0_14default_configENS1_20scan_config_selectorIN3c108BFloat16EEEZZNS1_9scan_implILNS1_25lookback_scan_determinismE0ELb0ELb0ES3_PKS6_PS6_S6_ZZZN2at6native31launch_logcumsumexp_cuda_kernelERKNSD_10TensorBaseESH_lENKUlvE_clEvENKUlvE4_clEvEUlS6_S6_E_S6_EEDaPvRmT3_T4_T5_mT6_P12ihipStream_tbENKUlT_T0_E_clISt17integral_constantIbLb0EESY_EEDaST_SU_EUlST_E_NS1_11comp_targetILNS1_3genE5ELNS1_11target_archE942ELNS1_3gpuE9ELNS1_3repE0EEENS1_30default_config_static_selectorELNS0_4arch9wavefront6targetE1EEEvT1_: ; @_ZN7rocprim17ROCPRIM_400000_NS6detail17trampoline_kernelINS0_14default_configENS1_20scan_config_selectorIN3c108BFloat16EEEZZNS1_9scan_implILNS1_25lookback_scan_determinismE0ELb0ELb0ES3_PKS6_PS6_S6_ZZZN2at6native31launch_logcumsumexp_cuda_kernelERKNSD_10TensorBaseESH_lENKUlvE_clEvENKUlvE4_clEvEUlS6_S6_E_S6_EEDaPvRmT3_T4_T5_mT6_P12ihipStream_tbENKUlT_T0_E_clISt17integral_constantIbLb0EESY_EEDaST_SU_EUlST_E_NS1_11comp_targetILNS1_3genE5ELNS1_11target_archE942ELNS1_3gpuE9ELNS1_3repE0EEENS1_30default_config_static_selectorELNS0_4arch9wavefront6targetE1EEEvT1_
; %bb.0:
	.section	.rodata,"a",@progbits
	.p2align	6, 0x0
	.amdhsa_kernel _ZN7rocprim17ROCPRIM_400000_NS6detail17trampoline_kernelINS0_14default_configENS1_20scan_config_selectorIN3c108BFloat16EEEZZNS1_9scan_implILNS1_25lookback_scan_determinismE0ELb0ELb0ES3_PKS6_PS6_S6_ZZZN2at6native31launch_logcumsumexp_cuda_kernelERKNSD_10TensorBaseESH_lENKUlvE_clEvENKUlvE4_clEvEUlS6_S6_E_S6_EEDaPvRmT3_T4_T5_mT6_P12ihipStream_tbENKUlT_T0_E_clISt17integral_constantIbLb0EESY_EEDaST_SU_EUlST_E_NS1_11comp_targetILNS1_3genE5ELNS1_11target_archE942ELNS1_3gpuE9ELNS1_3repE0EEENS1_30default_config_static_selectorELNS0_4arch9wavefront6targetE1EEEvT1_
		.amdhsa_group_segment_fixed_size 0
		.amdhsa_private_segment_fixed_size 0
		.amdhsa_kernarg_size 96
		.amdhsa_user_sgpr_count 6
		.amdhsa_user_sgpr_private_segment_buffer 1
		.amdhsa_user_sgpr_dispatch_ptr 0
		.amdhsa_user_sgpr_queue_ptr 0
		.amdhsa_user_sgpr_kernarg_segment_ptr 1
		.amdhsa_user_sgpr_dispatch_id 0
		.amdhsa_user_sgpr_flat_scratch_init 0
		.amdhsa_user_sgpr_kernarg_preload_length 0
		.amdhsa_user_sgpr_kernarg_preload_offset 0
		.amdhsa_user_sgpr_private_segment_size 0
		.amdhsa_uses_dynamic_stack 0
		.amdhsa_system_sgpr_private_segment_wavefront_offset 0
		.amdhsa_system_sgpr_workgroup_id_x 1
		.amdhsa_system_sgpr_workgroup_id_y 0
		.amdhsa_system_sgpr_workgroup_id_z 0
		.amdhsa_system_sgpr_workgroup_info 0
		.amdhsa_system_vgpr_workitem_id 0
		.amdhsa_next_free_vgpr 1
		.amdhsa_next_free_sgpr 0
		.amdhsa_accum_offset 4
		.amdhsa_reserve_vcc 0
		.amdhsa_reserve_flat_scratch 0
		.amdhsa_float_round_mode_32 0
		.amdhsa_float_round_mode_16_64 0
		.amdhsa_float_denorm_mode_32 3
		.amdhsa_float_denorm_mode_16_64 3
		.amdhsa_dx10_clamp 1
		.amdhsa_ieee_mode 1
		.amdhsa_fp16_overflow 0
		.amdhsa_tg_split 0
		.amdhsa_exception_fp_ieee_invalid_op 0
		.amdhsa_exception_fp_denorm_src 0
		.amdhsa_exception_fp_ieee_div_zero 0
		.amdhsa_exception_fp_ieee_overflow 0
		.amdhsa_exception_fp_ieee_underflow 0
		.amdhsa_exception_fp_ieee_inexact 0
		.amdhsa_exception_int_div_zero 0
	.end_amdhsa_kernel
	.section	.text._ZN7rocprim17ROCPRIM_400000_NS6detail17trampoline_kernelINS0_14default_configENS1_20scan_config_selectorIN3c108BFloat16EEEZZNS1_9scan_implILNS1_25lookback_scan_determinismE0ELb0ELb0ES3_PKS6_PS6_S6_ZZZN2at6native31launch_logcumsumexp_cuda_kernelERKNSD_10TensorBaseESH_lENKUlvE_clEvENKUlvE4_clEvEUlS6_S6_E_S6_EEDaPvRmT3_T4_T5_mT6_P12ihipStream_tbENKUlT_T0_E_clISt17integral_constantIbLb0EESY_EEDaST_SU_EUlST_E_NS1_11comp_targetILNS1_3genE5ELNS1_11target_archE942ELNS1_3gpuE9ELNS1_3repE0EEENS1_30default_config_static_selectorELNS0_4arch9wavefront6targetE1EEEvT1_,"axG",@progbits,_ZN7rocprim17ROCPRIM_400000_NS6detail17trampoline_kernelINS0_14default_configENS1_20scan_config_selectorIN3c108BFloat16EEEZZNS1_9scan_implILNS1_25lookback_scan_determinismE0ELb0ELb0ES3_PKS6_PS6_S6_ZZZN2at6native31launch_logcumsumexp_cuda_kernelERKNSD_10TensorBaseESH_lENKUlvE_clEvENKUlvE4_clEvEUlS6_S6_E_S6_EEDaPvRmT3_T4_T5_mT6_P12ihipStream_tbENKUlT_T0_E_clISt17integral_constantIbLb0EESY_EEDaST_SU_EUlST_E_NS1_11comp_targetILNS1_3genE5ELNS1_11target_archE942ELNS1_3gpuE9ELNS1_3repE0EEENS1_30default_config_static_selectorELNS0_4arch9wavefront6targetE1EEEvT1_,comdat
.Lfunc_end443:
	.size	_ZN7rocprim17ROCPRIM_400000_NS6detail17trampoline_kernelINS0_14default_configENS1_20scan_config_selectorIN3c108BFloat16EEEZZNS1_9scan_implILNS1_25lookback_scan_determinismE0ELb0ELb0ES3_PKS6_PS6_S6_ZZZN2at6native31launch_logcumsumexp_cuda_kernelERKNSD_10TensorBaseESH_lENKUlvE_clEvENKUlvE4_clEvEUlS6_S6_E_S6_EEDaPvRmT3_T4_T5_mT6_P12ihipStream_tbENKUlT_T0_E_clISt17integral_constantIbLb0EESY_EEDaST_SU_EUlST_E_NS1_11comp_targetILNS1_3genE5ELNS1_11target_archE942ELNS1_3gpuE9ELNS1_3repE0EEENS1_30default_config_static_selectorELNS0_4arch9wavefront6targetE1EEEvT1_, .Lfunc_end443-_ZN7rocprim17ROCPRIM_400000_NS6detail17trampoline_kernelINS0_14default_configENS1_20scan_config_selectorIN3c108BFloat16EEEZZNS1_9scan_implILNS1_25lookback_scan_determinismE0ELb0ELb0ES3_PKS6_PS6_S6_ZZZN2at6native31launch_logcumsumexp_cuda_kernelERKNSD_10TensorBaseESH_lENKUlvE_clEvENKUlvE4_clEvEUlS6_S6_E_S6_EEDaPvRmT3_T4_T5_mT6_P12ihipStream_tbENKUlT_T0_E_clISt17integral_constantIbLb0EESY_EEDaST_SU_EUlST_E_NS1_11comp_targetILNS1_3genE5ELNS1_11target_archE942ELNS1_3gpuE9ELNS1_3repE0EEENS1_30default_config_static_selectorELNS0_4arch9wavefront6targetE1EEEvT1_
                                        ; -- End function
	.section	.AMDGPU.csdata,"",@progbits
; Kernel info:
; codeLenInByte = 0
; NumSgprs: 4
; NumVgprs: 0
; NumAgprs: 0
; TotalNumVgprs: 0
; ScratchSize: 0
; MemoryBound: 0
; FloatMode: 240
; IeeeMode: 1
; LDSByteSize: 0 bytes/workgroup (compile time only)
; SGPRBlocks: 0
; VGPRBlocks: 0
; NumSGPRsForWavesPerEU: 4
; NumVGPRsForWavesPerEU: 1
; AccumOffset: 4
; Occupancy: 8
; WaveLimiterHint : 0
; COMPUTE_PGM_RSRC2:SCRATCH_EN: 0
; COMPUTE_PGM_RSRC2:USER_SGPR: 6
; COMPUTE_PGM_RSRC2:TRAP_HANDLER: 0
; COMPUTE_PGM_RSRC2:TGID_X_EN: 1
; COMPUTE_PGM_RSRC2:TGID_Y_EN: 0
; COMPUTE_PGM_RSRC2:TGID_Z_EN: 0
; COMPUTE_PGM_RSRC2:TIDIG_COMP_CNT: 0
; COMPUTE_PGM_RSRC3_GFX90A:ACCUM_OFFSET: 0
; COMPUTE_PGM_RSRC3_GFX90A:TG_SPLIT: 0
	.text
	.p2align	2                               ; -- Begin function _ZZZN7rocprim17ROCPRIM_400000_NS6detail9scan_implILNS1_25lookback_scan_determinismE0ELb0ELb0ENS0_14default_configEPKN3c108BFloat16EPS6_S6_ZZZN2at6native31launch_logcumsumexp_cuda_kernelERKNSA_10TensorBaseESE_lENKUlvE_clEvENKUlvE4_clEvEUlS6_S6_E_S6_EEDaPvRmT3_T4_T5_mT6_P12ihipStream_tbENKUlT_T0_E_clISt17integral_constantIbLb0EESV_EEDaSQ_SR_ENKUlSQ_E_clINS1_13target_configIS4_NS1_20scan_config_selectorIS6_EENS1_11comp_targetILNS1_3genE4ELNS1_11target_archE910ELNS1_3gpuE8ELNS1_3repE0EEELNS0_4arch9wavefront6targetE1EEEEEDaSQ_
	.type	_ZZZN7rocprim17ROCPRIM_400000_NS6detail9scan_implILNS1_25lookback_scan_determinismE0ELb0ELb0ENS0_14default_configEPKN3c108BFloat16EPS6_S6_ZZZN2at6native31launch_logcumsumexp_cuda_kernelERKNSA_10TensorBaseESE_lENKUlvE_clEvENKUlvE4_clEvEUlS6_S6_E_S6_EEDaPvRmT3_T4_T5_mT6_P12ihipStream_tbENKUlT_T0_E_clISt17integral_constantIbLb0EESV_EEDaSQ_SR_ENKUlSQ_E_clINS1_13target_configIS4_NS1_20scan_config_selectorIS6_EENS1_11comp_targetILNS1_3genE4ELNS1_11target_archE910ELNS1_3gpuE8ELNS1_3repE0EEELNS0_4arch9wavefront6targetE1EEEEEDaSQ_,@function
_ZZZN7rocprim17ROCPRIM_400000_NS6detail9scan_implILNS1_25lookback_scan_determinismE0ELb0ELb0ENS0_14default_configEPKN3c108BFloat16EPS6_S6_ZZZN2at6native31launch_logcumsumexp_cuda_kernelERKNSA_10TensorBaseESE_lENKUlvE_clEvENKUlvE4_clEvEUlS6_S6_E_S6_EEDaPvRmT3_T4_T5_mT6_P12ihipStream_tbENKUlT_T0_E_clISt17integral_constantIbLb0EESV_EEDaSQ_SR_ENKUlSQ_E_clINS1_13target_configIS4_NS1_20scan_config_selectorIS6_EENS1_11comp_targetILNS1_3genE4ELNS1_11target_archE910ELNS1_3gpuE8ELNS1_3repE0EEELNS0_4arch9wavefront6targetE1EEEEEDaSQ_: ; @_ZZZN7rocprim17ROCPRIM_400000_NS6detail9scan_implILNS1_25lookback_scan_determinismE0ELb0ELb0ENS0_14default_configEPKN3c108BFloat16EPS6_S6_ZZZN2at6native31launch_logcumsumexp_cuda_kernelERKNSA_10TensorBaseESE_lENKUlvE_clEvENKUlvE4_clEvEUlS6_S6_E_S6_EEDaPvRmT3_T4_T5_mT6_P12ihipStream_tbENKUlT_T0_E_clISt17integral_constantIbLb0EESV_EEDaSQ_SR_ENKUlSQ_E_clINS1_13target_configIS4_NS1_20scan_config_selectorIS6_EENS1_11comp_targetILNS1_3genE4ELNS1_11target_archE910ELNS1_3gpuE8ELNS1_3repE0EEELNS0_4arch9wavefront6targetE1EEEEEDaSQ_
; %bb.0:
	s_waitcnt vmcnt(0) expcnt(0) lgkmcnt(0)
	s_or_saveexec_b64 s[4:5], -1
	buffer_store_dword v40, off, s[0:3], s32 ; 4-byte Folded Spill
	s_mov_b64 exec, s[4:5]
	v_writelane_b32 v40, s30, 0
	v_writelane_b32 v40, s31, 1
	flat_load_dwordx4 v[14:17], v[0:1]
	flat_load_dwordx3 v[24:26], v[0:1] offset:40
	flat_load_dwordx4 v[10:13], v[0:1] offset:16
	flat_load_dwordx4 v[2:5], v[0:1] offset:56
	;; [unrolled: 1-line block ×3, first 2 shown]
	s_movk_i32 s6, 0x600
	s_mov_b32 s5, 0
	s_mul_i32 s4, s12, 0x600
	s_lshl_b64 s[62:63], s[4:5], 1
	v_and_b32_e32 v0, 0x3ff, v31
	v_mov_b32_e32 v1, s63
	v_lshlrev_b32_e32 v38, 1, v0
	s_waitcnt vmcnt(0) lgkmcnt(0)
	v_lshlrev_b64 v[28:29], 1, v[16:17]
	v_add_u32_e32 v16, -1, v26
	v_add_co_u32_e32 v14, vcc, v14, v28
	v_addc_co_u32_e32 v15, vcc, v15, v29, vcc
	v_mul_lo_u32 v17, v16, s6
	v_sub_co_u32_e32 v36, vcc, v12, v17
	v_subbrev_co_u32_e32 v37, vcc, 0, v13, vcc
	v_add_co_u32_e32 v12, vcc, s62, v14
	v_cmp_ne_u32_e64 s[4:5], s12, v16
	v_addc_co_u32_e32 v13, vcc, v15, v1, vcc
	s_and_saveexec_b64 s[6:7], s[4:5]
	s_xor_b64 s[6:7], exec, s[6:7]
	s_cbranch_execz .LBB444_2
; %bb.1:
	v_add_co_u32_e32 v12, vcc, v12, v38
	v_addc_co_u32_e32 v13, vcc, 0, v13, vcc
	flat_load_ushort v1, v[12:13]
	flat_load_ushort v14, v[12:13] offset:128
	flat_load_ushort v15, v[12:13] offset:256
	flat_load_ushort v16, v[12:13] offset:384
	flat_load_ushort v17, v[12:13] offset:512
	flat_load_ushort v18, v[12:13] offset:640
	flat_load_ushort v19, v[12:13] offset:768
	flat_load_ushort v20, v[12:13] offset:896
	flat_load_ushort v21, v[12:13] offset:1024
	flat_load_ushort v22, v[12:13] offset:1152
	flat_load_ushort v23, v[12:13] offset:1280
	flat_load_ushort v26, v[12:13] offset:1408
	flat_load_ushort v27, v[12:13] offset:1536
	flat_load_ushort v30, v[12:13] offset:1664
	flat_load_ushort v31, v[12:13] offset:1792
	flat_load_ushort v32, v[12:13] offset:1920
	flat_load_ushort v33, v[12:13] offset:2048
	flat_load_ushort v34, v[12:13] offset:2176
	flat_load_ushort v35, v[12:13] offset:2304
	flat_load_ushort v39, v[12:13] offset:2432
	flat_load_ushort v48, v[12:13] offset:2560
	flat_load_ushort v49, v[12:13] offset:2688
	flat_load_ushort v50, v[12:13] offset:2816
	flat_load_ushort v51, v[12:13] offset:2944
                                        ; implicit-def: $vgpr12
	s_waitcnt vmcnt(0) lgkmcnt(0)
	ds_write_b16 v38, v1
	ds_write_b16 v38, v14 offset:128
	ds_write_b16 v38, v15 offset:256
	;; [unrolled: 1-line block ×23, first 2 shown]
	s_waitcnt lgkmcnt(0)
	; wave barrier
.LBB444_2:
	s_andn2_saveexec_b64 s[6:7], s[6:7]
	s_cbranch_execz .LBB444_52
; %bb.3:
	flat_load_ushort v1, v[12:13]
	v_cmp_lt_u32_e32 vcc, v0, v36
	s_waitcnt vmcnt(0) lgkmcnt(0)
	v_mov_b32_e32 v14, v1
	s_and_saveexec_b64 s[8:9], vcc
	s_cbranch_execz .LBB444_5
; %bb.4:
	v_add_co_u32_e32 v14, vcc, v12, v38
	v_addc_co_u32_e32 v15, vcc, 0, v13, vcc
	flat_load_ushort v14, v[14:15]
.LBB444_5:
	s_or_b64 exec, exec, s[8:9]
	v_add_u32_e32 v15, 64, v0
	v_cmp_lt_u32_e32 vcc, v15, v36
	v_mov_b32_e32 v15, v1
	s_and_saveexec_b64 s[8:9], vcc
	s_cbranch_execz .LBB444_7
; %bb.6:
	v_add_co_u32_e32 v16, vcc, v12, v38
	v_addc_co_u32_e32 v17, vcc, 0, v13, vcc
	flat_load_ushort v15, v[16:17] offset:128
.LBB444_7:
	s_or_b64 exec, exec, s[8:9]
	v_add_u32_e32 v16, 0x80, v0
	v_cmp_lt_u32_e32 vcc, v16, v36
	v_mov_b32_e32 v16, v1
	s_and_saveexec_b64 s[8:9], vcc
	s_cbranch_execz .LBB444_9
; %bb.8:
	v_add_co_u32_e32 v16, vcc, v12, v38
	v_addc_co_u32_e32 v17, vcc, 0, v13, vcc
	flat_load_ushort v16, v[16:17] offset:256
.LBB444_9:
	;; [unrolled: 11-line block ×15, first 2 shown]
	s_or_b64 exec, exec, s[8:9]
	v_or_b32_e32 v34, 0x400, v0
	v_cmp_lt_u32_e32 vcc, v34, v36
	v_mov_b32_e32 v34, v1
	s_and_saveexec_b64 s[8:9], vcc
	s_cbranch_execz .LBB444_37
; %bb.36:
	v_add_co_u32_e32 v34, vcc, v12, v38
	v_addc_co_u32_e32 v35, vcc, 0, v13, vcc
	flat_load_ushort v34, v[34:35] offset:2048
.LBB444_37:
	s_or_b64 exec, exec, s[8:9]
	v_add_u32_e32 v35, 0x440, v0
	v_cmp_lt_u32_e32 vcc, v35, v36
	v_mov_b32_e32 v35, v1
	s_and_saveexec_b64 s[8:9], vcc
	s_cbranch_execz .LBB444_39
; %bb.38:
	v_add_co_u32_e32 v48, vcc, v12, v38
	v_addc_co_u32_e32 v49, vcc, 0, v13, vcc
	flat_load_ushort v35, v[48:49] offset:2176
.LBB444_39:
	s_or_b64 exec, exec, s[8:9]
	v_add_u32_e32 v39, 0x480, v0
	;; [unrolled: 11-line block ×7, first 2 shown]
	v_cmp_lt_u32_e32 vcc, v52, v36
	s_and_saveexec_b64 s[8:9], vcc
	s_cbranch_execz .LBB444_51
; %bb.50:
	v_add_co_u32_e32 v12, vcc, v12, v38
	v_addc_co_u32_e32 v13, vcc, 0, v13, vcc
	flat_load_ushort v1, v[12:13] offset:2944
.LBB444_51:
	s_or_b64 exec, exec, s[8:9]
	s_waitcnt vmcnt(0) lgkmcnt(0)
	ds_write_b16 v38, v14
	ds_write_b16 v38, v15 offset:128
	ds_write_b16 v38, v16 offset:256
	;; [unrolled: 1-line block ×23, first 2 shown]
	s_waitcnt lgkmcnt(0)
	; wave barrier
.LBB444_52:
	s_or_b64 exec, exec, s[6:7]
	v_mul_u32_u24_e32 v39, 24, v0
	v_lshlrev_b32_e32 v1, 1, v39
	s_waitcnt lgkmcnt(0)
	ds_read_b128 v[20:23], v1
	ds_read_b128 v[16:19], v1 offset:16
	ds_read_b128 v[12:15], v1 offset:32
	s_cmp_lg_u32 s12, 0
	s_waitcnt lgkmcnt(0)
	; wave barrier
	s_waitcnt lgkmcnt(0)
	s_cbranch_scc0 .LBB444_249
; %bb.53:
	v_mov_b32_e32 v26, 16
	v_lshlrev_b32_e32 v134, 16, v20
	v_lshlrev_b32_sdwa v48, v26, v20 dst_sel:DWORD dst_unused:UNUSED_PAD src0_sel:DWORD src1_sel:WORD_1
	v_max_f32_e32 v49, v48, v48
	v_max_f32_e32 v135, v134, v134
	v_min_f32_e32 v27, v135, v49
	v_cmp_u_f32_e64 s[54:55], v134, v134
	v_cndmask_b32_e64 v27, v27, v134, s[54:55]
	v_cmp_u_f32_e64 s[6:7], v48, v48
	v_cndmask_b32_e64 v31, v27, v48, s[6:7]
	v_max_f32_e32 v27, v135, v49
	v_cndmask_b32_e64 v27, v27, v134, s[54:55]
	v_cndmask_b32_e64 v27, v27, v48, s[6:7]
	s_movk_i32 s10, 0x1f8
	v_cmp_neq_f32_e32 vcc, v31, v27
	v_cmp_class_f32_e64 s[8:9], v31, s10
	s_or_b64 s[14:15], vcc, s[8:9]
	v_mov_b32_e32 v30, v134
	s_and_saveexec_b64 s[8:9], s[14:15]
	s_cbranch_execz .LBB444_55
; %bb.54:
	v_sub_f32_e32 v30, v31, v27
	s_mov_b32 s11, 0x3fb8aa3b
	v_mul_f32_e32 v31, 0x3fb8aa3b, v30
	v_fma_f32 v32, v30, s11, -v31
	v_rndne_f32_e32 v33, v31
	v_fmac_f32_e32 v32, 0x32a5705f, v30
	v_sub_f32_e32 v31, v31, v33
	v_add_f32_e32 v31, v31, v32
	v_exp_f32_e32 v31, v31
	v_cvt_i32_f32_e32 v32, v33
	s_mov_b32 s11, 0xc2ce8ed0
	v_cmp_ngt_f32_e32 vcc, s11, v30
	s_mov_b32 s11, 0x42b17218
	v_ldexp_f32 v31, v31, v32
	v_cndmask_b32_e32 v31, 0, v31, vcc
	v_mov_b32_e32 v32, 0x7f800000
	v_cmp_nlt_f32_e32 vcc, s11, v30
	v_cndmask_b32_e32 v68, v32, v31, vcc
	v_add_f32_e32 v32, 1.0, v68
	v_add_f32_e32 v30, -1.0, v32
	v_sub_f32_e32 v31, v30, v32
	v_add_f32_e32 v31, 1.0, v31
	v_sub_f32_e32 v30, v68, v30
	v_add_f32_e32 v33, v30, v31
	v_frexp_mant_f32_e32 v34, v32
	s_mov_b32 s11, 0x3f2aaaab
	v_cvt_f64_f32_e32 v[30:31], v32
	v_frexp_exp_i32_f64_e32 v30, v[30:31]
	v_cmp_gt_f32_e32 vcc, s11, v34
	v_subbrev_co_u32_e32 v52, vcc, 0, v30, vcc
	v_sub_u32_e32 v30, 0, v52
	v_ldexp_f32 v31, v32, v30
	v_add_f32_e32 v32, -1.0, v31
	v_add_f32_e32 v34, 1.0, v31
	v_ldexp_f32 v30, v33, v30
	v_add_f32_e32 v33, 1.0, v32
	v_add_f32_e32 v35, -1.0, v34
	v_sub_f32_e32 v33, v31, v33
	v_sub_f32_e32 v31, v31, v35
	v_add_f32_e32 v33, v30, v33
	v_add_f32_e32 v30, v30, v31
	;; [unrolled: 1-line block ×3, first 2 shown]
	v_rcp_f32_e32 v55, v53
	v_sub_f32_e32 v31, v34, v53
	v_add_f32_e32 v54, v30, v31
	v_add_f32_e32 v31, v32, v33
	v_mul_f32_e32 v65, v31, v55
	v_sub_f32_e32 v30, v32, v31
	v_mul_f32_e32 v32, v53, v65
	v_fma_f32 v34, v65, v53, -v32
	v_fmac_f32_e32 v34, v65, v54
	v_add_f32_e32 v64, v33, v30
	v_add_f32_e32 v30, v32, v34
	v_sub_f32_e32 v33, v31, v30
	v_pk_add_f32 v[50:51], v[30:31], v[32:33] neg_lo:[0,1] neg_hi:[0,1]
	v_mov_b32_e32 v35, v30
	v_pk_add_f32 v[30:31], v[50:51], v[34:35] neg_lo:[0,1] neg_hi:[0,1]
	v_add_f32_e32 v31, v64, v31
	v_add_f32_e32 v30, v30, v31
	;; [unrolled: 1-line block ×3, first 2 shown]
	v_mul_f32_e32 v64, v55, v31
	v_mul_f32_e32 v32, v53, v64
	v_fma_f32 v34, v64, v53, -v32
	v_fmac_f32_e32 v34, v64, v54
	v_sub_f32_e32 v33, v33, v31
	v_add_f32_e32 v53, v30, v33
	v_add_f32_e32 v30, v32, v34
	v_sub_f32_e32 v33, v31, v30
	v_pk_add_f32 v[50:51], v[30:31], v[32:33] neg_lo:[0,1] neg_hi:[0,1]
	v_mov_b32_e32 v35, v30
	v_pk_add_f32 v[30:31], v[50:51], v[34:35] neg_lo:[0,1] neg_hi:[0,1]
	v_add_f32_e32 v31, v53, v31
	v_add_f32_e32 v30, v30, v31
	;; [unrolled: 1-line block ×4, first 2 shown]
	v_sub_f32_e32 v31, v33, v65
	v_mul_f32_e32 v30, v55, v30
	v_sub_f32_e32 v31, v64, v31
	v_add_f32_e32 v30, v31, v30
	v_add_f32_e32 v34, v33, v30
	v_mul_f32_e32 v50, v34, v34
	v_mov_b32_e32 v32, 0x3ecc95a3
	v_fmac_f32_e32 v32, 0x3e9b6dac, v50
	v_mov_b32_e32 v31, 0x3f2aaada
	v_fmac_f32_e32 v31, v50, v32
	v_cvt_f32_i32_e32 v32, v52
	v_sub_f32_e32 v33, v34, v33
	v_sub_f32_e32 v30, v30, v33
	v_ldexp_f32 v51, v30, 1
	v_mul_f32_e32 v33, v34, v50
	v_mov_b32_e32 v30, 0x3f317218
	s_mov_b32 s11, 0x3f317218
	v_pk_mul_f32 v[30:31], v[32:33], v[30:31]
	v_ldexp_f32 v35, v34, 1
	v_fma_f32 v34, v32, s11, -v30
	v_fmac_f32_e32 v34, 0xb102e308, v32
	v_pk_add_f32 v[32:33], v[30:31], v[34:35]
	v_sub_f32_e32 v35, v33, v35
	v_sub_f32_e32 v35, v31, v35
	v_add_f32_e32 v51, v51, v35
	v_mov_b32_e32 v50, v30
	v_pk_add_f32 v[30:31], v[32:33], v[30:31] neg_lo:[0,1] neg_hi:[0,1]
	v_pk_add_f32 v[52:53], v[32:33], v[50:51]
	v_mov_b32_e32 v31, v53
	v_mov_b32_e32 v35, v32
	v_pk_add_f32 v[54:55], v[34:35], v[30:31] neg_lo:[0,1] neg_hi:[0,1]
	v_pk_add_f32 v[30:31], v[34:35], v[30:31]
	v_mov_b32_e32 v34, v31
	v_pk_add_f32 v[64:65], v[34:35], v[32:33] neg_lo:[0,1] neg_hi:[0,1]
	v_mov_b32_e32 v35, v64
	v_pk_add_f32 v[66:67], v[52:53], v[34:35] neg_lo:[0,1] neg_hi:[0,1]
	v_mov_b32_e32 v30, v53
	v_mov_b32_e32 v52, v33
	;; [unrolled: 1-line block ×4, first 2 shown]
	v_pk_add_f32 v[30:31], v[30:31], v[52:53] neg_lo:[0,1] neg_hi:[0,1]
	v_mov_b32_e32 v50, v51
	v_mov_b32_e32 v51, v32
	v_pk_add_f32 v[30:31], v[50:51], v[30:31] neg_lo:[0,1] neg_hi:[0,1]
	v_mov_b32_e32 v66, v54
	v_pk_add_f32 v[32:33], v[66:67], v[30:31]
	v_mov_b32_e32 v50, v33
	v_pk_add_f32 v[50:51], v[32:33], v[50:51]
	v_pk_add_f32 v[34:35], v[34:35], v[50:51]
	v_mov_b32_e32 v33, v34
	v_pk_add_f32 v[52:53], v[32:33], v[54:55] neg_lo:[0,1] neg_hi:[0,1]
	v_mov_b32_e32 v31, v50
	v_sub_f32_e32 v32, v32, v52
	v_pk_add_f32 v[30:31], v[30:31], v[52:53] neg_lo:[0,1] neg_hi:[0,1]
	v_sub_f32_e32 v32, v54, v32
	s_mov_b32 s13, 0x7f800000
	v_add_f32_e32 v30, v30, v32
	s_mov_b32 s11, 0x33800000
	v_add_f32_e32 v30, v30, v31
	v_cmp_eq_f32_e32 vcc, s13, v68
	v_cmp_lt_f32_e64 s[14:15], |v68|, s11
	v_add_f32_e32 v30, v34, v30
	s_or_b64 vcc, vcc, s[14:15]
	v_cndmask_b32_e32 v30, v30, v68, vcc
	v_add_f32_e32 v30, v27, v30
.LBB444_55:
	s_or_b64 exec, exec, s[8:9]
	v_bfe_u32 v27, v30, 16, 1
	s_movk_i32 s13, 0x7fff
	v_add3_u32 v27, v30, v27, s13
	v_and_b32_e32 v31, 0xffff0000, v27
	v_mov_b32_e32 v27, 0x7fc00000
	v_cmp_o_f32_e32 vcc, v30, v30
	v_cndmask_b32_e32 v30, v27, v31, vcc
	v_lshlrev_b32_sdwa v50, v26, v21 dst_sel:DWORD dst_unused:UNUSED_PAD src0_sel:DWORD src1_sel:WORD_0
	v_max_f32_e32 v26, v30, v30
	v_max_f32_e32 v54, v50, v50
	v_min_f32_e32 v31, v26, v54
	v_cmp_u_f32_e32 vcc, v30, v30
	v_max_f32_e32 v26, v26, v54
	v_cndmask_b32_e32 v31, v31, v30, vcc
	v_cmp_u_f32_e64 s[8:9], v50, v50
	v_cndmask_b32_e32 v26, v26, v30, vcc
	v_cndmask_b32_e64 v31, v31, v50, s[8:9]
	v_cndmask_b32_e64 v26, v26, v50, s[8:9]
	v_cmp_neq_f32_e32 vcc, v31, v26
	v_cmp_class_f32_e64 s[10:11], v31, s10
	s_or_b64 s[14:15], vcc, s[10:11]
	s_and_saveexec_b64 s[10:11], s[14:15]
	s_cbranch_execz .LBB444_57
; %bb.56:
	v_sub_f32_e32 v30, v31, v26
	s_mov_b32 s14, 0x3fb8aa3b
	v_mul_f32_e32 v31, 0x3fb8aa3b, v30
	v_fma_f32 v32, v30, s14, -v31
	v_rndne_f32_e32 v33, v31
	v_fmac_f32_e32 v32, 0x32a5705f, v30
	v_sub_f32_e32 v31, v31, v33
	v_add_f32_e32 v31, v31, v32
	v_exp_f32_e32 v31, v31
	v_cvt_i32_f32_e32 v32, v33
	s_mov_b32 s14, 0xc2ce8ed0
	v_cmp_ngt_f32_e32 vcc, s14, v30
	s_mov_b32 s14, 0x42b17218
	v_ldexp_f32 v31, v31, v32
	v_cndmask_b32_e32 v31, 0, v31, vcc
	v_mov_b32_e32 v32, 0x7f800000
	v_cmp_nlt_f32_e32 vcc, s14, v30
	v_cndmask_b32_e32 v51, v32, v31, vcc
	v_add_f32_e32 v32, 1.0, v51
	v_add_f32_e32 v30, -1.0, v32
	v_sub_f32_e32 v31, v30, v32
	v_add_f32_e32 v31, 1.0, v31
	v_sub_f32_e32 v30, v51, v30
	v_add_f32_e32 v33, v30, v31
	v_frexp_mant_f32_e32 v34, v32
	s_mov_b32 s14, 0x3f2aaaab
	v_cvt_f64_f32_e32 v[30:31], v32
	v_frexp_exp_i32_f64_e32 v30, v[30:31]
	v_cmp_gt_f32_e32 vcc, s14, v34
	v_subbrev_co_u32_e32 v55, vcc, 0, v30, vcc
	v_sub_u32_e32 v30, 0, v55
	v_ldexp_f32 v31, v32, v30
	v_add_f32_e32 v32, -1.0, v31
	v_add_f32_e32 v34, 1.0, v31
	v_ldexp_f32 v30, v33, v30
	v_add_f32_e32 v33, 1.0, v32
	v_add_f32_e32 v35, -1.0, v34
	v_sub_f32_e32 v33, v31, v33
	v_sub_f32_e32 v31, v31, v35
	v_add_f32_e32 v33, v30, v33
	v_add_f32_e32 v30, v30, v31
	;; [unrolled: 1-line block ×3, first 2 shown]
	v_rcp_f32_e32 v66, v64
	v_sub_f32_e32 v31, v34, v64
	v_add_f32_e32 v65, v30, v31
	v_add_f32_e32 v31, v32, v33
	v_mul_f32_e32 v68, v31, v66
	v_sub_f32_e32 v30, v32, v31
	v_mul_f32_e32 v32, v64, v68
	v_fma_f32 v34, v68, v64, -v32
	v_fmac_f32_e32 v34, v68, v65
	v_add_f32_e32 v67, v33, v30
	v_add_f32_e32 v30, v32, v34
	v_sub_f32_e32 v33, v31, v30
	v_pk_add_f32 v[52:53], v[30:31], v[32:33] neg_lo:[0,1] neg_hi:[0,1]
	v_mov_b32_e32 v35, v30
	v_pk_add_f32 v[30:31], v[52:53], v[34:35] neg_lo:[0,1] neg_hi:[0,1]
	v_add_f32_e32 v31, v67, v31
	v_add_f32_e32 v30, v30, v31
	v_add_f32_e32 v31, v33, v30
	v_mul_f32_e32 v67, v66, v31
	v_mul_f32_e32 v32, v64, v67
	v_fma_f32 v34, v67, v64, -v32
	v_fmac_f32_e32 v34, v67, v65
	v_sub_f32_e32 v33, v33, v31
	v_add_f32_e32 v64, v30, v33
	v_add_f32_e32 v30, v32, v34
	v_sub_f32_e32 v33, v31, v30
	v_pk_add_f32 v[52:53], v[30:31], v[32:33] neg_lo:[0,1] neg_hi:[0,1]
	v_mov_b32_e32 v35, v30
	v_pk_add_f32 v[30:31], v[52:53], v[34:35] neg_lo:[0,1] neg_hi:[0,1]
	v_add_f32_e32 v31, v64, v31
	v_add_f32_e32 v30, v30, v31
	;; [unrolled: 1-line block ×4, first 2 shown]
	v_sub_f32_e32 v31, v33, v68
	v_mul_f32_e32 v30, v66, v30
	v_sub_f32_e32 v31, v67, v31
	v_add_f32_e32 v30, v31, v30
	v_add_f32_e32 v34, v33, v30
	v_mul_f32_e32 v52, v34, v34
	v_mov_b32_e32 v32, 0x3ecc95a3
	v_fmac_f32_e32 v32, 0x3e9b6dac, v52
	v_mov_b32_e32 v31, 0x3f2aaada
	v_fmac_f32_e32 v31, v52, v32
	v_cvt_f32_i32_e32 v32, v55
	v_sub_f32_e32 v33, v34, v33
	v_sub_f32_e32 v30, v30, v33
	v_ldexp_f32 v53, v30, 1
	v_mul_f32_e32 v33, v34, v52
	v_mov_b32_e32 v30, 0x3f317218
	s_mov_b32 s14, 0x3f317218
	v_pk_mul_f32 v[30:31], v[32:33], v[30:31]
	v_ldexp_f32 v35, v34, 1
	v_fma_f32 v34, v32, s14, -v30
	v_fmac_f32_e32 v34, 0xb102e308, v32
	v_pk_add_f32 v[32:33], v[30:31], v[34:35]
	v_sub_f32_e32 v35, v33, v35
	v_sub_f32_e32 v35, v31, v35
	v_add_f32_e32 v53, v53, v35
	v_mov_b32_e32 v52, v30
	v_pk_add_f32 v[30:31], v[32:33], v[30:31] neg_lo:[0,1] neg_hi:[0,1]
	v_pk_add_f32 v[64:65], v[32:33], v[52:53]
	v_mov_b32_e32 v31, v65
	v_mov_b32_e32 v35, v32
	v_pk_add_f32 v[66:67], v[34:35], v[30:31] neg_lo:[0,1] neg_hi:[0,1]
	v_pk_add_f32 v[30:31], v[34:35], v[30:31]
	v_mov_b32_e32 v34, v31
	v_pk_add_f32 v[68:69], v[34:35], v[32:33] neg_lo:[0,1] neg_hi:[0,1]
	v_mov_b32_e32 v35, v68
	v_pk_add_f32 v[70:71], v[64:65], v[34:35] neg_lo:[0,1] neg_hi:[0,1]
	v_mov_b32_e32 v30, v65
	v_mov_b32_e32 v64, v33
	;; [unrolled: 1-line block ×4, first 2 shown]
	v_pk_add_f32 v[30:31], v[30:31], v[64:65] neg_lo:[0,1] neg_hi:[0,1]
	v_mov_b32_e32 v52, v53
	v_mov_b32_e32 v53, v32
	v_pk_add_f32 v[30:31], v[52:53], v[30:31] neg_lo:[0,1] neg_hi:[0,1]
	v_mov_b32_e32 v70, v66
	v_pk_add_f32 v[32:33], v[70:71], v[30:31]
	v_mov_b32_e32 v52, v33
	v_pk_add_f32 v[52:53], v[32:33], v[52:53]
	v_pk_add_f32 v[34:35], v[34:35], v[52:53]
	v_mov_b32_e32 v33, v34
	v_pk_add_f32 v[64:65], v[32:33], v[66:67] neg_lo:[0,1] neg_hi:[0,1]
	v_mov_b32_e32 v31, v52
	v_sub_f32_e32 v32, v32, v64
	v_pk_add_f32 v[30:31], v[30:31], v[64:65] neg_lo:[0,1] neg_hi:[0,1]
	v_sub_f32_e32 v32, v66, v32
	s_mov_b32 s15, 0x7f800000
	v_add_f32_e32 v30, v30, v32
	s_mov_b32 s14, 0x33800000
	v_add_f32_e32 v30, v30, v31
	v_cmp_eq_f32_e32 vcc, s15, v51
	v_cmp_lt_f32_e64 s[14:15], |v51|, s14
	v_add_f32_e32 v30, v34, v30
	s_or_b64 vcc, vcc, s[14:15]
	v_cndmask_b32_e32 v30, v30, v51, vcc
	v_add_f32_e32 v30, v26, v30
.LBB444_57:
	s_or_b64 exec, exec, s[10:11]
	v_bfe_u32 v26, v30, 16, 1
	v_add3_u32 v26, v30, v26, s13
	v_and_b32_e32 v26, 0xffff0000, v26
	v_cmp_o_f32_e32 vcc, v30, v30
	v_cndmask_b32_e32 v30, v27, v26, vcc
	v_mov_b32_e32 v26, 16
	v_lshlrev_b32_sdwa v51, v26, v21 dst_sel:DWORD dst_unused:UNUSED_PAD src0_sel:DWORD src1_sel:WORD_1
	v_max_f32_e32 v27, v30, v30
	v_max_f32_e32 v55, v51, v51
	v_min_f32_e32 v31, v27, v55
	v_cmp_u_f32_e32 vcc, v30, v30
	v_max_f32_e32 v27, v27, v55
	v_cndmask_b32_e32 v31, v31, v30, vcc
	v_cmp_u_f32_e64 s[10:11], v51, v51
	v_cndmask_b32_e32 v27, v27, v30, vcc
	v_cndmask_b32_e64 v31, v31, v51, s[10:11]
	v_cndmask_b32_e64 v27, v27, v51, s[10:11]
	s_movk_i32 s13, 0x1f8
	v_cmp_neq_f32_e32 vcc, v31, v27
	v_cmp_class_f32_e64 s[14:15], v31, s13
	s_or_b64 s[16:17], vcc, s[14:15]
	s_and_saveexec_b64 s[14:15], s[16:17]
	s_cbranch_execz .LBB444_59
; %bb.58:
	v_sub_f32_e32 v30, v31, v27
	s_mov_b32 s16, 0x3fb8aa3b
	v_mul_f32_e32 v31, 0x3fb8aa3b, v30
	v_fma_f32 v32, v30, s16, -v31
	v_rndne_f32_e32 v33, v31
	v_fmac_f32_e32 v32, 0x32a5705f, v30
	v_sub_f32_e32 v31, v31, v33
	v_add_f32_e32 v31, v31, v32
	v_exp_f32_e32 v31, v31
	v_cvt_i32_f32_e32 v32, v33
	s_mov_b32 s16, 0xc2ce8ed0
	v_cmp_ngt_f32_e32 vcc, s16, v30
	s_mov_b32 s16, 0x42b17218
	v_ldexp_f32 v31, v31, v32
	v_cndmask_b32_e32 v31, 0, v31, vcc
	v_mov_b32_e32 v32, 0x7f800000
	v_cmp_nlt_f32_e32 vcc, s16, v30
	v_cndmask_b32_e32 v80, v32, v31, vcc
	v_add_f32_e32 v32, 1.0, v80
	v_add_f32_e32 v30, -1.0, v32
	v_sub_f32_e32 v31, v30, v32
	v_add_f32_e32 v31, 1.0, v31
	v_sub_f32_e32 v30, v80, v30
	v_add_f32_e32 v33, v30, v31
	v_frexp_mant_f32_e32 v34, v32
	s_mov_b32 s16, 0x3f2aaaab
	v_cvt_f64_f32_e32 v[30:31], v32
	v_frexp_exp_i32_f64_e32 v30, v[30:31]
	v_cmp_gt_f32_e32 vcc, s16, v34
	v_subbrev_co_u32_e32 v64, vcc, 0, v30, vcc
	v_sub_u32_e32 v30, 0, v64
	v_ldexp_f32 v31, v32, v30
	v_add_f32_e32 v32, -1.0, v31
	v_add_f32_e32 v34, 1.0, v31
	v_ldexp_f32 v30, v33, v30
	v_add_f32_e32 v33, 1.0, v32
	v_add_f32_e32 v35, -1.0, v34
	v_sub_f32_e32 v33, v31, v33
	v_sub_f32_e32 v31, v31, v35
	v_add_f32_e32 v33, v30, v33
	v_add_f32_e32 v30, v30, v31
	;; [unrolled: 1-line block ×3, first 2 shown]
	v_rcp_f32_e32 v67, v65
	v_sub_f32_e32 v31, v34, v65
	v_add_f32_e32 v66, v30, v31
	v_add_f32_e32 v31, v32, v33
	v_mul_f32_e32 v69, v31, v67
	v_sub_f32_e32 v30, v32, v31
	v_mul_f32_e32 v32, v65, v69
	v_fma_f32 v34, v69, v65, -v32
	v_fmac_f32_e32 v34, v69, v66
	v_add_f32_e32 v68, v33, v30
	v_add_f32_e32 v30, v32, v34
	v_sub_f32_e32 v33, v31, v30
	v_pk_add_f32 v[52:53], v[30:31], v[32:33] neg_lo:[0,1] neg_hi:[0,1]
	v_mov_b32_e32 v35, v30
	v_pk_add_f32 v[30:31], v[52:53], v[34:35] neg_lo:[0,1] neg_hi:[0,1]
	v_add_f32_e32 v31, v68, v31
	v_add_f32_e32 v30, v30, v31
	;; [unrolled: 1-line block ×3, first 2 shown]
	v_mul_f32_e32 v68, v67, v31
	v_mul_f32_e32 v32, v65, v68
	v_fma_f32 v34, v68, v65, -v32
	v_fmac_f32_e32 v34, v68, v66
	v_sub_f32_e32 v33, v33, v31
	v_add_f32_e32 v65, v30, v33
	v_add_f32_e32 v30, v32, v34
	v_sub_f32_e32 v33, v31, v30
	v_pk_add_f32 v[52:53], v[30:31], v[32:33] neg_lo:[0,1] neg_hi:[0,1]
	v_mov_b32_e32 v35, v30
	v_pk_add_f32 v[30:31], v[52:53], v[34:35] neg_lo:[0,1] neg_hi:[0,1]
	v_add_f32_e32 v31, v65, v31
	v_add_f32_e32 v30, v30, v31
	;; [unrolled: 1-line block ×4, first 2 shown]
	v_sub_f32_e32 v31, v33, v69
	v_mul_f32_e32 v30, v67, v30
	v_sub_f32_e32 v31, v68, v31
	v_add_f32_e32 v30, v31, v30
	v_add_f32_e32 v34, v33, v30
	v_mul_f32_e32 v52, v34, v34
	v_mov_b32_e32 v32, 0x3ecc95a3
	v_fmac_f32_e32 v32, 0x3e9b6dac, v52
	v_mov_b32_e32 v31, 0x3f2aaada
	v_fmac_f32_e32 v31, v52, v32
	v_cvt_f32_i32_e32 v32, v64
	v_sub_f32_e32 v33, v34, v33
	v_sub_f32_e32 v30, v30, v33
	v_ldexp_f32 v53, v30, 1
	v_mul_f32_e32 v33, v34, v52
	v_mov_b32_e32 v30, 0x3f317218
	s_mov_b32 s16, 0x3f317218
	v_pk_mul_f32 v[30:31], v[32:33], v[30:31]
	v_ldexp_f32 v35, v34, 1
	v_fma_f32 v34, v32, s16, -v30
	v_fmac_f32_e32 v34, 0xb102e308, v32
	v_pk_add_f32 v[32:33], v[30:31], v[34:35]
	v_sub_f32_e32 v35, v33, v35
	v_sub_f32_e32 v35, v31, v35
	v_add_f32_e32 v53, v53, v35
	v_mov_b32_e32 v52, v30
	v_pk_add_f32 v[30:31], v[32:33], v[30:31] neg_lo:[0,1] neg_hi:[0,1]
	v_pk_add_f32 v[64:65], v[32:33], v[52:53]
	v_mov_b32_e32 v31, v65
	v_mov_b32_e32 v35, v32
	v_pk_add_f32 v[66:67], v[34:35], v[30:31] neg_lo:[0,1] neg_hi:[0,1]
	v_pk_add_f32 v[30:31], v[34:35], v[30:31]
	v_mov_b32_e32 v34, v31
	v_pk_add_f32 v[68:69], v[34:35], v[32:33] neg_lo:[0,1] neg_hi:[0,1]
	v_mov_b32_e32 v35, v68
	v_pk_add_f32 v[70:71], v[64:65], v[34:35] neg_lo:[0,1] neg_hi:[0,1]
	v_mov_b32_e32 v30, v65
	v_mov_b32_e32 v64, v33
	;; [unrolled: 1-line block ×4, first 2 shown]
	v_pk_add_f32 v[30:31], v[30:31], v[64:65] neg_lo:[0,1] neg_hi:[0,1]
	v_mov_b32_e32 v52, v53
	v_mov_b32_e32 v53, v32
	v_pk_add_f32 v[30:31], v[52:53], v[30:31] neg_lo:[0,1] neg_hi:[0,1]
	v_mov_b32_e32 v70, v66
	v_pk_add_f32 v[32:33], v[70:71], v[30:31]
	v_mov_b32_e32 v52, v33
	v_pk_add_f32 v[52:53], v[32:33], v[52:53]
	v_pk_add_f32 v[34:35], v[34:35], v[52:53]
	v_mov_b32_e32 v33, v34
	v_pk_add_f32 v[64:65], v[32:33], v[66:67] neg_lo:[0,1] neg_hi:[0,1]
	v_mov_b32_e32 v31, v52
	v_sub_f32_e32 v32, v32, v64
	v_pk_add_f32 v[30:31], v[30:31], v[64:65] neg_lo:[0,1] neg_hi:[0,1]
	v_sub_f32_e32 v32, v66, v32
	s_mov_b32 s17, 0x7f800000
	v_add_f32_e32 v30, v30, v32
	s_mov_b32 s16, 0x33800000
	v_add_f32_e32 v30, v30, v31
	v_cmp_eq_f32_e32 vcc, s17, v80
	v_cmp_lt_f32_e64 s[16:17], |v80|, s16
	v_add_f32_e32 v30, v34, v30
	s_or_b64 vcc, vcc, s[16:17]
	v_cndmask_b32_e32 v30, v30, v80, vcc
	v_add_f32_e32 v30, v27, v30
.LBB444_59:
	s_or_b64 exec, exec, s[14:15]
	v_bfe_u32 v27, v30, 16, 1
	s_movk_i32 s16, 0x7fff
	v_add3_u32 v27, v30, v27, s16
	v_and_b32_e32 v31, 0xffff0000, v27
	v_mov_b32_e32 v27, 0x7fc00000
	v_cmp_o_f32_e32 vcc, v30, v30
	v_cndmask_b32_e32 v30, v27, v31, vcc
	v_lshlrev_b32_sdwa v52, v26, v22 dst_sel:DWORD dst_unused:UNUSED_PAD src0_sel:DWORD src1_sel:WORD_0
	v_max_f32_e32 v26, v30, v30
	v_max_f32_e32 v66, v52, v52
	v_min_f32_e32 v31, v26, v66
	v_cmp_u_f32_e32 vcc, v30, v30
	v_max_f32_e32 v26, v26, v66
	v_cndmask_b32_e32 v31, v31, v30, vcc
	v_cmp_u_f32_e64 s[58:59], v52, v52
	v_cndmask_b32_e32 v26, v26, v30, vcc
	v_cndmask_b32_e64 v31, v31, v52, s[58:59]
	v_cndmask_b32_e64 v26, v26, v52, s[58:59]
	v_cmp_neq_f32_e32 vcc, v31, v26
	v_cmp_class_f32_e64 s[14:15], v31, s13
	s_or_b64 s[18:19], vcc, s[14:15]
	s_and_saveexec_b64 s[14:15], s[18:19]
	s_cbranch_execz .LBB444_61
; %bb.60:
	v_sub_f32_e32 v30, v31, v26
	s_mov_b32 s13, 0x3fb8aa3b
	v_mul_f32_e32 v31, 0x3fb8aa3b, v30
	v_fma_f32 v32, v30, s13, -v31
	v_rndne_f32_e32 v33, v31
	v_fmac_f32_e32 v32, 0x32a5705f, v30
	v_sub_f32_e32 v31, v31, v33
	v_add_f32_e32 v31, v31, v32
	v_exp_f32_e32 v31, v31
	v_cvt_i32_f32_e32 v32, v33
	s_mov_b32 s13, 0xc2ce8ed0
	v_cmp_ngt_f32_e32 vcc, s13, v30
	s_mov_b32 s13, 0x42b17218
	v_ldexp_f32 v31, v31, v32
	v_cndmask_b32_e32 v31, 0, v31, vcc
	v_mov_b32_e32 v32, 0x7f800000
	v_cmp_nlt_f32_e32 vcc, s13, v30
	v_cndmask_b32_e32 v53, v32, v31, vcc
	v_add_f32_e32 v32, 1.0, v53
	v_add_f32_e32 v30, -1.0, v32
	v_sub_f32_e32 v31, v30, v32
	v_add_f32_e32 v31, 1.0, v31
	v_sub_f32_e32 v30, v53, v30
	v_add_f32_e32 v33, v30, v31
	v_frexp_mant_f32_e32 v34, v32
	s_mov_b32 s13, 0x3f2aaaab
	v_cvt_f64_f32_e32 v[30:31], v32
	v_frexp_exp_i32_f64_e32 v30, v[30:31]
	v_cmp_gt_f32_e32 vcc, s13, v34
	v_subbrev_co_u32_e32 v67, vcc, 0, v30, vcc
	v_sub_u32_e32 v30, 0, v67
	v_ldexp_f32 v31, v32, v30
	v_add_f32_e32 v32, -1.0, v31
	v_add_f32_e32 v34, 1.0, v31
	v_ldexp_f32 v30, v33, v30
	v_add_f32_e32 v33, 1.0, v32
	v_add_f32_e32 v35, -1.0, v34
	v_sub_f32_e32 v33, v31, v33
	v_sub_f32_e32 v31, v31, v35
	v_add_f32_e32 v33, v30, v33
	v_add_f32_e32 v30, v30, v31
	v_add_f32_e32 v68, v34, v30
	v_rcp_f32_e32 v70, v68
	v_sub_f32_e32 v31, v34, v68
	v_add_f32_e32 v69, v30, v31
	v_add_f32_e32 v31, v32, v33
	v_mul_f32_e32 v80, v31, v70
	v_sub_f32_e32 v30, v32, v31
	v_mul_f32_e32 v32, v68, v80
	v_fma_f32 v34, v80, v68, -v32
	v_fmac_f32_e32 v34, v80, v69
	v_add_f32_e32 v71, v33, v30
	v_add_f32_e32 v30, v32, v34
	v_sub_f32_e32 v33, v31, v30
	v_pk_add_f32 v[64:65], v[30:31], v[32:33] neg_lo:[0,1] neg_hi:[0,1]
	v_mov_b32_e32 v35, v30
	v_pk_add_f32 v[30:31], v[64:65], v[34:35] neg_lo:[0,1] neg_hi:[0,1]
	v_add_f32_e32 v31, v71, v31
	v_add_f32_e32 v30, v30, v31
	;; [unrolled: 1-line block ×3, first 2 shown]
	v_mul_f32_e32 v71, v70, v31
	v_mul_f32_e32 v32, v68, v71
	v_fma_f32 v34, v71, v68, -v32
	v_fmac_f32_e32 v34, v71, v69
	v_sub_f32_e32 v33, v33, v31
	v_add_f32_e32 v68, v30, v33
	v_add_f32_e32 v30, v32, v34
	v_sub_f32_e32 v33, v31, v30
	v_pk_add_f32 v[64:65], v[30:31], v[32:33] neg_lo:[0,1] neg_hi:[0,1]
	v_mov_b32_e32 v35, v30
	v_pk_add_f32 v[30:31], v[64:65], v[34:35] neg_lo:[0,1] neg_hi:[0,1]
	v_add_f32_e32 v31, v68, v31
	v_add_f32_e32 v30, v30, v31
	;; [unrolled: 1-line block ×4, first 2 shown]
	v_sub_f32_e32 v31, v33, v80
	v_mul_f32_e32 v30, v70, v30
	v_sub_f32_e32 v31, v71, v31
	v_add_f32_e32 v30, v31, v30
	v_add_f32_e32 v34, v33, v30
	v_mul_f32_e32 v64, v34, v34
	v_mov_b32_e32 v32, 0x3ecc95a3
	v_fmac_f32_e32 v32, 0x3e9b6dac, v64
	v_mov_b32_e32 v31, 0x3f2aaada
	v_fmac_f32_e32 v31, v64, v32
	v_cvt_f32_i32_e32 v32, v67
	v_sub_f32_e32 v33, v34, v33
	v_sub_f32_e32 v30, v30, v33
	v_ldexp_f32 v65, v30, 1
	v_mul_f32_e32 v33, v34, v64
	v_mov_b32_e32 v30, 0x3f317218
	s_mov_b32 s13, 0x3f317218
	v_pk_mul_f32 v[30:31], v[32:33], v[30:31]
	v_ldexp_f32 v35, v34, 1
	v_fma_f32 v34, v32, s13, -v30
	v_fmac_f32_e32 v34, 0xb102e308, v32
	v_pk_add_f32 v[32:33], v[30:31], v[34:35]
	v_sub_f32_e32 v35, v33, v35
	v_sub_f32_e32 v35, v31, v35
	v_add_f32_e32 v65, v65, v35
	v_mov_b32_e32 v64, v30
	v_pk_add_f32 v[30:31], v[32:33], v[30:31] neg_lo:[0,1] neg_hi:[0,1]
	v_pk_add_f32 v[68:69], v[32:33], v[64:65]
	v_mov_b32_e32 v31, v69
	v_mov_b32_e32 v35, v32
	v_pk_add_f32 v[70:71], v[34:35], v[30:31] neg_lo:[0,1] neg_hi:[0,1]
	v_pk_add_f32 v[30:31], v[34:35], v[30:31]
	v_mov_b32_e32 v34, v31
	v_pk_add_f32 v[80:81], v[34:35], v[32:33] neg_lo:[0,1] neg_hi:[0,1]
	v_mov_b32_e32 v35, v80
	v_pk_add_f32 v[82:83], v[68:69], v[34:35] neg_lo:[0,1] neg_hi:[0,1]
	v_mov_b32_e32 v30, v69
	v_mov_b32_e32 v68, v33
	v_mov_b32_e32 v69, v80
	v_mov_b32_e32 v71, v31
	v_pk_add_f32 v[30:31], v[30:31], v[68:69] neg_lo:[0,1] neg_hi:[0,1]
	v_mov_b32_e32 v64, v65
	v_mov_b32_e32 v65, v32
	v_pk_add_f32 v[30:31], v[64:65], v[30:31] neg_lo:[0,1] neg_hi:[0,1]
	v_mov_b32_e32 v82, v70
	v_pk_add_f32 v[32:33], v[82:83], v[30:31]
	v_mov_b32_e32 v64, v33
	v_pk_add_f32 v[64:65], v[32:33], v[64:65]
	v_pk_add_f32 v[34:35], v[34:35], v[64:65]
	v_mov_b32_e32 v33, v34
	v_pk_add_f32 v[68:69], v[32:33], v[70:71] neg_lo:[0,1] neg_hi:[0,1]
	v_mov_b32_e32 v31, v64
	v_sub_f32_e32 v32, v32, v68
	v_pk_add_f32 v[30:31], v[30:31], v[68:69] neg_lo:[0,1] neg_hi:[0,1]
	v_sub_f32_e32 v32, v70, v32
	s_mov_b32 s17, 0x7f800000
	v_add_f32_e32 v30, v30, v32
	s_mov_b32 s13, 0x33800000
	v_add_f32_e32 v30, v30, v31
	v_cmp_eq_f32_e32 vcc, s17, v53
	v_cmp_lt_f32_e64 s[18:19], |v53|, s13
	v_add_f32_e32 v30, v34, v30
	s_or_b64 vcc, vcc, s[18:19]
	v_cndmask_b32_e32 v30, v30, v53, vcc
	v_add_f32_e32 v30, v26, v30
.LBB444_61:
	s_or_b64 exec, exec, s[14:15]
	v_bfe_u32 v26, v30, 16, 1
	v_add3_u32 v26, v30, v26, s16
	v_and_b32_e32 v26, 0xffff0000, v26
	v_cmp_o_f32_e32 vcc, v30, v30
	v_cndmask_b32_e32 v30, v27, v26, vcc
	v_mov_b32_e32 v26, 16
	v_lshlrev_b32_sdwa v53, v26, v22 dst_sel:DWORD dst_unused:UNUSED_PAD src0_sel:DWORD src1_sel:WORD_1
	v_max_f32_e32 v27, v30, v30
	v_max_f32_e32 v67, v53, v53
	v_min_f32_e32 v31, v27, v67
	v_cmp_u_f32_e32 vcc, v30, v30
	v_max_f32_e32 v27, v27, v67
	v_cndmask_b32_e32 v31, v31, v30, vcc
	v_cmp_u_f32_e64 s[14:15], v53, v53
	v_cndmask_b32_e32 v27, v27, v30, vcc
	v_cndmask_b32_e64 v31, v31, v53, s[14:15]
	v_cndmask_b32_e64 v27, v27, v53, s[14:15]
	s_movk_i32 s13, 0x1f8
	v_cmp_neq_f32_e32 vcc, v31, v27
	v_cmp_class_f32_e64 s[16:17], v31, s13
	s_or_b64 s[18:19], vcc, s[16:17]
	s_and_saveexec_b64 s[16:17], s[18:19]
	s_cbranch_execz .LBB444_63
; %bb.62:
	v_sub_f32_e32 v30, v31, v27
	s_mov_b32 s18, 0x3fb8aa3b
	v_mul_f32_e32 v31, 0x3fb8aa3b, v30
	v_fma_f32 v32, v30, s18, -v31
	v_rndne_f32_e32 v33, v31
	v_fmac_f32_e32 v32, 0x32a5705f, v30
	v_sub_f32_e32 v31, v31, v33
	v_add_f32_e32 v31, v31, v32
	v_exp_f32_e32 v31, v31
	v_cvt_i32_f32_e32 v32, v33
	s_mov_b32 s18, 0xc2ce8ed0
	v_cmp_ngt_f32_e32 vcc, s18, v30
	s_mov_b32 s18, 0x42b17218
	v_ldexp_f32 v31, v31, v32
	v_cndmask_b32_e32 v31, 0, v31, vcc
	v_mov_b32_e32 v32, 0x7f800000
	v_cmp_nlt_f32_e32 vcc, s18, v30
	v_cndmask_b32_e32 v84, v32, v31, vcc
	v_add_f32_e32 v32, 1.0, v84
	v_add_f32_e32 v30, -1.0, v32
	v_sub_f32_e32 v31, v30, v32
	v_add_f32_e32 v31, 1.0, v31
	v_sub_f32_e32 v30, v84, v30
	v_add_f32_e32 v33, v30, v31
	v_frexp_mant_f32_e32 v34, v32
	s_mov_b32 s18, 0x3f2aaaab
	v_cvt_f64_f32_e32 v[30:31], v32
	v_frexp_exp_i32_f64_e32 v30, v[30:31]
	v_cmp_gt_f32_e32 vcc, s18, v34
	v_subbrev_co_u32_e32 v68, vcc, 0, v30, vcc
	v_sub_u32_e32 v30, 0, v68
	v_ldexp_f32 v31, v32, v30
	v_add_f32_e32 v32, -1.0, v31
	v_add_f32_e32 v34, 1.0, v31
	v_ldexp_f32 v30, v33, v30
	v_add_f32_e32 v33, 1.0, v32
	v_add_f32_e32 v35, -1.0, v34
	v_sub_f32_e32 v33, v31, v33
	v_sub_f32_e32 v31, v31, v35
	v_add_f32_e32 v33, v30, v33
	v_add_f32_e32 v30, v30, v31
	;; [unrolled: 1-line block ×3, first 2 shown]
	v_rcp_f32_e32 v71, v69
	v_sub_f32_e32 v31, v34, v69
	v_add_f32_e32 v70, v30, v31
	v_add_f32_e32 v31, v32, v33
	v_mul_f32_e32 v81, v31, v71
	v_sub_f32_e32 v30, v32, v31
	v_mul_f32_e32 v32, v69, v81
	v_fma_f32 v34, v81, v69, -v32
	v_fmac_f32_e32 v34, v81, v70
	v_add_f32_e32 v80, v33, v30
	v_add_f32_e32 v30, v32, v34
	v_sub_f32_e32 v33, v31, v30
	v_pk_add_f32 v[64:65], v[30:31], v[32:33] neg_lo:[0,1] neg_hi:[0,1]
	v_mov_b32_e32 v35, v30
	v_pk_add_f32 v[30:31], v[64:65], v[34:35] neg_lo:[0,1] neg_hi:[0,1]
	v_add_f32_e32 v31, v80, v31
	v_add_f32_e32 v30, v30, v31
	;; [unrolled: 1-line block ×3, first 2 shown]
	v_mul_f32_e32 v80, v71, v31
	v_mul_f32_e32 v32, v69, v80
	v_fma_f32 v34, v80, v69, -v32
	v_fmac_f32_e32 v34, v80, v70
	v_sub_f32_e32 v33, v33, v31
	v_add_f32_e32 v69, v30, v33
	v_add_f32_e32 v30, v32, v34
	v_sub_f32_e32 v33, v31, v30
	v_pk_add_f32 v[64:65], v[30:31], v[32:33] neg_lo:[0,1] neg_hi:[0,1]
	v_mov_b32_e32 v35, v30
	v_pk_add_f32 v[30:31], v[64:65], v[34:35] neg_lo:[0,1] neg_hi:[0,1]
	v_add_f32_e32 v31, v69, v31
	v_add_f32_e32 v30, v30, v31
	;; [unrolled: 1-line block ×4, first 2 shown]
	v_sub_f32_e32 v31, v33, v81
	v_mul_f32_e32 v30, v71, v30
	v_sub_f32_e32 v31, v80, v31
	v_add_f32_e32 v30, v31, v30
	v_add_f32_e32 v34, v33, v30
	v_mul_f32_e32 v64, v34, v34
	v_mov_b32_e32 v32, 0x3ecc95a3
	v_fmac_f32_e32 v32, 0x3e9b6dac, v64
	v_mov_b32_e32 v31, 0x3f2aaada
	v_fmac_f32_e32 v31, v64, v32
	v_cvt_f32_i32_e32 v32, v68
	v_sub_f32_e32 v33, v34, v33
	v_sub_f32_e32 v30, v30, v33
	v_ldexp_f32 v65, v30, 1
	v_mul_f32_e32 v33, v34, v64
	v_mov_b32_e32 v30, 0x3f317218
	s_mov_b32 s18, 0x3f317218
	v_pk_mul_f32 v[30:31], v[32:33], v[30:31]
	v_ldexp_f32 v35, v34, 1
	v_fma_f32 v34, v32, s18, -v30
	v_fmac_f32_e32 v34, 0xb102e308, v32
	v_pk_add_f32 v[32:33], v[30:31], v[34:35]
	v_sub_f32_e32 v35, v33, v35
	v_sub_f32_e32 v35, v31, v35
	v_add_f32_e32 v65, v65, v35
	v_mov_b32_e32 v64, v30
	v_pk_add_f32 v[30:31], v[32:33], v[30:31] neg_lo:[0,1] neg_hi:[0,1]
	v_pk_add_f32 v[68:69], v[32:33], v[64:65]
	v_mov_b32_e32 v31, v69
	v_mov_b32_e32 v35, v32
	v_pk_add_f32 v[70:71], v[34:35], v[30:31] neg_lo:[0,1] neg_hi:[0,1]
	v_pk_add_f32 v[30:31], v[34:35], v[30:31]
	v_mov_b32_e32 v34, v31
	v_pk_add_f32 v[80:81], v[34:35], v[32:33] neg_lo:[0,1] neg_hi:[0,1]
	v_mov_b32_e32 v35, v80
	v_pk_add_f32 v[82:83], v[68:69], v[34:35] neg_lo:[0,1] neg_hi:[0,1]
	v_mov_b32_e32 v30, v69
	v_mov_b32_e32 v68, v33
	;; [unrolled: 1-line block ×4, first 2 shown]
	v_pk_add_f32 v[30:31], v[30:31], v[68:69] neg_lo:[0,1] neg_hi:[0,1]
	v_mov_b32_e32 v64, v65
	v_mov_b32_e32 v65, v32
	v_pk_add_f32 v[30:31], v[64:65], v[30:31] neg_lo:[0,1] neg_hi:[0,1]
	v_mov_b32_e32 v82, v70
	v_pk_add_f32 v[32:33], v[82:83], v[30:31]
	v_mov_b32_e32 v64, v33
	v_pk_add_f32 v[64:65], v[32:33], v[64:65]
	v_pk_add_f32 v[34:35], v[34:35], v[64:65]
	v_mov_b32_e32 v33, v34
	v_pk_add_f32 v[68:69], v[32:33], v[70:71] neg_lo:[0,1] neg_hi:[0,1]
	v_mov_b32_e32 v31, v64
	v_sub_f32_e32 v32, v32, v68
	v_pk_add_f32 v[30:31], v[30:31], v[68:69] neg_lo:[0,1] neg_hi:[0,1]
	v_sub_f32_e32 v32, v70, v32
	s_mov_b32 s19, 0x7f800000
	v_add_f32_e32 v30, v30, v32
	s_mov_b32 s18, 0x33800000
	v_add_f32_e32 v30, v30, v31
	v_cmp_eq_f32_e32 vcc, s19, v84
	v_cmp_lt_f32_e64 s[18:19], |v84|, s18
	v_add_f32_e32 v30, v34, v30
	s_or_b64 vcc, vcc, s[18:19]
	v_cndmask_b32_e32 v30, v30, v84, vcc
	v_add_f32_e32 v30, v27, v30
.LBB444_63:
	s_or_b64 exec, exec, s[16:17]
	v_bfe_u32 v27, v30, 16, 1
	s_movk_i32 s20, 0x7fff
	v_add3_u32 v27, v30, v27, s20
	v_and_b32_e32 v31, 0xffff0000, v27
	v_mov_b32_e32 v27, 0x7fc00000
	v_cmp_o_f32_e32 vcc, v30, v30
	v_cndmask_b32_e32 v30, v27, v31, vcc
	v_lshlrev_b32_sdwa v64, v26, v23 dst_sel:DWORD dst_unused:UNUSED_PAD src0_sel:DWORD src1_sel:WORD_0
	v_max_f32_e32 v26, v30, v30
	v_max_f32_e32 v70, v64, v64
	v_min_f32_e32 v31, v26, v70
	v_cmp_u_f32_e32 vcc, v30, v30
	v_max_f32_e32 v26, v26, v70
	v_cndmask_b32_e32 v31, v31, v30, vcc
	v_cmp_u_f32_e64 s[16:17], v64, v64
	v_cndmask_b32_e32 v26, v26, v30, vcc
	v_cndmask_b32_e64 v31, v31, v64, s[16:17]
	v_cndmask_b32_e64 v26, v26, v64, s[16:17]
	v_cmp_neq_f32_e32 vcc, v31, v26
	v_cmp_class_f32_e64 s[18:19], v31, s13
	s_or_b64 s[22:23], vcc, s[18:19]
	s_and_saveexec_b64 s[18:19], s[22:23]
	s_cbranch_execz .LBB444_65
; %bb.64:
	v_sub_f32_e32 v30, v31, v26
	s_mov_b32 s13, 0x3fb8aa3b
	v_mul_f32_e32 v31, 0x3fb8aa3b, v30
	v_fma_f32 v32, v30, s13, -v31
	v_rndne_f32_e32 v33, v31
	v_fmac_f32_e32 v32, 0x32a5705f, v30
	v_sub_f32_e32 v31, v31, v33
	v_add_f32_e32 v31, v31, v32
	v_exp_f32_e32 v31, v31
	v_cvt_i32_f32_e32 v32, v33
	s_mov_b32 s13, 0xc2ce8ed0
	v_cmp_ngt_f32_e32 vcc, s13, v30
	s_mov_b32 s13, 0x42b17218
	v_ldexp_f32 v31, v31, v32
	v_cndmask_b32_e32 v31, 0, v31, vcc
	v_mov_b32_e32 v32, 0x7f800000
	v_cmp_nlt_f32_e32 vcc, s13, v30
	v_cndmask_b32_e32 v65, v32, v31, vcc
	v_add_f32_e32 v32, 1.0, v65
	v_add_f32_e32 v30, -1.0, v32
	v_sub_f32_e32 v31, v30, v32
	v_add_f32_e32 v31, 1.0, v31
	v_sub_f32_e32 v30, v65, v30
	v_add_f32_e32 v33, v30, v31
	v_frexp_mant_f32_e32 v34, v32
	s_mov_b32 s13, 0x3f2aaaab
	v_cvt_f64_f32_e32 v[30:31], v32
	v_frexp_exp_i32_f64_e32 v30, v[30:31]
	v_cmp_gt_f32_e32 vcc, s13, v34
	v_subbrev_co_u32_e32 v71, vcc, 0, v30, vcc
	v_sub_u32_e32 v30, 0, v71
	v_ldexp_f32 v31, v32, v30
	v_add_f32_e32 v32, -1.0, v31
	v_add_f32_e32 v34, 1.0, v31
	v_ldexp_f32 v30, v33, v30
	v_add_f32_e32 v33, 1.0, v32
	v_add_f32_e32 v35, -1.0, v34
	v_sub_f32_e32 v33, v31, v33
	v_sub_f32_e32 v31, v31, v35
	v_add_f32_e32 v33, v30, v33
	v_add_f32_e32 v30, v30, v31
	;; [unrolled: 1-line block ×3, first 2 shown]
	v_rcp_f32_e32 v82, v80
	v_sub_f32_e32 v31, v34, v80
	v_add_f32_e32 v81, v30, v31
	v_add_f32_e32 v31, v32, v33
	v_mul_f32_e32 v84, v31, v82
	v_sub_f32_e32 v30, v32, v31
	v_mul_f32_e32 v32, v80, v84
	v_fma_f32 v34, v84, v80, -v32
	v_fmac_f32_e32 v34, v84, v81
	v_add_f32_e32 v83, v33, v30
	v_add_f32_e32 v30, v32, v34
	v_sub_f32_e32 v33, v31, v30
	v_pk_add_f32 v[68:69], v[30:31], v[32:33] neg_lo:[0,1] neg_hi:[0,1]
	v_mov_b32_e32 v35, v30
	v_pk_add_f32 v[30:31], v[68:69], v[34:35] neg_lo:[0,1] neg_hi:[0,1]
	v_add_f32_e32 v31, v83, v31
	v_add_f32_e32 v30, v30, v31
	;; [unrolled: 1-line block ×3, first 2 shown]
	v_mul_f32_e32 v83, v82, v31
	v_mul_f32_e32 v32, v80, v83
	v_fma_f32 v34, v83, v80, -v32
	v_fmac_f32_e32 v34, v83, v81
	v_sub_f32_e32 v33, v33, v31
	v_add_f32_e32 v80, v30, v33
	v_add_f32_e32 v30, v32, v34
	v_sub_f32_e32 v33, v31, v30
	v_pk_add_f32 v[68:69], v[30:31], v[32:33] neg_lo:[0,1] neg_hi:[0,1]
	v_mov_b32_e32 v35, v30
	v_pk_add_f32 v[30:31], v[68:69], v[34:35] neg_lo:[0,1] neg_hi:[0,1]
	v_add_f32_e32 v31, v80, v31
	v_add_f32_e32 v30, v30, v31
	;; [unrolled: 1-line block ×4, first 2 shown]
	v_sub_f32_e32 v31, v33, v84
	v_mul_f32_e32 v30, v82, v30
	v_sub_f32_e32 v31, v83, v31
	v_add_f32_e32 v30, v31, v30
	v_add_f32_e32 v34, v33, v30
	v_mul_f32_e32 v68, v34, v34
	v_mov_b32_e32 v32, 0x3ecc95a3
	v_fmac_f32_e32 v32, 0x3e9b6dac, v68
	v_mov_b32_e32 v31, 0x3f2aaada
	v_fmac_f32_e32 v31, v68, v32
	v_cvt_f32_i32_e32 v32, v71
	v_sub_f32_e32 v33, v34, v33
	v_sub_f32_e32 v30, v30, v33
	v_ldexp_f32 v69, v30, 1
	v_mul_f32_e32 v33, v34, v68
	v_mov_b32_e32 v30, 0x3f317218
	s_mov_b32 s13, 0x3f317218
	v_pk_mul_f32 v[30:31], v[32:33], v[30:31]
	v_ldexp_f32 v35, v34, 1
	v_fma_f32 v34, v32, s13, -v30
	v_fmac_f32_e32 v34, 0xb102e308, v32
	v_pk_add_f32 v[32:33], v[30:31], v[34:35]
	v_sub_f32_e32 v35, v33, v35
	v_sub_f32_e32 v35, v31, v35
	v_add_f32_e32 v69, v69, v35
	v_mov_b32_e32 v68, v30
	v_pk_add_f32 v[30:31], v[32:33], v[30:31] neg_lo:[0,1] neg_hi:[0,1]
	v_pk_add_f32 v[80:81], v[32:33], v[68:69]
	v_mov_b32_e32 v31, v81
	v_mov_b32_e32 v35, v32
	v_pk_add_f32 v[82:83], v[34:35], v[30:31] neg_lo:[0,1] neg_hi:[0,1]
	v_pk_add_f32 v[30:31], v[34:35], v[30:31]
	v_mov_b32_e32 v34, v31
	v_pk_add_f32 v[84:85], v[34:35], v[32:33] neg_lo:[0,1] neg_hi:[0,1]
	v_mov_b32_e32 v35, v84
	v_pk_add_f32 v[86:87], v[80:81], v[34:35] neg_lo:[0,1] neg_hi:[0,1]
	v_mov_b32_e32 v30, v81
	v_mov_b32_e32 v80, v33
	;; [unrolled: 1-line block ×4, first 2 shown]
	v_pk_add_f32 v[30:31], v[30:31], v[80:81] neg_lo:[0,1] neg_hi:[0,1]
	v_mov_b32_e32 v68, v69
	v_mov_b32_e32 v69, v32
	v_pk_add_f32 v[30:31], v[68:69], v[30:31] neg_lo:[0,1] neg_hi:[0,1]
	v_mov_b32_e32 v86, v82
	v_pk_add_f32 v[32:33], v[86:87], v[30:31]
	v_mov_b32_e32 v68, v33
	v_pk_add_f32 v[68:69], v[32:33], v[68:69]
	v_pk_add_f32 v[34:35], v[34:35], v[68:69]
	v_mov_b32_e32 v33, v34
	v_pk_add_f32 v[80:81], v[32:33], v[82:83] neg_lo:[0,1] neg_hi:[0,1]
	v_mov_b32_e32 v31, v68
	v_sub_f32_e32 v32, v32, v80
	v_pk_add_f32 v[30:31], v[30:31], v[80:81] neg_lo:[0,1] neg_hi:[0,1]
	v_sub_f32_e32 v32, v82, v32
	s_mov_b32 s21, 0x7f800000
	v_add_f32_e32 v30, v30, v32
	s_mov_b32 s13, 0x33800000
	v_add_f32_e32 v30, v30, v31
	v_cmp_eq_f32_e32 vcc, s21, v65
	v_cmp_lt_f32_e64 s[22:23], |v65|, s13
	v_add_f32_e32 v30, v34, v30
	s_or_b64 vcc, vcc, s[22:23]
	v_cndmask_b32_e32 v30, v30, v65, vcc
	v_add_f32_e32 v30, v26, v30
.LBB444_65:
	s_or_b64 exec, exec, s[18:19]
	v_bfe_u32 v26, v30, 16, 1
	v_add3_u32 v26, v30, v26, s20
	v_and_b32_e32 v26, 0xffff0000, v26
	v_cmp_o_f32_e32 vcc, v30, v30
	v_cndmask_b32_e32 v30, v27, v26, vcc
	v_mov_b32_e32 v26, 16
	v_lshlrev_b32_sdwa v65, v26, v23 dst_sel:DWORD dst_unused:UNUSED_PAD src0_sel:DWORD src1_sel:WORD_1
	v_max_f32_e32 v27, v30, v30
	v_max_f32_e32 v71, v65, v65
	v_min_f32_e32 v31, v27, v71
	v_cmp_u_f32_e32 vcc, v30, v30
	v_max_f32_e32 v27, v27, v71
	v_cndmask_b32_e32 v31, v31, v30, vcc
	v_cmp_u_f32_e64 s[18:19], v65, v65
	v_cndmask_b32_e32 v27, v27, v30, vcc
	v_cndmask_b32_e64 v31, v31, v65, s[18:19]
	v_cndmask_b32_e64 v27, v27, v65, s[18:19]
	s_movk_i32 s13, 0x1f8
	v_cmp_neq_f32_e32 vcc, v31, v27
	v_cmp_class_f32_e64 s[20:21], v31, s13
	s_or_b64 s[22:23], vcc, s[20:21]
	s_and_saveexec_b64 s[20:21], s[22:23]
	s_cbranch_execz .LBB444_67
; %bb.66:
	v_sub_f32_e32 v30, v31, v27
	s_mov_b32 s22, 0x3fb8aa3b
	v_mul_f32_e32 v31, 0x3fb8aa3b, v30
	v_fma_f32 v32, v30, s22, -v31
	v_rndne_f32_e32 v33, v31
	v_fmac_f32_e32 v32, 0x32a5705f, v30
	v_sub_f32_e32 v31, v31, v33
	v_add_f32_e32 v31, v31, v32
	v_exp_f32_e32 v31, v31
	v_cvt_i32_f32_e32 v32, v33
	s_mov_b32 s22, 0xc2ce8ed0
	v_cmp_ngt_f32_e32 vcc, s22, v30
	s_mov_b32 s22, 0x42b17218
	v_ldexp_f32 v31, v31, v32
	v_cndmask_b32_e32 v31, 0, v31, vcc
	v_mov_b32_e32 v32, 0x7f800000
	v_cmp_nlt_f32_e32 vcc, s22, v30
	v_cndmask_b32_e32 v96, v32, v31, vcc
	v_add_f32_e32 v32, 1.0, v96
	v_add_f32_e32 v30, -1.0, v32
	v_sub_f32_e32 v31, v30, v32
	v_add_f32_e32 v31, 1.0, v31
	v_sub_f32_e32 v30, v96, v30
	v_add_f32_e32 v33, v30, v31
	v_frexp_mant_f32_e32 v34, v32
	s_mov_b32 s22, 0x3f2aaaab
	v_cvt_f64_f32_e32 v[30:31], v32
	v_frexp_exp_i32_f64_e32 v30, v[30:31]
	v_cmp_gt_f32_e32 vcc, s22, v34
	v_subbrev_co_u32_e32 v80, vcc, 0, v30, vcc
	v_sub_u32_e32 v30, 0, v80
	v_ldexp_f32 v31, v32, v30
	v_add_f32_e32 v32, -1.0, v31
	v_add_f32_e32 v34, 1.0, v31
	v_ldexp_f32 v30, v33, v30
	v_add_f32_e32 v33, 1.0, v32
	v_add_f32_e32 v35, -1.0, v34
	v_sub_f32_e32 v33, v31, v33
	v_sub_f32_e32 v31, v31, v35
	v_add_f32_e32 v33, v30, v33
	v_add_f32_e32 v30, v30, v31
	;; [unrolled: 1-line block ×3, first 2 shown]
	v_rcp_f32_e32 v83, v81
	v_sub_f32_e32 v31, v34, v81
	v_add_f32_e32 v82, v30, v31
	v_add_f32_e32 v31, v32, v33
	v_mul_f32_e32 v85, v31, v83
	v_sub_f32_e32 v30, v32, v31
	v_mul_f32_e32 v32, v81, v85
	v_fma_f32 v34, v85, v81, -v32
	v_fmac_f32_e32 v34, v85, v82
	v_add_f32_e32 v84, v33, v30
	v_add_f32_e32 v30, v32, v34
	v_sub_f32_e32 v33, v31, v30
	v_pk_add_f32 v[68:69], v[30:31], v[32:33] neg_lo:[0,1] neg_hi:[0,1]
	v_mov_b32_e32 v35, v30
	v_pk_add_f32 v[30:31], v[68:69], v[34:35] neg_lo:[0,1] neg_hi:[0,1]
	v_add_f32_e32 v31, v84, v31
	v_add_f32_e32 v30, v30, v31
	;; [unrolled: 1-line block ×3, first 2 shown]
	v_mul_f32_e32 v84, v83, v31
	v_mul_f32_e32 v32, v81, v84
	v_fma_f32 v34, v84, v81, -v32
	v_fmac_f32_e32 v34, v84, v82
	v_sub_f32_e32 v33, v33, v31
	v_add_f32_e32 v81, v30, v33
	v_add_f32_e32 v30, v32, v34
	v_sub_f32_e32 v33, v31, v30
	v_pk_add_f32 v[68:69], v[30:31], v[32:33] neg_lo:[0,1] neg_hi:[0,1]
	v_mov_b32_e32 v35, v30
	v_pk_add_f32 v[30:31], v[68:69], v[34:35] neg_lo:[0,1] neg_hi:[0,1]
	v_add_f32_e32 v31, v81, v31
	v_add_f32_e32 v30, v30, v31
	;; [unrolled: 1-line block ×4, first 2 shown]
	v_sub_f32_e32 v31, v33, v85
	v_mul_f32_e32 v30, v83, v30
	v_sub_f32_e32 v31, v84, v31
	v_add_f32_e32 v30, v31, v30
	v_add_f32_e32 v34, v33, v30
	v_mul_f32_e32 v68, v34, v34
	v_mov_b32_e32 v32, 0x3ecc95a3
	v_fmac_f32_e32 v32, 0x3e9b6dac, v68
	v_mov_b32_e32 v31, 0x3f2aaada
	v_fmac_f32_e32 v31, v68, v32
	v_cvt_f32_i32_e32 v32, v80
	v_sub_f32_e32 v33, v34, v33
	v_sub_f32_e32 v30, v30, v33
	v_ldexp_f32 v69, v30, 1
	v_mul_f32_e32 v33, v34, v68
	v_mov_b32_e32 v30, 0x3f317218
	s_mov_b32 s22, 0x3f317218
	v_pk_mul_f32 v[30:31], v[32:33], v[30:31]
	v_ldexp_f32 v35, v34, 1
	v_fma_f32 v34, v32, s22, -v30
	v_fmac_f32_e32 v34, 0xb102e308, v32
	v_pk_add_f32 v[32:33], v[30:31], v[34:35]
	v_sub_f32_e32 v35, v33, v35
	v_sub_f32_e32 v35, v31, v35
	v_add_f32_e32 v69, v69, v35
	v_mov_b32_e32 v68, v30
	v_pk_add_f32 v[30:31], v[32:33], v[30:31] neg_lo:[0,1] neg_hi:[0,1]
	v_pk_add_f32 v[80:81], v[32:33], v[68:69]
	v_mov_b32_e32 v31, v81
	v_mov_b32_e32 v35, v32
	v_pk_add_f32 v[82:83], v[34:35], v[30:31] neg_lo:[0,1] neg_hi:[0,1]
	v_pk_add_f32 v[30:31], v[34:35], v[30:31]
	v_mov_b32_e32 v34, v31
	v_pk_add_f32 v[84:85], v[34:35], v[32:33] neg_lo:[0,1] neg_hi:[0,1]
	v_mov_b32_e32 v35, v84
	v_pk_add_f32 v[86:87], v[80:81], v[34:35] neg_lo:[0,1] neg_hi:[0,1]
	v_mov_b32_e32 v30, v81
	v_mov_b32_e32 v80, v33
	;; [unrolled: 1-line block ×4, first 2 shown]
	v_pk_add_f32 v[30:31], v[30:31], v[80:81] neg_lo:[0,1] neg_hi:[0,1]
	v_mov_b32_e32 v68, v69
	v_mov_b32_e32 v69, v32
	v_pk_add_f32 v[30:31], v[68:69], v[30:31] neg_lo:[0,1] neg_hi:[0,1]
	v_mov_b32_e32 v86, v82
	v_pk_add_f32 v[32:33], v[86:87], v[30:31]
	v_mov_b32_e32 v68, v33
	v_pk_add_f32 v[68:69], v[32:33], v[68:69]
	v_pk_add_f32 v[34:35], v[34:35], v[68:69]
	v_mov_b32_e32 v33, v34
	v_pk_add_f32 v[80:81], v[32:33], v[82:83] neg_lo:[0,1] neg_hi:[0,1]
	v_mov_b32_e32 v31, v68
	v_sub_f32_e32 v32, v32, v80
	v_pk_add_f32 v[30:31], v[30:31], v[80:81] neg_lo:[0,1] neg_hi:[0,1]
	v_sub_f32_e32 v32, v82, v32
	s_mov_b32 s23, 0x7f800000
	v_add_f32_e32 v30, v30, v32
	s_mov_b32 s22, 0x33800000
	v_add_f32_e32 v30, v30, v31
	v_cmp_eq_f32_e32 vcc, s23, v96
	v_cmp_lt_f32_e64 s[22:23], |v96|, s22
	v_add_f32_e32 v30, v34, v30
	s_or_b64 vcc, vcc, s[22:23]
	v_cndmask_b32_e32 v30, v30, v96, vcc
	v_add_f32_e32 v30, v27, v30
.LBB444_67:
	s_or_b64 exec, exec, s[20:21]
	v_bfe_u32 v27, v30, 16, 1
	s_movk_i32 s24, 0x7fff
	v_add3_u32 v27, v30, v27, s24
	v_and_b32_e32 v31, 0xffff0000, v27
	v_mov_b32_e32 v27, 0x7fc00000
	v_cmp_o_f32_e32 vcc, v30, v30
	v_cndmask_b32_e32 v30, v27, v31, vcc
	v_lshlrev_b32_sdwa v68, v26, v16 dst_sel:DWORD dst_unused:UNUSED_PAD src0_sel:DWORD src1_sel:WORD_0
	v_max_f32_e32 v26, v30, v30
	v_max_f32_e32 v82, v68, v68
	v_min_f32_e32 v31, v26, v82
	v_cmp_u_f32_e32 vcc, v30, v30
	v_max_f32_e32 v26, v26, v82
	v_cndmask_b32_e32 v31, v31, v30, vcc
	v_cmp_u_f32_e64 s[20:21], v68, v68
	v_cndmask_b32_e32 v26, v26, v30, vcc
	v_cndmask_b32_e64 v31, v31, v68, s[20:21]
	v_cndmask_b32_e64 v26, v26, v68, s[20:21]
	v_cmp_neq_f32_e32 vcc, v31, v26
	v_cmp_class_f32_e64 s[22:23], v31, s13
	s_or_b64 s[26:27], vcc, s[22:23]
	s_and_saveexec_b64 s[22:23], s[26:27]
	s_cbranch_execz .LBB444_69
; %bb.68:
	v_sub_f32_e32 v30, v31, v26
	s_mov_b32 s13, 0x3fb8aa3b
	v_mul_f32_e32 v31, 0x3fb8aa3b, v30
	v_fma_f32 v32, v30, s13, -v31
	v_rndne_f32_e32 v33, v31
	v_fmac_f32_e32 v32, 0x32a5705f, v30
	v_sub_f32_e32 v31, v31, v33
	v_add_f32_e32 v31, v31, v32
	v_exp_f32_e32 v31, v31
	v_cvt_i32_f32_e32 v32, v33
	s_mov_b32 s13, 0xc2ce8ed0
	v_cmp_ngt_f32_e32 vcc, s13, v30
	s_mov_b32 s13, 0x42b17218
	v_ldexp_f32 v31, v31, v32
	v_cndmask_b32_e32 v31, 0, v31, vcc
	v_mov_b32_e32 v32, 0x7f800000
	v_cmp_nlt_f32_e32 vcc, s13, v30
	v_cndmask_b32_e32 v69, v32, v31, vcc
	v_add_f32_e32 v32, 1.0, v69
	v_add_f32_e32 v30, -1.0, v32
	v_sub_f32_e32 v31, v30, v32
	v_add_f32_e32 v31, 1.0, v31
	v_sub_f32_e32 v30, v69, v30
	v_add_f32_e32 v33, v30, v31
	v_frexp_mant_f32_e32 v34, v32
	s_mov_b32 s13, 0x3f2aaaab
	v_cvt_f64_f32_e32 v[30:31], v32
	v_frexp_exp_i32_f64_e32 v30, v[30:31]
	v_cmp_gt_f32_e32 vcc, s13, v34
	v_subbrev_co_u32_e32 v83, vcc, 0, v30, vcc
	v_sub_u32_e32 v30, 0, v83
	v_ldexp_f32 v31, v32, v30
	v_add_f32_e32 v32, -1.0, v31
	v_add_f32_e32 v34, 1.0, v31
	v_ldexp_f32 v30, v33, v30
	v_add_f32_e32 v33, 1.0, v32
	v_add_f32_e32 v35, -1.0, v34
	v_sub_f32_e32 v33, v31, v33
	v_sub_f32_e32 v31, v31, v35
	v_add_f32_e32 v33, v30, v33
	v_add_f32_e32 v30, v30, v31
	;; [unrolled: 1-line block ×3, first 2 shown]
	v_rcp_f32_e32 v86, v84
	v_sub_f32_e32 v31, v34, v84
	v_add_f32_e32 v85, v30, v31
	v_add_f32_e32 v31, v32, v33
	v_mul_f32_e32 v96, v31, v86
	v_sub_f32_e32 v30, v32, v31
	v_mul_f32_e32 v32, v84, v96
	v_fma_f32 v34, v96, v84, -v32
	v_fmac_f32_e32 v34, v96, v85
	v_add_f32_e32 v87, v33, v30
	v_add_f32_e32 v30, v32, v34
	v_sub_f32_e32 v33, v31, v30
	v_pk_add_f32 v[80:81], v[30:31], v[32:33] neg_lo:[0,1] neg_hi:[0,1]
	v_mov_b32_e32 v35, v30
	v_pk_add_f32 v[30:31], v[80:81], v[34:35] neg_lo:[0,1] neg_hi:[0,1]
	v_add_f32_e32 v31, v87, v31
	v_add_f32_e32 v30, v30, v31
	;; [unrolled: 1-line block ×3, first 2 shown]
	v_mul_f32_e32 v87, v86, v31
	v_mul_f32_e32 v32, v84, v87
	v_fma_f32 v34, v87, v84, -v32
	v_fmac_f32_e32 v34, v87, v85
	v_sub_f32_e32 v33, v33, v31
	v_add_f32_e32 v84, v30, v33
	v_add_f32_e32 v30, v32, v34
	v_sub_f32_e32 v33, v31, v30
	v_pk_add_f32 v[80:81], v[30:31], v[32:33] neg_lo:[0,1] neg_hi:[0,1]
	v_mov_b32_e32 v35, v30
	v_pk_add_f32 v[30:31], v[80:81], v[34:35] neg_lo:[0,1] neg_hi:[0,1]
	v_add_f32_e32 v31, v84, v31
	v_add_f32_e32 v30, v30, v31
	;; [unrolled: 1-line block ×4, first 2 shown]
	v_sub_f32_e32 v31, v33, v96
	v_mul_f32_e32 v30, v86, v30
	v_sub_f32_e32 v31, v87, v31
	v_add_f32_e32 v30, v31, v30
	v_add_f32_e32 v34, v33, v30
	v_mul_f32_e32 v80, v34, v34
	v_mov_b32_e32 v32, 0x3ecc95a3
	v_fmac_f32_e32 v32, 0x3e9b6dac, v80
	v_mov_b32_e32 v31, 0x3f2aaada
	v_fmac_f32_e32 v31, v80, v32
	v_cvt_f32_i32_e32 v32, v83
	v_sub_f32_e32 v33, v34, v33
	v_sub_f32_e32 v30, v30, v33
	v_ldexp_f32 v81, v30, 1
	v_mul_f32_e32 v33, v34, v80
	v_mov_b32_e32 v30, 0x3f317218
	s_mov_b32 s13, 0x3f317218
	v_pk_mul_f32 v[30:31], v[32:33], v[30:31]
	v_ldexp_f32 v35, v34, 1
	v_fma_f32 v34, v32, s13, -v30
	v_fmac_f32_e32 v34, 0xb102e308, v32
	v_pk_add_f32 v[32:33], v[30:31], v[34:35]
	v_sub_f32_e32 v35, v33, v35
	v_sub_f32_e32 v35, v31, v35
	v_add_f32_e32 v81, v81, v35
	v_mov_b32_e32 v80, v30
	v_pk_add_f32 v[30:31], v[32:33], v[30:31] neg_lo:[0,1] neg_hi:[0,1]
	v_pk_add_f32 v[84:85], v[32:33], v[80:81]
	v_mov_b32_e32 v31, v85
	v_mov_b32_e32 v35, v32
	v_pk_add_f32 v[86:87], v[34:35], v[30:31] neg_lo:[0,1] neg_hi:[0,1]
	v_pk_add_f32 v[30:31], v[34:35], v[30:31]
	v_mov_b32_e32 v34, v31
	v_pk_add_f32 v[96:97], v[34:35], v[32:33] neg_lo:[0,1] neg_hi:[0,1]
	v_mov_b32_e32 v35, v96
	v_pk_add_f32 v[98:99], v[84:85], v[34:35] neg_lo:[0,1] neg_hi:[0,1]
	v_mov_b32_e32 v30, v85
	v_mov_b32_e32 v84, v33
	;; [unrolled: 1-line block ×4, first 2 shown]
	v_pk_add_f32 v[30:31], v[30:31], v[84:85] neg_lo:[0,1] neg_hi:[0,1]
	v_mov_b32_e32 v80, v81
	v_mov_b32_e32 v81, v32
	v_pk_add_f32 v[30:31], v[80:81], v[30:31] neg_lo:[0,1] neg_hi:[0,1]
	v_mov_b32_e32 v98, v86
	v_pk_add_f32 v[32:33], v[98:99], v[30:31]
	v_mov_b32_e32 v80, v33
	v_pk_add_f32 v[80:81], v[32:33], v[80:81]
	v_pk_add_f32 v[34:35], v[34:35], v[80:81]
	v_mov_b32_e32 v33, v34
	v_pk_add_f32 v[84:85], v[32:33], v[86:87] neg_lo:[0,1] neg_hi:[0,1]
	v_mov_b32_e32 v31, v80
	v_sub_f32_e32 v32, v32, v84
	v_pk_add_f32 v[30:31], v[30:31], v[84:85] neg_lo:[0,1] neg_hi:[0,1]
	v_sub_f32_e32 v32, v86, v32
	s_mov_b32 s25, 0x7f800000
	v_add_f32_e32 v30, v30, v32
	s_mov_b32 s13, 0x33800000
	v_add_f32_e32 v30, v30, v31
	v_cmp_eq_f32_e32 vcc, s25, v69
	v_cmp_lt_f32_e64 s[26:27], |v69|, s13
	v_add_f32_e32 v30, v34, v30
	s_or_b64 vcc, vcc, s[26:27]
	v_cndmask_b32_e32 v30, v30, v69, vcc
	v_add_f32_e32 v30, v26, v30
.LBB444_69:
	s_or_b64 exec, exec, s[22:23]
	v_bfe_u32 v26, v30, 16, 1
	v_add3_u32 v26, v30, v26, s24
	v_and_b32_e32 v26, 0xffff0000, v26
	v_cmp_o_f32_e32 vcc, v30, v30
	v_cndmask_b32_e32 v30, v27, v26, vcc
	v_mov_b32_e32 v26, 16
	v_lshlrev_b32_sdwa v69, v26, v16 dst_sel:DWORD dst_unused:UNUSED_PAD src0_sel:DWORD src1_sel:WORD_1
	v_max_f32_e32 v27, v30, v30
	v_max_f32_e32 v83, v69, v69
	v_min_f32_e32 v31, v27, v83
	v_cmp_u_f32_e32 vcc, v30, v30
	v_max_f32_e32 v27, v27, v83
	v_cndmask_b32_e32 v31, v31, v30, vcc
	v_cmp_u_f32_e64 s[22:23], v69, v69
	v_cndmask_b32_e32 v27, v27, v30, vcc
	v_cndmask_b32_e64 v31, v31, v69, s[22:23]
	v_cndmask_b32_e64 v27, v27, v69, s[22:23]
	s_movk_i32 s13, 0x1f8
	v_cmp_neq_f32_e32 vcc, v31, v27
	v_cmp_class_f32_e64 s[24:25], v31, s13
	s_or_b64 s[26:27], vcc, s[24:25]
	s_and_saveexec_b64 s[24:25], s[26:27]
	s_cbranch_execz .LBB444_71
; %bb.70:
	v_sub_f32_e32 v30, v31, v27
	s_mov_b32 s26, 0x3fb8aa3b
	v_mul_f32_e32 v31, 0x3fb8aa3b, v30
	v_fma_f32 v32, v30, s26, -v31
	v_rndne_f32_e32 v33, v31
	v_fmac_f32_e32 v32, 0x32a5705f, v30
	v_sub_f32_e32 v31, v31, v33
	v_add_f32_e32 v31, v31, v32
	v_exp_f32_e32 v31, v31
	v_cvt_i32_f32_e32 v32, v33
	s_mov_b32 s26, 0xc2ce8ed0
	v_cmp_ngt_f32_e32 vcc, s26, v30
	s_mov_b32 s26, 0x42b17218
	v_ldexp_f32 v31, v31, v32
	v_cndmask_b32_e32 v31, 0, v31, vcc
	v_mov_b32_e32 v32, 0x7f800000
	v_cmp_nlt_f32_e32 vcc, s26, v30
	v_cndmask_b32_e32 v100, v32, v31, vcc
	v_add_f32_e32 v32, 1.0, v100
	v_add_f32_e32 v30, -1.0, v32
	v_sub_f32_e32 v31, v30, v32
	v_add_f32_e32 v31, 1.0, v31
	v_sub_f32_e32 v30, v100, v30
	v_add_f32_e32 v33, v30, v31
	v_frexp_mant_f32_e32 v34, v32
	s_mov_b32 s26, 0x3f2aaaab
	v_cvt_f64_f32_e32 v[30:31], v32
	v_frexp_exp_i32_f64_e32 v30, v[30:31]
	v_cmp_gt_f32_e32 vcc, s26, v34
	v_subbrev_co_u32_e32 v84, vcc, 0, v30, vcc
	v_sub_u32_e32 v30, 0, v84
	v_ldexp_f32 v31, v32, v30
	v_add_f32_e32 v32, -1.0, v31
	v_add_f32_e32 v34, 1.0, v31
	v_ldexp_f32 v30, v33, v30
	v_add_f32_e32 v33, 1.0, v32
	v_add_f32_e32 v35, -1.0, v34
	v_sub_f32_e32 v33, v31, v33
	v_sub_f32_e32 v31, v31, v35
	v_add_f32_e32 v33, v30, v33
	v_add_f32_e32 v30, v30, v31
	;; [unrolled: 1-line block ×3, first 2 shown]
	v_rcp_f32_e32 v87, v85
	v_sub_f32_e32 v31, v34, v85
	v_add_f32_e32 v86, v30, v31
	v_add_f32_e32 v31, v32, v33
	v_mul_f32_e32 v97, v31, v87
	v_sub_f32_e32 v30, v32, v31
	v_mul_f32_e32 v32, v85, v97
	v_fma_f32 v34, v97, v85, -v32
	v_fmac_f32_e32 v34, v97, v86
	v_add_f32_e32 v96, v33, v30
	v_add_f32_e32 v30, v32, v34
	v_sub_f32_e32 v33, v31, v30
	v_pk_add_f32 v[80:81], v[30:31], v[32:33] neg_lo:[0,1] neg_hi:[0,1]
	v_mov_b32_e32 v35, v30
	v_pk_add_f32 v[30:31], v[80:81], v[34:35] neg_lo:[0,1] neg_hi:[0,1]
	v_add_f32_e32 v31, v96, v31
	v_add_f32_e32 v30, v30, v31
	;; [unrolled: 1-line block ×3, first 2 shown]
	v_mul_f32_e32 v96, v87, v31
	v_mul_f32_e32 v32, v85, v96
	v_fma_f32 v34, v96, v85, -v32
	v_fmac_f32_e32 v34, v96, v86
	v_sub_f32_e32 v33, v33, v31
	v_add_f32_e32 v85, v30, v33
	v_add_f32_e32 v30, v32, v34
	v_sub_f32_e32 v33, v31, v30
	v_pk_add_f32 v[80:81], v[30:31], v[32:33] neg_lo:[0,1] neg_hi:[0,1]
	v_mov_b32_e32 v35, v30
	v_pk_add_f32 v[30:31], v[80:81], v[34:35] neg_lo:[0,1] neg_hi:[0,1]
	v_add_f32_e32 v31, v85, v31
	v_add_f32_e32 v30, v30, v31
	;; [unrolled: 1-line block ×4, first 2 shown]
	v_sub_f32_e32 v31, v33, v97
	v_mul_f32_e32 v30, v87, v30
	v_sub_f32_e32 v31, v96, v31
	v_add_f32_e32 v30, v31, v30
	v_add_f32_e32 v34, v33, v30
	v_mul_f32_e32 v80, v34, v34
	v_mov_b32_e32 v32, 0x3ecc95a3
	v_fmac_f32_e32 v32, 0x3e9b6dac, v80
	v_mov_b32_e32 v31, 0x3f2aaada
	v_fmac_f32_e32 v31, v80, v32
	v_cvt_f32_i32_e32 v32, v84
	v_sub_f32_e32 v33, v34, v33
	v_sub_f32_e32 v30, v30, v33
	v_ldexp_f32 v81, v30, 1
	v_mul_f32_e32 v33, v34, v80
	v_mov_b32_e32 v30, 0x3f317218
	s_mov_b32 s26, 0x3f317218
	v_pk_mul_f32 v[30:31], v[32:33], v[30:31]
	v_ldexp_f32 v35, v34, 1
	v_fma_f32 v34, v32, s26, -v30
	v_fmac_f32_e32 v34, 0xb102e308, v32
	v_pk_add_f32 v[32:33], v[30:31], v[34:35]
	v_sub_f32_e32 v35, v33, v35
	v_sub_f32_e32 v35, v31, v35
	v_add_f32_e32 v81, v81, v35
	v_mov_b32_e32 v80, v30
	v_pk_add_f32 v[30:31], v[32:33], v[30:31] neg_lo:[0,1] neg_hi:[0,1]
	v_pk_add_f32 v[84:85], v[32:33], v[80:81]
	v_mov_b32_e32 v31, v85
	v_mov_b32_e32 v35, v32
	v_pk_add_f32 v[86:87], v[34:35], v[30:31] neg_lo:[0,1] neg_hi:[0,1]
	v_pk_add_f32 v[30:31], v[34:35], v[30:31]
	v_mov_b32_e32 v34, v31
	v_pk_add_f32 v[96:97], v[34:35], v[32:33] neg_lo:[0,1] neg_hi:[0,1]
	v_mov_b32_e32 v35, v96
	v_pk_add_f32 v[98:99], v[84:85], v[34:35] neg_lo:[0,1] neg_hi:[0,1]
	v_mov_b32_e32 v30, v85
	v_mov_b32_e32 v84, v33
	;; [unrolled: 1-line block ×4, first 2 shown]
	v_pk_add_f32 v[30:31], v[30:31], v[84:85] neg_lo:[0,1] neg_hi:[0,1]
	v_mov_b32_e32 v80, v81
	v_mov_b32_e32 v81, v32
	v_pk_add_f32 v[30:31], v[80:81], v[30:31] neg_lo:[0,1] neg_hi:[0,1]
	v_mov_b32_e32 v98, v86
	v_pk_add_f32 v[32:33], v[98:99], v[30:31]
	v_mov_b32_e32 v80, v33
	v_pk_add_f32 v[80:81], v[32:33], v[80:81]
	v_pk_add_f32 v[34:35], v[34:35], v[80:81]
	v_mov_b32_e32 v33, v34
	v_pk_add_f32 v[84:85], v[32:33], v[86:87] neg_lo:[0,1] neg_hi:[0,1]
	v_mov_b32_e32 v31, v80
	v_sub_f32_e32 v32, v32, v84
	v_pk_add_f32 v[30:31], v[30:31], v[84:85] neg_lo:[0,1] neg_hi:[0,1]
	v_sub_f32_e32 v32, v86, v32
	s_mov_b32 s27, 0x7f800000
	v_add_f32_e32 v30, v30, v32
	s_mov_b32 s26, 0x33800000
	v_add_f32_e32 v30, v30, v31
	v_cmp_eq_f32_e32 vcc, s27, v100
	v_cmp_lt_f32_e64 s[26:27], |v100|, s26
	v_add_f32_e32 v30, v34, v30
	s_or_b64 vcc, vcc, s[26:27]
	v_cndmask_b32_e32 v30, v30, v100, vcc
	v_add_f32_e32 v30, v27, v30
.LBB444_71:
	s_or_b64 exec, exec, s[24:25]
	v_bfe_u32 v27, v30, 16, 1
	s_movk_i32 s28, 0x7fff
	v_add3_u32 v27, v30, v27, s28
	v_and_b32_e32 v31, 0xffff0000, v27
	v_mov_b32_e32 v27, 0x7fc00000
	v_cmp_o_f32_e32 vcc, v30, v30
	v_cndmask_b32_e32 v30, v27, v31, vcc
	v_lshlrev_b32_sdwa v80, v26, v17 dst_sel:DWORD dst_unused:UNUSED_PAD src0_sel:DWORD src1_sel:WORD_0
	v_max_f32_e32 v26, v30, v30
	v_max_f32_e32 v86, v80, v80
	v_min_f32_e32 v31, v26, v86
	v_cmp_u_f32_e32 vcc, v30, v30
	v_max_f32_e32 v26, v26, v86
	v_cndmask_b32_e32 v31, v31, v30, vcc
	v_cmp_u_f32_e64 s[24:25], v80, v80
	v_cndmask_b32_e32 v26, v26, v30, vcc
	v_cndmask_b32_e64 v31, v31, v80, s[24:25]
	v_cndmask_b32_e64 v26, v26, v80, s[24:25]
	v_cmp_neq_f32_e32 vcc, v31, v26
	v_cmp_class_f32_e64 s[26:27], v31, s13
	s_or_b64 vcc, vcc, s[26:27]
	s_and_saveexec_b64 s[26:27], vcc
	s_cbranch_execz .LBB444_73
; %bb.72:
	v_sub_f32_e32 v30, v31, v26
	s_mov_b32 s13, 0x3fb8aa3b
	v_mul_f32_e32 v31, 0x3fb8aa3b, v30
	v_fma_f32 v32, v30, s13, -v31
	v_rndne_f32_e32 v33, v31
	v_fmac_f32_e32 v32, 0x32a5705f, v30
	v_sub_f32_e32 v31, v31, v33
	v_add_f32_e32 v31, v31, v32
	v_exp_f32_e32 v31, v31
	v_cvt_i32_f32_e32 v32, v33
	s_mov_b32 s13, 0xc2ce8ed0
	v_cmp_ngt_f32_e32 vcc, s13, v30
	s_mov_b32 s13, 0x42b17218
	v_ldexp_f32 v31, v31, v32
	v_cndmask_b32_e32 v31, 0, v31, vcc
	v_mov_b32_e32 v32, 0x7f800000
	v_cmp_nlt_f32_e32 vcc, s13, v30
	v_cndmask_b32_e32 v81, v32, v31, vcc
	v_add_f32_e32 v32, 1.0, v81
	v_add_f32_e32 v30, -1.0, v32
	v_sub_f32_e32 v31, v30, v32
	v_add_f32_e32 v31, 1.0, v31
	v_sub_f32_e32 v30, v81, v30
	v_add_f32_e32 v33, v30, v31
	v_frexp_mant_f32_e32 v34, v32
	s_mov_b32 s13, 0x3f2aaaab
	v_cvt_f64_f32_e32 v[30:31], v32
	v_frexp_exp_i32_f64_e32 v30, v[30:31]
	v_cmp_gt_f32_e32 vcc, s13, v34
	v_subbrev_co_u32_e32 v87, vcc, 0, v30, vcc
	v_sub_u32_e32 v30, 0, v87
	v_ldexp_f32 v31, v32, v30
	v_add_f32_e32 v32, -1.0, v31
	v_add_f32_e32 v34, 1.0, v31
	v_ldexp_f32 v30, v33, v30
	v_add_f32_e32 v33, 1.0, v32
	v_add_f32_e32 v35, -1.0, v34
	v_sub_f32_e32 v33, v31, v33
	v_sub_f32_e32 v31, v31, v35
	v_add_f32_e32 v33, v30, v33
	v_add_f32_e32 v30, v30, v31
	;; [unrolled: 1-line block ×3, first 2 shown]
	v_rcp_f32_e32 v98, v96
	v_sub_f32_e32 v31, v34, v96
	v_add_f32_e32 v97, v30, v31
	v_add_f32_e32 v31, v32, v33
	v_mul_f32_e32 v100, v31, v98
	v_sub_f32_e32 v30, v32, v31
	v_mul_f32_e32 v32, v96, v100
	v_fma_f32 v34, v100, v96, -v32
	v_fmac_f32_e32 v34, v100, v97
	v_add_f32_e32 v99, v33, v30
	v_add_f32_e32 v30, v32, v34
	v_sub_f32_e32 v33, v31, v30
	v_pk_add_f32 v[84:85], v[30:31], v[32:33] neg_lo:[0,1] neg_hi:[0,1]
	v_mov_b32_e32 v35, v30
	v_pk_add_f32 v[30:31], v[84:85], v[34:35] neg_lo:[0,1] neg_hi:[0,1]
	v_add_f32_e32 v31, v99, v31
	v_add_f32_e32 v30, v30, v31
	;; [unrolled: 1-line block ×3, first 2 shown]
	v_mul_f32_e32 v99, v98, v31
	v_mul_f32_e32 v32, v96, v99
	v_fma_f32 v34, v99, v96, -v32
	v_fmac_f32_e32 v34, v99, v97
	v_sub_f32_e32 v33, v33, v31
	v_add_f32_e32 v96, v30, v33
	v_add_f32_e32 v30, v32, v34
	v_sub_f32_e32 v33, v31, v30
	v_pk_add_f32 v[84:85], v[30:31], v[32:33] neg_lo:[0,1] neg_hi:[0,1]
	v_mov_b32_e32 v35, v30
	v_pk_add_f32 v[30:31], v[84:85], v[34:35] neg_lo:[0,1] neg_hi:[0,1]
	v_add_f32_e32 v31, v96, v31
	v_add_f32_e32 v30, v30, v31
	;; [unrolled: 1-line block ×4, first 2 shown]
	v_sub_f32_e32 v31, v33, v100
	v_mul_f32_e32 v30, v98, v30
	v_sub_f32_e32 v31, v99, v31
	v_add_f32_e32 v30, v31, v30
	v_add_f32_e32 v34, v33, v30
	v_mul_f32_e32 v84, v34, v34
	v_mov_b32_e32 v32, 0x3ecc95a3
	v_fmac_f32_e32 v32, 0x3e9b6dac, v84
	v_mov_b32_e32 v31, 0x3f2aaada
	v_fmac_f32_e32 v31, v84, v32
	v_cvt_f32_i32_e32 v32, v87
	v_sub_f32_e32 v33, v34, v33
	v_sub_f32_e32 v30, v30, v33
	v_ldexp_f32 v85, v30, 1
	v_mul_f32_e32 v33, v34, v84
	v_mov_b32_e32 v30, 0x3f317218
	s_mov_b32 s13, 0x3f317218
	v_pk_mul_f32 v[30:31], v[32:33], v[30:31]
	v_ldexp_f32 v35, v34, 1
	v_fma_f32 v34, v32, s13, -v30
	v_fmac_f32_e32 v34, 0xb102e308, v32
	v_pk_add_f32 v[32:33], v[30:31], v[34:35]
	v_sub_f32_e32 v35, v33, v35
	v_sub_f32_e32 v35, v31, v35
	v_add_f32_e32 v85, v85, v35
	v_mov_b32_e32 v84, v30
	v_pk_add_f32 v[30:31], v[32:33], v[30:31] neg_lo:[0,1] neg_hi:[0,1]
	v_pk_add_f32 v[96:97], v[32:33], v[84:85]
	v_mov_b32_e32 v31, v97
	v_mov_b32_e32 v35, v32
	v_pk_add_f32 v[98:99], v[34:35], v[30:31] neg_lo:[0,1] neg_hi:[0,1]
	v_pk_add_f32 v[30:31], v[34:35], v[30:31]
	v_mov_b32_e32 v34, v31
	v_pk_add_f32 v[100:101], v[34:35], v[32:33] neg_lo:[0,1] neg_hi:[0,1]
	v_mov_b32_e32 v35, v100
	v_pk_add_f32 v[102:103], v[96:97], v[34:35] neg_lo:[0,1] neg_hi:[0,1]
	v_mov_b32_e32 v30, v97
	v_mov_b32_e32 v96, v33
	;; [unrolled: 1-line block ×4, first 2 shown]
	v_pk_add_f32 v[30:31], v[30:31], v[96:97] neg_lo:[0,1] neg_hi:[0,1]
	v_mov_b32_e32 v84, v85
	v_mov_b32_e32 v85, v32
	v_pk_add_f32 v[30:31], v[84:85], v[30:31] neg_lo:[0,1] neg_hi:[0,1]
	v_mov_b32_e32 v102, v98
	v_pk_add_f32 v[32:33], v[102:103], v[30:31]
	v_mov_b32_e32 v84, v33
	v_pk_add_f32 v[84:85], v[32:33], v[84:85]
	v_pk_add_f32 v[34:35], v[34:35], v[84:85]
	v_mov_b32_e32 v33, v34
	v_pk_add_f32 v[96:97], v[32:33], v[98:99] neg_lo:[0,1] neg_hi:[0,1]
	v_mov_b32_e32 v31, v84
	v_sub_f32_e32 v32, v32, v96
	v_pk_add_f32 v[30:31], v[30:31], v[96:97] neg_lo:[0,1] neg_hi:[0,1]
	v_sub_f32_e32 v32, v98, v32
	s_mov_b32 s29, 0x7f800000
	v_add_f32_e32 v30, v30, v32
	s_mov_b32 s13, 0x33800000
	v_add_f32_e32 v30, v30, v31
	v_cmp_eq_f32_e32 vcc, s29, v81
	v_cmp_lt_f32_e64 s[30:31], |v81|, s13
	v_add_f32_e32 v30, v34, v30
	s_or_b64 vcc, vcc, s[30:31]
	v_cndmask_b32_e32 v30, v30, v81, vcc
	v_add_f32_e32 v30, v26, v30
.LBB444_73:
	s_or_b64 exec, exec, s[26:27]
	v_bfe_u32 v26, v30, 16, 1
	v_add3_u32 v26, v30, v26, s28
	v_and_b32_e32 v26, 0xffff0000, v26
	v_cmp_o_f32_e32 vcc, v30, v30
	v_cndmask_b32_e32 v30, v27, v26, vcc
	v_mov_b32_e32 v26, 16
	v_lshlrev_b32_sdwa v81, v26, v17 dst_sel:DWORD dst_unused:UNUSED_PAD src0_sel:DWORD src1_sel:WORD_1
	v_max_f32_e32 v27, v30, v30
	v_max_f32_e32 v87, v81, v81
	v_min_f32_e32 v31, v27, v87
	v_cmp_u_f32_e32 vcc, v30, v30
	v_max_f32_e32 v27, v27, v87
	v_cndmask_b32_e32 v31, v31, v30, vcc
	v_cmp_u_f32_e64 s[26:27], v81, v81
	v_cndmask_b32_e32 v27, v27, v30, vcc
	v_cndmask_b32_e64 v31, v31, v81, s[26:27]
	v_cndmask_b32_e64 v27, v27, v81, s[26:27]
	s_movk_i32 s13, 0x1f8
	v_cmp_neq_f32_e32 vcc, v31, v27
	v_cmp_class_f32_e64 s[28:29], v31, s13
	s_or_b64 vcc, vcc, s[28:29]
	s_and_saveexec_b64 s[28:29], vcc
	s_cbranch_execz .LBB444_75
; %bb.74:
	v_sub_f32_e32 v30, v31, v27
	s_mov_b32 s30, 0x3fb8aa3b
	v_mul_f32_e32 v31, 0x3fb8aa3b, v30
	v_fma_f32 v32, v30, s30, -v31
	v_rndne_f32_e32 v33, v31
	v_fmac_f32_e32 v32, 0x32a5705f, v30
	v_sub_f32_e32 v31, v31, v33
	v_add_f32_e32 v31, v31, v32
	v_exp_f32_e32 v31, v31
	v_cvt_i32_f32_e32 v32, v33
	s_mov_b32 s30, 0xc2ce8ed0
	v_cmp_ngt_f32_e32 vcc, s30, v30
	s_mov_b32 s30, 0x42b17218
	v_ldexp_f32 v31, v31, v32
	v_cndmask_b32_e32 v31, 0, v31, vcc
	v_mov_b32_e32 v32, 0x7f800000
	v_cmp_nlt_f32_e32 vcc, s30, v30
	v_cndmask_b32_e32 v112, v32, v31, vcc
	v_add_f32_e32 v32, 1.0, v112
	v_add_f32_e32 v30, -1.0, v32
	v_sub_f32_e32 v31, v30, v32
	v_add_f32_e32 v31, 1.0, v31
	v_sub_f32_e32 v30, v112, v30
	v_add_f32_e32 v33, v30, v31
	v_frexp_mant_f32_e32 v34, v32
	s_mov_b32 s30, 0x3f2aaaab
	v_cvt_f64_f32_e32 v[30:31], v32
	v_frexp_exp_i32_f64_e32 v30, v[30:31]
	v_cmp_gt_f32_e32 vcc, s30, v34
	v_subbrev_co_u32_e32 v96, vcc, 0, v30, vcc
	v_sub_u32_e32 v30, 0, v96
	v_ldexp_f32 v31, v32, v30
	v_add_f32_e32 v32, -1.0, v31
	v_add_f32_e32 v34, 1.0, v31
	v_ldexp_f32 v30, v33, v30
	v_add_f32_e32 v33, 1.0, v32
	v_add_f32_e32 v35, -1.0, v34
	v_sub_f32_e32 v33, v31, v33
	v_sub_f32_e32 v31, v31, v35
	v_add_f32_e32 v33, v30, v33
	v_add_f32_e32 v30, v30, v31
	;; [unrolled: 1-line block ×3, first 2 shown]
	v_rcp_f32_e32 v99, v97
	v_sub_f32_e32 v31, v34, v97
	v_add_f32_e32 v98, v30, v31
	v_add_f32_e32 v31, v32, v33
	v_mul_f32_e32 v101, v31, v99
	v_sub_f32_e32 v30, v32, v31
	v_mul_f32_e32 v32, v97, v101
	v_fma_f32 v34, v101, v97, -v32
	v_fmac_f32_e32 v34, v101, v98
	v_add_f32_e32 v100, v33, v30
	v_add_f32_e32 v30, v32, v34
	v_sub_f32_e32 v33, v31, v30
	v_pk_add_f32 v[84:85], v[30:31], v[32:33] neg_lo:[0,1] neg_hi:[0,1]
	v_mov_b32_e32 v35, v30
	v_pk_add_f32 v[30:31], v[84:85], v[34:35] neg_lo:[0,1] neg_hi:[0,1]
	v_add_f32_e32 v31, v100, v31
	v_add_f32_e32 v30, v30, v31
	;; [unrolled: 1-line block ×3, first 2 shown]
	v_mul_f32_e32 v100, v99, v31
	v_mul_f32_e32 v32, v97, v100
	v_fma_f32 v34, v100, v97, -v32
	v_fmac_f32_e32 v34, v100, v98
	v_sub_f32_e32 v33, v33, v31
	v_add_f32_e32 v97, v30, v33
	v_add_f32_e32 v30, v32, v34
	v_sub_f32_e32 v33, v31, v30
	v_pk_add_f32 v[84:85], v[30:31], v[32:33] neg_lo:[0,1] neg_hi:[0,1]
	v_mov_b32_e32 v35, v30
	v_pk_add_f32 v[30:31], v[84:85], v[34:35] neg_lo:[0,1] neg_hi:[0,1]
	v_add_f32_e32 v31, v97, v31
	v_add_f32_e32 v30, v30, v31
	;; [unrolled: 1-line block ×4, first 2 shown]
	v_sub_f32_e32 v31, v33, v101
	v_mul_f32_e32 v30, v99, v30
	v_sub_f32_e32 v31, v100, v31
	v_add_f32_e32 v30, v31, v30
	v_add_f32_e32 v34, v33, v30
	v_mul_f32_e32 v84, v34, v34
	v_mov_b32_e32 v32, 0x3ecc95a3
	v_fmac_f32_e32 v32, 0x3e9b6dac, v84
	v_mov_b32_e32 v31, 0x3f2aaada
	v_fmac_f32_e32 v31, v84, v32
	v_cvt_f32_i32_e32 v32, v96
	v_sub_f32_e32 v33, v34, v33
	v_sub_f32_e32 v30, v30, v33
	v_ldexp_f32 v85, v30, 1
	v_mul_f32_e32 v33, v34, v84
	v_mov_b32_e32 v30, 0x3f317218
	s_mov_b32 s30, 0x3f317218
	v_pk_mul_f32 v[30:31], v[32:33], v[30:31]
	v_ldexp_f32 v35, v34, 1
	v_fma_f32 v34, v32, s30, -v30
	v_fmac_f32_e32 v34, 0xb102e308, v32
	v_pk_add_f32 v[32:33], v[30:31], v[34:35]
	v_sub_f32_e32 v35, v33, v35
	v_sub_f32_e32 v35, v31, v35
	v_add_f32_e32 v85, v85, v35
	v_mov_b32_e32 v84, v30
	v_pk_add_f32 v[30:31], v[32:33], v[30:31] neg_lo:[0,1] neg_hi:[0,1]
	v_pk_add_f32 v[96:97], v[32:33], v[84:85]
	v_mov_b32_e32 v31, v97
	v_mov_b32_e32 v35, v32
	v_pk_add_f32 v[98:99], v[34:35], v[30:31] neg_lo:[0,1] neg_hi:[0,1]
	v_pk_add_f32 v[30:31], v[34:35], v[30:31]
	v_mov_b32_e32 v34, v31
	v_pk_add_f32 v[100:101], v[34:35], v[32:33] neg_lo:[0,1] neg_hi:[0,1]
	v_mov_b32_e32 v35, v100
	v_pk_add_f32 v[102:103], v[96:97], v[34:35] neg_lo:[0,1] neg_hi:[0,1]
	v_mov_b32_e32 v30, v97
	v_mov_b32_e32 v96, v33
	;; [unrolled: 1-line block ×4, first 2 shown]
	v_pk_add_f32 v[30:31], v[30:31], v[96:97] neg_lo:[0,1] neg_hi:[0,1]
	v_mov_b32_e32 v84, v85
	v_mov_b32_e32 v85, v32
	v_pk_add_f32 v[30:31], v[84:85], v[30:31] neg_lo:[0,1] neg_hi:[0,1]
	v_mov_b32_e32 v102, v98
	v_pk_add_f32 v[32:33], v[102:103], v[30:31]
	v_mov_b32_e32 v84, v33
	v_pk_add_f32 v[84:85], v[32:33], v[84:85]
	v_pk_add_f32 v[34:35], v[34:35], v[84:85]
	v_mov_b32_e32 v33, v34
	v_pk_add_f32 v[96:97], v[32:33], v[98:99] neg_lo:[0,1] neg_hi:[0,1]
	v_mov_b32_e32 v31, v84
	v_sub_f32_e32 v32, v32, v96
	v_pk_add_f32 v[30:31], v[30:31], v[96:97] neg_lo:[0,1] neg_hi:[0,1]
	v_sub_f32_e32 v32, v98, v32
	s_mov_b32 s31, 0x7f800000
	v_add_f32_e32 v30, v30, v32
	s_mov_b32 s30, 0x33800000
	v_add_f32_e32 v30, v30, v31
	v_cmp_eq_f32_e32 vcc, s31, v112
	v_cmp_lt_f32_e64 s[30:31], |v112|, s30
	v_add_f32_e32 v30, v34, v30
	s_or_b64 vcc, vcc, s[30:31]
	v_cndmask_b32_e32 v30, v30, v112, vcc
	v_add_f32_e32 v30, v27, v30
.LBB444_75:
	s_or_b64 exec, exec, s[28:29]
	v_bfe_u32 v27, v30, 16, 1
	s_movk_i32 s34, 0x7fff
	v_add3_u32 v27, v30, v27, s34
	v_and_b32_e32 v31, 0xffff0000, v27
	v_mov_b32_e32 v27, 0x7fc00000
	v_cmp_o_f32_e32 vcc, v30, v30
	v_cndmask_b32_e32 v30, v27, v31, vcc
	v_lshlrev_b32_sdwa v84, v26, v18 dst_sel:DWORD dst_unused:UNUSED_PAD src0_sel:DWORD src1_sel:WORD_0
	v_max_f32_e32 v26, v30, v30
	v_max_f32_e32 v98, v84, v84
	v_min_f32_e32 v31, v26, v98
	v_cmp_u_f32_e32 vcc, v30, v30
	v_max_f32_e32 v26, v26, v98
	v_cndmask_b32_e32 v31, v31, v30, vcc
	v_cmp_u_f32_e64 s[28:29], v84, v84
	v_cndmask_b32_e32 v26, v26, v30, vcc
	v_cndmask_b32_e64 v31, v31, v84, s[28:29]
	v_cndmask_b32_e64 v26, v26, v84, s[28:29]
	v_cmp_neq_f32_e32 vcc, v31, v26
	v_cmp_class_f32_e64 s[30:31], v31, s13
	s_or_b64 vcc, vcc, s[30:31]
	s_and_saveexec_b64 s[30:31], vcc
	s_cbranch_execz .LBB444_77
; %bb.76:
	v_sub_f32_e32 v30, v31, v26
	s_mov_b32 s13, 0x3fb8aa3b
	v_mul_f32_e32 v31, 0x3fb8aa3b, v30
	v_fma_f32 v32, v30, s13, -v31
	v_rndne_f32_e32 v33, v31
	v_fmac_f32_e32 v32, 0x32a5705f, v30
	v_sub_f32_e32 v31, v31, v33
	v_add_f32_e32 v31, v31, v32
	v_exp_f32_e32 v31, v31
	v_cvt_i32_f32_e32 v32, v33
	s_mov_b32 s13, 0xc2ce8ed0
	v_cmp_ngt_f32_e32 vcc, s13, v30
	s_mov_b32 s13, 0x42b17218
	v_ldexp_f32 v31, v31, v32
	v_cndmask_b32_e32 v31, 0, v31, vcc
	v_mov_b32_e32 v32, 0x7f800000
	v_cmp_nlt_f32_e32 vcc, s13, v30
	v_cndmask_b32_e32 v85, v32, v31, vcc
	v_add_f32_e32 v32, 1.0, v85
	v_add_f32_e32 v30, -1.0, v32
	v_sub_f32_e32 v31, v30, v32
	v_add_f32_e32 v31, 1.0, v31
	v_sub_f32_e32 v30, v85, v30
	v_add_f32_e32 v33, v30, v31
	v_frexp_mant_f32_e32 v34, v32
	s_mov_b32 s13, 0x3f2aaaab
	v_cvt_f64_f32_e32 v[30:31], v32
	v_frexp_exp_i32_f64_e32 v30, v[30:31]
	v_cmp_gt_f32_e32 vcc, s13, v34
	v_subbrev_co_u32_e32 v99, vcc, 0, v30, vcc
	v_sub_u32_e32 v30, 0, v99
	v_ldexp_f32 v31, v32, v30
	v_add_f32_e32 v32, -1.0, v31
	v_add_f32_e32 v34, 1.0, v31
	v_ldexp_f32 v30, v33, v30
	v_add_f32_e32 v33, 1.0, v32
	v_add_f32_e32 v35, -1.0, v34
	v_sub_f32_e32 v33, v31, v33
	v_sub_f32_e32 v31, v31, v35
	v_add_f32_e32 v33, v30, v33
	v_add_f32_e32 v30, v30, v31
	;; [unrolled: 1-line block ×3, first 2 shown]
	v_rcp_f32_e32 v102, v100
	v_sub_f32_e32 v31, v34, v100
	v_add_f32_e32 v101, v30, v31
	v_add_f32_e32 v31, v32, v33
	v_mul_f32_e32 v112, v31, v102
	v_sub_f32_e32 v30, v32, v31
	v_mul_f32_e32 v32, v100, v112
	v_fma_f32 v34, v112, v100, -v32
	v_fmac_f32_e32 v34, v112, v101
	v_add_f32_e32 v103, v33, v30
	v_add_f32_e32 v30, v32, v34
	v_sub_f32_e32 v33, v31, v30
	v_pk_add_f32 v[96:97], v[30:31], v[32:33] neg_lo:[0,1] neg_hi:[0,1]
	v_mov_b32_e32 v35, v30
	v_pk_add_f32 v[30:31], v[96:97], v[34:35] neg_lo:[0,1] neg_hi:[0,1]
	v_add_f32_e32 v31, v103, v31
	v_add_f32_e32 v30, v30, v31
	;; [unrolled: 1-line block ×3, first 2 shown]
	v_mul_f32_e32 v103, v102, v31
	v_mul_f32_e32 v32, v100, v103
	v_fma_f32 v34, v103, v100, -v32
	v_fmac_f32_e32 v34, v103, v101
	v_sub_f32_e32 v33, v33, v31
	v_add_f32_e32 v100, v30, v33
	v_add_f32_e32 v30, v32, v34
	v_sub_f32_e32 v33, v31, v30
	v_pk_add_f32 v[96:97], v[30:31], v[32:33] neg_lo:[0,1] neg_hi:[0,1]
	v_mov_b32_e32 v35, v30
	v_pk_add_f32 v[30:31], v[96:97], v[34:35] neg_lo:[0,1] neg_hi:[0,1]
	v_add_f32_e32 v31, v100, v31
	v_add_f32_e32 v30, v30, v31
	;; [unrolled: 1-line block ×4, first 2 shown]
	v_sub_f32_e32 v31, v33, v112
	v_mul_f32_e32 v30, v102, v30
	v_sub_f32_e32 v31, v103, v31
	v_add_f32_e32 v30, v31, v30
	v_add_f32_e32 v34, v33, v30
	v_mul_f32_e32 v96, v34, v34
	v_mov_b32_e32 v32, 0x3ecc95a3
	v_fmac_f32_e32 v32, 0x3e9b6dac, v96
	v_mov_b32_e32 v31, 0x3f2aaada
	v_fmac_f32_e32 v31, v96, v32
	v_cvt_f32_i32_e32 v32, v99
	v_sub_f32_e32 v33, v34, v33
	v_sub_f32_e32 v30, v30, v33
	v_ldexp_f32 v97, v30, 1
	v_mul_f32_e32 v33, v34, v96
	v_mov_b32_e32 v30, 0x3f317218
	s_mov_b32 s13, 0x3f317218
	v_pk_mul_f32 v[30:31], v[32:33], v[30:31]
	v_ldexp_f32 v35, v34, 1
	v_fma_f32 v34, v32, s13, -v30
	v_fmac_f32_e32 v34, 0xb102e308, v32
	v_pk_add_f32 v[32:33], v[30:31], v[34:35]
	v_sub_f32_e32 v35, v33, v35
	v_sub_f32_e32 v35, v31, v35
	v_add_f32_e32 v97, v97, v35
	v_mov_b32_e32 v96, v30
	v_pk_add_f32 v[30:31], v[32:33], v[30:31] neg_lo:[0,1] neg_hi:[0,1]
	v_pk_add_f32 v[100:101], v[32:33], v[96:97]
	v_mov_b32_e32 v31, v101
	v_mov_b32_e32 v35, v32
	v_pk_add_f32 v[102:103], v[34:35], v[30:31] neg_lo:[0,1] neg_hi:[0,1]
	v_pk_add_f32 v[30:31], v[34:35], v[30:31]
	v_mov_b32_e32 v34, v31
	v_pk_add_f32 v[112:113], v[34:35], v[32:33] neg_lo:[0,1] neg_hi:[0,1]
	v_mov_b32_e32 v35, v112
	v_pk_add_f32 v[114:115], v[100:101], v[34:35] neg_lo:[0,1] neg_hi:[0,1]
	v_mov_b32_e32 v30, v101
	v_mov_b32_e32 v100, v33
	;; [unrolled: 1-line block ×4, first 2 shown]
	v_pk_add_f32 v[30:31], v[30:31], v[100:101] neg_lo:[0,1] neg_hi:[0,1]
	v_mov_b32_e32 v96, v97
	v_mov_b32_e32 v97, v32
	v_pk_add_f32 v[30:31], v[96:97], v[30:31] neg_lo:[0,1] neg_hi:[0,1]
	v_mov_b32_e32 v114, v102
	v_pk_add_f32 v[32:33], v[114:115], v[30:31]
	v_mov_b32_e32 v96, v33
	v_pk_add_f32 v[96:97], v[32:33], v[96:97]
	v_pk_add_f32 v[34:35], v[34:35], v[96:97]
	v_mov_b32_e32 v33, v34
	v_pk_add_f32 v[100:101], v[32:33], v[102:103] neg_lo:[0,1] neg_hi:[0,1]
	v_mov_b32_e32 v31, v96
	v_sub_f32_e32 v32, v32, v100
	v_pk_add_f32 v[30:31], v[30:31], v[100:101] neg_lo:[0,1] neg_hi:[0,1]
	v_sub_f32_e32 v32, v102, v32
	s_mov_b32 s35, 0x7f800000
	v_add_f32_e32 v30, v30, v32
	s_mov_b32 s13, 0x33800000
	v_add_f32_e32 v30, v30, v31
	v_cmp_eq_f32_e32 vcc, s35, v85
	v_cmp_lt_f32_e64 s[36:37], |v85|, s13
	v_add_f32_e32 v30, v34, v30
	s_or_b64 vcc, vcc, s[36:37]
	v_cndmask_b32_e32 v30, v30, v85, vcc
	v_add_f32_e32 v30, v26, v30
.LBB444_77:
	s_or_b64 exec, exec, s[30:31]
	v_bfe_u32 v26, v30, 16, 1
	v_add3_u32 v26, v30, v26, s34
	v_and_b32_e32 v26, 0xffff0000, v26
	v_cmp_o_f32_e32 vcc, v30, v30
	v_cndmask_b32_e32 v30, v27, v26, vcc
	v_mov_b32_e32 v26, 16
	v_lshlrev_b32_sdwa v85, v26, v18 dst_sel:DWORD dst_unused:UNUSED_PAD src0_sel:DWORD src1_sel:WORD_1
	v_max_f32_e32 v27, v30, v30
	v_max_f32_e32 v99, v85, v85
	v_min_f32_e32 v31, v27, v99
	v_cmp_u_f32_e32 vcc, v30, v30
	v_max_f32_e32 v27, v27, v99
	v_cndmask_b32_e32 v31, v31, v30, vcc
	v_cmp_u_f32_e64 s[30:31], v85, v85
	v_cndmask_b32_e32 v27, v27, v30, vcc
	v_cndmask_b32_e64 v31, v31, v85, s[30:31]
	v_cndmask_b32_e64 v27, v27, v85, s[30:31]
	s_movk_i32 s13, 0x1f8
	v_cmp_neq_f32_e32 vcc, v31, v27
	v_cmp_class_f32_e64 s[34:35], v31, s13
	s_or_b64 vcc, vcc, s[34:35]
	s_and_saveexec_b64 s[34:35], vcc
	s_cbranch_execz .LBB444_79
; %bb.78:
	v_sub_f32_e32 v30, v31, v27
	s_mov_b32 s36, 0x3fb8aa3b
	v_mul_f32_e32 v31, 0x3fb8aa3b, v30
	v_fma_f32 v32, v30, s36, -v31
	v_rndne_f32_e32 v33, v31
	v_fmac_f32_e32 v32, 0x32a5705f, v30
	v_sub_f32_e32 v31, v31, v33
	v_add_f32_e32 v31, v31, v32
	v_exp_f32_e32 v31, v31
	v_cvt_i32_f32_e32 v32, v33
	s_mov_b32 s36, 0xc2ce8ed0
	v_cmp_ngt_f32_e32 vcc, s36, v30
	s_mov_b32 s36, 0x42b17218
	v_ldexp_f32 v31, v31, v32
	v_cndmask_b32_e32 v31, 0, v31, vcc
	v_mov_b32_e32 v32, 0x7f800000
	v_cmp_nlt_f32_e32 vcc, s36, v30
	v_cndmask_b32_e32 v116, v32, v31, vcc
	v_add_f32_e32 v32, 1.0, v116
	v_add_f32_e32 v30, -1.0, v32
	v_sub_f32_e32 v31, v30, v32
	v_add_f32_e32 v31, 1.0, v31
	v_sub_f32_e32 v30, v116, v30
	v_add_f32_e32 v33, v30, v31
	v_frexp_mant_f32_e32 v34, v32
	s_mov_b32 s36, 0x3f2aaaab
	v_cvt_f64_f32_e32 v[30:31], v32
	v_frexp_exp_i32_f64_e32 v30, v[30:31]
	v_cmp_gt_f32_e32 vcc, s36, v34
	v_subbrev_co_u32_e32 v100, vcc, 0, v30, vcc
	v_sub_u32_e32 v30, 0, v100
	v_ldexp_f32 v31, v32, v30
	v_add_f32_e32 v32, -1.0, v31
	v_add_f32_e32 v34, 1.0, v31
	v_ldexp_f32 v30, v33, v30
	v_add_f32_e32 v33, 1.0, v32
	v_add_f32_e32 v35, -1.0, v34
	v_sub_f32_e32 v33, v31, v33
	v_sub_f32_e32 v31, v31, v35
	v_add_f32_e32 v33, v30, v33
	v_add_f32_e32 v30, v30, v31
	v_add_f32_e32 v101, v34, v30
	v_rcp_f32_e32 v103, v101
	v_sub_f32_e32 v31, v34, v101
	v_add_f32_e32 v102, v30, v31
	v_add_f32_e32 v31, v32, v33
	v_mul_f32_e32 v113, v31, v103
	v_sub_f32_e32 v30, v32, v31
	v_mul_f32_e32 v32, v101, v113
	v_fma_f32 v34, v113, v101, -v32
	v_fmac_f32_e32 v34, v113, v102
	v_add_f32_e32 v112, v33, v30
	v_add_f32_e32 v30, v32, v34
	v_sub_f32_e32 v33, v31, v30
	v_pk_add_f32 v[96:97], v[30:31], v[32:33] neg_lo:[0,1] neg_hi:[0,1]
	v_mov_b32_e32 v35, v30
	v_pk_add_f32 v[30:31], v[96:97], v[34:35] neg_lo:[0,1] neg_hi:[0,1]
	v_add_f32_e32 v31, v112, v31
	v_add_f32_e32 v30, v30, v31
	;; [unrolled: 1-line block ×3, first 2 shown]
	v_mul_f32_e32 v112, v103, v31
	v_mul_f32_e32 v32, v101, v112
	v_fma_f32 v34, v112, v101, -v32
	v_fmac_f32_e32 v34, v112, v102
	v_sub_f32_e32 v33, v33, v31
	v_add_f32_e32 v101, v30, v33
	v_add_f32_e32 v30, v32, v34
	v_sub_f32_e32 v33, v31, v30
	v_pk_add_f32 v[96:97], v[30:31], v[32:33] neg_lo:[0,1] neg_hi:[0,1]
	v_mov_b32_e32 v35, v30
	v_pk_add_f32 v[30:31], v[96:97], v[34:35] neg_lo:[0,1] neg_hi:[0,1]
	v_add_f32_e32 v31, v101, v31
	v_add_f32_e32 v30, v30, v31
	;; [unrolled: 1-line block ×4, first 2 shown]
	v_sub_f32_e32 v31, v33, v113
	v_mul_f32_e32 v30, v103, v30
	v_sub_f32_e32 v31, v112, v31
	v_add_f32_e32 v30, v31, v30
	v_add_f32_e32 v34, v33, v30
	v_mul_f32_e32 v96, v34, v34
	v_mov_b32_e32 v32, 0x3ecc95a3
	v_fmac_f32_e32 v32, 0x3e9b6dac, v96
	v_mov_b32_e32 v31, 0x3f2aaada
	v_fmac_f32_e32 v31, v96, v32
	v_cvt_f32_i32_e32 v32, v100
	v_sub_f32_e32 v33, v34, v33
	v_sub_f32_e32 v30, v30, v33
	v_ldexp_f32 v97, v30, 1
	v_mul_f32_e32 v33, v34, v96
	v_mov_b32_e32 v30, 0x3f317218
	s_mov_b32 s36, 0x3f317218
	v_pk_mul_f32 v[30:31], v[32:33], v[30:31]
	v_ldexp_f32 v35, v34, 1
	v_fma_f32 v34, v32, s36, -v30
	v_fmac_f32_e32 v34, 0xb102e308, v32
	v_pk_add_f32 v[32:33], v[30:31], v[34:35]
	v_sub_f32_e32 v35, v33, v35
	v_sub_f32_e32 v35, v31, v35
	v_add_f32_e32 v97, v97, v35
	v_mov_b32_e32 v96, v30
	v_pk_add_f32 v[30:31], v[32:33], v[30:31] neg_lo:[0,1] neg_hi:[0,1]
	v_pk_add_f32 v[100:101], v[32:33], v[96:97]
	v_mov_b32_e32 v31, v101
	v_mov_b32_e32 v35, v32
	v_pk_add_f32 v[102:103], v[34:35], v[30:31] neg_lo:[0,1] neg_hi:[0,1]
	v_pk_add_f32 v[30:31], v[34:35], v[30:31]
	v_mov_b32_e32 v34, v31
	v_pk_add_f32 v[112:113], v[34:35], v[32:33] neg_lo:[0,1] neg_hi:[0,1]
	v_mov_b32_e32 v35, v112
	v_pk_add_f32 v[114:115], v[100:101], v[34:35] neg_lo:[0,1] neg_hi:[0,1]
	v_mov_b32_e32 v30, v101
	v_mov_b32_e32 v100, v33
	;; [unrolled: 1-line block ×4, first 2 shown]
	v_pk_add_f32 v[30:31], v[30:31], v[100:101] neg_lo:[0,1] neg_hi:[0,1]
	v_mov_b32_e32 v96, v97
	v_mov_b32_e32 v97, v32
	v_pk_add_f32 v[30:31], v[96:97], v[30:31] neg_lo:[0,1] neg_hi:[0,1]
	v_mov_b32_e32 v114, v102
	v_pk_add_f32 v[32:33], v[114:115], v[30:31]
	v_mov_b32_e32 v96, v33
	v_pk_add_f32 v[96:97], v[32:33], v[96:97]
	v_pk_add_f32 v[34:35], v[34:35], v[96:97]
	v_mov_b32_e32 v33, v34
	v_pk_add_f32 v[100:101], v[32:33], v[102:103] neg_lo:[0,1] neg_hi:[0,1]
	v_mov_b32_e32 v31, v96
	v_sub_f32_e32 v32, v32, v100
	v_pk_add_f32 v[30:31], v[30:31], v[100:101] neg_lo:[0,1] neg_hi:[0,1]
	v_sub_f32_e32 v32, v102, v32
	s_mov_b32 s37, 0x7f800000
	v_add_f32_e32 v30, v30, v32
	s_mov_b32 s36, 0x33800000
	v_add_f32_e32 v30, v30, v31
	v_cmp_eq_f32_e32 vcc, s37, v116
	v_cmp_lt_f32_e64 s[36:37], |v116|, s36
	v_add_f32_e32 v30, v34, v30
	s_or_b64 vcc, vcc, s[36:37]
	v_cndmask_b32_e32 v30, v30, v116, vcc
	v_add_f32_e32 v30, v27, v30
.LBB444_79:
	s_or_b64 exec, exec, s[34:35]
	v_bfe_u32 v27, v30, 16, 1
	s_movk_i32 s38, 0x7fff
	v_add3_u32 v27, v30, v27, s38
	v_and_b32_e32 v31, 0xffff0000, v27
	v_mov_b32_e32 v27, 0x7fc00000
	v_cmp_o_f32_e32 vcc, v30, v30
	v_cndmask_b32_e32 v30, v27, v31, vcc
	v_lshlrev_b32_sdwa v96, v26, v19 dst_sel:DWORD dst_unused:UNUSED_PAD src0_sel:DWORD src1_sel:WORD_0
	v_max_f32_e32 v26, v30, v30
	v_max_f32_e32 v102, v96, v96
	v_min_f32_e32 v31, v26, v102
	v_cmp_u_f32_e32 vcc, v30, v30
	v_max_f32_e32 v26, v26, v102
	v_cndmask_b32_e32 v31, v31, v30, vcc
	v_cmp_u_f32_e64 s[34:35], v96, v96
	v_cndmask_b32_e32 v26, v26, v30, vcc
	v_cndmask_b32_e64 v31, v31, v96, s[34:35]
	v_cndmask_b32_e64 v26, v26, v96, s[34:35]
	v_cmp_neq_f32_e32 vcc, v31, v26
	v_cmp_class_f32_e64 s[36:37], v31, s13
	s_or_b64 vcc, vcc, s[36:37]
	s_and_saveexec_b64 s[36:37], vcc
	s_cbranch_execz .LBB444_81
; %bb.80:
	v_sub_f32_e32 v30, v31, v26
	s_mov_b32 s13, 0x3fb8aa3b
	v_mul_f32_e32 v31, 0x3fb8aa3b, v30
	v_fma_f32 v32, v30, s13, -v31
	v_rndne_f32_e32 v33, v31
	v_fmac_f32_e32 v32, 0x32a5705f, v30
	v_sub_f32_e32 v31, v31, v33
	v_add_f32_e32 v31, v31, v32
	v_exp_f32_e32 v31, v31
	v_cvt_i32_f32_e32 v32, v33
	s_mov_b32 s13, 0xc2ce8ed0
	v_cmp_ngt_f32_e32 vcc, s13, v30
	s_mov_b32 s13, 0x42b17218
	v_ldexp_f32 v31, v31, v32
	v_cndmask_b32_e32 v31, 0, v31, vcc
	v_mov_b32_e32 v32, 0x7f800000
	v_cmp_nlt_f32_e32 vcc, s13, v30
	v_cndmask_b32_e32 v97, v32, v31, vcc
	v_add_f32_e32 v32, 1.0, v97
	v_add_f32_e32 v30, -1.0, v32
	v_sub_f32_e32 v31, v30, v32
	v_add_f32_e32 v31, 1.0, v31
	v_sub_f32_e32 v30, v97, v30
	v_add_f32_e32 v33, v30, v31
	v_frexp_mant_f32_e32 v34, v32
	s_mov_b32 s13, 0x3f2aaaab
	v_cvt_f64_f32_e32 v[30:31], v32
	v_frexp_exp_i32_f64_e32 v30, v[30:31]
	v_cmp_gt_f32_e32 vcc, s13, v34
	v_subbrev_co_u32_e32 v103, vcc, 0, v30, vcc
	v_sub_u32_e32 v30, 0, v103
	v_ldexp_f32 v31, v32, v30
	v_add_f32_e32 v32, -1.0, v31
	v_add_f32_e32 v34, 1.0, v31
	v_ldexp_f32 v30, v33, v30
	v_add_f32_e32 v33, 1.0, v32
	v_add_f32_e32 v35, -1.0, v34
	v_sub_f32_e32 v33, v31, v33
	v_sub_f32_e32 v31, v31, v35
	v_add_f32_e32 v33, v30, v33
	v_add_f32_e32 v30, v30, v31
	;; [unrolled: 1-line block ×3, first 2 shown]
	v_rcp_f32_e32 v114, v112
	v_sub_f32_e32 v31, v34, v112
	v_add_f32_e32 v113, v30, v31
	v_add_f32_e32 v31, v32, v33
	v_mul_f32_e32 v116, v31, v114
	v_sub_f32_e32 v30, v32, v31
	v_mul_f32_e32 v32, v112, v116
	v_fma_f32 v34, v116, v112, -v32
	v_fmac_f32_e32 v34, v116, v113
	v_add_f32_e32 v115, v33, v30
	v_add_f32_e32 v30, v32, v34
	v_sub_f32_e32 v33, v31, v30
	v_pk_add_f32 v[100:101], v[30:31], v[32:33] neg_lo:[0,1] neg_hi:[0,1]
	v_mov_b32_e32 v35, v30
	v_pk_add_f32 v[30:31], v[100:101], v[34:35] neg_lo:[0,1] neg_hi:[0,1]
	v_add_f32_e32 v31, v115, v31
	v_add_f32_e32 v30, v30, v31
	;; [unrolled: 1-line block ×3, first 2 shown]
	v_mul_f32_e32 v115, v114, v31
	v_mul_f32_e32 v32, v112, v115
	v_fma_f32 v34, v115, v112, -v32
	v_fmac_f32_e32 v34, v115, v113
	v_sub_f32_e32 v33, v33, v31
	v_add_f32_e32 v112, v30, v33
	v_add_f32_e32 v30, v32, v34
	v_sub_f32_e32 v33, v31, v30
	v_pk_add_f32 v[100:101], v[30:31], v[32:33] neg_lo:[0,1] neg_hi:[0,1]
	v_mov_b32_e32 v35, v30
	v_pk_add_f32 v[30:31], v[100:101], v[34:35] neg_lo:[0,1] neg_hi:[0,1]
	v_add_f32_e32 v31, v112, v31
	v_add_f32_e32 v30, v30, v31
	;; [unrolled: 1-line block ×4, first 2 shown]
	v_sub_f32_e32 v31, v33, v116
	v_mul_f32_e32 v30, v114, v30
	v_sub_f32_e32 v31, v115, v31
	v_add_f32_e32 v30, v31, v30
	v_add_f32_e32 v34, v33, v30
	v_mul_f32_e32 v100, v34, v34
	v_mov_b32_e32 v32, 0x3ecc95a3
	v_fmac_f32_e32 v32, 0x3e9b6dac, v100
	v_mov_b32_e32 v31, 0x3f2aaada
	v_fmac_f32_e32 v31, v100, v32
	v_cvt_f32_i32_e32 v32, v103
	v_sub_f32_e32 v33, v34, v33
	v_sub_f32_e32 v30, v30, v33
	v_ldexp_f32 v101, v30, 1
	v_mul_f32_e32 v33, v34, v100
	v_mov_b32_e32 v30, 0x3f317218
	s_mov_b32 s13, 0x3f317218
	v_pk_mul_f32 v[30:31], v[32:33], v[30:31]
	v_ldexp_f32 v35, v34, 1
	v_fma_f32 v34, v32, s13, -v30
	v_fmac_f32_e32 v34, 0xb102e308, v32
	v_pk_add_f32 v[32:33], v[30:31], v[34:35]
	v_sub_f32_e32 v35, v33, v35
	v_sub_f32_e32 v35, v31, v35
	v_add_f32_e32 v101, v101, v35
	v_mov_b32_e32 v100, v30
	v_pk_add_f32 v[30:31], v[32:33], v[30:31] neg_lo:[0,1] neg_hi:[0,1]
	v_pk_add_f32 v[112:113], v[32:33], v[100:101]
	v_mov_b32_e32 v31, v113
	v_mov_b32_e32 v35, v32
	v_pk_add_f32 v[114:115], v[34:35], v[30:31] neg_lo:[0,1] neg_hi:[0,1]
	v_pk_add_f32 v[30:31], v[34:35], v[30:31]
	v_mov_b32_e32 v34, v31
	v_pk_add_f32 v[116:117], v[34:35], v[32:33] neg_lo:[0,1] neg_hi:[0,1]
	v_mov_b32_e32 v35, v116
	v_pk_add_f32 v[118:119], v[112:113], v[34:35] neg_lo:[0,1] neg_hi:[0,1]
	v_mov_b32_e32 v30, v113
	v_mov_b32_e32 v112, v33
	;; [unrolled: 1-line block ×4, first 2 shown]
	v_pk_add_f32 v[30:31], v[30:31], v[112:113] neg_lo:[0,1] neg_hi:[0,1]
	v_mov_b32_e32 v100, v101
	v_mov_b32_e32 v101, v32
	v_pk_add_f32 v[30:31], v[100:101], v[30:31] neg_lo:[0,1] neg_hi:[0,1]
	v_mov_b32_e32 v118, v114
	v_pk_add_f32 v[32:33], v[118:119], v[30:31]
	v_mov_b32_e32 v100, v33
	v_pk_add_f32 v[100:101], v[32:33], v[100:101]
	v_pk_add_f32 v[34:35], v[34:35], v[100:101]
	v_mov_b32_e32 v33, v34
	v_pk_add_f32 v[112:113], v[32:33], v[114:115] neg_lo:[0,1] neg_hi:[0,1]
	v_mov_b32_e32 v31, v100
	v_sub_f32_e32 v32, v32, v112
	v_pk_add_f32 v[30:31], v[30:31], v[112:113] neg_lo:[0,1] neg_hi:[0,1]
	v_sub_f32_e32 v32, v114, v32
	s_mov_b32 s39, 0x7f800000
	v_add_f32_e32 v30, v30, v32
	s_mov_b32 s13, 0x33800000
	v_add_f32_e32 v30, v30, v31
	v_cmp_eq_f32_e32 vcc, s39, v97
	v_cmp_lt_f32_e64 s[40:41], |v97|, s13
	v_add_f32_e32 v30, v34, v30
	s_or_b64 vcc, vcc, s[40:41]
	v_cndmask_b32_e32 v30, v30, v97, vcc
	v_add_f32_e32 v30, v26, v30
.LBB444_81:
	s_or_b64 exec, exec, s[36:37]
	v_bfe_u32 v26, v30, 16, 1
	v_add3_u32 v26, v30, v26, s38
	v_and_b32_e32 v26, 0xffff0000, v26
	v_cmp_o_f32_e32 vcc, v30, v30
	v_cndmask_b32_e32 v30, v27, v26, vcc
	v_mov_b32_e32 v26, 16
	v_lshlrev_b32_sdwa v97, v26, v19 dst_sel:DWORD dst_unused:UNUSED_PAD src0_sel:DWORD src1_sel:WORD_1
	v_max_f32_e32 v27, v30, v30
	v_max_f32_e32 v103, v97, v97
	v_min_f32_e32 v31, v27, v103
	v_cmp_u_f32_e32 vcc, v30, v30
	v_max_f32_e32 v27, v27, v103
	v_cndmask_b32_e32 v31, v31, v30, vcc
	v_cmp_u_f32_e64 s[36:37], v97, v97
	v_cndmask_b32_e32 v27, v27, v30, vcc
	v_cndmask_b32_e64 v31, v31, v97, s[36:37]
	v_cndmask_b32_e64 v27, v27, v97, s[36:37]
	s_movk_i32 s13, 0x1f8
	v_cmp_neq_f32_e32 vcc, v31, v27
	v_cmp_class_f32_e64 s[38:39], v31, s13
	s_or_b64 vcc, vcc, s[38:39]
	s_and_saveexec_b64 s[38:39], vcc
	s_cbranch_execz .LBB444_83
; %bb.82:
	v_sub_f32_e32 v30, v31, v27
	s_mov_b32 s40, 0x3fb8aa3b
	v_mul_f32_e32 v31, 0x3fb8aa3b, v30
	v_fma_f32 v32, v30, s40, -v31
	v_rndne_f32_e32 v33, v31
	v_fmac_f32_e32 v32, 0x32a5705f, v30
	v_sub_f32_e32 v31, v31, v33
	v_add_f32_e32 v31, v31, v32
	v_exp_f32_e32 v31, v31
	v_cvt_i32_f32_e32 v32, v33
	s_mov_b32 s40, 0xc2ce8ed0
	v_cmp_ngt_f32_e32 vcc, s40, v30
	s_mov_b32 s40, 0x42b17218
	v_ldexp_f32 v31, v31, v32
	v_cndmask_b32_e32 v31, 0, v31, vcc
	v_mov_b32_e32 v32, 0x7f800000
	v_cmp_nlt_f32_e32 vcc, s40, v30
	v_cndmask_b32_e32 v128, v32, v31, vcc
	v_add_f32_e32 v32, 1.0, v128
	v_add_f32_e32 v30, -1.0, v32
	v_sub_f32_e32 v31, v30, v32
	v_add_f32_e32 v31, 1.0, v31
	v_sub_f32_e32 v30, v128, v30
	v_add_f32_e32 v33, v30, v31
	v_frexp_mant_f32_e32 v34, v32
	s_mov_b32 s40, 0x3f2aaaab
	v_cvt_f64_f32_e32 v[30:31], v32
	v_frexp_exp_i32_f64_e32 v30, v[30:31]
	v_cmp_gt_f32_e32 vcc, s40, v34
	v_subbrev_co_u32_e32 v112, vcc, 0, v30, vcc
	v_sub_u32_e32 v30, 0, v112
	v_ldexp_f32 v31, v32, v30
	v_add_f32_e32 v32, -1.0, v31
	v_add_f32_e32 v34, 1.0, v31
	v_ldexp_f32 v30, v33, v30
	v_add_f32_e32 v33, 1.0, v32
	v_add_f32_e32 v35, -1.0, v34
	v_sub_f32_e32 v33, v31, v33
	v_sub_f32_e32 v31, v31, v35
	v_add_f32_e32 v33, v30, v33
	v_add_f32_e32 v30, v30, v31
	;; [unrolled: 1-line block ×3, first 2 shown]
	v_rcp_f32_e32 v115, v113
	v_sub_f32_e32 v31, v34, v113
	v_add_f32_e32 v114, v30, v31
	v_add_f32_e32 v31, v32, v33
	v_mul_f32_e32 v117, v31, v115
	v_sub_f32_e32 v30, v32, v31
	v_mul_f32_e32 v32, v113, v117
	v_fma_f32 v34, v117, v113, -v32
	v_fmac_f32_e32 v34, v117, v114
	v_add_f32_e32 v116, v33, v30
	v_add_f32_e32 v30, v32, v34
	v_sub_f32_e32 v33, v31, v30
	v_pk_add_f32 v[100:101], v[30:31], v[32:33] neg_lo:[0,1] neg_hi:[0,1]
	v_mov_b32_e32 v35, v30
	v_pk_add_f32 v[30:31], v[100:101], v[34:35] neg_lo:[0,1] neg_hi:[0,1]
	v_add_f32_e32 v31, v116, v31
	v_add_f32_e32 v30, v30, v31
	v_add_f32_e32 v31, v33, v30
	v_mul_f32_e32 v116, v115, v31
	v_mul_f32_e32 v32, v113, v116
	v_fma_f32 v34, v116, v113, -v32
	v_fmac_f32_e32 v34, v116, v114
	v_sub_f32_e32 v33, v33, v31
	v_add_f32_e32 v113, v30, v33
	v_add_f32_e32 v30, v32, v34
	v_sub_f32_e32 v33, v31, v30
	v_pk_add_f32 v[100:101], v[30:31], v[32:33] neg_lo:[0,1] neg_hi:[0,1]
	v_mov_b32_e32 v35, v30
	v_pk_add_f32 v[30:31], v[100:101], v[34:35] neg_lo:[0,1] neg_hi:[0,1]
	v_add_f32_e32 v31, v113, v31
	v_add_f32_e32 v30, v30, v31
	;; [unrolled: 1-line block ×4, first 2 shown]
	v_sub_f32_e32 v31, v33, v117
	v_mul_f32_e32 v30, v115, v30
	v_sub_f32_e32 v31, v116, v31
	v_add_f32_e32 v30, v31, v30
	v_add_f32_e32 v34, v33, v30
	v_mul_f32_e32 v100, v34, v34
	v_mov_b32_e32 v32, 0x3ecc95a3
	v_fmac_f32_e32 v32, 0x3e9b6dac, v100
	v_mov_b32_e32 v31, 0x3f2aaada
	v_fmac_f32_e32 v31, v100, v32
	v_cvt_f32_i32_e32 v32, v112
	v_sub_f32_e32 v33, v34, v33
	v_sub_f32_e32 v30, v30, v33
	v_ldexp_f32 v101, v30, 1
	v_mul_f32_e32 v33, v34, v100
	v_mov_b32_e32 v30, 0x3f317218
	s_mov_b32 s40, 0x3f317218
	v_pk_mul_f32 v[30:31], v[32:33], v[30:31]
	v_ldexp_f32 v35, v34, 1
	v_fma_f32 v34, v32, s40, -v30
	v_fmac_f32_e32 v34, 0xb102e308, v32
	v_pk_add_f32 v[32:33], v[30:31], v[34:35]
	v_sub_f32_e32 v35, v33, v35
	v_sub_f32_e32 v35, v31, v35
	v_add_f32_e32 v101, v101, v35
	v_mov_b32_e32 v100, v30
	v_pk_add_f32 v[30:31], v[32:33], v[30:31] neg_lo:[0,1] neg_hi:[0,1]
	v_pk_add_f32 v[112:113], v[32:33], v[100:101]
	v_mov_b32_e32 v31, v113
	v_mov_b32_e32 v35, v32
	v_pk_add_f32 v[114:115], v[34:35], v[30:31] neg_lo:[0,1] neg_hi:[0,1]
	v_pk_add_f32 v[30:31], v[34:35], v[30:31]
	v_mov_b32_e32 v34, v31
	v_pk_add_f32 v[116:117], v[34:35], v[32:33] neg_lo:[0,1] neg_hi:[0,1]
	v_mov_b32_e32 v35, v116
	v_pk_add_f32 v[118:119], v[112:113], v[34:35] neg_lo:[0,1] neg_hi:[0,1]
	v_mov_b32_e32 v30, v113
	v_mov_b32_e32 v112, v33
	;; [unrolled: 1-line block ×4, first 2 shown]
	v_pk_add_f32 v[30:31], v[30:31], v[112:113] neg_lo:[0,1] neg_hi:[0,1]
	v_mov_b32_e32 v100, v101
	v_mov_b32_e32 v101, v32
	v_pk_add_f32 v[30:31], v[100:101], v[30:31] neg_lo:[0,1] neg_hi:[0,1]
	v_mov_b32_e32 v118, v114
	v_pk_add_f32 v[32:33], v[118:119], v[30:31]
	v_mov_b32_e32 v100, v33
	v_pk_add_f32 v[100:101], v[32:33], v[100:101]
	v_pk_add_f32 v[34:35], v[34:35], v[100:101]
	v_mov_b32_e32 v33, v34
	v_pk_add_f32 v[112:113], v[32:33], v[114:115] neg_lo:[0,1] neg_hi:[0,1]
	v_mov_b32_e32 v31, v100
	v_sub_f32_e32 v32, v32, v112
	v_pk_add_f32 v[30:31], v[30:31], v[112:113] neg_lo:[0,1] neg_hi:[0,1]
	v_sub_f32_e32 v32, v114, v32
	s_mov_b32 s41, 0x7f800000
	v_add_f32_e32 v30, v30, v32
	s_mov_b32 s40, 0x33800000
	v_add_f32_e32 v30, v30, v31
	v_cmp_eq_f32_e32 vcc, s41, v128
	v_cmp_lt_f32_e64 s[40:41], |v128|, s40
	v_add_f32_e32 v30, v34, v30
	s_or_b64 vcc, vcc, s[40:41]
	v_cndmask_b32_e32 v30, v30, v128, vcc
	v_add_f32_e32 v30, v27, v30
.LBB444_83:
	s_or_b64 exec, exec, s[38:39]
	v_bfe_u32 v27, v30, 16, 1
	s_movk_i32 s42, 0x7fff
	v_add3_u32 v27, v30, v27, s42
	v_and_b32_e32 v31, 0xffff0000, v27
	v_mov_b32_e32 v27, 0x7fc00000
	v_cmp_o_f32_e32 vcc, v30, v30
	v_cndmask_b32_e32 v30, v27, v31, vcc
	v_lshlrev_b32_sdwa v100, v26, v12 dst_sel:DWORD dst_unused:UNUSED_PAD src0_sel:DWORD src1_sel:WORD_0
	v_max_f32_e32 v26, v30, v30
	v_max_f32_e32 v114, v100, v100
	v_min_f32_e32 v31, v26, v114
	v_cmp_u_f32_e32 vcc, v30, v30
	v_max_f32_e32 v26, v26, v114
	v_cndmask_b32_e32 v31, v31, v30, vcc
	v_cmp_u_f32_e64 s[38:39], v100, v100
	v_cndmask_b32_e32 v26, v26, v30, vcc
	v_cndmask_b32_e64 v31, v31, v100, s[38:39]
	v_cndmask_b32_e64 v26, v26, v100, s[38:39]
	v_cmp_neq_f32_e32 vcc, v31, v26
	v_cmp_class_f32_e64 s[40:41], v31, s13
	s_or_b64 vcc, vcc, s[40:41]
	s_and_saveexec_b64 s[40:41], vcc
	s_cbranch_execz .LBB444_85
; %bb.84:
	v_sub_f32_e32 v30, v31, v26
	s_mov_b32 s13, 0x3fb8aa3b
	v_mul_f32_e32 v31, 0x3fb8aa3b, v30
	v_fma_f32 v32, v30, s13, -v31
	v_rndne_f32_e32 v33, v31
	v_fmac_f32_e32 v32, 0x32a5705f, v30
	v_sub_f32_e32 v31, v31, v33
	v_add_f32_e32 v31, v31, v32
	v_exp_f32_e32 v31, v31
	v_cvt_i32_f32_e32 v32, v33
	s_mov_b32 s13, 0xc2ce8ed0
	v_cmp_ngt_f32_e32 vcc, s13, v30
	s_mov_b32 s13, 0x42b17218
	v_ldexp_f32 v31, v31, v32
	v_cndmask_b32_e32 v31, 0, v31, vcc
	v_mov_b32_e32 v32, 0x7f800000
	v_cmp_nlt_f32_e32 vcc, s13, v30
	v_cndmask_b32_e32 v101, v32, v31, vcc
	v_add_f32_e32 v32, 1.0, v101
	v_add_f32_e32 v30, -1.0, v32
	v_sub_f32_e32 v31, v30, v32
	v_add_f32_e32 v31, 1.0, v31
	v_sub_f32_e32 v30, v101, v30
	v_add_f32_e32 v33, v30, v31
	v_frexp_mant_f32_e32 v34, v32
	s_mov_b32 s13, 0x3f2aaaab
	v_cvt_f64_f32_e32 v[30:31], v32
	v_frexp_exp_i32_f64_e32 v30, v[30:31]
	v_cmp_gt_f32_e32 vcc, s13, v34
	v_subbrev_co_u32_e32 v115, vcc, 0, v30, vcc
	v_sub_u32_e32 v30, 0, v115
	v_ldexp_f32 v31, v32, v30
	v_add_f32_e32 v32, -1.0, v31
	v_add_f32_e32 v34, 1.0, v31
	v_ldexp_f32 v30, v33, v30
	v_add_f32_e32 v33, 1.0, v32
	v_add_f32_e32 v35, -1.0, v34
	v_sub_f32_e32 v33, v31, v33
	v_sub_f32_e32 v31, v31, v35
	v_add_f32_e32 v33, v30, v33
	v_add_f32_e32 v30, v30, v31
	v_add_f32_e32 v116, v34, v30
	v_rcp_f32_e32 v118, v116
	v_sub_f32_e32 v31, v34, v116
	v_add_f32_e32 v117, v30, v31
	v_add_f32_e32 v31, v32, v33
	v_mul_f32_e32 v128, v31, v118
	v_sub_f32_e32 v30, v32, v31
	v_mul_f32_e32 v32, v116, v128
	v_fma_f32 v34, v128, v116, -v32
	v_fmac_f32_e32 v34, v128, v117
	v_add_f32_e32 v119, v33, v30
	v_add_f32_e32 v30, v32, v34
	v_sub_f32_e32 v33, v31, v30
	v_pk_add_f32 v[112:113], v[30:31], v[32:33] neg_lo:[0,1] neg_hi:[0,1]
	v_mov_b32_e32 v35, v30
	v_pk_add_f32 v[30:31], v[112:113], v[34:35] neg_lo:[0,1] neg_hi:[0,1]
	v_add_f32_e32 v31, v119, v31
	v_add_f32_e32 v30, v30, v31
	;; [unrolled: 1-line block ×3, first 2 shown]
	v_mul_f32_e32 v119, v118, v31
	v_mul_f32_e32 v32, v116, v119
	v_fma_f32 v34, v119, v116, -v32
	v_fmac_f32_e32 v34, v119, v117
	v_sub_f32_e32 v33, v33, v31
	v_add_f32_e32 v116, v30, v33
	v_add_f32_e32 v30, v32, v34
	v_sub_f32_e32 v33, v31, v30
	v_pk_add_f32 v[112:113], v[30:31], v[32:33] neg_lo:[0,1] neg_hi:[0,1]
	v_mov_b32_e32 v35, v30
	v_pk_add_f32 v[30:31], v[112:113], v[34:35] neg_lo:[0,1] neg_hi:[0,1]
	v_add_f32_e32 v31, v116, v31
	v_add_f32_e32 v30, v30, v31
	;; [unrolled: 1-line block ×4, first 2 shown]
	v_sub_f32_e32 v31, v33, v128
	v_mul_f32_e32 v30, v118, v30
	v_sub_f32_e32 v31, v119, v31
	v_add_f32_e32 v30, v31, v30
	v_add_f32_e32 v34, v33, v30
	v_mul_f32_e32 v112, v34, v34
	v_mov_b32_e32 v32, 0x3ecc95a3
	v_fmac_f32_e32 v32, 0x3e9b6dac, v112
	v_mov_b32_e32 v31, 0x3f2aaada
	v_fmac_f32_e32 v31, v112, v32
	v_cvt_f32_i32_e32 v32, v115
	v_sub_f32_e32 v33, v34, v33
	v_sub_f32_e32 v30, v30, v33
	v_ldexp_f32 v113, v30, 1
	v_mul_f32_e32 v33, v34, v112
	v_mov_b32_e32 v30, 0x3f317218
	s_mov_b32 s13, 0x3f317218
	v_pk_mul_f32 v[30:31], v[32:33], v[30:31]
	v_ldexp_f32 v35, v34, 1
	v_fma_f32 v34, v32, s13, -v30
	v_fmac_f32_e32 v34, 0xb102e308, v32
	v_pk_add_f32 v[32:33], v[30:31], v[34:35]
	v_sub_f32_e32 v35, v33, v35
	v_sub_f32_e32 v35, v31, v35
	v_add_f32_e32 v113, v113, v35
	v_mov_b32_e32 v112, v30
	v_pk_add_f32 v[30:31], v[32:33], v[30:31] neg_lo:[0,1] neg_hi:[0,1]
	v_pk_add_f32 v[116:117], v[32:33], v[112:113]
	v_mov_b32_e32 v31, v117
	v_mov_b32_e32 v35, v32
	v_pk_add_f32 v[118:119], v[34:35], v[30:31] neg_lo:[0,1] neg_hi:[0,1]
	v_pk_add_f32 v[30:31], v[34:35], v[30:31]
	v_mov_b32_e32 v34, v31
	v_pk_add_f32 v[128:129], v[34:35], v[32:33] neg_lo:[0,1] neg_hi:[0,1]
	v_mov_b32_e32 v35, v128
	v_pk_add_f32 v[130:131], v[116:117], v[34:35] neg_lo:[0,1] neg_hi:[0,1]
	v_mov_b32_e32 v30, v117
	v_mov_b32_e32 v116, v33
	;; [unrolled: 1-line block ×4, first 2 shown]
	v_pk_add_f32 v[30:31], v[30:31], v[116:117] neg_lo:[0,1] neg_hi:[0,1]
	v_mov_b32_e32 v112, v113
	v_mov_b32_e32 v113, v32
	v_pk_add_f32 v[30:31], v[112:113], v[30:31] neg_lo:[0,1] neg_hi:[0,1]
	v_mov_b32_e32 v130, v118
	v_pk_add_f32 v[32:33], v[130:131], v[30:31]
	v_mov_b32_e32 v112, v33
	v_pk_add_f32 v[112:113], v[32:33], v[112:113]
	v_pk_add_f32 v[34:35], v[34:35], v[112:113]
	v_mov_b32_e32 v33, v34
	v_pk_add_f32 v[116:117], v[32:33], v[118:119] neg_lo:[0,1] neg_hi:[0,1]
	v_mov_b32_e32 v31, v112
	v_sub_f32_e32 v32, v32, v116
	v_pk_add_f32 v[30:31], v[30:31], v[116:117] neg_lo:[0,1] neg_hi:[0,1]
	v_sub_f32_e32 v32, v118, v32
	s_mov_b32 s43, 0x7f800000
	v_add_f32_e32 v30, v30, v32
	s_mov_b32 s13, 0x33800000
	v_add_f32_e32 v30, v30, v31
	v_cmp_eq_f32_e32 vcc, s43, v101
	v_cmp_lt_f32_e64 s[44:45], |v101|, s13
	v_add_f32_e32 v30, v34, v30
	s_or_b64 vcc, vcc, s[44:45]
	v_cndmask_b32_e32 v30, v30, v101, vcc
	v_add_f32_e32 v30, v26, v30
.LBB444_85:
	s_or_b64 exec, exec, s[40:41]
	v_bfe_u32 v26, v30, 16, 1
	v_add3_u32 v26, v30, v26, s42
	v_and_b32_e32 v26, 0xffff0000, v26
	v_cmp_o_f32_e32 vcc, v30, v30
	v_cndmask_b32_e32 v30, v27, v26, vcc
	v_mov_b32_e32 v26, 16
	v_lshlrev_b32_sdwa v101, v26, v12 dst_sel:DWORD dst_unused:UNUSED_PAD src0_sel:DWORD src1_sel:WORD_1
	v_max_f32_e32 v27, v30, v30
	v_max_f32_e32 v115, v101, v101
	v_min_f32_e32 v31, v27, v115
	v_cmp_u_f32_e32 vcc, v30, v30
	v_max_f32_e32 v27, v27, v115
	v_cndmask_b32_e32 v31, v31, v30, vcc
	v_cmp_u_f32_e64 s[40:41], v101, v101
	v_cndmask_b32_e32 v27, v27, v30, vcc
	v_cndmask_b32_e64 v31, v31, v101, s[40:41]
	v_cndmask_b32_e64 v27, v27, v101, s[40:41]
	s_movk_i32 s13, 0x1f8
	v_cmp_neq_f32_e32 vcc, v31, v27
	v_cmp_class_f32_e64 s[42:43], v31, s13
	s_or_b64 vcc, vcc, s[42:43]
	s_and_saveexec_b64 s[42:43], vcc
	s_cbranch_execz .LBB444_87
; %bb.86:
	v_sub_f32_e32 v30, v31, v27
	s_mov_b32 s44, 0x3fb8aa3b
	v_mul_f32_e32 v31, 0x3fb8aa3b, v30
	v_fma_f32 v32, v30, s44, -v31
	v_rndne_f32_e32 v33, v31
	v_fmac_f32_e32 v32, 0x32a5705f, v30
	v_sub_f32_e32 v31, v31, v33
	v_add_f32_e32 v31, v31, v32
	v_exp_f32_e32 v31, v31
	v_cvt_i32_f32_e32 v32, v33
	s_mov_b32 s44, 0xc2ce8ed0
	v_cmp_ngt_f32_e32 vcc, s44, v30
	s_mov_b32 s44, 0x42b17218
	v_ldexp_f32 v31, v31, v32
	v_cndmask_b32_e32 v31, 0, v31, vcc
	v_mov_b32_e32 v32, 0x7f800000
	v_cmp_nlt_f32_e32 vcc, s44, v30
	v_cndmask_b32_e32 v132, v32, v31, vcc
	v_add_f32_e32 v32, 1.0, v132
	v_add_f32_e32 v30, -1.0, v32
	v_sub_f32_e32 v31, v30, v32
	v_add_f32_e32 v31, 1.0, v31
	v_sub_f32_e32 v30, v132, v30
	v_add_f32_e32 v33, v30, v31
	v_frexp_mant_f32_e32 v34, v32
	s_mov_b32 s44, 0x3f2aaaab
	v_cvt_f64_f32_e32 v[30:31], v32
	v_frexp_exp_i32_f64_e32 v30, v[30:31]
	v_cmp_gt_f32_e32 vcc, s44, v34
	v_subbrev_co_u32_e32 v116, vcc, 0, v30, vcc
	v_sub_u32_e32 v30, 0, v116
	v_ldexp_f32 v31, v32, v30
	v_add_f32_e32 v32, -1.0, v31
	v_add_f32_e32 v34, 1.0, v31
	v_ldexp_f32 v30, v33, v30
	v_add_f32_e32 v33, 1.0, v32
	v_add_f32_e32 v35, -1.0, v34
	v_sub_f32_e32 v33, v31, v33
	v_sub_f32_e32 v31, v31, v35
	v_add_f32_e32 v33, v30, v33
	v_add_f32_e32 v30, v30, v31
	;; [unrolled: 1-line block ×3, first 2 shown]
	v_rcp_f32_e32 v119, v117
	v_sub_f32_e32 v31, v34, v117
	v_add_f32_e32 v118, v30, v31
	v_add_f32_e32 v31, v32, v33
	v_mul_f32_e32 v129, v31, v119
	v_sub_f32_e32 v30, v32, v31
	v_mul_f32_e32 v32, v117, v129
	v_fma_f32 v34, v129, v117, -v32
	v_fmac_f32_e32 v34, v129, v118
	v_add_f32_e32 v128, v33, v30
	v_add_f32_e32 v30, v32, v34
	v_sub_f32_e32 v33, v31, v30
	v_pk_add_f32 v[112:113], v[30:31], v[32:33] neg_lo:[0,1] neg_hi:[0,1]
	v_mov_b32_e32 v35, v30
	v_pk_add_f32 v[30:31], v[112:113], v[34:35] neg_lo:[0,1] neg_hi:[0,1]
	v_add_f32_e32 v31, v128, v31
	v_add_f32_e32 v30, v30, v31
	;; [unrolled: 1-line block ×3, first 2 shown]
	v_mul_f32_e32 v128, v119, v31
	v_mul_f32_e32 v32, v117, v128
	v_fma_f32 v34, v128, v117, -v32
	v_fmac_f32_e32 v34, v128, v118
	v_sub_f32_e32 v33, v33, v31
	v_add_f32_e32 v117, v30, v33
	v_add_f32_e32 v30, v32, v34
	v_sub_f32_e32 v33, v31, v30
	v_pk_add_f32 v[112:113], v[30:31], v[32:33] neg_lo:[0,1] neg_hi:[0,1]
	v_mov_b32_e32 v35, v30
	v_pk_add_f32 v[30:31], v[112:113], v[34:35] neg_lo:[0,1] neg_hi:[0,1]
	v_add_f32_e32 v31, v117, v31
	v_add_f32_e32 v30, v30, v31
	;; [unrolled: 1-line block ×4, first 2 shown]
	v_sub_f32_e32 v31, v33, v129
	v_mul_f32_e32 v30, v119, v30
	v_sub_f32_e32 v31, v128, v31
	v_add_f32_e32 v30, v31, v30
	v_add_f32_e32 v34, v33, v30
	v_mul_f32_e32 v112, v34, v34
	v_mov_b32_e32 v32, 0x3ecc95a3
	v_fmac_f32_e32 v32, 0x3e9b6dac, v112
	v_mov_b32_e32 v31, 0x3f2aaada
	v_fmac_f32_e32 v31, v112, v32
	v_cvt_f32_i32_e32 v32, v116
	v_sub_f32_e32 v33, v34, v33
	v_sub_f32_e32 v30, v30, v33
	v_ldexp_f32 v113, v30, 1
	v_mul_f32_e32 v33, v34, v112
	v_mov_b32_e32 v30, 0x3f317218
	s_mov_b32 s44, 0x3f317218
	v_pk_mul_f32 v[30:31], v[32:33], v[30:31]
	v_ldexp_f32 v35, v34, 1
	v_fma_f32 v34, v32, s44, -v30
	v_fmac_f32_e32 v34, 0xb102e308, v32
	v_pk_add_f32 v[32:33], v[30:31], v[34:35]
	v_sub_f32_e32 v35, v33, v35
	v_sub_f32_e32 v35, v31, v35
	v_add_f32_e32 v113, v113, v35
	v_mov_b32_e32 v112, v30
	v_pk_add_f32 v[30:31], v[32:33], v[30:31] neg_lo:[0,1] neg_hi:[0,1]
	v_pk_add_f32 v[116:117], v[32:33], v[112:113]
	v_mov_b32_e32 v31, v117
	v_mov_b32_e32 v35, v32
	v_pk_add_f32 v[118:119], v[34:35], v[30:31] neg_lo:[0,1] neg_hi:[0,1]
	v_pk_add_f32 v[30:31], v[34:35], v[30:31]
	v_mov_b32_e32 v34, v31
	v_pk_add_f32 v[128:129], v[34:35], v[32:33] neg_lo:[0,1] neg_hi:[0,1]
	v_mov_b32_e32 v35, v128
	v_pk_add_f32 v[130:131], v[116:117], v[34:35] neg_lo:[0,1] neg_hi:[0,1]
	v_mov_b32_e32 v30, v117
	v_mov_b32_e32 v116, v33
	;; [unrolled: 1-line block ×4, first 2 shown]
	v_pk_add_f32 v[30:31], v[30:31], v[116:117] neg_lo:[0,1] neg_hi:[0,1]
	v_mov_b32_e32 v112, v113
	v_mov_b32_e32 v113, v32
	v_pk_add_f32 v[30:31], v[112:113], v[30:31] neg_lo:[0,1] neg_hi:[0,1]
	v_mov_b32_e32 v130, v118
	v_pk_add_f32 v[32:33], v[130:131], v[30:31]
	v_mov_b32_e32 v112, v33
	v_pk_add_f32 v[112:113], v[32:33], v[112:113]
	v_pk_add_f32 v[34:35], v[34:35], v[112:113]
	v_mov_b32_e32 v33, v34
	v_pk_add_f32 v[116:117], v[32:33], v[118:119] neg_lo:[0,1] neg_hi:[0,1]
	v_mov_b32_e32 v31, v112
	v_sub_f32_e32 v32, v32, v116
	v_pk_add_f32 v[30:31], v[30:31], v[116:117] neg_lo:[0,1] neg_hi:[0,1]
	v_sub_f32_e32 v32, v118, v32
	s_mov_b32 s45, 0x7f800000
	v_add_f32_e32 v30, v30, v32
	s_mov_b32 s44, 0x33800000
	v_add_f32_e32 v30, v30, v31
	v_cmp_eq_f32_e32 vcc, s45, v132
	v_cmp_lt_f32_e64 s[44:45], |v132|, s44
	v_add_f32_e32 v30, v34, v30
	s_or_b64 vcc, vcc, s[44:45]
	v_cndmask_b32_e32 v30, v30, v132, vcc
	v_add_f32_e32 v30, v27, v30
.LBB444_87:
	s_or_b64 exec, exec, s[42:43]
	v_bfe_u32 v27, v30, 16, 1
	s_movk_i32 s46, 0x7fff
	v_add3_u32 v27, v30, v27, s46
	v_and_b32_e32 v31, 0xffff0000, v27
	v_mov_b32_e32 v27, 0x7fc00000
	v_cmp_o_f32_e32 vcc, v30, v30
	v_cndmask_b32_e32 v30, v27, v31, vcc
	v_lshlrev_b32_sdwa v112, v26, v13 dst_sel:DWORD dst_unused:UNUSED_PAD src0_sel:DWORD src1_sel:WORD_0
	v_max_f32_e32 v26, v30, v30
	v_max_f32_e32 v118, v112, v112
	v_min_f32_e32 v31, v26, v118
	v_cmp_u_f32_e32 vcc, v30, v30
	v_max_f32_e32 v26, v26, v118
	v_cndmask_b32_e32 v31, v31, v30, vcc
	v_cmp_u_f32_e64 s[42:43], v112, v112
	v_cndmask_b32_e32 v26, v26, v30, vcc
	v_cndmask_b32_e64 v31, v31, v112, s[42:43]
	v_cndmask_b32_e64 v26, v26, v112, s[42:43]
	v_cmp_neq_f32_e32 vcc, v31, v26
	v_cmp_class_f32_e64 s[44:45], v31, s13
	s_or_b64 vcc, vcc, s[44:45]
	s_and_saveexec_b64 s[44:45], vcc
	s_cbranch_execz .LBB444_89
; %bb.88:
	v_sub_f32_e32 v30, v31, v26
	s_mov_b32 s13, 0x3fb8aa3b
	v_mul_f32_e32 v31, 0x3fb8aa3b, v30
	v_fma_f32 v32, v30, s13, -v31
	v_rndne_f32_e32 v33, v31
	v_fmac_f32_e32 v32, 0x32a5705f, v30
	v_sub_f32_e32 v31, v31, v33
	v_add_f32_e32 v31, v31, v32
	v_exp_f32_e32 v31, v31
	v_cvt_i32_f32_e32 v32, v33
	s_mov_b32 s13, 0xc2ce8ed0
	v_cmp_ngt_f32_e32 vcc, s13, v30
	s_mov_b32 s13, 0x42b17218
	v_ldexp_f32 v31, v31, v32
	v_cndmask_b32_e32 v31, 0, v31, vcc
	v_mov_b32_e32 v32, 0x7f800000
	v_cmp_nlt_f32_e32 vcc, s13, v30
	v_cndmask_b32_e32 v113, v32, v31, vcc
	v_add_f32_e32 v32, 1.0, v113
	v_add_f32_e32 v30, -1.0, v32
	v_sub_f32_e32 v31, v30, v32
	v_add_f32_e32 v31, 1.0, v31
	v_sub_f32_e32 v30, v113, v30
	v_add_f32_e32 v33, v30, v31
	v_frexp_mant_f32_e32 v34, v32
	s_mov_b32 s13, 0x3f2aaaab
	v_cvt_f64_f32_e32 v[30:31], v32
	v_frexp_exp_i32_f64_e32 v30, v[30:31]
	v_cmp_gt_f32_e32 vcc, s13, v34
	v_subbrev_co_u32_e32 v119, vcc, 0, v30, vcc
	v_sub_u32_e32 v30, 0, v119
	v_ldexp_f32 v31, v32, v30
	v_add_f32_e32 v32, -1.0, v31
	v_add_f32_e32 v34, 1.0, v31
	v_ldexp_f32 v30, v33, v30
	v_add_f32_e32 v33, 1.0, v32
	v_add_f32_e32 v35, -1.0, v34
	v_sub_f32_e32 v33, v31, v33
	v_sub_f32_e32 v31, v31, v35
	v_add_f32_e32 v33, v30, v33
	v_add_f32_e32 v30, v30, v31
	;; [unrolled: 1-line block ×3, first 2 shown]
	v_rcp_f32_e32 v130, v128
	v_sub_f32_e32 v31, v34, v128
	v_add_f32_e32 v129, v30, v31
	v_add_f32_e32 v31, v32, v33
	v_mul_f32_e32 v132, v31, v130
	v_sub_f32_e32 v30, v32, v31
	v_mul_f32_e32 v32, v128, v132
	v_fma_f32 v34, v132, v128, -v32
	v_fmac_f32_e32 v34, v132, v129
	v_add_f32_e32 v131, v33, v30
	v_add_f32_e32 v30, v32, v34
	v_sub_f32_e32 v33, v31, v30
	v_pk_add_f32 v[116:117], v[30:31], v[32:33] neg_lo:[0,1] neg_hi:[0,1]
	v_mov_b32_e32 v35, v30
	v_pk_add_f32 v[30:31], v[116:117], v[34:35] neg_lo:[0,1] neg_hi:[0,1]
	v_add_f32_e32 v31, v131, v31
	v_add_f32_e32 v30, v30, v31
	;; [unrolled: 1-line block ×3, first 2 shown]
	v_mul_f32_e32 v131, v130, v31
	v_mul_f32_e32 v32, v128, v131
	v_fma_f32 v34, v131, v128, -v32
	v_fmac_f32_e32 v34, v131, v129
	v_sub_f32_e32 v33, v33, v31
	v_add_f32_e32 v128, v30, v33
	v_add_f32_e32 v30, v32, v34
	v_sub_f32_e32 v33, v31, v30
	v_pk_add_f32 v[116:117], v[30:31], v[32:33] neg_lo:[0,1] neg_hi:[0,1]
	v_mov_b32_e32 v35, v30
	v_pk_add_f32 v[30:31], v[116:117], v[34:35] neg_lo:[0,1] neg_hi:[0,1]
	v_add_f32_e32 v31, v128, v31
	v_add_f32_e32 v30, v30, v31
	;; [unrolled: 1-line block ×4, first 2 shown]
	v_sub_f32_e32 v31, v33, v132
	v_mul_f32_e32 v30, v130, v30
	v_sub_f32_e32 v31, v131, v31
	v_add_f32_e32 v30, v31, v30
	v_add_f32_e32 v34, v33, v30
	v_mul_f32_e32 v116, v34, v34
	v_mov_b32_e32 v32, 0x3ecc95a3
	v_fmac_f32_e32 v32, 0x3e9b6dac, v116
	v_mov_b32_e32 v31, 0x3f2aaada
	v_fmac_f32_e32 v31, v116, v32
	v_cvt_f32_i32_e32 v32, v119
	v_sub_f32_e32 v33, v34, v33
	v_sub_f32_e32 v30, v30, v33
	v_ldexp_f32 v117, v30, 1
	v_mul_f32_e32 v33, v34, v116
	v_mov_b32_e32 v30, 0x3f317218
	s_mov_b32 s13, 0x3f317218
	v_pk_mul_f32 v[30:31], v[32:33], v[30:31]
	v_ldexp_f32 v35, v34, 1
	v_fma_f32 v34, v32, s13, -v30
	v_fmac_f32_e32 v34, 0xb102e308, v32
	v_pk_add_f32 v[32:33], v[30:31], v[34:35]
	v_sub_f32_e32 v35, v33, v35
	v_sub_f32_e32 v35, v31, v35
	v_add_f32_e32 v117, v117, v35
	v_mov_b32_e32 v116, v30
	v_pk_add_f32 v[30:31], v[32:33], v[30:31] neg_lo:[0,1] neg_hi:[0,1]
	v_pk_add_f32 v[128:129], v[32:33], v[116:117]
	v_mov_b32_e32 v31, v129
	v_mov_b32_e32 v35, v32
	v_pk_add_f32 v[130:131], v[34:35], v[30:31] neg_lo:[0,1] neg_hi:[0,1]
	v_pk_add_f32 v[30:31], v[34:35], v[30:31]
	v_mov_b32_e32 v34, v31
	v_pk_add_f32 v[132:133], v[34:35], v[32:33] neg_lo:[0,1] neg_hi:[0,1]
	v_mov_b32_e32 v35, v132
	v_pk_add_f32 v[144:145], v[128:129], v[34:35] neg_lo:[0,1] neg_hi:[0,1]
	v_mov_b32_e32 v30, v129
	v_mov_b32_e32 v128, v33
	;; [unrolled: 1-line block ×4, first 2 shown]
	v_pk_add_f32 v[30:31], v[30:31], v[128:129] neg_lo:[0,1] neg_hi:[0,1]
	v_mov_b32_e32 v116, v117
	v_mov_b32_e32 v117, v32
	v_pk_add_f32 v[30:31], v[116:117], v[30:31] neg_lo:[0,1] neg_hi:[0,1]
	v_mov_b32_e32 v144, v130
	v_pk_add_f32 v[32:33], v[144:145], v[30:31]
	v_mov_b32_e32 v116, v33
	v_pk_add_f32 v[116:117], v[32:33], v[116:117]
	v_pk_add_f32 v[34:35], v[34:35], v[116:117]
	v_mov_b32_e32 v33, v34
	v_pk_add_f32 v[128:129], v[32:33], v[130:131] neg_lo:[0,1] neg_hi:[0,1]
	v_mov_b32_e32 v31, v116
	v_sub_f32_e32 v32, v32, v128
	v_pk_add_f32 v[30:31], v[30:31], v[128:129] neg_lo:[0,1] neg_hi:[0,1]
	v_sub_f32_e32 v32, v130, v32
	s_mov_b32 s47, 0x7f800000
	v_add_f32_e32 v30, v30, v32
	s_mov_b32 s13, 0x33800000
	v_add_f32_e32 v30, v30, v31
	v_cmp_eq_f32_e32 vcc, s47, v113
	v_cmp_lt_f32_e64 s[48:49], |v113|, s13
	v_add_f32_e32 v30, v34, v30
	s_or_b64 vcc, vcc, s[48:49]
	v_cndmask_b32_e32 v30, v30, v113, vcc
	v_add_f32_e32 v30, v26, v30
.LBB444_89:
	s_or_b64 exec, exec, s[44:45]
	v_bfe_u32 v26, v30, 16, 1
	v_add3_u32 v26, v30, v26, s46
	v_and_b32_e32 v26, 0xffff0000, v26
	v_cmp_o_f32_e32 vcc, v30, v30
	v_cndmask_b32_e32 v30, v27, v26, vcc
	v_mov_b32_e32 v26, 16
	v_lshlrev_b32_sdwa v113, v26, v13 dst_sel:DWORD dst_unused:UNUSED_PAD src0_sel:DWORD src1_sel:WORD_1
	v_max_f32_e32 v27, v30, v30
	v_max_f32_e32 v119, v113, v113
	v_min_f32_e32 v31, v27, v119
	v_cmp_u_f32_e32 vcc, v30, v30
	v_max_f32_e32 v27, v27, v119
	v_cndmask_b32_e32 v31, v31, v30, vcc
	v_cmp_u_f32_e64 s[44:45], v113, v113
	v_cndmask_b32_e32 v27, v27, v30, vcc
	v_cndmask_b32_e64 v31, v31, v113, s[44:45]
	v_cndmask_b32_e64 v27, v27, v113, s[44:45]
	s_movk_i32 s13, 0x1f8
	v_cmp_neq_f32_e32 vcc, v31, v27
	v_cmp_class_f32_e64 s[46:47], v31, s13
	s_or_b64 vcc, vcc, s[46:47]
	s_and_saveexec_b64 s[46:47], vcc
	s_cbranch_execz .LBB444_91
; %bb.90:
	v_sub_f32_e32 v30, v31, v27
	s_mov_b32 s48, 0x3fb8aa3b
	v_mul_f32_e32 v31, 0x3fb8aa3b, v30
	v_fma_f32 v32, v30, s48, -v31
	v_rndne_f32_e32 v33, v31
	v_fmac_f32_e32 v32, 0x32a5705f, v30
	v_sub_f32_e32 v31, v31, v33
	v_add_f32_e32 v31, v31, v32
	v_exp_f32_e32 v31, v31
	v_cvt_i32_f32_e32 v32, v33
	s_mov_b32 s48, 0xc2ce8ed0
	v_cmp_ngt_f32_e32 vcc, s48, v30
	s_mov_b32 s48, 0x42b17218
	v_ldexp_f32 v31, v31, v32
	v_cndmask_b32_e32 v31, 0, v31, vcc
	v_mov_b32_e32 v32, 0x7f800000
	v_cmp_nlt_f32_e32 vcc, s48, v30
	v_cndmask_b32_e32 v146, v32, v31, vcc
	v_add_f32_e32 v32, 1.0, v146
	v_add_f32_e32 v30, -1.0, v32
	v_sub_f32_e32 v31, v30, v32
	v_add_f32_e32 v31, 1.0, v31
	v_sub_f32_e32 v30, v146, v30
	v_add_f32_e32 v33, v30, v31
	v_frexp_mant_f32_e32 v34, v32
	s_mov_b32 s48, 0x3f2aaaab
	v_cvt_f64_f32_e32 v[30:31], v32
	v_frexp_exp_i32_f64_e32 v30, v[30:31]
	v_cmp_gt_f32_e32 vcc, s48, v34
	v_subbrev_co_u32_e32 v128, vcc, 0, v30, vcc
	v_sub_u32_e32 v30, 0, v128
	v_ldexp_f32 v31, v32, v30
	v_add_f32_e32 v32, -1.0, v31
	v_add_f32_e32 v34, 1.0, v31
	v_ldexp_f32 v30, v33, v30
	v_add_f32_e32 v33, 1.0, v32
	v_add_f32_e32 v35, -1.0, v34
	v_sub_f32_e32 v33, v31, v33
	v_sub_f32_e32 v31, v31, v35
	v_add_f32_e32 v33, v30, v33
	v_add_f32_e32 v30, v30, v31
	;; [unrolled: 1-line block ×3, first 2 shown]
	v_rcp_f32_e32 v131, v129
	v_sub_f32_e32 v31, v34, v129
	v_add_f32_e32 v130, v30, v31
	v_add_f32_e32 v31, v32, v33
	v_mul_f32_e32 v133, v31, v131
	v_sub_f32_e32 v30, v32, v31
	v_mul_f32_e32 v32, v129, v133
	v_fma_f32 v34, v133, v129, -v32
	v_fmac_f32_e32 v34, v133, v130
	v_add_f32_e32 v132, v33, v30
	v_add_f32_e32 v30, v32, v34
	v_sub_f32_e32 v33, v31, v30
	v_pk_add_f32 v[116:117], v[30:31], v[32:33] neg_lo:[0,1] neg_hi:[0,1]
	v_mov_b32_e32 v35, v30
	v_pk_add_f32 v[30:31], v[116:117], v[34:35] neg_lo:[0,1] neg_hi:[0,1]
	v_add_f32_e32 v31, v132, v31
	v_add_f32_e32 v30, v30, v31
	;; [unrolled: 1-line block ×3, first 2 shown]
	v_mul_f32_e32 v132, v131, v31
	v_mul_f32_e32 v32, v129, v132
	v_fma_f32 v34, v132, v129, -v32
	v_fmac_f32_e32 v34, v132, v130
	v_sub_f32_e32 v33, v33, v31
	v_add_f32_e32 v129, v30, v33
	v_add_f32_e32 v30, v32, v34
	v_sub_f32_e32 v33, v31, v30
	v_pk_add_f32 v[116:117], v[30:31], v[32:33] neg_lo:[0,1] neg_hi:[0,1]
	v_mov_b32_e32 v35, v30
	v_pk_add_f32 v[30:31], v[116:117], v[34:35] neg_lo:[0,1] neg_hi:[0,1]
	v_add_f32_e32 v31, v129, v31
	v_add_f32_e32 v30, v30, v31
	;; [unrolled: 1-line block ×4, first 2 shown]
	v_sub_f32_e32 v31, v33, v133
	v_mul_f32_e32 v30, v131, v30
	v_sub_f32_e32 v31, v132, v31
	v_add_f32_e32 v30, v31, v30
	v_add_f32_e32 v34, v33, v30
	v_mul_f32_e32 v116, v34, v34
	v_mov_b32_e32 v32, 0x3ecc95a3
	v_fmac_f32_e32 v32, 0x3e9b6dac, v116
	v_mov_b32_e32 v31, 0x3f2aaada
	v_fmac_f32_e32 v31, v116, v32
	v_cvt_f32_i32_e32 v32, v128
	v_sub_f32_e32 v33, v34, v33
	v_sub_f32_e32 v30, v30, v33
	v_ldexp_f32 v117, v30, 1
	v_mul_f32_e32 v33, v34, v116
	v_mov_b32_e32 v30, 0x3f317218
	s_mov_b32 s48, 0x3f317218
	v_pk_mul_f32 v[30:31], v[32:33], v[30:31]
	v_ldexp_f32 v35, v34, 1
	v_fma_f32 v34, v32, s48, -v30
	v_fmac_f32_e32 v34, 0xb102e308, v32
	v_pk_add_f32 v[32:33], v[30:31], v[34:35]
	v_sub_f32_e32 v35, v33, v35
	v_sub_f32_e32 v35, v31, v35
	v_add_f32_e32 v117, v117, v35
	v_mov_b32_e32 v116, v30
	v_pk_add_f32 v[30:31], v[32:33], v[30:31] neg_lo:[0,1] neg_hi:[0,1]
	v_pk_add_f32 v[128:129], v[32:33], v[116:117]
	v_mov_b32_e32 v31, v129
	v_mov_b32_e32 v35, v32
	v_pk_add_f32 v[130:131], v[34:35], v[30:31] neg_lo:[0,1] neg_hi:[0,1]
	v_pk_add_f32 v[30:31], v[34:35], v[30:31]
	v_mov_b32_e32 v34, v31
	v_pk_add_f32 v[132:133], v[34:35], v[32:33] neg_lo:[0,1] neg_hi:[0,1]
	v_mov_b32_e32 v35, v132
	v_pk_add_f32 v[144:145], v[128:129], v[34:35] neg_lo:[0,1] neg_hi:[0,1]
	v_mov_b32_e32 v30, v129
	v_mov_b32_e32 v128, v33
	v_mov_b32_e32 v129, v132
	v_mov_b32_e32 v131, v31
	v_pk_add_f32 v[30:31], v[30:31], v[128:129] neg_lo:[0,1] neg_hi:[0,1]
	v_mov_b32_e32 v116, v117
	v_mov_b32_e32 v117, v32
	v_pk_add_f32 v[30:31], v[116:117], v[30:31] neg_lo:[0,1] neg_hi:[0,1]
	v_mov_b32_e32 v144, v130
	v_pk_add_f32 v[32:33], v[144:145], v[30:31]
	v_mov_b32_e32 v116, v33
	v_pk_add_f32 v[116:117], v[32:33], v[116:117]
	v_pk_add_f32 v[34:35], v[34:35], v[116:117]
	v_mov_b32_e32 v33, v34
	v_pk_add_f32 v[128:129], v[32:33], v[130:131] neg_lo:[0,1] neg_hi:[0,1]
	v_mov_b32_e32 v31, v116
	v_sub_f32_e32 v32, v32, v128
	v_pk_add_f32 v[30:31], v[30:31], v[128:129] neg_lo:[0,1] neg_hi:[0,1]
	v_sub_f32_e32 v32, v130, v32
	s_mov_b32 s49, 0x7f800000
	v_add_f32_e32 v30, v30, v32
	s_mov_b32 s48, 0x33800000
	v_add_f32_e32 v30, v30, v31
	v_cmp_eq_f32_e32 vcc, s49, v146
	v_cmp_lt_f32_e64 s[48:49], |v146|, s48
	v_add_f32_e32 v30, v34, v30
	s_or_b64 vcc, vcc, s[48:49]
	v_cndmask_b32_e32 v30, v30, v146, vcc
	v_add_f32_e32 v30, v27, v30
.LBB444_91:
	s_or_b64 exec, exec, s[46:47]
	v_bfe_u32 v27, v30, 16, 1
	s_movk_i32 s50, 0x7fff
	v_add3_u32 v27, v30, v27, s50
	v_and_b32_e32 v31, 0xffff0000, v27
	v_mov_b32_e32 v27, 0x7fc00000
	v_cmp_o_f32_e32 vcc, v30, v30
	v_cndmask_b32_e32 v30, v27, v31, vcc
	v_lshlrev_b32_sdwa v116, v26, v14 dst_sel:DWORD dst_unused:UNUSED_PAD src0_sel:DWORD src1_sel:WORD_0
	v_max_f32_e32 v26, v30, v30
	v_max_f32_e32 v130, v116, v116
	v_min_f32_e32 v31, v26, v130
	v_cmp_u_f32_e32 vcc, v30, v30
	v_max_f32_e32 v26, v26, v130
	v_cndmask_b32_e32 v31, v31, v30, vcc
	v_cmp_u_f32_e64 s[46:47], v116, v116
	v_cndmask_b32_e32 v26, v26, v30, vcc
	v_cndmask_b32_e64 v31, v31, v116, s[46:47]
	v_cndmask_b32_e64 v26, v26, v116, s[46:47]
	v_cmp_neq_f32_e32 vcc, v31, v26
	v_cmp_class_f32_e64 s[48:49], v31, s13
	s_or_b64 vcc, vcc, s[48:49]
	s_and_saveexec_b64 s[48:49], vcc
	s_cbranch_execz .LBB444_93
; %bb.92:
	v_sub_f32_e32 v30, v31, v26
	s_mov_b32 s13, 0x3fb8aa3b
	v_mul_f32_e32 v31, 0x3fb8aa3b, v30
	v_fma_f32 v32, v30, s13, -v31
	v_rndne_f32_e32 v33, v31
	v_fmac_f32_e32 v32, 0x32a5705f, v30
	v_sub_f32_e32 v31, v31, v33
	v_add_f32_e32 v31, v31, v32
	v_exp_f32_e32 v31, v31
	v_cvt_i32_f32_e32 v32, v33
	s_mov_b32 s13, 0xc2ce8ed0
	v_cmp_ngt_f32_e32 vcc, s13, v30
	s_mov_b32 s13, 0x42b17218
	v_ldexp_f32 v31, v31, v32
	v_cndmask_b32_e32 v31, 0, v31, vcc
	v_mov_b32_e32 v32, 0x7f800000
	v_cmp_nlt_f32_e32 vcc, s13, v30
	v_cndmask_b32_e32 v117, v32, v31, vcc
	v_add_f32_e32 v32, 1.0, v117
	v_add_f32_e32 v30, -1.0, v32
	v_sub_f32_e32 v31, v30, v32
	v_add_f32_e32 v31, 1.0, v31
	v_sub_f32_e32 v30, v117, v30
	v_add_f32_e32 v33, v30, v31
	v_frexp_mant_f32_e32 v34, v32
	s_mov_b32 s13, 0x3f2aaaab
	v_cvt_f64_f32_e32 v[30:31], v32
	v_frexp_exp_i32_f64_e32 v30, v[30:31]
	v_cmp_gt_f32_e32 vcc, s13, v34
	v_subbrev_co_u32_e32 v131, vcc, 0, v30, vcc
	v_sub_u32_e32 v30, 0, v131
	v_ldexp_f32 v31, v32, v30
	v_add_f32_e32 v32, -1.0, v31
	v_add_f32_e32 v34, 1.0, v31
	v_ldexp_f32 v30, v33, v30
	v_add_f32_e32 v33, 1.0, v32
	v_add_f32_e32 v35, -1.0, v34
	v_sub_f32_e32 v33, v31, v33
	v_sub_f32_e32 v31, v31, v35
	v_add_f32_e32 v33, v30, v33
	v_add_f32_e32 v30, v30, v31
	;; [unrolled: 1-line block ×3, first 2 shown]
	v_rcp_f32_e32 v144, v132
	v_sub_f32_e32 v31, v34, v132
	v_add_f32_e32 v133, v30, v31
	v_add_f32_e32 v31, v32, v33
	v_mul_f32_e32 v146, v31, v144
	v_sub_f32_e32 v30, v32, v31
	v_mul_f32_e32 v32, v132, v146
	v_fma_f32 v34, v146, v132, -v32
	v_fmac_f32_e32 v34, v146, v133
	v_add_f32_e32 v145, v33, v30
	v_add_f32_e32 v30, v32, v34
	v_sub_f32_e32 v33, v31, v30
	v_pk_add_f32 v[128:129], v[30:31], v[32:33] neg_lo:[0,1] neg_hi:[0,1]
	v_mov_b32_e32 v35, v30
	v_pk_add_f32 v[30:31], v[128:129], v[34:35] neg_lo:[0,1] neg_hi:[0,1]
	v_add_f32_e32 v31, v145, v31
	v_add_f32_e32 v30, v30, v31
	;; [unrolled: 1-line block ×3, first 2 shown]
	v_mul_f32_e32 v145, v144, v31
	v_mul_f32_e32 v32, v132, v145
	v_fma_f32 v34, v145, v132, -v32
	v_fmac_f32_e32 v34, v145, v133
	v_sub_f32_e32 v33, v33, v31
	v_add_f32_e32 v132, v30, v33
	v_add_f32_e32 v30, v32, v34
	v_sub_f32_e32 v33, v31, v30
	v_pk_add_f32 v[128:129], v[30:31], v[32:33] neg_lo:[0,1] neg_hi:[0,1]
	v_mov_b32_e32 v35, v30
	v_pk_add_f32 v[30:31], v[128:129], v[34:35] neg_lo:[0,1] neg_hi:[0,1]
	v_add_f32_e32 v31, v132, v31
	v_add_f32_e32 v30, v30, v31
	;; [unrolled: 1-line block ×4, first 2 shown]
	v_sub_f32_e32 v31, v33, v146
	v_mul_f32_e32 v30, v144, v30
	v_sub_f32_e32 v31, v145, v31
	v_add_f32_e32 v30, v31, v30
	v_add_f32_e32 v34, v33, v30
	v_mul_f32_e32 v128, v34, v34
	v_mov_b32_e32 v32, 0x3ecc95a3
	v_fmac_f32_e32 v32, 0x3e9b6dac, v128
	v_mov_b32_e32 v31, 0x3f2aaada
	v_fmac_f32_e32 v31, v128, v32
	v_cvt_f32_i32_e32 v32, v131
	v_sub_f32_e32 v33, v34, v33
	v_sub_f32_e32 v30, v30, v33
	v_ldexp_f32 v129, v30, 1
	v_mul_f32_e32 v33, v34, v128
	v_mov_b32_e32 v30, 0x3f317218
	s_mov_b32 s13, 0x3f317218
	v_pk_mul_f32 v[30:31], v[32:33], v[30:31]
	v_ldexp_f32 v35, v34, 1
	v_fma_f32 v34, v32, s13, -v30
	v_fmac_f32_e32 v34, 0xb102e308, v32
	v_pk_add_f32 v[32:33], v[30:31], v[34:35]
	v_sub_f32_e32 v35, v33, v35
	v_sub_f32_e32 v35, v31, v35
	v_add_f32_e32 v129, v129, v35
	v_mov_b32_e32 v128, v30
	v_pk_add_f32 v[30:31], v[32:33], v[30:31] neg_lo:[0,1] neg_hi:[0,1]
	v_pk_add_f32 v[132:133], v[32:33], v[128:129]
	v_mov_b32_e32 v31, v133
	v_mov_b32_e32 v35, v32
	v_pk_add_f32 v[144:145], v[34:35], v[30:31] neg_lo:[0,1] neg_hi:[0,1]
	v_pk_add_f32 v[30:31], v[34:35], v[30:31]
	v_mov_b32_e32 v34, v31
	v_pk_add_f32 v[146:147], v[34:35], v[32:33] neg_lo:[0,1] neg_hi:[0,1]
	v_mov_b32_e32 v35, v146
	v_pk_add_f32 v[148:149], v[132:133], v[34:35] neg_lo:[0,1] neg_hi:[0,1]
	v_mov_b32_e32 v30, v133
	v_mov_b32_e32 v132, v33
	v_mov_b32_e32 v133, v146
	v_mov_b32_e32 v145, v31
	v_pk_add_f32 v[30:31], v[30:31], v[132:133] neg_lo:[0,1] neg_hi:[0,1]
	v_mov_b32_e32 v128, v129
	v_mov_b32_e32 v129, v32
	v_pk_add_f32 v[30:31], v[128:129], v[30:31] neg_lo:[0,1] neg_hi:[0,1]
	v_mov_b32_e32 v148, v144
	v_pk_add_f32 v[32:33], v[148:149], v[30:31]
	v_mov_b32_e32 v128, v33
	v_pk_add_f32 v[128:129], v[32:33], v[128:129]
	v_pk_add_f32 v[34:35], v[34:35], v[128:129]
	v_mov_b32_e32 v33, v34
	v_pk_add_f32 v[132:133], v[32:33], v[144:145] neg_lo:[0,1] neg_hi:[0,1]
	v_mov_b32_e32 v31, v128
	v_sub_f32_e32 v32, v32, v132
	v_pk_add_f32 v[30:31], v[30:31], v[132:133] neg_lo:[0,1] neg_hi:[0,1]
	v_sub_f32_e32 v32, v144, v32
	s_mov_b32 s51, 0x7f800000
	v_add_f32_e32 v30, v30, v32
	s_mov_b32 s13, 0x33800000
	v_add_f32_e32 v30, v30, v31
	v_cmp_eq_f32_e32 vcc, s51, v117
	v_cmp_lt_f32_e64 s[52:53], |v117|, s13
	v_add_f32_e32 v30, v34, v30
	s_or_b64 vcc, vcc, s[52:53]
	v_cndmask_b32_e32 v30, v30, v117, vcc
	v_add_f32_e32 v30, v26, v30
.LBB444_93:
	s_or_b64 exec, exec, s[48:49]
	v_bfe_u32 v26, v30, 16, 1
	v_add3_u32 v26, v30, v26, s50
	v_and_b32_e32 v26, 0xffff0000, v26
	v_cmp_o_f32_e32 vcc, v30, v30
	v_cndmask_b32_e32 v30, v27, v26, vcc
	v_mov_b32_e32 v26, 16
	v_lshlrev_b32_sdwa v117, v26, v14 dst_sel:DWORD dst_unused:UNUSED_PAD src0_sel:DWORD src1_sel:WORD_1
	v_max_f32_e32 v27, v30, v30
	v_max_f32_e32 v131, v117, v117
	v_min_f32_e32 v31, v27, v131
	v_cmp_u_f32_e32 vcc, v30, v30
	v_max_f32_e32 v27, v27, v131
	v_cndmask_b32_e32 v31, v31, v30, vcc
	v_cmp_u_f32_e64 s[48:49], v117, v117
	v_cndmask_b32_e32 v27, v27, v30, vcc
	v_cndmask_b32_e64 v31, v31, v117, s[48:49]
	v_cndmask_b32_e64 v27, v27, v117, s[48:49]
	s_movk_i32 s13, 0x1f8
	v_cmp_neq_f32_e32 vcc, v31, v27
	v_cmp_class_f32_e64 s[50:51], v31, s13
	s_or_b64 vcc, vcc, s[50:51]
	s_and_saveexec_b64 s[50:51], vcc
	s_cbranch_execz .LBB444_95
; %bb.94:
	v_sub_f32_e32 v30, v31, v27
	s_mov_b32 s52, 0x3fb8aa3b
	v_mul_f32_e32 v31, 0x3fb8aa3b, v30
	v_fma_f32 v32, v30, s52, -v31
	v_rndne_f32_e32 v33, v31
	v_fmac_f32_e32 v32, 0x32a5705f, v30
	v_sub_f32_e32 v31, v31, v33
	v_add_f32_e32 v31, v31, v32
	v_exp_f32_e32 v31, v31
	v_cvt_i32_f32_e32 v32, v33
	s_mov_b32 s52, 0xc2ce8ed0
	v_cmp_ngt_f32_e32 vcc, s52, v30
	s_mov_b32 s52, 0x42b17218
	v_ldexp_f32 v31, v31, v32
	v_cndmask_b32_e32 v31, 0, v31, vcc
	v_mov_b32_e32 v32, 0x7f800000
	v_cmp_nlt_f32_e32 vcc, s52, v30
	v_cndmask_b32_e32 v150, v32, v31, vcc
	v_add_f32_e32 v32, 1.0, v150
	v_add_f32_e32 v30, -1.0, v32
	v_sub_f32_e32 v31, v30, v32
	v_add_f32_e32 v31, 1.0, v31
	v_sub_f32_e32 v30, v150, v30
	v_add_f32_e32 v33, v30, v31
	v_frexp_mant_f32_e32 v34, v32
	s_mov_b32 s52, 0x3f2aaaab
	v_cvt_f64_f32_e32 v[30:31], v32
	v_frexp_exp_i32_f64_e32 v30, v[30:31]
	v_cmp_gt_f32_e32 vcc, s52, v34
	v_subbrev_co_u32_e32 v132, vcc, 0, v30, vcc
	v_sub_u32_e32 v30, 0, v132
	v_ldexp_f32 v31, v32, v30
	v_add_f32_e32 v32, -1.0, v31
	v_add_f32_e32 v34, 1.0, v31
	v_ldexp_f32 v30, v33, v30
	v_add_f32_e32 v33, 1.0, v32
	v_add_f32_e32 v35, -1.0, v34
	v_sub_f32_e32 v33, v31, v33
	v_sub_f32_e32 v31, v31, v35
	v_add_f32_e32 v33, v30, v33
	v_add_f32_e32 v30, v30, v31
	;; [unrolled: 1-line block ×3, first 2 shown]
	v_rcp_f32_e32 v145, v133
	v_sub_f32_e32 v31, v34, v133
	v_add_f32_e32 v144, v30, v31
	v_add_f32_e32 v31, v32, v33
	v_mul_f32_e32 v147, v31, v145
	v_sub_f32_e32 v30, v32, v31
	v_mul_f32_e32 v32, v133, v147
	v_fma_f32 v34, v147, v133, -v32
	v_fmac_f32_e32 v34, v147, v144
	v_add_f32_e32 v146, v33, v30
	v_add_f32_e32 v30, v32, v34
	v_sub_f32_e32 v33, v31, v30
	v_pk_add_f32 v[128:129], v[30:31], v[32:33] neg_lo:[0,1] neg_hi:[0,1]
	v_mov_b32_e32 v35, v30
	v_pk_add_f32 v[30:31], v[128:129], v[34:35] neg_lo:[0,1] neg_hi:[0,1]
	v_add_f32_e32 v31, v146, v31
	v_add_f32_e32 v30, v30, v31
	;; [unrolled: 1-line block ×3, first 2 shown]
	v_mul_f32_e32 v146, v145, v31
	v_mul_f32_e32 v32, v133, v146
	v_fma_f32 v34, v146, v133, -v32
	v_fmac_f32_e32 v34, v146, v144
	v_sub_f32_e32 v33, v33, v31
	v_add_f32_e32 v133, v30, v33
	v_add_f32_e32 v30, v32, v34
	v_sub_f32_e32 v33, v31, v30
	v_pk_add_f32 v[128:129], v[30:31], v[32:33] neg_lo:[0,1] neg_hi:[0,1]
	v_mov_b32_e32 v35, v30
	v_pk_add_f32 v[30:31], v[128:129], v[34:35] neg_lo:[0,1] neg_hi:[0,1]
	v_add_f32_e32 v31, v133, v31
	v_add_f32_e32 v30, v30, v31
	;; [unrolled: 1-line block ×4, first 2 shown]
	v_sub_f32_e32 v31, v33, v147
	v_mul_f32_e32 v30, v145, v30
	v_sub_f32_e32 v31, v146, v31
	v_add_f32_e32 v30, v31, v30
	v_add_f32_e32 v34, v33, v30
	v_mul_f32_e32 v128, v34, v34
	v_mov_b32_e32 v32, 0x3ecc95a3
	v_fmac_f32_e32 v32, 0x3e9b6dac, v128
	v_mov_b32_e32 v31, 0x3f2aaada
	v_fmac_f32_e32 v31, v128, v32
	v_cvt_f32_i32_e32 v32, v132
	v_sub_f32_e32 v33, v34, v33
	v_sub_f32_e32 v30, v30, v33
	v_ldexp_f32 v129, v30, 1
	v_mul_f32_e32 v33, v34, v128
	v_mov_b32_e32 v30, 0x3f317218
	s_mov_b32 s52, 0x3f317218
	v_pk_mul_f32 v[30:31], v[32:33], v[30:31]
	v_ldexp_f32 v35, v34, 1
	v_fma_f32 v34, v32, s52, -v30
	v_fmac_f32_e32 v34, 0xb102e308, v32
	v_pk_add_f32 v[32:33], v[30:31], v[34:35]
	v_sub_f32_e32 v35, v33, v35
	v_sub_f32_e32 v35, v31, v35
	v_add_f32_e32 v129, v129, v35
	v_mov_b32_e32 v128, v30
	v_pk_add_f32 v[30:31], v[32:33], v[30:31] neg_lo:[0,1] neg_hi:[0,1]
	v_pk_add_f32 v[132:133], v[32:33], v[128:129]
	v_mov_b32_e32 v31, v133
	v_mov_b32_e32 v35, v32
	v_pk_add_f32 v[144:145], v[34:35], v[30:31] neg_lo:[0,1] neg_hi:[0,1]
	v_pk_add_f32 v[30:31], v[34:35], v[30:31]
	v_mov_b32_e32 v34, v31
	v_pk_add_f32 v[146:147], v[34:35], v[32:33] neg_lo:[0,1] neg_hi:[0,1]
	v_mov_b32_e32 v35, v146
	v_pk_add_f32 v[148:149], v[132:133], v[34:35] neg_lo:[0,1] neg_hi:[0,1]
	v_mov_b32_e32 v30, v133
	v_mov_b32_e32 v132, v33
	;; [unrolled: 1-line block ×4, first 2 shown]
	v_pk_add_f32 v[30:31], v[30:31], v[132:133] neg_lo:[0,1] neg_hi:[0,1]
	v_mov_b32_e32 v128, v129
	v_mov_b32_e32 v129, v32
	v_pk_add_f32 v[30:31], v[128:129], v[30:31] neg_lo:[0,1] neg_hi:[0,1]
	v_mov_b32_e32 v148, v144
	v_pk_add_f32 v[32:33], v[148:149], v[30:31]
	v_mov_b32_e32 v128, v33
	v_pk_add_f32 v[128:129], v[32:33], v[128:129]
	v_pk_add_f32 v[34:35], v[34:35], v[128:129]
	v_mov_b32_e32 v33, v34
	v_pk_add_f32 v[132:133], v[32:33], v[144:145] neg_lo:[0,1] neg_hi:[0,1]
	v_mov_b32_e32 v31, v128
	v_sub_f32_e32 v32, v32, v132
	v_pk_add_f32 v[30:31], v[30:31], v[132:133] neg_lo:[0,1] neg_hi:[0,1]
	v_sub_f32_e32 v32, v144, v32
	s_mov_b32 s53, 0x7f800000
	v_add_f32_e32 v30, v30, v32
	s_mov_b32 s52, 0x33800000
	v_add_f32_e32 v30, v30, v31
	v_cmp_eq_f32_e32 vcc, s53, v150
	v_cmp_lt_f32_e64 s[52:53], |v150|, s52
	v_add_f32_e32 v30, v34, v30
	s_or_b64 vcc, vcc, s[52:53]
	v_cndmask_b32_e32 v30, v30, v150, vcc
	v_add_f32_e32 v30, v27, v30
.LBB444_95:
	s_or_b64 exec, exec, s[50:51]
	v_bfe_u32 v27, v30, 16, 1
	s_movk_i32 s56, 0x7fff
	v_add3_u32 v27, v30, v27, s56
	v_and_b32_e32 v31, 0xffff0000, v27
	v_mov_b32_e32 v27, 0x7fc00000
	v_cmp_o_f32_e32 vcc, v30, v30
	v_cndmask_b32_e32 v30, v27, v31, vcc
	v_lshlrev_b32_sdwa v128, v26, v15 dst_sel:DWORD dst_unused:UNUSED_PAD src0_sel:DWORD src1_sel:WORD_0
	v_max_f32_e32 v26, v30, v30
	v_max_f32_e32 v132, v128, v128
	v_min_f32_e32 v31, v26, v132
	v_cmp_u_f32_e32 vcc, v30, v30
	v_max_f32_e32 v26, v26, v132
	v_cndmask_b32_e32 v31, v31, v30, vcc
	v_cmp_u_f32_e64 s[50:51], v128, v128
	v_cndmask_b32_e32 v26, v26, v30, vcc
	v_cndmask_b32_e64 v31, v31, v128, s[50:51]
	v_cndmask_b32_e64 v26, v26, v128, s[50:51]
	v_cmp_neq_f32_e32 vcc, v31, v26
	v_cmp_class_f32_e64 s[52:53], v31, s13
	s_or_b64 vcc, vcc, s[52:53]
	s_and_saveexec_b64 s[52:53], vcc
	s_cbranch_execz .LBB444_97
; %bb.96:
	v_sub_f32_e32 v30, v31, v26
	s_mov_b32 s13, 0x3fb8aa3b
	v_mul_f32_e32 v31, 0x3fb8aa3b, v30
	v_fma_f32 v32, v30, s13, -v31
	v_rndne_f32_e32 v33, v31
	v_fmac_f32_e32 v32, 0x32a5705f, v30
	v_sub_f32_e32 v31, v31, v33
	v_add_f32_e32 v31, v31, v32
	v_exp_f32_e32 v31, v31
	v_cvt_i32_f32_e32 v32, v33
	s_mov_b32 s13, 0xc2ce8ed0
	v_cmp_ngt_f32_e32 vcc, s13, v30
	s_mov_b32 s13, 0x42b17218
	v_ldexp_f32 v31, v31, v32
	v_cndmask_b32_e32 v31, 0, v31, vcc
	v_mov_b32_e32 v32, 0x7f800000
	v_cmp_nlt_f32_e32 vcc, s13, v30
	v_cndmask_b32_e32 v129, v32, v31, vcc
	v_add_f32_e32 v32, 1.0, v129
	v_add_f32_e32 v30, -1.0, v32
	v_sub_f32_e32 v31, v30, v32
	v_add_f32_e32 v31, 1.0, v31
	v_sub_f32_e32 v30, v129, v30
	v_add_f32_e32 v33, v30, v31
	v_frexp_mant_f32_e32 v34, v32
	s_mov_b32 s13, 0x3f2aaaab
	v_cvt_f64_f32_e32 v[30:31], v32
	v_frexp_exp_i32_f64_e32 v30, v[30:31]
	v_cmp_gt_f32_e32 vcc, s13, v34
	v_subbrev_co_u32_e32 v133, vcc, 0, v30, vcc
	v_sub_u32_e32 v30, 0, v133
	v_ldexp_f32 v31, v32, v30
	v_add_f32_e32 v32, -1.0, v31
	v_add_f32_e32 v34, 1.0, v31
	v_ldexp_f32 v30, v33, v30
	v_add_f32_e32 v33, 1.0, v32
	v_add_f32_e32 v35, -1.0, v34
	v_sub_f32_e32 v33, v31, v33
	v_sub_f32_e32 v31, v31, v35
	v_add_f32_e32 v33, v30, v33
	v_add_f32_e32 v30, v30, v31
	;; [unrolled: 1-line block ×3, first 2 shown]
	v_rcp_f32_e32 v148, v146
	v_sub_f32_e32 v31, v34, v146
	v_add_f32_e32 v147, v30, v31
	v_add_f32_e32 v31, v32, v33
	v_mul_f32_e32 v150, v31, v148
	v_sub_f32_e32 v30, v32, v31
	v_mul_f32_e32 v32, v146, v150
	v_fma_f32 v34, v150, v146, -v32
	v_fmac_f32_e32 v34, v150, v147
	v_add_f32_e32 v149, v33, v30
	v_add_f32_e32 v30, v32, v34
	v_sub_f32_e32 v33, v31, v30
	v_pk_add_f32 v[144:145], v[30:31], v[32:33] neg_lo:[0,1] neg_hi:[0,1]
	v_mov_b32_e32 v35, v30
	v_pk_add_f32 v[30:31], v[144:145], v[34:35] neg_lo:[0,1] neg_hi:[0,1]
	v_add_f32_e32 v31, v149, v31
	v_add_f32_e32 v30, v30, v31
	;; [unrolled: 1-line block ×3, first 2 shown]
	v_mul_f32_e32 v149, v148, v31
	v_mul_f32_e32 v32, v146, v149
	v_fma_f32 v34, v149, v146, -v32
	v_fmac_f32_e32 v34, v149, v147
	v_sub_f32_e32 v33, v33, v31
	v_add_f32_e32 v146, v30, v33
	v_add_f32_e32 v30, v32, v34
	v_sub_f32_e32 v33, v31, v30
	v_pk_add_f32 v[144:145], v[30:31], v[32:33] neg_lo:[0,1] neg_hi:[0,1]
	v_mov_b32_e32 v35, v30
	v_pk_add_f32 v[30:31], v[144:145], v[34:35] neg_lo:[0,1] neg_hi:[0,1]
	v_add_f32_e32 v31, v146, v31
	v_add_f32_e32 v30, v30, v31
	;; [unrolled: 1-line block ×4, first 2 shown]
	v_sub_f32_e32 v31, v33, v150
	v_mul_f32_e32 v30, v148, v30
	v_sub_f32_e32 v31, v149, v31
	v_add_f32_e32 v30, v31, v30
	v_add_f32_e32 v34, v33, v30
	v_mul_f32_e32 v144, v34, v34
	v_mov_b32_e32 v32, 0x3ecc95a3
	v_fmac_f32_e32 v32, 0x3e9b6dac, v144
	v_mov_b32_e32 v31, 0x3f2aaada
	v_fmac_f32_e32 v31, v144, v32
	v_cvt_f32_i32_e32 v32, v133
	v_sub_f32_e32 v33, v34, v33
	v_sub_f32_e32 v30, v30, v33
	v_ldexp_f32 v133, v30, 1
	v_mul_f32_e32 v33, v34, v144
	v_mov_b32_e32 v30, 0x3f317218
	s_mov_b32 s13, 0x3f317218
	v_pk_mul_f32 v[30:31], v[32:33], v[30:31]
	v_ldexp_f32 v35, v34, 1
	v_fma_f32 v34, v32, s13, -v30
	v_fmac_f32_e32 v34, 0xb102e308, v32
	v_pk_add_f32 v[32:33], v[30:31], v[34:35]
	v_sub_f32_e32 v35, v33, v35
	v_sub_f32_e32 v35, v31, v35
	v_add_f32_e32 v145, v133, v35
	v_mov_b32_e32 v144, v30
	v_pk_add_f32 v[30:31], v[32:33], v[30:31] neg_lo:[0,1] neg_hi:[0,1]
	v_pk_add_f32 v[146:147], v[32:33], v[144:145]
	v_mov_b32_e32 v31, v147
	v_mov_b32_e32 v35, v32
	v_pk_add_f32 v[148:149], v[34:35], v[30:31] neg_lo:[0,1] neg_hi:[0,1]
	v_pk_add_f32 v[30:31], v[34:35], v[30:31]
	v_mov_b32_e32 v34, v31
	v_pk_add_f32 v[150:151], v[34:35], v[32:33] neg_lo:[0,1] neg_hi:[0,1]
	v_mov_b32_e32 v35, v150
	v_pk_add_f32 v[160:161], v[146:147], v[34:35] neg_lo:[0,1] neg_hi:[0,1]
	v_mov_b32_e32 v30, v147
	v_mov_b32_e32 v146, v33
	;; [unrolled: 1-line block ×4, first 2 shown]
	v_pk_add_f32 v[30:31], v[30:31], v[146:147] neg_lo:[0,1] neg_hi:[0,1]
	v_mov_b32_e32 v144, v145
	v_mov_b32_e32 v145, v32
	v_pk_add_f32 v[30:31], v[144:145], v[30:31] neg_lo:[0,1] neg_hi:[0,1]
	v_mov_b32_e32 v160, v148
	v_pk_add_f32 v[32:33], v[160:161], v[30:31]
	v_mov_b32_e32 v144, v33
	v_pk_add_f32 v[144:145], v[32:33], v[144:145]
	v_pk_add_f32 v[34:35], v[34:35], v[144:145]
	v_mov_b32_e32 v33, v34
	v_pk_add_f32 v[146:147], v[32:33], v[148:149] neg_lo:[0,1] neg_hi:[0,1]
	v_mov_b32_e32 v31, v144
	v_sub_f32_e32 v32, v32, v146
	v_pk_add_f32 v[30:31], v[30:31], v[146:147] neg_lo:[0,1] neg_hi:[0,1]
	v_sub_f32_e32 v32, v148, v32
	s_mov_b32 s57, 0x7f800000
	v_add_f32_e32 v30, v30, v32
	s_mov_b32 s13, 0x33800000
	v_add_f32_e32 v30, v30, v31
	v_cmp_eq_f32_e32 vcc, s57, v129
	v_cmp_lt_f32_e64 s[60:61], |v129|, s13
	v_add_f32_e32 v30, v34, v30
	s_or_b64 vcc, vcc, s[60:61]
	v_cndmask_b32_e32 v30, v30, v129, vcc
	v_add_f32_e32 v30, v26, v30
.LBB444_97:
	s_or_b64 exec, exec, s[52:53]
	v_bfe_u32 v26, v30, 16, 1
	v_add3_u32 v26, v30, v26, s56
	v_and_b32_e32 v26, 0xffff0000, v26
	v_cmp_o_f32_e32 vcc, v30, v30
	v_cndmask_b32_e32 v27, v27, v26, vcc
	v_mov_b32_e32 v26, 16
	v_lshlrev_b32_sdwa v129, v26, v15 dst_sel:DWORD dst_unused:UNUSED_PAD src0_sel:DWORD src1_sel:WORD_1
	v_max_f32_e32 v26, v27, v27
	v_max_f32_e32 v133, v129, v129
	v_min_f32_e32 v30, v26, v133
	v_cmp_u_f32_e32 vcc, v27, v27
	v_max_f32_e32 v26, v26, v133
	v_cndmask_b32_e32 v30, v30, v27, vcc
	v_cmp_u_f32_e64 s[52:53], v129, v129
	v_cndmask_b32_e32 v26, v26, v27, vcc
	v_cndmask_b32_e64 v30, v30, v129, s[52:53]
	v_cndmask_b32_e64 v26, v26, v129, s[52:53]
	s_movk_i32 s13, 0x1f8
	v_cmp_neq_f32_e32 vcc, v30, v26
	v_cmp_class_f32_e64 s[56:57], v30, s13
	s_or_b64 vcc, vcc, s[56:57]
	s_and_saveexec_b64 s[56:57], vcc
	s_cbranch_execz .LBB444_99
; %bb.98:
	v_sub_f32_e32 v27, v30, v26
	s_mov_b32 s13, 0x3fb8aa3b
	v_mul_f32_e32 v30, 0x3fb8aa3b, v27
	v_fma_f32 v31, v27, s13, -v30
	v_rndne_f32_e32 v32, v30
	v_fmac_f32_e32 v31, 0x32a5705f, v27
	v_sub_f32_e32 v30, v30, v32
	v_add_f32_e32 v30, v30, v31
	v_exp_f32_e32 v30, v30
	v_cvt_i32_f32_e32 v31, v32
	s_mov_b32 s13, 0xc2ce8ed0
	v_cmp_ngt_f32_e32 vcc, s13, v27
	s_mov_b32 s13, 0x42b17218
	v_ldexp_f32 v30, v30, v31
	v_cndmask_b32_e32 v30, 0, v30, vcc
	v_mov_b32_e32 v31, 0x7f800000
	v_cmp_nlt_f32_e32 vcc, s13, v27
	v_cndmask_b32_e32 v162, v31, v30, vcc
	v_add_f32_e32 v27, 1.0, v162
	v_add_f32_e32 v30, -1.0, v27
	v_sub_f32_e32 v31, v30, v27
	v_add_f32_e32 v31, 1.0, v31
	v_sub_f32_e32 v30, v162, v30
	v_add_f32_e32 v32, v30, v31
	v_frexp_mant_f32_e32 v33, v27
	s_mov_b32 s13, 0x3f2aaaab
	v_cvt_f64_f32_e32 v[30:31], v27
	v_frexp_exp_i32_f64_e32 v30, v[30:31]
	v_cmp_gt_f32_e32 vcc, s13, v33
	v_subbrev_co_u32_e32 v146, vcc, 0, v30, vcc
	v_sub_u32_e32 v30, 0, v146
	v_ldexp_f32 v27, v27, v30
	v_ldexp_f32 v30, v32, v30
	v_add_f32_e32 v32, -1.0, v27
	v_add_f32_e32 v31, 1.0, v32
	v_sub_f32_e32 v31, v27, v31
	v_add_f32_e32 v33, v30, v31
	v_add_f32_e32 v31, 1.0, v27
	v_add_f32_e32 v34, -1.0, v31
	v_sub_f32_e32 v27, v27, v34
	v_add_f32_e32 v27, v30, v27
	v_add_f32_e32 v147, v31, v27
	v_rcp_f32_e32 v148, v147
	v_sub_f32_e32 v30, v31, v147
	v_add_f32_e32 v31, v32, v33
	v_add_f32_e32 v27, v27, v30
	v_mul_f32_e32 v150, v31, v148
	v_sub_f32_e32 v30, v32, v31
	v_mul_f32_e32 v32, v147, v150
	v_fma_f32 v34, v150, v147, -v32
	v_fmac_f32_e32 v34, v150, v27
	v_add_f32_e32 v149, v33, v30
	v_add_f32_e32 v30, v32, v34
	v_sub_f32_e32 v33, v31, v30
	v_pk_add_f32 v[144:145], v[30:31], v[32:33] neg_lo:[0,1] neg_hi:[0,1]
	v_mov_b32_e32 v35, v30
	v_pk_add_f32 v[30:31], v[144:145], v[34:35] neg_lo:[0,1] neg_hi:[0,1]
	v_add_f32_e32 v31, v149, v31
	v_add_f32_e32 v30, v30, v31
	;; [unrolled: 1-line block ×3, first 2 shown]
	v_mul_f32_e32 v149, v148, v31
	v_mul_f32_e32 v32, v147, v149
	v_fma_f32 v34, v149, v147, -v32
	v_fmac_f32_e32 v34, v149, v27
	v_sub_f32_e32 v27, v33, v31
	v_add_f32_e32 v27, v30, v27
	v_add_f32_e32 v30, v32, v34
	v_sub_f32_e32 v33, v31, v30
	v_pk_add_f32 v[144:145], v[30:31], v[32:33] neg_lo:[0,1] neg_hi:[0,1]
	v_mov_b32_e32 v35, v30
	v_pk_add_f32 v[30:31], v[144:145], v[34:35] neg_lo:[0,1] neg_hi:[0,1]
	v_add_f32_e32 v27, v27, v31
	v_add_f32_e32 v27, v30, v27
	;; [unrolled: 1-line block ×4, first 2 shown]
	v_sub_f32_e32 v31, v30, v150
	v_mul_f32_e32 v27, v148, v27
	v_sub_f32_e32 v31, v149, v31
	v_add_f32_e32 v27, v31, v27
	v_add_f32_e32 v33, v30, v27
	v_mul_f32_e32 v34, v33, v33
	v_mov_b32_e32 v32, 0x3ecc95a3
	v_fmac_f32_e32 v32, 0x3e9b6dac, v34
	v_mov_b32_e32 v31, 0x3f2aaada
	v_fmac_f32_e32 v31, v34, v32
	v_cvt_f32_i32_e32 v32, v146
	v_sub_f32_e32 v30, v33, v30
	v_sub_f32_e32 v27, v27, v30
	v_ldexp_f32 v35, v33, 1
	v_mul_f32_e32 v33, v33, v34
	v_mov_b32_e32 v30, 0x3f317218
	s_mov_b32 s13, 0x3f317218
	v_pk_mul_f32 v[30:31], v[32:33], v[30:31]
	v_fma_f32 v34, v32, s13, -v30
	v_fmac_f32_e32 v34, 0xb102e308, v32
	v_pk_add_f32 v[32:33], v[30:31], v[34:35]
	v_sub_f32_e32 v35, v33, v35
	v_ldexp_f32 v27, v27, 1
	v_sub_f32_e32 v35, v31, v35
	v_add_f32_e32 v145, v27, v35
	v_mov_b32_e32 v144, v30
	v_pk_add_f32 v[30:31], v[32:33], v[30:31] neg_lo:[0,1] neg_hi:[0,1]
	v_pk_add_f32 v[146:147], v[32:33], v[144:145]
	v_mov_b32_e32 v31, v147
	v_mov_b32_e32 v35, v32
	v_pk_add_f32 v[148:149], v[34:35], v[30:31] neg_lo:[0,1] neg_hi:[0,1]
	v_pk_add_f32 v[30:31], v[34:35], v[30:31]
	v_mov_b32_e32 v34, v31
	v_pk_add_f32 v[150:151], v[34:35], v[32:33] neg_lo:[0,1] neg_hi:[0,1]
	v_mov_b32_e32 v27, v150
	v_pk_add_f32 v[160:161], v[146:147], v[26:27] neg_lo:[0,1] neg_hi:[0,1]
	v_mov_b32_e32 v30, v147
	v_mov_b32_e32 v146, v33
	;; [unrolled: 1-line block ×4, first 2 shown]
	v_pk_add_f32 v[30:31], v[30:31], v[146:147] neg_lo:[0,1] neg_hi:[0,1]
	v_mov_b32_e32 v144, v145
	v_mov_b32_e32 v145, v32
	v_pk_add_f32 v[30:31], v[144:145], v[30:31] neg_lo:[0,1] neg_hi:[0,1]
	v_mov_b32_e32 v160, v148
	v_pk_add_f32 v[32:33], v[160:161], v[30:31]
	v_mov_b32_e32 v144, v33
	v_pk_add_f32 v[144:145], v[32:33], v[144:145]
	v_pk_add_f32 v[34:35], v[34:35], v[144:145]
	v_mov_b32_e32 v33, v34
	v_pk_add_f32 v[146:147], v[32:33], v[148:149] neg_lo:[0,1] neg_hi:[0,1]
	v_mov_b32_e32 v31, v144
	v_sub_f32_e32 v27, v32, v146
	v_pk_add_f32 v[30:31], v[30:31], v[146:147] neg_lo:[0,1] neg_hi:[0,1]
	v_sub_f32_e32 v27, v148, v27
	s_mov_b32 s60, 0x7f800000
	v_add_f32_e32 v27, v30, v27
	s_mov_b32 s13, 0x33800000
	v_add_f32_e32 v27, v27, v31
	v_cmp_eq_f32_e32 vcc, s60, v162
	v_cmp_lt_f32_e64 s[60:61], |v162|, s13
	v_add_f32_e32 v27, v34, v27
	s_or_b64 vcc, vcc, s[60:61]
	v_cndmask_b32_e32 v27, v27, v162, vcc
	v_add_f32_e32 v27, v26, v27
.LBB444_99:
	s_or_b64 exec, exec, s[56:57]
	v_bfe_u32 v26, v27, 16, 1
	s_movk_i32 s13, 0x7fff
	v_add3_u32 v26, v27, v26, s13
	v_lshrrev_b32_e32 v26, 16, v26
	v_mov_b32_e32 v30, 0x7fc0
	v_cmp_o_f32_e32 vcc, v27, v27
	v_cndmask_b32_e32 v30, v30, v26, vcc
	v_mbcnt_lo_u32_b32 v26, -1, 0
	v_mbcnt_hi_u32_b32 v27, -1, v26
	v_and_b32_e32 v26, 15, v27
	v_and_b32_e32 v31, 0xffff, v30
	v_cmp_ne_u32_e32 vcc, 0, v26
	s_nop 0
	v_mov_b32_dpp v32, v31 row_shr:1 row_mask:0xf bank_mask:0xf
	s_and_saveexec_b64 s[60:61], vcc
	s_cbranch_execz .LBB444_103
; %bb.100:
	v_lshlrev_b32_e32 v32, 16, v32
	v_lshlrev_b32_e32 v30, 16, v31
	v_max_f32_e32 v33, v30, v30
	v_max_f32_e32 v34, v32, v32
	v_min_f32_e32 v31, v34, v33
	v_cmp_u_f32_e32 vcc, v32, v32
	v_max_f32_e32 v33, v34, v33
	v_cndmask_b32_e32 v31, v31, v32, vcc
	v_cmp_u_f32_e64 s[56:57], v30, v30
	v_cndmask_b32_e32 v33, v33, v32, vcc
	v_cndmask_b32_e64 v31, v31, v30, s[56:57]
	v_cndmask_b32_e64 v30, v33, v30, s[56:57]
	s_movk_i32 s13, 0x1f8
	v_cmp_neq_f32_e32 vcc, v31, v30
	v_cmp_class_f32_e64 s[56:57], v31, s13
	s_or_b64 vcc, vcc, s[56:57]
	s_and_saveexec_b64 s[56:57], vcc
	s_cbranch_execz .LBB444_102
; %bb.101:
	v_sub_f32_e32 v31, v31, v30
	s_mov_b32 s13, 0x3fb8aa3b
	v_mul_f32_e32 v32, 0x3fb8aa3b, v31
	v_fma_f32 v33, v31, s13, -v32
	v_rndne_f32_e32 v34, v32
	v_fmac_f32_e32 v33, 0x32a5705f, v31
	v_sub_f32_e32 v32, v32, v34
	v_add_f32_e32 v32, v32, v33
	v_exp_f32_e32 v32, v32
	v_cvt_i32_f32_e32 v33, v34
	s_mov_b32 s13, 0xc2ce8ed0
	v_cmp_ngt_f32_e32 vcc, s13, v31
	s_mov_b32 s13, 0x42b17218
	v_ldexp_f32 v32, v32, v33
	v_cndmask_b32_e32 v32, 0, v32, vcc
	v_mov_b32_e32 v33, 0x7f800000
	v_cmp_nlt_f32_e32 vcc, s13, v31
	v_cndmask_b32_e32 v164, v33, v32, vcc
	v_add_f32_e32 v31, 1.0, v164
	v_add_f32_e32 v32, -1.0, v31
	v_sub_f32_e32 v33, v32, v31
	v_add_f32_e32 v33, 1.0, v33
	v_sub_f32_e32 v32, v164, v32
	v_add_f32_e32 v34, v32, v33
	v_frexp_mant_f32_e32 v35, v31
	s_mov_b32 s13, 0x3f2aaaab
	v_cvt_f64_f32_e32 v[32:33], v31
	v_frexp_exp_i32_f64_e32 v32, v[32:33]
	v_cmp_gt_f32_e32 vcc, s13, v35
	v_subbrev_co_u32_e32 v148, vcc, 0, v32, vcc
	v_sub_u32_e32 v32, 0, v148
	v_ldexp_f32 v31, v31, v32
	v_ldexp_f32 v32, v34, v32
	v_add_f32_e32 v34, -1.0, v31
	v_add_f32_e32 v33, 1.0, v34
	v_sub_f32_e32 v33, v31, v33
	v_add_f32_e32 v35, v32, v33
	v_add_f32_e32 v33, 1.0, v31
	v_add_f32_e32 v144, -1.0, v33
	v_sub_f32_e32 v31, v31, v144
	v_add_f32_e32 v31, v32, v31
	v_add_f32_e32 v149, v33, v31
	v_rcp_f32_e32 v150, v149
	v_sub_f32_e32 v32, v33, v149
	v_add_f32_e32 v33, v34, v35
	v_add_f32_e32 v31, v31, v32
	v_mul_f32_e32 v160, v33, v150
	v_sub_f32_e32 v32, v34, v33
	v_mul_f32_e32 v34, v149, v160
	v_fma_f32 v144, v160, v149, -v34
	v_fmac_f32_e32 v144, v160, v31
	v_add_f32_e32 v151, v35, v32
	v_add_f32_e32 v32, v34, v144
	v_sub_f32_e32 v35, v33, v32
	v_pk_add_f32 v[146:147], v[32:33], v[34:35] neg_lo:[0,1] neg_hi:[0,1]
	v_mov_b32_e32 v145, v32
	v_pk_add_f32 v[32:33], v[146:147], v[144:145] neg_lo:[0,1] neg_hi:[0,1]
	v_add_f32_e32 v33, v151, v33
	v_add_f32_e32 v32, v32, v33
	;; [unrolled: 1-line block ×3, first 2 shown]
	v_mul_f32_e32 v151, v150, v33
	v_mul_f32_e32 v34, v149, v151
	v_fma_f32 v144, v151, v149, -v34
	v_fmac_f32_e32 v144, v151, v31
	v_sub_f32_e32 v31, v35, v33
	v_add_f32_e32 v31, v32, v31
	v_add_f32_e32 v32, v34, v144
	v_sub_f32_e32 v35, v33, v32
	v_pk_add_f32 v[146:147], v[32:33], v[34:35] neg_lo:[0,1] neg_hi:[0,1]
	v_mov_b32_e32 v145, v32
	v_pk_add_f32 v[32:33], v[146:147], v[144:145] neg_lo:[0,1] neg_hi:[0,1]
	v_add_f32_e32 v31, v31, v33
	v_add_f32_e32 v31, v32, v31
	;; [unrolled: 1-line block ×4, first 2 shown]
	v_sub_f32_e32 v33, v32, v160
	v_mul_f32_e32 v31, v150, v31
	v_sub_f32_e32 v33, v151, v33
	v_add_f32_e32 v31, v33, v31
	v_add_f32_e32 v35, v32, v31
	v_mul_f32_e32 v144, v35, v35
	v_mov_b32_e32 v34, 0x3ecc95a3
	v_fmac_f32_e32 v34, 0x3e9b6dac, v144
	v_mov_b32_e32 v33, 0x3f2aaada
	v_fmac_f32_e32 v33, v144, v34
	v_cvt_f32_i32_e32 v34, v148
	v_sub_f32_e32 v32, v35, v32
	v_sub_f32_e32 v31, v31, v32
	v_ldexp_f32 v145, v35, 1
	v_mul_f32_e32 v35, v35, v144
	v_mov_b32_e32 v32, 0x3f317218
	s_mov_b32 s13, 0x3f317218
	v_pk_mul_f32 v[32:33], v[34:35], v[32:33]
	v_fma_f32 v144, v34, s13, -v32
	v_fmac_f32_e32 v144, 0xb102e308, v34
	v_pk_add_f32 v[34:35], v[32:33], v[144:145]
	v_sub_f32_e32 v145, v35, v145
	v_ldexp_f32 v31, v31, 1
	v_sub_f32_e32 v145, v33, v145
	v_add_f32_e32 v147, v31, v145
	v_mov_b32_e32 v146, v32
	v_pk_add_f32 v[32:33], v[34:35], v[32:33] neg_lo:[0,1] neg_hi:[0,1]
	v_pk_add_f32 v[148:149], v[34:35], v[146:147]
	v_mov_b32_e32 v33, v149
	v_mov_b32_e32 v145, v34
	v_pk_add_f32 v[150:151], v[144:145], v[32:33] neg_lo:[0,1] neg_hi:[0,1]
	v_pk_add_f32 v[32:33], v[144:145], v[32:33]
	v_mov_b32_e32 v144, v33
	v_pk_add_f32 v[160:161], v[144:145], v[34:35] neg_lo:[0,1] neg_hi:[0,1]
	v_mov_b32_e32 v31, v160
	v_pk_add_f32 v[162:163], v[148:149], v[30:31] neg_lo:[0,1] neg_hi:[0,1]
	v_mov_b32_e32 v32, v149
	v_mov_b32_e32 v148, v35
	;; [unrolled: 1-line block ×4, first 2 shown]
	v_pk_add_f32 v[32:33], v[32:33], v[148:149] neg_lo:[0,1] neg_hi:[0,1]
	v_mov_b32_e32 v146, v147
	v_mov_b32_e32 v147, v34
	v_pk_add_f32 v[32:33], v[146:147], v[32:33] neg_lo:[0,1] neg_hi:[0,1]
	v_mov_b32_e32 v162, v150
	v_pk_add_f32 v[34:35], v[162:163], v[32:33]
	v_mov_b32_e32 v146, v35
	v_pk_add_f32 v[146:147], v[34:35], v[146:147]
	v_pk_add_f32 v[144:145], v[144:145], v[146:147]
	v_mov_b32_e32 v35, v144
	v_pk_add_f32 v[148:149], v[34:35], v[150:151] neg_lo:[0,1] neg_hi:[0,1]
	v_mov_b32_e32 v33, v146
	v_sub_f32_e32 v31, v34, v148
	v_pk_add_f32 v[32:33], v[32:33], v[148:149] neg_lo:[0,1] neg_hi:[0,1]
	v_sub_f32_e32 v31, v150, v31
	s_mov_b32 s64, 0x7f800000
	v_add_f32_e32 v31, v32, v31
	s_mov_b32 s13, 0x33800000
	v_add_f32_e32 v31, v31, v33
	v_cmp_eq_f32_e32 vcc, s64, v164
	v_cmp_lt_f32_e64 s[64:65], |v164|, s13
	v_add_f32_e32 v31, v144, v31
	s_or_b64 vcc, vcc, s[64:65]
	v_cndmask_b32_e32 v31, v31, v164, vcc
	v_add_f32_e32 v32, v30, v31
.LBB444_102:
	s_or_b64 exec, exec, s[56:57]
	v_bfe_u32 v30, v32, 16, 1
	s_movk_i32 s13, 0x7fff
	v_add3_u32 v30, v32, v30, s13
	v_lshrrev_b32_e32 v30, 16, v30
	v_mov_b32_e32 v31, 0x7fc0
	v_cmp_o_f32_e32 vcc, v32, v32
	v_cndmask_b32_e32 v30, v31, v30, vcc
	v_and_b32_e32 v31, 0xffff, v30
.LBB444_103:
	s_or_b64 exec, exec, s[60:61]
	s_nop 0
	v_mov_b32_dpp v32, v31 row_shr:2 row_mask:0xf bank_mask:0xf
	v_cmp_lt_u32_e32 vcc, 1, v26
	s_and_saveexec_b64 s[60:61], vcc
	s_cbranch_execz .LBB444_107
; %bb.104:
	v_lshlrev_b32_e32 v32, 16, v32
	v_lshlrev_b32_e32 v30, 16, v31
	v_max_f32_e32 v33, v30, v30
	v_max_f32_e32 v34, v32, v32
	v_min_f32_e32 v31, v34, v33
	v_cmp_u_f32_e32 vcc, v32, v32
	v_max_f32_e32 v33, v34, v33
	v_cndmask_b32_e32 v31, v31, v32, vcc
	v_cmp_u_f32_e64 s[56:57], v30, v30
	v_cndmask_b32_e32 v33, v33, v32, vcc
	v_cndmask_b32_e64 v31, v31, v30, s[56:57]
	v_cndmask_b32_e64 v30, v33, v30, s[56:57]
	s_movk_i32 s13, 0x1f8
	v_cmp_neq_f32_e32 vcc, v31, v30
	v_cmp_class_f32_e64 s[56:57], v31, s13
	s_or_b64 vcc, vcc, s[56:57]
	s_and_saveexec_b64 s[56:57], vcc
	s_cbranch_execz .LBB444_106
; %bb.105:
	v_sub_f32_e32 v31, v31, v30
	s_mov_b32 s13, 0x3fb8aa3b
	v_mul_f32_e32 v32, 0x3fb8aa3b, v31
	v_fma_f32 v33, v31, s13, -v32
	v_rndne_f32_e32 v34, v32
	v_fmac_f32_e32 v33, 0x32a5705f, v31
	v_sub_f32_e32 v32, v32, v34
	v_add_f32_e32 v32, v32, v33
	v_exp_f32_e32 v32, v32
	v_cvt_i32_f32_e32 v33, v34
	s_mov_b32 s13, 0xc2ce8ed0
	v_cmp_ngt_f32_e32 vcc, s13, v31
	s_mov_b32 s13, 0x42b17218
	v_ldexp_f32 v32, v32, v33
	v_cndmask_b32_e32 v32, 0, v32, vcc
	v_mov_b32_e32 v33, 0x7f800000
	v_cmp_nlt_f32_e32 vcc, s13, v31
	v_cndmask_b32_e32 v164, v33, v32, vcc
	v_add_f32_e32 v31, 1.0, v164
	v_add_f32_e32 v32, -1.0, v31
	v_sub_f32_e32 v33, v32, v31
	v_add_f32_e32 v33, 1.0, v33
	v_sub_f32_e32 v32, v164, v32
	v_add_f32_e32 v34, v32, v33
	v_frexp_mant_f32_e32 v35, v31
	s_mov_b32 s13, 0x3f2aaaab
	v_cvt_f64_f32_e32 v[32:33], v31
	v_frexp_exp_i32_f64_e32 v32, v[32:33]
	v_cmp_gt_f32_e32 vcc, s13, v35
	v_subbrev_co_u32_e32 v148, vcc, 0, v32, vcc
	v_sub_u32_e32 v32, 0, v148
	v_ldexp_f32 v31, v31, v32
	v_ldexp_f32 v32, v34, v32
	v_add_f32_e32 v34, -1.0, v31
	v_add_f32_e32 v33, 1.0, v34
	v_sub_f32_e32 v33, v31, v33
	v_add_f32_e32 v35, v32, v33
	v_add_f32_e32 v33, 1.0, v31
	v_add_f32_e32 v144, -1.0, v33
	v_sub_f32_e32 v31, v31, v144
	v_add_f32_e32 v31, v32, v31
	v_add_f32_e32 v149, v33, v31
	v_rcp_f32_e32 v150, v149
	v_sub_f32_e32 v32, v33, v149
	v_add_f32_e32 v33, v34, v35
	v_add_f32_e32 v31, v31, v32
	v_mul_f32_e32 v160, v33, v150
	v_sub_f32_e32 v32, v34, v33
	v_mul_f32_e32 v34, v149, v160
	v_fma_f32 v144, v160, v149, -v34
	v_fmac_f32_e32 v144, v160, v31
	v_add_f32_e32 v151, v35, v32
	v_add_f32_e32 v32, v34, v144
	v_sub_f32_e32 v35, v33, v32
	v_pk_add_f32 v[146:147], v[32:33], v[34:35] neg_lo:[0,1] neg_hi:[0,1]
	v_mov_b32_e32 v145, v32
	v_pk_add_f32 v[32:33], v[146:147], v[144:145] neg_lo:[0,1] neg_hi:[0,1]
	v_add_f32_e32 v33, v151, v33
	v_add_f32_e32 v32, v32, v33
	;; [unrolled: 1-line block ×3, first 2 shown]
	v_mul_f32_e32 v151, v150, v33
	v_mul_f32_e32 v34, v149, v151
	v_fma_f32 v144, v151, v149, -v34
	v_fmac_f32_e32 v144, v151, v31
	v_sub_f32_e32 v31, v35, v33
	v_add_f32_e32 v31, v32, v31
	v_add_f32_e32 v32, v34, v144
	v_sub_f32_e32 v35, v33, v32
	v_pk_add_f32 v[146:147], v[32:33], v[34:35] neg_lo:[0,1] neg_hi:[0,1]
	v_mov_b32_e32 v145, v32
	v_pk_add_f32 v[32:33], v[146:147], v[144:145] neg_lo:[0,1] neg_hi:[0,1]
	v_add_f32_e32 v31, v31, v33
	v_add_f32_e32 v31, v32, v31
	;; [unrolled: 1-line block ×4, first 2 shown]
	v_sub_f32_e32 v33, v32, v160
	v_mul_f32_e32 v31, v150, v31
	v_sub_f32_e32 v33, v151, v33
	v_add_f32_e32 v31, v33, v31
	v_add_f32_e32 v35, v32, v31
	v_mul_f32_e32 v144, v35, v35
	v_mov_b32_e32 v34, 0x3ecc95a3
	v_fmac_f32_e32 v34, 0x3e9b6dac, v144
	v_mov_b32_e32 v33, 0x3f2aaada
	v_fmac_f32_e32 v33, v144, v34
	v_cvt_f32_i32_e32 v34, v148
	v_sub_f32_e32 v32, v35, v32
	v_sub_f32_e32 v31, v31, v32
	v_ldexp_f32 v145, v35, 1
	v_mul_f32_e32 v35, v35, v144
	v_mov_b32_e32 v32, 0x3f317218
	s_mov_b32 s13, 0x3f317218
	v_pk_mul_f32 v[32:33], v[34:35], v[32:33]
	v_fma_f32 v144, v34, s13, -v32
	v_fmac_f32_e32 v144, 0xb102e308, v34
	v_pk_add_f32 v[34:35], v[32:33], v[144:145]
	v_sub_f32_e32 v145, v35, v145
	v_ldexp_f32 v31, v31, 1
	v_sub_f32_e32 v145, v33, v145
	v_add_f32_e32 v147, v31, v145
	v_mov_b32_e32 v146, v32
	v_pk_add_f32 v[32:33], v[34:35], v[32:33] neg_lo:[0,1] neg_hi:[0,1]
	v_pk_add_f32 v[148:149], v[34:35], v[146:147]
	v_mov_b32_e32 v33, v149
	v_mov_b32_e32 v145, v34
	v_pk_add_f32 v[150:151], v[144:145], v[32:33] neg_lo:[0,1] neg_hi:[0,1]
	v_pk_add_f32 v[32:33], v[144:145], v[32:33]
	v_mov_b32_e32 v144, v33
	v_pk_add_f32 v[160:161], v[144:145], v[34:35] neg_lo:[0,1] neg_hi:[0,1]
	v_mov_b32_e32 v31, v160
	v_pk_add_f32 v[162:163], v[148:149], v[30:31] neg_lo:[0,1] neg_hi:[0,1]
	v_mov_b32_e32 v32, v149
	v_mov_b32_e32 v148, v35
	;; [unrolled: 1-line block ×4, first 2 shown]
	v_pk_add_f32 v[32:33], v[32:33], v[148:149] neg_lo:[0,1] neg_hi:[0,1]
	v_mov_b32_e32 v146, v147
	v_mov_b32_e32 v147, v34
	v_pk_add_f32 v[32:33], v[146:147], v[32:33] neg_lo:[0,1] neg_hi:[0,1]
	v_mov_b32_e32 v162, v150
	v_pk_add_f32 v[34:35], v[162:163], v[32:33]
	v_mov_b32_e32 v146, v35
	v_pk_add_f32 v[146:147], v[34:35], v[146:147]
	v_pk_add_f32 v[144:145], v[144:145], v[146:147]
	v_mov_b32_e32 v35, v144
	v_pk_add_f32 v[148:149], v[34:35], v[150:151] neg_lo:[0,1] neg_hi:[0,1]
	v_mov_b32_e32 v33, v146
	v_sub_f32_e32 v31, v34, v148
	v_pk_add_f32 v[32:33], v[32:33], v[148:149] neg_lo:[0,1] neg_hi:[0,1]
	v_sub_f32_e32 v31, v150, v31
	s_mov_b32 s64, 0x7f800000
	v_add_f32_e32 v31, v32, v31
	s_mov_b32 s13, 0x33800000
	v_add_f32_e32 v31, v31, v33
	v_cmp_eq_f32_e32 vcc, s64, v164
	v_cmp_lt_f32_e64 s[64:65], |v164|, s13
	v_add_f32_e32 v31, v144, v31
	s_or_b64 vcc, vcc, s[64:65]
	v_cndmask_b32_e32 v31, v31, v164, vcc
	v_add_f32_e32 v32, v30, v31
.LBB444_106:
	s_or_b64 exec, exec, s[56:57]
	v_bfe_u32 v30, v32, 16, 1
	s_movk_i32 s13, 0x7fff
	v_add3_u32 v30, v32, v30, s13
	v_lshrrev_b32_e32 v30, 16, v30
	v_mov_b32_e32 v31, 0x7fc0
	v_cmp_o_f32_e32 vcc, v32, v32
	v_cndmask_b32_e32 v30, v31, v30, vcc
	v_and_b32_e32 v31, 0xffff, v30
.LBB444_107:
	s_or_b64 exec, exec, s[60:61]
	s_nop 0
	v_mov_b32_dpp v32, v31 row_shr:4 row_mask:0xf bank_mask:0xf
	v_cmp_lt_u32_e32 vcc, 3, v26
	s_and_saveexec_b64 s[60:61], vcc
	s_cbranch_execz .LBB444_111
; %bb.108:
	v_lshlrev_b32_e32 v32, 16, v32
	v_lshlrev_b32_e32 v30, 16, v31
	v_max_f32_e32 v33, v30, v30
	v_max_f32_e32 v34, v32, v32
	v_min_f32_e32 v31, v34, v33
	v_cmp_u_f32_e32 vcc, v32, v32
	v_max_f32_e32 v33, v34, v33
	v_cndmask_b32_e32 v31, v31, v32, vcc
	v_cmp_u_f32_e64 s[56:57], v30, v30
	v_cndmask_b32_e32 v33, v33, v32, vcc
	v_cndmask_b32_e64 v31, v31, v30, s[56:57]
	v_cndmask_b32_e64 v30, v33, v30, s[56:57]
	s_movk_i32 s13, 0x1f8
	v_cmp_neq_f32_e32 vcc, v31, v30
	v_cmp_class_f32_e64 s[56:57], v31, s13
	s_or_b64 vcc, vcc, s[56:57]
	s_and_saveexec_b64 s[56:57], vcc
	s_cbranch_execz .LBB444_110
; %bb.109:
	v_sub_f32_e32 v31, v31, v30
	s_mov_b32 s13, 0x3fb8aa3b
	v_mul_f32_e32 v32, 0x3fb8aa3b, v31
	v_fma_f32 v33, v31, s13, -v32
	v_rndne_f32_e32 v34, v32
	v_fmac_f32_e32 v33, 0x32a5705f, v31
	v_sub_f32_e32 v32, v32, v34
	v_add_f32_e32 v32, v32, v33
	v_exp_f32_e32 v32, v32
	v_cvt_i32_f32_e32 v33, v34
	s_mov_b32 s13, 0xc2ce8ed0
	v_cmp_ngt_f32_e32 vcc, s13, v31
	s_mov_b32 s13, 0x42b17218
	v_ldexp_f32 v32, v32, v33
	v_cndmask_b32_e32 v32, 0, v32, vcc
	v_mov_b32_e32 v33, 0x7f800000
	v_cmp_nlt_f32_e32 vcc, s13, v31
	v_cndmask_b32_e32 v164, v33, v32, vcc
	v_add_f32_e32 v31, 1.0, v164
	v_add_f32_e32 v32, -1.0, v31
	v_sub_f32_e32 v33, v32, v31
	v_add_f32_e32 v33, 1.0, v33
	v_sub_f32_e32 v32, v164, v32
	v_add_f32_e32 v34, v32, v33
	v_frexp_mant_f32_e32 v35, v31
	s_mov_b32 s13, 0x3f2aaaab
	v_cvt_f64_f32_e32 v[32:33], v31
	v_frexp_exp_i32_f64_e32 v32, v[32:33]
	v_cmp_gt_f32_e32 vcc, s13, v35
	v_subbrev_co_u32_e32 v148, vcc, 0, v32, vcc
	v_sub_u32_e32 v32, 0, v148
	v_ldexp_f32 v31, v31, v32
	v_ldexp_f32 v32, v34, v32
	v_add_f32_e32 v34, -1.0, v31
	v_add_f32_e32 v33, 1.0, v34
	v_sub_f32_e32 v33, v31, v33
	v_add_f32_e32 v35, v32, v33
	v_add_f32_e32 v33, 1.0, v31
	v_add_f32_e32 v144, -1.0, v33
	v_sub_f32_e32 v31, v31, v144
	v_add_f32_e32 v31, v32, v31
	v_add_f32_e32 v149, v33, v31
	v_rcp_f32_e32 v150, v149
	v_sub_f32_e32 v32, v33, v149
	v_add_f32_e32 v33, v34, v35
	v_add_f32_e32 v31, v31, v32
	v_mul_f32_e32 v160, v33, v150
	v_sub_f32_e32 v32, v34, v33
	v_mul_f32_e32 v34, v149, v160
	v_fma_f32 v144, v160, v149, -v34
	v_fmac_f32_e32 v144, v160, v31
	v_add_f32_e32 v151, v35, v32
	v_add_f32_e32 v32, v34, v144
	v_sub_f32_e32 v35, v33, v32
	v_pk_add_f32 v[146:147], v[32:33], v[34:35] neg_lo:[0,1] neg_hi:[0,1]
	v_mov_b32_e32 v145, v32
	v_pk_add_f32 v[32:33], v[146:147], v[144:145] neg_lo:[0,1] neg_hi:[0,1]
	v_add_f32_e32 v33, v151, v33
	v_add_f32_e32 v32, v32, v33
	;; [unrolled: 1-line block ×3, first 2 shown]
	v_mul_f32_e32 v151, v150, v33
	v_mul_f32_e32 v34, v149, v151
	v_fma_f32 v144, v151, v149, -v34
	v_fmac_f32_e32 v144, v151, v31
	v_sub_f32_e32 v31, v35, v33
	v_add_f32_e32 v31, v32, v31
	v_add_f32_e32 v32, v34, v144
	v_sub_f32_e32 v35, v33, v32
	v_pk_add_f32 v[146:147], v[32:33], v[34:35] neg_lo:[0,1] neg_hi:[0,1]
	v_mov_b32_e32 v145, v32
	v_pk_add_f32 v[32:33], v[146:147], v[144:145] neg_lo:[0,1] neg_hi:[0,1]
	v_add_f32_e32 v31, v31, v33
	v_add_f32_e32 v31, v32, v31
	;; [unrolled: 1-line block ×4, first 2 shown]
	v_sub_f32_e32 v33, v32, v160
	v_mul_f32_e32 v31, v150, v31
	v_sub_f32_e32 v33, v151, v33
	v_add_f32_e32 v31, v33, v31
	v_add_f32_e32 v35, v32, v31
	v_mul_f32_e32 v144, v35, v35
	v_mov_b32_e32 v34, 0x3ecc95a3
	v_fmac_f32_e32 v34, 0x3e9b6dac, v144
	v_mov_b32_e32 v33, 0x3f2aaada
	v_fmac_f32_e32 v33, v144, v34
	v_cvt_f32_i32_e32 v34, v148
	v_sub_f32_e32 v32, v35, v32
	v_sub_f32_e32 v31, v31, v32
	v_ldexp_f32 v145, v35, 1
	v_mul_f32_e32 v35, v35, v144
	v_mov_b32_e32 v32, 0x3f317218
	s_mov_b32 s13, 0x3f317218
	v_pk_mul_f32 v[32:33], v[34:35], v[32:33]
	v_fma_f32 v144, v34, s13, -v32
	v_fmac_f32_e32 v144, 0xb102e308, v34
	v_pk_add_f32 v[34:35], v[32:33], v[144:145]
	v_sub_f32_e32 v145, v35, v145
	v_ldexp_f32 v31, v31, 1
	v_sub_f32_e32 v145, v33, v145
	v_add_f32_e32 v147, v31, v145
	v_mov_b32_e32 v146, v32
	v_pk_add_f32 v[32:33], v[34:35], v[32:33] neg_lo:[0,1] neg_hi:[0,1]
	v_pk_add_f32 v[148:149], v[34:35], v[146:147]
	v_mov_b32_e32 v33, v149
	v_mov_b32_e32 v145, v34
	v_pk_add_f32 v[150:151], v[144:145], v[32:33] neg_lo:[0,1] neg_hi:[0,1]
	v_pk_add_f32 v[32:33], v[144:145], v[32:33]
	v_mov_b32_e32 v144, v33
	v_pk_add_f32 v[160:161], v[144:145], v[34:35] neg_lo:[0,1] neg_hi:[0,1]
	v_mov_b32_e32 v31, v160
	v_pk_add_f32 v[162:163], v[148:149], v[30:31] neg_lo:[0,1] neg_hi:[0,1]
	v_mov_b32_e32 v32, v149
	v_mov_b32_e32 v148, v35
	;; [unrolled: 1-line block ×4, first 2 shown]
	v_pk_add_f32 v[32:33], v[32:33], v[148:149] neg_lo:[0,1] neg_hi:[0,1]
	v_mov_b32_e32 v146, v147
	v_mov_b32_e32 v147, v34
	v_pk_add_f32 v[32:33], v[146:147], v[32:33] neg_lo:[0,1] neg_hi:[0,1]
	v_mov_b32_e32 v162, v150
	v_pk_add_f32 v[34:35], v[162:163], v[32:33]
	v_mov_b32_e32 v146, v35
	v_pk_add_f32 v[146:147], v[34:35], v[146:147]
	v_pk_add_f32 v[144:145], v[144:145], v[146:147]
	v_mov_b32_e32 v35, v144
	v_pk_add_f32 v[148:149], v[34:35], v[150:151] neg_lo:[0,1] neg_hi:[0,1]
	v_mov_b32_e32 v33, v146
	v_sub_f32_e32 v31, v34, v148
	v_pk_add_f32 v[32:33], v[32:33], v[148:149] neg_lo:[0,1] neg_hi:[0,1]
	v_sub_f32_e32 v31, v150, v31
	s_mov_b32 s64, 0x7f800000
	v_add_f32_e32 v31, v32, v31
	s_mov_b32 s13, 0x33800000
	v_add_f32_e32 v31, v31, v33
	v_cmp_eq_f32_e32 vcc, s64, v164
	v_cmp_lt_f32_e64 s[64:65], |v164|, s13
	v_add_f32_e32 v31, v144, v31
	s_or_b64 vcc, vcc, s[64:65]
	v_cndmask_b32_e32 v31, v31, v164, vcc
	v_add_f32_e32 v32, v30, v31
.LBB444_110:
	s_or_b64 exec, exec, s[56:57]
	v_bfe_u32 v30, v32, 16, 1
	s_movk_i32 s13, 0x7fff
	v_add3_u32 v30, v32, v30, s13
	v_lshrrev_b32_e32 v30, 16, v30
	v_mov_b32_e32 v31, 0x7fc0
	v_cmp_o_f32_e32 vcc, v32, v32
	v_cndmask_b32_e32 v30, v31, v30, vcc
	v_and_b32_e32 v31, 0xffff, v30
.LBB444_111:
	s_or_b64 exec, exec, s[60:61]
	s_nop 0
	v_mov_b32_dpp v32, v31 row_shr:8 row_mask:0xf bank_mask:0xf
	v_cmp_lt_u32_e32 vcc, 7, v26
	s_and_saveexec_b64 s[60:61], vcc
	s_cbranch_execz .LBB444_115
; %bb.112:
	v_lshlrev_b32_e32 v30, 16, v32
	v_lshlrev_b32_e32 v26, 16, v31
	v_max_f32_e32 v32, v26, v26
	v_max_f32_e32 v33, v30, v30
	v_min_f32_e32 v31, v33, v32
	v_cmp_u_f32_e32 vcc, v30, v30
	v_max_f32_e32 v32, v33, v32
	v_cndmask_b32_e32 v31, v31, v30, vcc
	v_cmp_u_f32_e64 s[56:57], v26, v26
	v_cndmask_b32_e32 v32, v32, v30, vcc
	v_cndmask_b32_e64 v31, v31, v26, s[56:57]
	v_cndmask_b32_e64 v26, v32, v26, s[56:57]
	s_movk_i32 s13, 0x1f8
	v_cmp_neq_f32_e32 vcc, v31, v26
	v_cmp_class_f32_e64 s[56:57], v31, s13
	s_or_b64 vcc, vcc, s[56:57]
	s_and_saveexec_b64 s[56:57], vcc
	s_cbranch_execz .LBB444_114
; %bb.113:
	v_sub_f32_e32 v30, v31, v26
	s_mov_b32 s13, 0x3fb8aa3b
	v_mul_f32_e32 v31, 0x3fb8aa3b, v30
	v_fma_f32 v32, v30, s13, -v31
	v_rndne_f32_e32 v33, v31
	v_fmac_f32_e32 v32, 0x32a5705f, v30
	v_sub_f32_e32 v31, v31, v33
	v_add_f32_e32 v31, v31, v32
	v_exp_f32_e32 v31, v31
	v_cvt_i32_f32_e32 v32, v33
	s_mov_b32 s13, 0xc2ce8ed0
	v_cmp_ngt_f32_e32 vcc, s13, v30
	s_mov_b32 s13, 0x42b17218
	v_ldexp_f32 v31, v31, v32
	v_cndmask_b32_e32 v31, 0, v31, vcc
	v_mov_b32_e32 v32, 0x7f800000
	v_cmp_nlt_f32_e32 vcc, s13, v30
	v_cndmask_b32_e32 v162, v32, v31, vcc
	v_add_f32_e32 v32, 1.0, v162
	v_add_f32_e32 v30, -1.0, v32
	v_sub_f32_e32 v31, v30, v32
	v_add_f32_e32 v31, 1.0, v31
	v_sub_f32_e32 v30, v162, v30
	v_add_f32_e32 v33, v30, v31
	v_frexp_mant_f32_e32 v34, v32
	s_mov_b32 s13, 0x3f2aaaab
	v_cvt_f64_f32_e32 v[30:31], v32
	v_frexp_exp_i32_f64_e32 v30, v[30:31]
	v_cmp_gt_f32_e32 vcc, s13, v34
	v_subbrev_co_u32_e32 v146, vcc, 0, v30, vcc
	v_sub_u32_e32 v30, 0, v146
	v_ldexp_f32 v31, v32, v30
	v_add_f32_e32 v32, -1.0, v31
	v_add_f32_e32 v34, 1.0, v31
	v_ldexp_f32 v30, v33, v30
	v_add_f32_e32 v33, 1.0, v32
	v_add_f32_e32 v35, -1.0, v34
	v_sub_f32_e32 v33, v31, v33
	v_sub_f32_e32 v31, v31, v35
	v_add_f32_e32 v33, v30, v33
	v_add_f32_e32 v30, v30, v31
	;; [unrolled: 1-line block ×3, first 2 shown]
	v_rcp_f32_e32 v149, v147
	v_sub_f32_e32 v31, v34, v147
	v_add_f32_e32 v148, v30, v31
	v_add_f32_e32 v31, v32, v33
	v_mul_f32_e32 v151, v31, v149
	v_sub_f32_e32 v30, v32, v31
	v_mul_f32_e32 v32, v147, v151
	v_fma_f32 v34, v151, v147, -v32
	v_fmac_f32_e32 v34, v151, v148
	v_add_f32_e32 v150, v33, v30
	v_add_f32_e32 v30, v32, v34
	v_sub_f32_e32 v33, v31, v30
	v_pk_add_f32 v[144:145], v[30:31], v[32:33] neg_lo:[0,1] neg_hi:[0,1]
	v_mov_b32_e32 v35, v30
	v_pk_add_f32 v[30:31], v[144:145], v[34:35] neg_lo:[0,1] neg_hi:[0,1]
	v_add_f32_e32 v31, v150, v31
	v_add_f32_e32 v30, v30, v31
	;; [unrolled: 1-line block ×3, first 2 shown]
	v_mul_f32_e32 v150, v149, v31
	v_mul_f32_e32 v32, v147, v150
	v_fma_f32 v34, v150, v147, -v32
	v_fmac_f32_e32 v34, v150, v148
	v_sub_f32_e32 v33, v33, v31
	v_add_f32_e32 v147, v30, v33
	v_add_f32_e32 v30, v32, v34
	v_sub_f32_e32 v33, v31, v30
	v_pk_add_f32 v[144:145], v[30:31], v[32:33] neg_lo:[0,1] neg_hi:[0,1]
	v_mov_b32_e32 v35, v30
	v_pk_add_f32 v[30:31], v[144:145], v[34:35] neg_lo:[0,1] neg_hi:[0,1]
	v_add_f32_e32 v31, v147, v31
	v_add_f32_e32 v30, v30, v31
	;; [unrolled: 1-line block ×4, first 2 shown]
	v_sub_f32_e32 v31, v33, v151
	v_mul_f32_e32 v30, v149, v30
	v_sub_f32_e32 v31, v150, v31
	v_add_f32_e32 v30, v31, v30
	v_add_f32_e32 v34, v33, v30
	v_mul_f32_e32 v144, v34, v34
	v_mov_b32_e32 v32, 0x3ecc95a3
	v_fmac_f32_e32 v32, 0x3e9b6dac, v144
	v_mov_b32_e32 v31, 0x3f2aaada
	v_fmac_f32_e32 v31, v144, v32
	v_cvt_f32_i32_e32 v32, v146
	v_sub_f32_e32 v33, v34, v33
	v_sub_f32_e32 v30, v30, v33
	v_ldexp_f32 v145, v30, 1
	v_mul_f32_e32 v33, v34, v144
	v_mov_b32_e32 v30, 0x3f317218
	s_mov_b32 s13, 0x3f317218
	v_pk_mul_f32 v[30:31], v[32:33], v[30:31]
	v_ldexp_f32 v35, v34, 1
	v_fma_f32 v34, v32, s13, -v30
	v_fmac_f32_e32 v34, 0xb102e308, v32
	v_pk_add_f32 v[32:33], v[30:31], v[34:35]
	v_sub_f32_e32 v35, v33, v35
	v_sub_f32_e32 v35, v31, v35
	v_add_f32_e32 v145, v145, v35
	v_mov_b32_e32 v144, v30
	v_pk_add_f32 v[30:31], v[32:33], v[30:31] neg_lo:[0,1] neg_hi:[0,1]
	v_pk_add_f32 v[146:147], v[32:33], v[144:145]
	v_mov_b32_e32 v31, v147
	v_mov_b32_e32 v35, v32
	v_pk_add_f32 v[148:149], v[34:35], v[30:31] neg_lo:[0,1] neg_hi:[0,1]
	v_pk_add_f32 v[30:31], v[34:35], v[30:31]
	v_mov_b32_e32 v34, v31
	v_pk_add_f32 v[150:151], v[34:35], v[32:33] neg_lo:[0,1] neg_hi:[0,1]
	v_mov_b32_e32 v35, v150
	v_pk_add_f32 v[160:161], v[146:147], v[34:35] neg_lo:[0,1] neg_hi:[0,1]
	v_mov_b32_e32 v30, v147
	v_mov_b32_e32 v146, v33
	;; [unrolled: 1-line block ×4, first 2 shown]
	v_pk_add_f32 v[30:31], v[30:31], v[146:147] neg_lo:[0,1] neg_hi:[0,1]
	v_mov_b32_e32 v144, v145
	v_mov_b32_e32 v145, v32
	v_pk_add_f32 v[30:31], v[144:145], v[30:31] neg_lo:[0,1] neg_hi:[0,1]
	v_mov_b32_e32 v160, v148
	v_pk_add_f32 v[32:33], v[160:161], v[30:31]
	v_mov_b32_e32 v144, v33
	v_pk_add_f32 v[144:145], v[32:33], v[144:145]
	v_pk_add_f32 v[34:35], v[34:35], v[144:145]
	v_mov_b32_e32 v33, v34
	v_pk_add_f32 v[146:147], v[32:33], v[148:149] neg_lo:[0,1] neg_hi:[0,1]
	v_mov_b32_e32 v31, v144
	v_sub_f32_e32 v32, v32, v146
	v_pk_add_f32 v[30:31], v[30:31], v[146:147] neg_lo:[0,1] neg_hi:[0,1]
	v_sub_f32_e32 v32, v148, v32
	s_mov_b32 s64, 0x7f800000
	v_add_f32_e32 v30, v30, v32
	s_mov_b32 s13, 0x33800000
	v_add_f32_e32 v30, v30, v31
	v_cmp_eq_f32_e32 vcc, s64, v162
	v_cmp_lt_f32_e64 s[64:65], |v162|, s13
	v_add_f32_e32 v30, v34, v30
	s_or_b64 vcc, vcc, s[64:65]
	v_cndmask_b32_e32 v30, v30, v162, vcc
	v_add_f32_e32 v30, v26, v30
.LBB444_114:
	s_or_b64 exec, exec, s[56:57]
	v_bfe_u32 v26, v30, 16, 1
	s_movk_i32 s13, 0x7fff
	v_add3_u32 v26, v30, v26, s13
	v_lshrrev_b32_e32 v26, 16, v26
	v_mov_b32_e32 v31, 0x7fc0
	v_cmp_o_f32_e32 vcc, v30, v30
	v_cndmask_b32_e32 v30, v31, v26, vcc
	v_and_b32_e32 v31, 0xffff, v30
.LBB444_115:
	s_or_b64 exec, exec, s[60:61]
	v_and_b32_e32 v32, 16, v27
	v_mov_b32_dpp v26, v31 row_bcast:15 row_mask:0xf bank_mask:0xf
	v_cmp_ne_u32_e32 vcc, 0, v32
	s_and_saveexec_b64 s[60:61], vcc
	s_cbranch_execz .LBB444_119
; %bb.116:
	v_lshlrev_b32_e32 v30, 16, v26
	v_lshlrev_b32_e32 v26, 16, v31
	v_max_f32_e32 v32, v26, v26
	v_max_f32_e32 v33, v30, v30
	v_min_f32_e32 v31, v33, v32
	v_cmp_u_f32_e32 vcc, v30, v30
	v_max_f32_e32 v32, v33, v32
	v_cndmask_b32_e32 v31, v31, v30, vcc
	v_cmp_u_f32_e64 s[56:57], v26, v26
	v_cndmask_b32_e32 v32, v32, v30, vcc
	v_cndmask_b32_e64 v31, v31, v26, s[56:57]
	v_cndmask_b32_e64 v26, v32, v26, s[56:57]
	s_movk_i32 s13, 0x1f8
	v_cmp_neq_f32_e32 vcc, v31, v26
	v_cmp_class_f32_e64 s[56:57], v31, s13
	s_or_b64 vcc, vcc, s[56:57]
	s_and_saveexec_b64 s[56:57], vcc
	s_cbranch_execz .LBB444_118
; %bb.117:
	v_sub_f32_e32 v30, v31, v26
	s_mov_b32 s13, 0x3fb8aa3b
	v_mul_f32_e32 v31, 0x3fb8aa3b, v30
	v_fma_f32 v32, v30, s13, -v31
	v_rndne_f32_e32 v33, v31
	v_fmac_f32_e32 v32, 0x32a5705f, v30
	v_sub_f32_e32 v31, v31, v33
	v_add_f32_e32 v31, v31, v32
	v_exp_f32_e32 v31, v31
	v_cvt_i32_f32_e32 v32, v33
	s_mov_b32 s13, 0xc2ce8ed0
	v_cmp_ngt_f32_e32 vcc, s13, v30
	s_mov_b32 s13, 0x42b17218
	v_ldexp_f32 v31, v31, v32
	v_cndmask_b32_e32 v31, 0, v31, vcc
	v_mov_b32_e32 v32, 0x7f800000
	v_cmp_nlt_f32_e32 vcc, s13, v30
	v_cndmask_b32_e32 v162, v32, v31, vcc
	v_add_f32_e32 v32, 1.0, v162
	v_add_f32_e32 v30, -1.0, v32
	v_sub_f32_e32 v31, v30, v32
	v_add_f32_e32 v31, 1.0, v31
	v_sub_f32_e32 v30, v162, v30
	v_add_f32_e32 v33, v30, v31
	v_frexp_mant_f32_e32 v34, v32
	s_mov_b32 s13, 0x3f2aaaab
	v_cvt_f64_f32_e32 v[30:31], v32
	v_frexp_exp_i32_f64_e32 v30, v[30:31]
	v_cmp_gt_f32_e32 vcc, s13, v34
	v_subbrev_co_u32_e32 v146, vcc, 0, v30, vcc
	v_sub_u32_e32 v30, 0, v146
	v_ldexp_f32 v31, v32, v30
	v_add_f32_e32 v32, -1.0, v31
	v_add_f32_e32 v34, 1.0, v31
	v_ldexp_f32 v30, v33, v30
	v_add_f32_e32 v33, 1.0, v32
	v_add_f32_e32 v35, -1.0, v34
	v_sub_f32_e32 v33, v31, v33
	v_sub_f32_e32 v31, v31, v35
	v_add_f32_e32 v33, v30, v33
	v_add_f32_e32 v30, v30, v31
	;; [unrolled: 1-line block ×3, first 2 shown]
	v_rcp_f32_e32 v149, v147
	v_sub_f32_e32 v31, v34, v147
	v_add_f32_e32 v148, v30, v31
	v_add_f32_e32 v31, v32, v33
	v_mul_f32_e32 v151, v31, v149
	v_sub_f32_e32 v30, v32, v31
	v_mul_f32_e32 v32, v147, v151
	v_fma_f32 v34, v151, v147, -v32
	v_fmac_f32_e32 v34, v151, v148
	v_add_f32_e32 v150, v33, v30
	v_add_f32_e32 v30, v32, v34
	v_sub_f32_e32 v33, v31, v30
	v_pk_add_f32 v[144:145], v[30:31], v[32:33] neg_lo:[0,1] neg_hi:[0,1]
	v_mov_b32_e32 v35, v30
	v_pk_add_f32 v[30:31], v[144:145], v[34:35] neg_lo:[0,1] neg_hi:[0,1]
	v_add_f32_e32 v31, v150, v31
	v_add_f32_e32 v30, v30, v31
	;; [unrolled: 1-line block ×3, first 2 shown]
	v_mul_f32_e32 v150, v149, v31
	v_mul_f32_e32 v32, v147, v150
	v_fma_f32 v34, v150, v147, -v32
	v_fmac_f32_e32 v34, v150, v148
	v_sub_f32_e32 v33, v33, v31
	v_add_f32_e32 v147, v30, v33
	v_add_f32_e32 v30, v32, v34
	v_sub_f32_e32 v33, v31, v30
	v_pk_add_f32 v[144:145], v[30:31], v[32:33] neg_lo:[0,1] neg_hi:[0,1]
	v_mov_b32_e32 v35, v30
	v_pk_add_f32 v[30:31], v[144:145], v[34:35] neg_lo:[0,1] neg_hi:[0,1]
	v_add_f32_e32 v31, v147, v31
	v_add_f32_e32 v30, v30, v31
	;; [unrolled: 1-line block ×4, first 2 shown]
	v_sub_f32_e32 v31, v33, v151
	v_mul_f32_e32 v30, v149, v30
	v_sub_f32_e32 v31, v150, v31
	v_add_f32_e32 v30, v31, v30
	v_add_f32_e32 v34, v33, v30
	v_mul_f32_e32 v144, v34, v34
	v_mov_b32_e32 v32, 0x3ecc95a3
	v_fmac_f32_e32 v32, 0x3e9b6dac, v144
	v_mov_b32_e32 v31, 0x3f2aaada
	v_fmac_f32_e32 v31, v144, v32
	v_cvt_f32_i32_e32 v32, v146
	v_sub_f32_e32 v33, v34, v33
	v_sub_f32_e32 v30, v30, v33
	v_ldexp_f32 v145, v30, 1
	v_mul_f32_e32 v33, v34, v144
	v_mov_b32_e32 v30, 0x3f317218
	s_mov_b32 s13, 0x3f317218
	v_pk_mul_f32 v[30:31], v[32:33], v[30:31]
	v_ldexp_f32 v35, v34, 1
	v_fma_f32 v34, v32, s13, -v30
	v_fmac_f32_e32 v34, 0xb102e308, v32
	v_pk_add_f32 v[32:33], v[30:31], v[34:35]
	v_sub_f32_e32 v35, v33, v35
	v_sub_f32_e32 v35, v31, v35
	v_add_f32_e32 v145, v145, v35
	v_mov_b32_e32 v144, v30
	v_pk_add_f32 v[30:31], v[32:33], v[30:31] neg_lo:[0,1] neg_hi:[0,1]
	v_pk_add_f32 v[146:147], v[32:33], v[144:145]
	v_mov_b32_e32 v31, v147
	v_mov_b32_e32 v35, v32
	v_pk_add_f32 v[148:149], v[34:35], v[30:31] neg_lo:[0,1] neg_hi:[0,1]
	v_pk_add_f32 v[30:31], v[34:35], v[30:31]
	v_mov_b32_e32 v34, v31
	v_pk_add_f32 v[150:151], v[34:35], v[32:33] neg_lo:[0,1] neg_hi:[0,1]
	v_mov_b32_e32 v35, v150
	v_pk_add_f32 v[160:161], v[146:147], v[34:35] neg_lo:[0,1] neg_hi:[0,1]
	v_mov_b32_e32 v30, v147
	v_mov_b32_e32 v146, v33
	;; [unrolled: 1-line block ×4, first 2 shown]
	v_pk_add_f32 v[30:31], v[30:31], v[146:147] neg_lo:[0,1] neg_hi:[0,1]
	v_mov_b32_e32 v144, v145
	v_mov_b32_e32 v145, v32
	v_pk_add_f32 v[30:31], v[144:145], v[30:31] neg_lo:[0,1] neg_hi:[0,1]
	v_mov_b32_e32 v160, v148
	v_pk_add_f32 v[32:33], v[160:161], v[30:31]
	v_mov_b32_e32 v144, v33
	v_pk_add_f32 v[144:145], v[32:33], v[144:145]
	v_pk_add_f32 v[34:35], v[34:35], v[144:145]
	v_mov_b32_e32 v33, v34
	v_pk_add_f32 v[146:147], v[32:33], v[148:149] neg_lo:[0,1] neg_hi:[0,1]
	v_mov_b32_e32 v31, v144
	v_sub_f32_e32 v32, v32, v146
	v_pk_add_f32 v[30:31], v[30:31], v[146:147] neg_lo:[0,1] neg_hi:[0,1]
	v_sub_f32_e32 v32, v148, v32
	s_mov_b32 s64, 0x7f800000
	v_add_f32_e32 v30, v30, v32
	s_mov_b32 s13, 0x33800000
	v_add_f32_e32 v30, v30, v31
	v_cmp_eq_f32_e32 vcc, s64, v162
	v_cmp_lt_f32_e64 s[64:65], |v162|, s13
	v_add_f32_e32 v30, v34, v30
	s_or_b64 vcc, vcc, s[64:65]
	v_cndmask_b32_e32 v30, v30, v162, vcc
	v_add_f32_e32 v30, v26, v30
.LBB444_118:
	s_or_b64 exec, exec, s[56:57]
	v_bfe_u32 v26, v30, 16, 1
	s_movk_i32 s13, 0x7fff
	v_add3_u32 v26, v30, v26, s13
	v_lshrrev_b32_e32 v26, 16, v26
	v_mov_b32_e32 v31, 0x7fc0
	v_cmp_o_f32_e32 vcc, v30, v30
	v_cndmask_b32_e32 v30, v31, v26, vcc
	v_and_b32_e32 v31, 0xffff, v30
.LBB444_119:
	s_or_b64 exec, exec, s[60:61]
	s_nop 0
	v_mov_b32_dpp v26, v31 row_bcast:31 row_mask:0xf bank_mask:0xf
	v_cmp_lt_u32_e32 vcc, 31, v27
	s_and_saveexec_b64 s[60:61], vcc
	s_cbranch_execz .LBB444_123
; %bb.120:
	v_lshlrev_b32_e32 v30, 16, v26
	v_lshlrev_b32_e32 v26, 16, v31
	v_max_f32_e32 v32, v26, v26
	v_max_f32_e32 v33, v30, v30
	v_min_f32_e32 v31, v33, v32
	v_cmp_u_f32_e32 vcc, v30, v30
	v_max_f32_e32 v32, v33, v32
	v_cndmask_b32_e32 v31, v31, v30, vcc
	v_cmp_u_f32_e64 s[56:57], v26, v26
	v_cndmask_b32_e32 v32, v32, v30, vcc
	v_cndmask_b32_e64 v31, v31, v26, s[56:57]
	v_cndmask_b32_e64 v26, v32, v26, s[56:57]
	s_movk_i32 s13, 0x1f8
	v_cmp_neq_f32_e32 vcc, v31, v26
	v_cmp_class_f32_e64 s[56:57], v31, s13
	s_or_b64 vcc, vcc, s[56:57]
	s_and_saveexec_b64 s[56:57], vcc
	s_cbranch_execz .LBB444_122
; %bb.121:
	v_sub_f32_e32 v30, v31, v26
	s_mov_b32 s13, 0x3fb8aa3b
	v_mul_f32_e32 v31, 0x3fb8aa3b, v30
	v_fma_f32 v32, v30, s13, -v31
	v_rndne_f32_e32 v33, v31
	v_fmac_f32_e32 v32, 0x32a5705f, v30
	v_sub_f32_e32 v31, v31, v33
	v_add_f32_e32 v31, v31, v32
	v_exp_f32_e32 v31, v31
	v_cvt_i32_f32_e32 v32, v33
	s_mov_b32 s13, 0xc2ce8ed0
	v_cmp_ngt_f32_e32 vcc, s13, v30
	s_mov_b32 s13, 0x42b17218
	v_ldexp_f32 v31, v31, v32
	v_cndmask_b32_e32 v31, 0, v31, vcc
	v_mov_b32_e32 v32, 0x7f800000
	v_cmp_nlt_f32_e32 vcc, s13, v30
	v_cndmask_b32_e32 v162, v32, v31, vcc
	v_add_f32_e32 v32, 1.0, v162
	v_add_f32_e32 v30, -1.0, v32
	v_sub_f32_e32 v31, v30, v32
	v_add_f32_e32 v31, 1.0, v31
	v_sub_f32_e32 v30, v162, v30
	v_add_f32_e32 v33, v30, v31
	v_frexp_mant_f32_e32 v34, v32
	s_mov_b32 s13, 0x3f2aaaab
	v_cvt_f64_f32_e32 v[30:31], v32
	v_frexp_exp_i32_f64_e32 v30, v[30:31]
	v_cmp_gt_f32_e32 vcc, s13, v34
	v_subbrev_co_u32_e32 v146, vcc, 0, v30, vcc
	v_sub_u32_e32 v30, 0, v146
	v_ldexp_f32 v31, v32, v30
	v_add_f32_e32 v32, -1.0, v31
	v_add_f32_e32 v34, 1.0, v31
	v_ldexp_f32 v30, v33, v30
	v_add_f32_e32 v33, 1.0, v32
	v_add_f32_e32 v35, -1.0, v34
	v_sub_f32_e32 v33, v31, v33
	v_sub_f32_e32 v31, v31, v35
	v_add_f32_e32 v33, v30, v33
	v_add_f32_e32 v30, v30, v31
	;; [unrolled: 1-line block ×3, first 2 shown]
	v_rcp_f32_e32 v149, v147
	v_sub_f32_e32 v31, v34, v147
	v_add_f32_e32 v148, v30, v31
	v_add_f32_e32 v31, v32, v33
	v_mul_f32_e32 v151, v31, v149
	v_sub_f32_e32 v30, v32, v31
	v_mul_f32_e32 v32, v147, v151
	v_fma_f32 v34, v151, v147, -v32
	v_fmac_f32_e32 v34, v151, v148
	v_add_f32_e32 v150, v33, v30
	v_add_f32_e32 v30, v32, v34
	v_sub_f32_e32 v33, v31, v30
	v_pk_add_f32 v[144:145], v[30:31], v[32:33] neg_lo:[0,1] neg_hi:[0,1]
	v_mov_b32_e32 v35, v30
	v_pk_add_f32 v[30:31], v[144:145], v[34:35] neg_lo:[0,1] neg_hi:[0,1]
	v_add_f32_e32 v31, v150, v31
	v_add_f32_e32 v30, v30, v31
	;; [unrolled: 1-line block ×3, first 2 shown]
	v_mul_f32_e32 v150, v149, v31
	v_mul_f32_e32 v32, v147, v150
	v_fma_f32 v34, v150, v147, -v32
	v_fmac_f32_e32 v34, v150, v148
	v_sub_f32_e32 v33, v33, v31
	v_add_f32_e32 v147, v30, v33
	v_add_f32_e32 v30, v32, v34
	v_sub_f32_e32 v33, v31, v30
	v_pk_add_f32 v[144:145], v[30:31], v[32:33] neg_lo:[0,1] neg_hi:[0,1]
	v_mov_b32_e32 v35, v30
	v_pk_add_f32 v[30:31], v[144:145], v[34:35] neg_lo:[0,1] neg_hi:[0,1]
	v_add_f32_e32 v31, v147, v31
	v_add_f32_e32 v30, v30, v31
	;; [unrolled: 1-line block ×4, first 2 shown]
	v_sub_f32_e32 v31, v33, v151
	v_mul_f32_e32 v30, v149, v30
	v_sub_f32_e32 v31, v150, v31
	v_add_f32_e32 v30, v31, v30
	v_add_f32_e32 v34, v33, v30
	v_mul_f32_e32 v144, v34, v34
	v_mov_b32_e32 v32, 0x3ecc95a3
	v_fmac_f32_e32 v32, 0x3e9b6dac, v144
	v_mov_b32_e32 v31, 0x3f2aaada
	v_fmac_f32_e32 v31, v144, v32
	v_cvt_f32_i32_e32 v32, v146
	v_sub_f32_e32 v33, v34, v33
	v_sub_f32_e32 v30, v30, v33
	v_ldexp_f32 v145, v30, 1
	v_mul_f32_e32 v33, v34, v144
	v_mov_b32_e32 v30, 0x3f317218
	s_mov_b32 s13, 0x3f317218
	v_pk_mul_f32 v[30:31], v[32:33], v[30:31]
	v_ldexp_f32 v35, v34, 1
	v_fma_f32 v34, v32, s13, -v30
	v_fmac_f32_e32 v34, 0xb102e308, v32
	v_pk_add_f32 v[32:33], v[30:31], v[34:35]
	v_sub_f32_e32 v35, v33, v35
	v_sub_f32_e32 v35, v31, v35
	v_add_f32_e32 v145, v145, v35
	v_mov_b32_e32 v144, v30
	v_pk_add_f32 v[30:31], v[32:33], v[30:31] neg_lo:[0,1] neg_hi:[0,1]
	v_pk_add_f32 v[146:147], v[32:33], v[144:145]
	v_mov_b32_e32 v31, v147
	v_mov_b32_e32 v35, v32
	v_pk_add_f32 v[148:149], v[34:35], v[30:31] neg_lo:[0,1] neg_hi:[0,1]
	v_pk_add_f32 v[30:31], v[34:35], v[30:31]
	v_mov_b32_e32 v34, v31
	v_pk_add_f32 v[150:151], v[34:35], v[32:33] neg_lo:[0,1] neg_hi:[0,1]
	v_mov_b32_e32 v35, v150
	v_pk_add_f32 v[160:161], v[146:147], v[34:35] neg_lo:[0,1] neg_hi:[0,1]
	v_mov_b32_e32 v30, v147
	v_mov_b32_e32 v146, v33
	v_mov_b32_e32 v147, v150
	v_mov_b32_e32 v149, v31
	v_pk_add_f32 v[30:31], v[30:31], v[146:147] neg_lo:[0,1] neg_hi:[0,1]
	v_mov_b32_e32 v144, v145
	v_mov_b32_e32 v145, v32
	v_pk_add_f32 v[30:31], v[144:145], v[30:31] neg_lo:[0,1] neg_hi:[0,1]
	v_mov_b32_e32 v160, v148
	v_pk_add_f32 v[32:33], v[160:161], v[30:31]
	v_mov_b32_e32 v144, v33
	v_pk_add_f32 v[144:145], v[32:33], v[144:145]
	v_pk_add_f32 v[34:35], v[34:35], v[144:145]
	v_mov_b32_e32 v33, v34
	v_pk_add_f32 v[146:147], v[32:33], v[148:149] neg_lo:[0,1] neg_hi:[0,1]
	v_mov_b32_e32 v31, v144
	v_sub_f32_e32 v32, v32, v146
	v_pk_add_f32 v[30:31], v[30:31], v[146:147] neg_lo:[0,1] neg_hi:[0,1]
	v_sub_f32_e32 v32, v148, v32
	s_mov_b32 s64, 0x7f800000
	v_add_f32_e32 v30, v30, v32
	s_mov_b32 s13, 0x33800000
	v_add_f32_e32 v30, v30, v31
	v_cmp_eq_f32_e32 vcc, s64, v162
	v_cmp_lt_f32_e64 s[64:65], |v162|, s13
	v_add_f32_e32 v30, v34, v30
	s_or_b64 vcc, vcc, s[64:65]
	v_cndmask_b32_e32 v30, v30, v162, vcc
	v_add_f32_e32 v30, v26, v30
.LBB444_122:
	s_or_b64 exec, exec, s[56:57]
	v_bfe_u32 v26, v30, 16, 1
	s_movk_i32 s13, 0x7fff
	v_add3_u32 v26, v30, v26, s13
	v_lshrrev_b32_e32 v26, 16, v26
	v_mov_b32_e32 v31, 0x7fc0
	v_cmp_o_f32_e32 vcc, v30, v30
	v_cndmask_b32_e32 v30, v31, v26, vcc
.LBB444_123:
	s_or_b64 exec, exec, s[60:61]
	v_cmp_eq_u32_e32 vcc, 63, v0
	s_and_saveexec_b64 s[56:57], vcc
	s_cbranch_execz .LBB444_125
; %bb.124:
	v_mov_b32_e32 v26, 0
	ds_write_b16 v26, v30
.LBB444_125:
	s_or_b64 exec, exec, s[56:57]
	v_and_b32_e32 v26, 0xffff, v30
	v_add_u32_e32 v30, -1, v27
	v_and_b32_e32 v31, 64, v27
	v_cmp_lt_i32_e32 vcc, v30, v31
	v_cndmask_b32_e32 v30, v30, v27, vcc
	v_lshlrev_b32_e32 v30, 2, v30
	ds_bpermute_b32 v144, v30, v26
	v_cmp_gt_u32_e32 vcc, 64, v0
	s_waitcnt lgkmcnt(0)
	; wave barrier
	s_waitcnt lgkmcnt(0)
	s_and_saveexec_b64 s[64:65], vcc
	s_cbranch_execz .LBB444_196
; %bb.126:
	v_mov_b32_e32 v31, 0
	ds_read_u16 v145, v31
	s_mov_b32 vcc_hi, 0
	v_cmp_eq_u32_e64 s[56:57], 0, v27
	s_and_saveexec_b64 s[60:61], s[56:57]
	s_cbranch_execz .LBB444_128
; %bb.127:
	s_add_i32 vcc_lo, s12, 64
	s_lshl_b64 vcc, vcc, 2
	v_mov_b32_e32 v26, vcc_hi
	v_add_co_u32_e32 v32, vcc, vcc_lo, v24
	v_addc_co_u32_e32 v33, vcc, v25, v26, vcc
	s_waitcnt lgkmcnt(0)
	v_or_b32_e32 v26, 0x10000, v145
	flat_store_dword v[32:33], v26
.LBB444_128:
	s_or_b64 exec, exec, s[60:61]
	v_xad_u32 v26, v27, -1, s12
	v_add_u32_e32 v30, 64, v26
	v_lshlrev_b64 v[32:33], 2, v[30:31]
	v_add_co_u32_e32 v32, vcc, v24, v32
	v_addc_co_u32_e32 v33, vcc, v25, v33, vcc
	flat_load_dword v34, v[32:33] glc
	s_waitcnt vmcnt(0) lgkmcnt(0)
	v_lshrrev_b32_e32 v146, 16, v34
	v_cmp_eq_u16_sdwa s[60:61], v146, v31 src0_sel:BYTE_0 src1_sel:DWORD
	s_and_saveexec_b64 vcc, s[60:61]
	s_cbranch_execz .LBB444_132
; %bb.129:
	s_mov_b64 s[60:61], 0
	v_mov_b32_e32 v30, 0
.LBB444_130:                            ; =>This Inner Loop Header: Depth=1
	flat_load_dword v34, v[32:33] glc
	s_waitcnt vmcnt(0) lgkmcnt(0)
	v_lshrrev_b32_e32 v146, 16, v34
	v_cmp_ne_u16_sdwa s[66:67], v146, v30 src0_sel:BYTE_0 src1_sel:DWORD
	s_or_b64 s[60:61], s[66:67], s[60:61]
	s_andn2_b64 exec, exec, s[60:61]
	s_cbranch_execnz .LBB444_130
; %bb.131:
	s_or_b64 exec, exec, s[60:61]
.LBB444_132:
	s_or_b64 exec, exec, vcc
	v_mov_b32_e32 v30, 2
	v_cmp_eq_u16_sdwa vcc, v146, v30 src0_sel:BYTE_0 src1_sel:DWORD
	v_lshlrev_b64 v[30:31], v27, -1
	v_and_b32_e32 v147, 63, v27
	v_and_b32_e32 v32, vcc_hi, v31
	v_and_b32_e32 v149, vcc_lo, v30
	v_cmp_ne_u32_e32 vcc, 63, v147
	v_addc_co_u32_e32 v35, vcc, 0, v27, vcc
	v_and_b32_e32 v33, 0xffff, v34
	v_lshlrev_b32_e32 v148, 2, v35
	v_or_b32_e32 v32, 0x80000000, v32
	ds_bpermute_b32 v35, v148, v33
	v_ffbl_b32_e32 v32, v32
	v_add_u32_e32 v32, 32, v32
	v_ffbl_b32_e32 v149, v149
	v_min_u32_e32 v32, v149, v32
	v_cmp_lt_u32_e32 vcc, v147, v32
	s_and_saveexec_b64 s[66:67], vcc
	s_cbranch_execz .LBB444_136
; %bb.133:
	s_waitcnt lgkmcnt(0)
	v_lshlrev_b32_e32 v34, 16, v35
	v_lshlrev_b32_e32 v33, 16, v33
	v_max_f32_e32 v149, v33, v33
	v_max_f32_e32 v150, v34, v34
	v_min_f32_e32 v35, v150, v149
	v_cmp_u_f32_e32 vcc, v34, v34
	v_max_f32_e32 v149, v150, v149
	v_cndmask_b32_e32 v35, v35, v34, vcc
	v_cmp_u_f32_e64 s[60:61], v33, v33
	v_cndmask_b32_e32 v149, v149, v34, vcc
	v_cndmask_b32_e64 v35, v35, v33, s[60:61]
	v_cndmask_b32_e64 v33, v149, v33, s[60:61]
	s_movk_i32 s13, 0x1f8
	v_cmp_neq_f32_e32 vcc, v35, v33
	v_cmp_class_f32_e64 s[60:61], v35, s13
	s_or_b64 vcc, vcc, s[60:61]
	s_and_saveexec_b64 s[60:61], vcc
	s_cbranch_execz .LBB444_135
; %bb.134:
	v_sub_f32_e32 v34, v35, v33
	s_mov_b32 s13, 0x3fb8aa3b
	v_mul_f32_e32 v35, 0x3fb8aa3b, v34
	v_fma_f32 v149, v34, s13, -v35
	v_rndne_f32_e32 v150, v35
	v_fmac_f32_e32 v149, 0x32a5705f, v34
	v_sub_f32_e32 v35, v35, v150
	v_add_f32_e32 v35, v35, v149
	v_exp_f32_e32 v35, v35
	v_cvt_i32_f32_e32 v149, v150
	s_mov_b32 s13, 0xc2ce8ed0
	v_cmp_ngt_f32_e32 vcc, s13, v34
	s_mov_b32 s13, 0x42b17218
	v_ldexp_f32 v35, v35, v149
	v_cndmask_b32_e32 v35, 0, v35, vcc
	v_mov_b32_e32 v149, 0x7f800000
	v_cmp_nlt_f32_e32 vcc, s13, v34
	v_cndmask_b32_e32 v180, v149, v35, vcc
	v_add_f32_e32 v149, 1.0, v180
	v_add_f32_e32 v34, -1.0, v149
	v_sub_f32_e32 v35, v34, v149
	v_add_f32_e32 v35, 1.0, v35
	v_sub_f32_e32 v34, v180, v34
	v_add_f32_e32 v150, v34, v35
	v_frexp_mant_f32_e32 v151, v149
	s_mov_b32 s13, 0x3f2aaaab
	v_cvt_f64_f32_e32 v[34:35], v149
	v_frexp_exp_i32_f64_e32 v34, v[34:35]
	v_cmp_gt_f32_e32 vcc, s13, v151
	v_subbrev_co_u32_e32 v164, vcc, 0, v34, vcc
	v_sub_u32_e32 v34, 0, v164
	v_ldexp_f32 v35, v149, v34
	v_add_f32_e32 v149, -1.0, v35
	v_add_f32_e32 v151, 1.0, v35
	v_ldexp_f32 v34, v150, v34
	v_add_f32_e32 v150, 1.0, v149
	v_add_f32_e32 v160, -1.0, v151
	v_sub_f32_e32 v150, v35, v150
	v_sub_f32_e32 v35, v35, v160
	v_add_f32_e32 v150, v34, v150
	v_add_f32_e32 v34, v34, v35
	;; [unrolled: 1-line block ×3, first 2 shown]
	v_rcp_f32_e32 v167, v165
	v_sub_f32_e32 v35, v151, v165
	v_add_f32_e32 v166, v34, v35
	v_add_f32_e32 v35, v149, v150
	v_sub_f32_e32 v34, v149, v35
	v_mul_f32_e32 v176, v35, v167
	v_add_f32_e32 v149, v150, v34
	v_mul_f32_e32 v150, v165, v176
	v_fma_f32 v160, v176, v165, -v150
	v_fmac_f32_e32 v160, v176, v166
	v_add_f32_e32 v34, v150, v160
	v_sub_f32_e32 v151, v35, v34
	v_pk_add_f32 v[162:163], v[34:35], v[150:151] neg_lo:[0,1] neg_hi:[0,1]
	v_mov_b32_e32 v161, v34
	v_pk_add_f32 v[34:35], v[162:163], v[160:161] neg_lo:[0,1] neg_hi:[0,1]
	v_add_f32_e32 v35, v149, v35
	v_add_f32_e32 v34, v34, v35
	;; [unrolled: 1-line block ×3, first 2 shown]
	v_mul_f32_e32 v149, v167, v35
	v_mul_f32_e32 v150, v165, v149
	v_fma_f32 v160, v149, v165, -v150
	v_fmac_f32_e32 v160, v149, v166
	v_sub_f32_e32 v151, v151, v35
	v_add_f32_e32 v165, v34, v151
	v_add_f32_e32 v34, v150, v160
	v_sub_f32_e32 v151, v35, v34
	v_pk_add_f32 v[162:163], v[34:35], v[150:151] neg_lo:[0,1] neg_hi:[0,1]
	v_mov_b32_e32 v161, v34
	v_pk_add_f32 v[34:35], v[162:163], v[160:161] neg_lo:[0,1] neg_hi:[0,1]
	v_add_f32_e32 v35, v165, v35
	v_add_f32_e32 v34, v34, v35
	;; [unrolled: 1-line block ×4, first 2 shown]
	v_sub_f32_e32 v35, v151, v176
	v_mul_f32_e32 v34, v167, v34
	v_sub_f32_e32 v35, v149, v35
	v_add_f32_e32 v34, v35, v34
	v_add_f32_e32 v149, v151, v34
	v_mul_f32_e32 v160, v149, v149
	v_mov_b32_e32 v150, 0x3ecc95a3
	v_fmac_f32_e32 v150, 0x3e9b6dac, v160
	v_mov_b32_e32 v35, 0x3f2aaada
	v_fmac_f32_e32 v35, v160, v150
	v_cvt_f32_i32_e32 v150, v164
	v_sub_f32_e32 v151, v149, v151
	v_sub_f32_e32 v34, v34, v151
	v_ldexp_f32 v162, v34, 1
	v_mul_f32_e32 v151, v149, v160
	v_mov_b32_e32 v34, 0x3f317218
	s_mov_b32 s13, 0x3f317218
	v_pk_mul_f32 v[34:35], v[150:151], v[34:35]
	v_fma_f32 v160, v150, s13, -v34
	v_ldexp_f32 v161, v149, 1
	v_fmac_f32_e32 v160, 0xb102e308, v150
	v_pk_add_f32 v[150:151], v[34:35], v[160:161]
	v_sub_f32_e32 v149, v151, v161
	v_sub_f32_e32 v149, v35, v149
	v_add_f32_e32 v163, v162, v149
	v_mov_b32_e32 v162, v34
	v_pk_add_f32 v[34:35], v[150:151], v[34:35] neg_lo:[0,1] neg_hi:[0,1]
	v_pk_add_f32 v[164:165], v[150:151], v[162:163]
	v_mov_b32_e32 v35, v165
	v_mov_b32_e32 v161, v150
	v_pk_add_f32 v[166:167], v[160:161], v[34:35] neg_lo:[0,1] neg_hi:[0,1]
	v_pk_add_f32 v[34:35], v[160:161], v[34:35]
	v_mov_b32_e32 v160, v35
	v_pk_add_f32 v[176:177], v[160:161], v[150:151] neg_lo:[0,1] neg_hi:[0,1]
	v_mov_b32_e32 v149, v176
	v_pk_add_f32 v[178:179], v[164:165], v[148:149] neg_lo:[0,1] neg_hi:[0,1]
	v_mov_b32_e32 v34, v165
	v_mov_b32_e32 v164, v151
	;; [unrolled: 1-line block ×4, first 2 shown]
	v_pk_add_f32 v[34:35], v[34:35], v[164:165] neg_lo:[0,1] neg_hi:[0,1]
	v_mov_b32_e32 v162, v163
	v_mov_b32_e32 v163, v150
	v_pk_add_f32 v[34:35], v[162:163], v[34:35] neg_lo:[0,1] neg_hi:[0,1]
	v_mov_b32_e32 v178, v166
	v_pk_add_f32 v[150:151], v[178:179], v[34:35]
	v_mov_b32_e32 v162, v151
	v_pk_add_f32 v[162:163], v[150:151], v[162:163]
	v_pk_add_f32 v[160:161], v[160:161], v[162:163]
	v_mov_b32_e32 v151, v160
	v_pk_add_f32 v[164:165], v[150:151], v[166:167] neg_lo:[0,1] neg_hi:[0,1]
	v_mov_b32_e32 v35, v162
	v_sub_f32_e32 v149, v150, v164
	v_pk_add_f32 v[34:35], v[34:35], v[164:165] neg_lo:[0,1] neg_hi:[0,1]
	v_sub_f32_e32 v149, v166, v149
	s_mov_b32 s68, 0x7f800000
	v_add_f32_e32 v34, v34, v149
	s_mov_b32 s13, 0x33800000
	v_add_f32_e32 v34, v34, v35
	v_cmp_eq_f32_e32 vcc, s68, v180
	v_cmp_lt_f32_e64 s[68:69], |v180|, s13
	v_add_f32_e32 v34, v160, v34
	s_or_b64 vcc, vcc, s[68:69]
	v_cndmask_b32_e32 v34, v34, v180, vcc
	v_add_f32_e32 v34, v33, v34
.LBB444_135:
	s_or_b64 exec, exec, s[60:61]
	v_bfe_u32 v33, v34, 16, 1
	s_movk_i32 s13, 0x7fff
	v_add3_u32 v33, v34, v33, s13
	v_lshrrev_b32_e32 v33, 16, v33
	v_mov_b32_e32 v35, 0x7fc0
	v_cmp_o_f32_e32 vcc, v34, v34
	v_cndmask_b32_e32 v34, v35, v33, vcc
	v_and_b32_e32 v33, 0xffff, v34
.LBB444_136:
	s_or_b64 exec, exec, s[66:67]
	v_cmp_gt_u32_e32 vcc, 62, v147
	s_waitcnt lgkmcnt(0)
	v_cndmask_b32_e64 v35, 0, 1, vcc
	v_lshlrev_b32_e32 v35, 1, v35
	v_add_lshl_u32 v149, v35, v27, 2
	ds_bpermute_b32 v35, v149, v33
	v_add_u32_e32 v150, 2, v147
	v_cmp_le_u32_e32 vcc, v150, v32
	s_and_saveexec_b64 s[66:67], vcc
	s_cbranch_execz .LBB444_140
; %bb.137:
	s_waitcnt lgkmcnt(0)
	v_lshlrev_b32_e32 v34, 16, v35
	v_lshlrev_b32_e32 v33, 16, v33
	v_max_f32_e32 v151, v33, v33
	v_max_f32_e32 v160, v34, v34
	v_min_f32_e32 v35, v160, v151
	v_cmp_u_f32_e32 vcc, v34, v34
	v_max_f32_e32 v151, v160, v151
	v_cndmask_b32_e32 v35, v35, v34, vcc
	v_cmp_u_f32_e64 s[60:61], v33, v33
	v_cndmask_b32_e32 v151, v151, v34, vcc
	v_cndmask_b32_e64 v35, v35, v33, s[60:61]
	v_cndmask_b32_e64 v33, v151, v33, s[60:61]
	s_movk_i32 s13, 0x1f8
	v_cmp_neq_f32_e32 vcc, v35, v33
	v_cmp_class_f32_e64 s[60:61], v35, s13
	s_or_b64 vcc, vcc, s[60:61]
	s_and_saveexec_b64 s[60:61], vcc
	s_cbranch_execz .LBB444_139
; %bb.138:
	v_sub_f32_e32 v34, v35, v33
	s_mov_b32 s13, 0x3fb8aa3b
	v_mul_f32_e32 v35, 0x3fb8aa3b, v34
	v_fma_f32 v151, v34, s13, -v35
	v_rndne_f32_e32 v160, v35
	v_fmac_f32_e32 v151, 0x32a5705f, v34
	v_sub_f32_e32 v35, v35, v160
	v_add_f32_e32 v35, v35, v151
	v_exp_f32_e32 v35, v35
	v_cvt_i32_f32_e32 v151, v160
	s_mov_b32 s13, 0xc2ce8ed0
	v_cmp_ngt_f32_e32 vcc, s13, v34
	s_mov_b32 s13, 0x42b17218
	v_ldexp_f32 v35, v35, v151
	v_cndmask_b32_e32 v35, 0, v35, vcc
	v_mov_b32_e32 v151, 0x7f800000
	v_cmp_nlt_f32_e32 vcc, s13, v34
	v_cndmask_b32_e32 v182, v151, v35, vcc
	v_add_f32_e32 v151, 1.0, v182
	v_add_f32_e32 v34, -1.0, v151
	v_sub_f32_e32 v35, v34, v151
	v_add_f32_e32 v35, 1.0, v35
	v_sub_f32_e32 v34, v182, v34
	v_add_f32_e32 v160, v34, v35
	v_frexp_mant_f32_e32 v161, v151
	s_mov_b32 s13, 0x3f2aaaab
	v_cvt_f64_f32_e32 v[34:35], v151
	v_frexp_exp_i32_f64_e32 v34, v[34:35]
	v_cmp_gt_f32_e32 vcc, s13, v161
	v_subbrev_co_u32_e32 v166, vcc, 0, v34, vcc
	v_sub_u32_e32 v34, 0, v166
	v_ldexp_f32 v35, v151, v34
	v_add_f32_e32 v151, -1.0, v35
	v_add_f32_e32 v161, 1.0, v35
	v_ldexp_f32 v34, v160, v34
	v_add_f32_e32 v160, 1.0, v151
	v_add_f32_e32 v162, -1.0, v161
	v_sub_f32_e32 v160, v35, v160
	v_sub_f32_e32 v35, v35, v162
	v_add_f32_e32 v160, v34, v160
	v_add_f32_e32 v34, v34, v35
	;; [unrolled: 1-line block ×3, first 2 shown]
	v_rcp_f32_e32 v177, v167
	v_sub_f32_e32 v35, v161, v167
	v_add_f32_e32 v176, v34, v35
	v_add_f32_e32 v35, v151, v160
	v_sub_f32_e32 v34, v151, v35
	v_mul_f32_e32 v178, v35, v177
	v_add_f32_e32 v151, v160, v34
	v_mul_f32_e32 v160, v167, v178
	v_fma_f32 v162, v178, v167, -v160
	v_fmac_f32_e32 v162, v178, v176
	v_add_f32_e32 v34, v160, v162
	v_sub_f32_e32 v161, v35, v34
	v_pk_add_f32 v[164:165], v[34:35], v[160:161] neg_lo:[0,1] neg_hi:[0,1]
	v_mov_b32_e32 v163, v34
	v_pk_add_f32 v[34:35], v[164:165], v[162:163] neg_lo:[0,1] neg_hi:[0,1]
	v_add_f32_e32 v35, v151, v35
	v_add_f32_e32 v34, v34, v35
	;; [unrolled: 1-line block ×3, first 2 shown]
	v_mul_f32_e32 v151, v177, v35
	v_mul_f32_e32 v160, v167, v151
	v_fma_f32 v162, v151, v167, -v160
	v_fmac_f32_e32 v162, v151, v176
	v_sub_f32_e32 v161, v161, v35
	v_add_f32_e32 v167, v34, v161
	v_add_f32_e32 v34, v160, v162
	v_sub_f32_e32 v161, v35, v34
	v_pk_add_f32 v[164:165], v[34:35], v[160:161] neg_lo:[0,1] neg_hi:[0,1]
	v_mov_b32_e32 v163, v34
	v_pk_add_f32 v[34:35], v[164:165], v[162:163] neg_lo:[0,1] neg_hi:[0,1]
	v_add_f32_e32 v35, v167, v35
	v_add_f32_e32 v34, v34, v35
	;; [unrolled: 1-line block ×4, first 2 shown]
	v_sub_f32_e32 v35, v161, v178
	v_mul_f32_e32 v34, v177, v34
	v_sub_f32_e32 v35, v151, v35
	v_add_f32_e32 v34, v35, v34
	v_add_f32_e32 v151, v161, v34
	v_mul_f32_e32 v162, v151, v151
	v_mov_b32_e32 v160, 0x3ecc95a3
	v_fmac_f32_e32 v160, 0x3e9b6dac, v162
	v_mov_b32_e32 v35, 0x3f2aaada
	v_fmac_f32_e32 v35, v162, v160
	v_cvt_f32_i32_e32 v160, v166
	v_sub_f32_e32 v161, v151, v161
	v_sub_f32_e32 v34, v34, v161
	v_ldexp_f32 v164, v34, 1
	v_mul_f32_e32 v161, v151, v162
	v_mov_b32_e32 v34, 0x3f317218
	s_mov_b32 s13, 0x3f317218
	v_pk_mul_f32 v[34:35], v[160:161], v[34:35]
	v_fma_f32 v162, v160, s13, -v34
	v_ldexp_f32 v163, v151, 1
	v_fmac_f32_e32 v162, 0xb102e308, v160
	v_pk_add_f32 v[160:161], v[34:35], v[162:163]
	v_sub_f32_e32 v151, v161, v163
	v_sub_f32_e32 v151, v35, v151
	v_add_f32_e32 v165, v164, v151
	v_mov_b32_e32 v164, v34
	v_pk_add_f32 v[34:35], v[160:161], v[34:35] neg_lo:[0,1] neg_hi:[0,1]
	v_pk_add_f32 v[166:167], v[160:161], v[164:165]
	v_mov_b32_e32 v35, v167
	v_mov_b32_e32 v163, v160
	v_pk_add_f32 v[176:177], v[162:163], v[34:35] neg_lo:[0,1] neg_hi:[0,1]
	v_pk_add_f32 v[34:35], v[162:163], v[34:35]
	v_mov_b32_e32 v162, v35
	v_pk_add_f32 v[178:179], v[162:163], v[160:161] neg_lo:[0,1] neg_hi:[0,1]
	v_mov_b32_e32 v151, v178
	v_pk_add_f32 v[180:181], v[166:167], v[150:151] neg_lo:[0,1] neg_hi:[0,1]
	v_mov_b32_e32 v34, v167
	v_mov_b32_e32 v166, v161
	v_mov_b32_e32 v167, v178
	v_mov_b32_e32 v177, v35
	v_pk_add_f32 v[34:35], v[34:35], v[166:167] neg_lo:[0,1] neg_hi:[0,1]
	v_mov_b32_e32 v164, v165
	v_mov_b32_e32 v165, v160
	v_pk_add_f32 v[34:35], v[164:165], v[34:35] neg_lo:[0,1] neg_hi:[0,1]
	v_mov_b32_e32 v180, v176
	v_pk_add_f32 v[160:161], v[180:181], v[34:35]
	v_mov_b32_e32 v164, v161
	v_pk_add_f32 v[164:165], v[160:161], v[164:165]
	v_pk_add_f32 v[162:163], v[162:163], v[164:165]
	v_mov_b32_e32 v161, v162
	v_pk_add_f32 v[166:167], v[160:161], v[176:177] neg_lo:[0,1] neg_hi:[0,1]
	v_mov_b32_e32 v35, v164
	v_sub_f32_e32 v151, v160, v166
	v_pk_add_f32 v[34:35], v[34:35], v[166:167] neg_lo:[0,1] neg_hi:[0,1]
	v_sub_f32_e32 v151, v176, v151
	s_mov_b32 s68, 0x7f800000
	v_add_f32_e32 v34, v34, v151
	s_mov_b32 s13, 0x33800000
	v_add_f32_e32 v34, v34, v35
	v_cmp_eq_f32_e32 vcc, s68, v182
	v_cmp_lt_f32_e64 s[68:69], |v182|, s13
	v_add_f32_e32 v34, v162, v34
	s_or_b64 vcc, vcc, s[68:69]
	v_cndmask_b32_e32 v34, v34, v182, vcc
	v_add_f32_e32 v34, v33, v34
.LBB444_139:
	s_or_b64 exec, exec, s[60:61]
	v_bfe_u32 v33, v34, 16, 1
	s_movk_i32 s13, 0x7fff
	v_add3_u32 v33, v34, v33, s13
	v_lshrrev_b32_e32 v33, 16, v33
	v_mov_b32_e32 v35, 0x7fc0
	v_cmp_o_f32_e32 vcc, v34, v34
	v_cndmask_b32_e32 v34, v35, v33, vcc
	v_and_b32_e32 v33, 0xffff, v34
.LBB444_140:
	s_or_b64 exec, exec, s[66:67]
	v_cmp_gt_u32_e32 vcc, 60, v147
	s_waitcnt lgkmcnt(0)
	v_cndmask_b32_e64 v35, 0, 1, vcc
	v_lshlrev_b32_e32 v35, 2, v35
	v_add_lshl_u32 v151, v35, v27, 2
	ds_bpermute_b32 v35, v151, v33
	v_add_u32_e32 v160, 4, v147
	v_cmp_le_u32_e32 vcc, v160, v32
	s_and_saveexec_b64 s[66:67], vcc
	s_cbranch_execz .LBB444_144
; %bb.141:
	s_waitcnt lgkmcnt(0)
	v_lshlrev_b32_e32 v34, 16, v35
	v_lshlrev_b32_e32 v33, 16, v33
	v_max_f32_e32 v161, v33, v33
	v_max_f32_e32 v162, v34, v34
	v_min_f32_e32 v35, v162, v161
	v_cmp_u_f32_e32 vcc, v34, v34
	v_max_f32_e32 v161, v162, v161
	v_cndmask_b32_e32 v35, v35, v34, vcc
	v_cmp_u_f32_e64 s[60:61], v33, v33
	v_cndmask_b32_e32 v161, v161, v34, vcc
	v_cndmask_b32_e64 v35, v35, v33, s[60:61]
	v_cndmask_b32_e64 v33, v161, v33, s[60:61]
	s_movk_i32 s13, 0x1f8
	v_cmp_neq_f32_e32 vcc, v35, v33
	v_cmp_class_f32_e64 s[60:61], v35, s13
	s_or_b64 vcc, vcc, s[60:61]
	s_and_saveexec_b64 s[60:61], vcc
	s_cbranch_execz .LBB444_143
; %bb.142:
	v_sub_f32_e32 v34, v35, v33
	s_mov_b32 s13, 0x3fb8aa3b
	v_mul_f32_e32 v35, 0x3fb8aa3b, v34
	v_fma_f32 v161, v34, s13, -v35
	v_rndne_f32_e32 v162, v35
	v_fmac_f32_e32 v161, 0x32a5705f, v34
	v_sub_f32_e32 v35, v35, v162
	v_add_f32_e32 v35, v35, v161
	v_exp_f32_e32 v35, v35
	v_cvt_i32_f32_e32 v161, v162
	s_mov_b32 s13, 0xc2ce8ed0
	v_cmp_ngt_f32_e32 vcc, s13, v34
	s_mov_b32 s13, 0x42b17218
	v_ldexp_f32 v35, v35, v161
	v_cndmask_b32_e32 v35, 0, v35, vcc
	v_mov_b32_e32 v161, 0x7f800000
	v_cmp_nlt_f32_e32 vcc, s13, v34
	v_cndmask_b32_e32 v192, v161, v35, vcc
	v_add_f32_e32 v161, 1.0, v192
	v_add_f32_e32 v34, -1.0, v161
	v_sub_f32_e32 v35, v34, v161
	v_add_f32_e32 v35, 1.0, v35
	v_sub_f32_e32 v34, v192, v34
	v_add_f32_e32 v162, v34, v35
	v_frexp_mant_f32_e32 v163, v161
	s_mov_b32 s13, 0x3f2aaaab
	v_cvt_f64_f32_e32 v[34:35], v161
	v_frexp_exp_i32_f64_e32 v34, v[34:35]
	v_cmp_gt_f32_e32 vcc, s13, v163
	v_subbrev_co_u32_e32 v176, vcc, 0, v34, vcc
	v_sub_u32_e32 v34, 0, v176
	v_ldexp_f32 v35, v161, v34
	v_add_f32_e32 v161, -1.0, v35
	v_add_f32_e32 v163, 1.0, v35
	v_ldexp_f32 v34, v162, v34
	v_add_f32_e32 v162, 1.0, v161
	v_add_f32_e32 v164, -1.0, v163
	v_sub_f32_e32 v162, v35, v162
	v_sub_f32_e32 v35, v35, v164
	v_add_f32_e32 v162, v34, v162
	v_add_f32_e32 v34, v34, v35
	;; [unrolled: 1-line block ×3, first 2 shown]
	v_rcp_f32_e32 v179, v177
	v_sub_f32_e32 v35, v163, v177
	v_add_f32_e32 v178, v34, v35
	v_add_f32_e32 v35, v161, v162
	v_sub_f32_e32 v34, v161, v35
	v_mul_f32_e32 v180, v35, v179
	v_add_f32_e32 v161, v162, v34
	v_mul_f32_e32 v162, v177, v180
	v_fma_f32 v164, v180, v177, -v162
	v_fmac_f32_e32 v164, v180, v178
	v_add_f32_e32 v34, v162, v164
	v_sub_f32_e32 v163, v35, v34
	v_pk_add_f32 v[166:167], v[34:35], v[162:163] neg_lo:[0,1] neg_hi:[0,1]
	v_mov_b32_e32 v165, v34
	v_pk_add_f32 v[34:35], v[166:167], v[164:165] neg_lo:[0,1] neg_hi:[0,1]
	v_add_f32_e32 v35, v161, v35
	v_add_f32_e32 v34, v34, v35
	;; [unrolled: 1-line block ×3, first 2 shown]
	v_mul_f32_e32 v161, v179, v35
	v_mul_f32_e32 v162, v177, v161
	v_fma_f32 v164, v161, v177, -v162
	v_fmac_f32_e32 v164, v161, v178
	v_sub_f32_e32 v163, v163, v35
	v_add_f32_e32 v177, v34, v163
	v_add_f32_e32 v34, v162, v164
	v_sub_f32_e32 v163, v35, v34
	v_pk_add_f32 v[166:167], v[34:35], v[162:163] neg_lo:[0,1] neg_hi:[0,1]
	v_mov_b32_e32 v165, v34
	v_pk_add_f32 v[34:35], v[166:167], v[164:165] neg_lo:[0,1] neg_hi:[0,1]
	v_add_f32_e32 v35, v177, v35
	v_add_f32_e32 v34, v34, v35
	;; [unrolled: 1-line block ×4, first 2 shown]
	v_sub_f32_e32 v35, v163, v180
	v_mul_f32_e32 v34, v179, v34
	v_sub_f32_e32 v35, v161, v35
	v_add_f32_e32 v34, v35, v34
	v_add_f32_e32 v161, v163, v34
	v_mul_f32_e32 v164, v161, v161
	v_mov_b32_e32 v162, 0x3ecc95a3
	v_fmac_f32_e32 v162, 0x3e9b6dac, v164
	v_mov_b32_e32 v35, 0x3f2aaada
	v_fmac_f32_e32 v35, v164, v162
	v_cvt_f32_i32_e32 v162, v176
	v_sub_f32_e32 v163, v161, v163
	v_sub_f32_e32 v34, v34, v163
	v_ldexp_f32 v166, v34, 1
	v_mul_f32_e32 v163, v161, v164
	v_mov_b32_e32 v34, 0x3f317218
	s_mov_b32 s13, 0x3f317218
	v_pk_mul_f32 v[34:35], v[162:163], v[34:35]
	v_fma_f32 v164, v162, s13, -v34
	v_ldexp_f32 v165, v161, 1
	v_fmac_f32_e32 v164, 0xb102e308, v162
	v_pk_add_f32 v[162:163], v[34:35], v[164:165]
	v_sub_f32_e32 v161, v163, v165
	v_sub_f32_e32 v161, v35, v161
	v_add_f32_e32 v167, v166, v161
	v_mov_b32_e32 v166, v34
	v_pk_add_f32 v[34:35], v[162:163], v[34:35] neg_lo:[0,1] neg_hi:[0,1]
	v_pk_add_f32 v[176:177], v[162:163], v[166:167]
	v_mov_b32_e32 v35, v177
	v_mov_b32_e32 v165, v162
	v_pk_add_f32 v[178:179], v[164:165], v[34:35] neg_lo:[0,1] neg_hi:[0,1]
	v_pk_add_f32 v[34:35], v[164:165], v[34:35]
	v_mov_b32_e32 v164, v35
	v_pk_add_f32 v[180:181], v[164:165], v[162:163] neg_lo:[0,1] neg_hi:[0,1]
	v_mov_b32_e32 v161, v180
	v_pk_add_f32 v[182:183], v[176:177], v[160:161] neg_lo:[0,1] neg_hi:[0,1]
	v_mov_b32_e32 v34, v177
	v_mov_b32_e32 v176, v163
	;; [unrolled: 1-line block ×4, first 2 shown]
	v_pk_add_f32 v[34:35], v[34:35], v[176:177] neg_lo:[0,1] neg_hi:[0,1]
	v_mov_b32_e32 v166, v167
	v_mov_b32_e32 v167, v162
	v_pk_add_f32 v[34:35], v[166:167], v[34:35] neg_lo:[0,1] neg_hi:[0,1]
	v_mov_b32_e32 v182, v178
	v_pk_add_f32 v[162:163], v[182:183], v[34:35]
	v_mov_b32_e32 v166, v163
	v_pk_add_f32 v[166:167], v[162:163], v[166:167]
	v_pk_add_f32 v[164:165], v[164:165], v[166:167]
	v_mov_b32_e32 v163, v164
	v_pk_add_f32 v[176:177], v[162:163], v[178:179] neg_lo:[0,1] neg_hi:[0,1]
	v_mov_b32_e32 v35, v166
	v_sub_f32_e32 v161, v162, v176
	v_pk_add_f32 v[34:35], v[34:35], v[176:177] neg_lo:[0,1] neg_hi:[0,1]
	v_sub_f32_e32 v161, v178, v161
	s_mov_b32 s68, 0x7f800000
	v_add_f32_e32 v34, v34, v161
	s_mov_b32 s13, 0x33800000
	v_add_f32_e32 v34, v34, v35
	v_cmp_eq_f32_e32 vcc, s68, v192
	v_cmp_lt_f32_e64 s[68:69], |v192|, s13
	v_add_f32_e32 v34, v164, v34
	s_or_b64 vcc, vcc, s[68:69]
	v_cndmask_b32_e32 v34, v34, v192, vcc
	v_add_f32_e32 v34, v33, v34
.LBB444_143:
	s_or_b64 exec, exec, s[60:61]
	v_bfe_u32 v33, v34, 16, 1
	s_movk_i32 s13, 0x7fff
	v_add3_u32 v33, v34, v33, s13
	v_lshrrev_b32_e32 v33, 16, v33
	v_mov_b32_e32 v35, 0x7fc0
	v_cmp_o_f32_e32 vcc, v34, v34
	v_cndmask_b32_e32 v34, v35, v33, vcc
	v_and_b32_e32 v33, 0xffff, v34
.LBB444_144:
	s_or_b64 exec, exec, s[66:67]
	v_cmp_gt_u32_e32 vcc, 56, v147
	s_waitcnt lgkmcnt(0)
	v_cndmask_b32_e64 v35, 0, 1, vcc
	v_lshlrev_b32_e32 v35, 3, v35
	v_add_lshl_u32 v161, v35, v27, 2
	ds_bpermute_b32 v35, v161, v33
	v_add_u32_e32 v162, 8, v147
	v_cmp_le_u32_e32 vcc, v162, v32
	s_and_saveexec_b64 s[66:67], vcc
	s_cbranch_execz .LBB444_148
; %bb.145:
	s_waitcnt lgkmcnt(0)
	v_lshlrev_b32_e32 v34, 16, v35
	v_lshlrev_b32_e32 v33, 16, v33
	v_max_f32_e32 v163, v33, v33
	v_max_f32_e32 v164, v34, v34
	v_min_f32_e32 v35, v164, v163
	v_cmp_u_f32_e32 vcc, v34, v34
	v_max_f32_e32 v163, v164, v163
	v_cndmask_b32_e32 v35, v35, v34, vcc
	v_cmp_u_f32_e64 s[60:61], v33, v33
	v_cndmask_b32_e32 v163, v163, v34, vcc
	v_cndmask_b32_e64 v35, v35, v33, s[60:61]
	v_cndmask_b32_e64 v33, v163, v33, s[60:61]
	s_movk_i32 s13, 0x1f8
	v_cmp_neq_f32_e32 vcc, v35, v33
	v_cmp_class_f32_e64 s[60:61], v35, s13
	s_or_b64 vcc, vcc, s[60:61]
	s_and_saveexec_b64 s[60:61], vcc
	s_cbranch_execz .LBB444_147
; %bb.146:
	v_sub_f32_e32 v34, v35, v33
	s_mov_b32 s13, 0x3fb8aa3b
	v_mul_f32_e32 v35, 0x3fb8aa3b, v34
	v_fma_f32 v163, v34, s13, -v35
	v_rndne_f32_e32 v164, v35
	v_fmac_f32_e32 v163, 0x32a5705f, v34
	v_sub_f32_e32 v35, v35, v164
	v_add_f32_e32 v35, v35, v163
	v_exp_f32_e32 v35, v35
	v_cvt_i32_f32_e32 v163, v164
	s_mov_b32 s13, 0xc2ce8ed0
	v_cmp_ngt_f32_e32 vcc, s13, v34
	s_mov_b32 s13, 0x42b17218
	v_ldexp_f32 v35, v35, v163
	v_cndmask_b32_e32 v35, 0, v35, vcc
	v_mov_b32_e32 v163, 0x7f800000
	v_cmp_nlt_f32_e32 vcc, s13, v34
	v_cndmask_b32_e32 v194, v163, v35, vcc
	v_add_f32_e32 v163, 1.0, v194
	v_add_f32_e32 v34, -1.0, v163
	v_sub_f32_e32 v35, v34, v163
	v_add_f32_e32 v35, 1.0, v35
	v_sub_f32_e32 v34, v194, v34
	v_add_f32_e32 v164, v34, v35
	v_frexp_mant_f32_e32 v165, v163
	s_mov_b32 s13, 0x3f2aaaab
	v_cvt_f64_f32_e32 v[34:35], v163
	v_frexp_exp_i32_f64_e32 v34, v[34:35]
	v_cmp_gt_f32_e32 vcc, s13, v165
	v_subbrev_co_u32_e32 v178, vcc, 0, v34, vcc
	v_sub_u32_e32 v34, 0, v178
	v_ldexp_f32 v35, v163, v34
	v_add_f32_e32 v163, -1.0, v35
	v_add_f32_e32 v165, 1.0, v35
	v_ldexp_f32 v34, v164, v34
	v_add_f32_e32 v164, 1.0, v163
	v_add_f32_e32 v166, -1.0, v165
	v_sub_f32_e32 v164, v35, v164
	v_sub_f32_e32 v35, v35, v166
	v_add_f32_e32 v164, v34, v164
	v_add_f32_e32 v34, v34, v35
	;; [unrolled: 1-line block ×3, first 2 shown]
	v_rcp_f32_e32 v181, v179
	v_sub_f32_e32 v35, v165, v179
	v_add_f32_e32 v180, v34, v35
	v_add_f32_e32 v35, v163, v164
	v_sub_f32_e32 v34, v163, v35
	v_mul_f32_e32 v182, v35, v181
	v_add_f32_e32 v163, v164, v34
	v_mul_f32_e32 v164, v179, v182
	v_fma_f32 v166, v182, v179, -v164
	v_fmac_f32_e32 v166, v182, v180
	v_add_f32_e32 v34, v164, v166
	v_sub_f32_e32 v165, v35, v34
	v_pk_add_f32 v[176:177], v[34:35], v[164:165] neg_lo:[0,1] neg_hi:[0,1]
	v_mov_b32_e32 v167, v34
	v_pk_add_f32 v[34:35], v[176:177], v[166:167] neg_lo:[0,1] neg_hi:[0,1]
	v_add_f32_e32 v35, v163, v35
	v_add_f32_e32 v34, v34, v35
	;; [unrolled: 1-line block ×3, first 2 shown]
	v_mul_f32_e32 v163, v181, v35
	v_mul_f32_e32 v164, v179, v163
	v_fma_f32 v166, v163, v179, -v164
	v_fmac_f32_e32 v166, v163, v180
	v_sub_f32_e32 v165, v165, v35
	v_add_f32_e32 v179, v34, v165
	v_add_f32_e32 v34, v164, v166
	v_sub_f32_e32 v165, v35, v34
	v_pk_add_f32 v[176:177], v[34:35], v[164:165] neg_lo:[0,1] neg_hi:[0,1]
	v_mov_b32_e32 v167, v34
	v_pk_add_f32 v[34:35], v[176:177], v[166:167] neg_lo:[0,1] neg_hi:[0,1]
	v_add_f32_e32 v35, v179, v35
	v_add_f32_e32 v34, v34, v35
	;; [unrolled: 1-line block ×4, first 2 shown]
	v_sub_f32_e32 v35, v165, v182
	v_mul_f32_e32 v34, v181, v34
	v_sub_f32_e32 v35, v163, v35
	v_add_f32_e32 v34, v35, v34
	v_add_f32_e32 v163, v165, v34
	v_mul_f32_e32 v166, v163, v163
	v_mov_b32_e32 v164, 0x3ecc95a3
	v_fmac_f32_e32 v164, 0x3e9b6dac, v166
	v_mov_b32_e32 v35, 0x3f2aaada
	v_fmac_f32_e32 v35, v166, v164
	v_cvt_f32_i32_e32 v164, v178
	v_sub_f32_e32 v165, v163, v165
	v_sub_f32_e32 v34, v34, v165
	v_ldexp_f32 v176, v34, 1
	v_mul_f32_e32 v165, v163, v166
	v_mov_b32_e32 v34, 0x3f317218
	s_mov_b32 s13, 0x3f317218
	v_pk_mul_f32 v[34:35], v[164:165], v[34:35]
	v_fma_f32 v166, v164, s13, -v34
	v_ldexp_f32 v167, v163, 1
	v_fmac_f32_e32 v166, 0xb102e308, v164
	v_pk_add_f32 v[164:165], v[34:35], v[166:167]
	v_sub_f32_e32 v163, v165, v167
	v_sub_f32_e32 v163, v35, v163
	v_add_f32_e32 v177, v176, v163
	v_mov_b32_e32 v176, v34
	v_pk_add_f32 v[34:35], v[164:165], v[34:35] neg_lo:[0,1] neg_hi:[0,1]
	v_pk_add_f32 v[178:179], v[164:165], v[176:177]
	v_mov_b32_e32 v35, v179
	v_mov_b32_e32 v167, v164
	v_pk_add_f32 v[180:181], v[166:167], v[34:35] neg_lo:[0,1] neg_hi:[0,1]
	v_pk_add_f32 v[34:35], v[166:167], v[34:35]
	v_mov_b32_e32 v166, v35
	v_pk_add_f32 v[182:183], v[166:167], v[164:165] neg_lo:[0,1] neg_hi:[0,1]
	v_mov_b32_e32 v163, v182
	v_pk_add_f32 v[192:193], v[178:179], v[162:163] neg_lo:[0,1] neg_hi:[0,1]
	v_mov_b32_e32 v34, v179
	v_mov_b32_e32 v178, v165
	;; [unrolled: 1-line block ×4, first 2 shown]
	v_pk_add_f32 v[34:35], v[34:35], v[178:179] neg_lo:[0,1] neg_hi:[0,1]
	v_mov_b32_e32 v176, v177
	v_mov_b32_e32 v177, v164
	v_pk_add_f32 v[34:35], v[176:177], v[34:35] neg_lo:[0,1] neg_hi:[0,1]
	v_mov_b32_e32 v192, v180
	v_pk_add_f32 v[164:165], v[192:193], v[34:35]
	v_mov_b32_e32 v176, v165
	v_pk_add_f32 v[176:177], v[164:165], v[176:177]
	v_pk_add_f32 v[166:167], v[166:167], v[176:177]
	v_mov_b32_e32 v165, v166
	v_pk_add_f32 v[178:179], v[164:165], v[180:181] neg_lo:[0,1] neg_hi:[0,1]
	v_mov_b32_e32 v35, v176
	v_sub_f32_e32 v163, v164, v178
	v_pk_add_f32 v[34:35], v[34:35], v[178:179] neg_lo:[0,1] neg_hi:[0,1]
	v_sub_f32_e32 v163, v180, v163
	s_mov_b32 s68, 0x7f800000
	v_add_f32_e32 v34, v34, v163
	s_mov_b32 s13, 0x33800000
	v_add_f32_e32 v34, v34, v35
	v_cmp_eq_f32_e32 vcc, s68, v194
	v_cmp_lt_f32_e64 s[68:69], |v194|, s13
	v_add_f32_e32 v34, v166, v34
	s_or_b64 vcc, vcc, s[68:69]
	v_cndmask_b32_e32 v34, v34, v194, vcc
	v_add_f32_e32 v34, v33, v34
.LBB444_147:
	s_or_b64 exec, exec, s[60:61]
	v_bfe_u32 v33, v34, 16, 1
	s_movk_i32 s13, 0x7fff
	v_add3_u32 v33, v34, v33, s13
	v_lshrrev_b32_e32 v33, 16, v33
	v_mov_b32_e32 v35, 0x7fc0
	v_cmp_o_f32_e32 vcc, v34, v34
	v_cndmask_b32_e32 v34, v35, v33, vcc
	v_and_b32_e32 v33, 0xffff, v34
.LBB444_148:
	s_or_b64 exec, exec, s[66:67]
	v_cmp_gt_u32_e32 vcc, 48, v147
	s_waitcnt lgkmcnt(0)
	v_cndmask_b32_e64 v35, 0, 1, vcc
	v_lshlrev_b32_e32 v35, 4, v35
	v_add_lshl_u32 v163, v35, v27, 2
	ds_bpermute_b32 v35, v163, v33
	v_add_u32_e32 v164, 16, v147
	v_cmp_le_u32_e32 vcc, v164, v32
	s_and_saveexec_b64 s[66:67], vcc
	s_cbranch_execz .LBB444_152
; %bb.149:
	s_waitcnt lgkmcnt(0)
	v_lshlrev_b32_e32 v34, 16, v35
	v_lshlrev_b32_e32 v33, 16, v33
	v_max_f32_e32 v165, v33, v33
	v_max_f32_e32 v166, v34, v34
	v_min_f32_e32 v35, v166, v165
	v_cmp_u_f32_e32 vcc, v34, v34
	v_max_f32_e32 v165, v166, v165
	v_cndmask_b32_e32 v35, v35, v34, vcc
	v_cmp_u_f32_e64 s[60:61], v33, v33
	v_cndmask_b32_e32 v165, v165, v34, vcc
	v_cndmask_b32_e64 v35, v35, v33, s[60:61]
	v_cndmask_b32_e64 v33, v165, v33, s[60:61]
	s_movk_i32 s13, 0x1f8
	v_cmp_neq_f32_e32 vcc, v35, v33
	v_cmp_class_f32_e64 s[60:61], v35, s13
	s_or_b64 vcc, vcc, s[60:61]
	s_and_saveexec_b64 s[60:61], vcc
	s_cbranch_execz .LBB444_151
; %bb.150:
	v_sub_f32_e32 v34, v35, v33
	s_mov_b32 s13, 0x3fb8aa3b
	v_mul_f32_e32 v35, 0x3fb8aa3b, v34
	v_fma_f32 v165, v34, s13, -v35
	v_rndne_f32_e32 v166, v35
	v_fmac_f32_e32 v165, 0x32a5705f, v34
	v_sub_f32_e32 v35, v35, v166
	v_add_f32_e32 v35, v35, v165
	v_exp_f32_e32 v35, v35
	v_cvt_i32_f32_e32 v165, v166
	s_mov_b32 s13, 0xc2ce8ed0
	v_cmp_ngt_f32_e32 vcc, s13, v34
	s_mov_b32 s13, 0x42b17218
	v_ldexp_f32 v35, v35, v165
	v_cndmask_b32_e32 v35, 0, v35, vcc
	v_mov_b32_e32 v165, 0x7f800000
	v_cmp_nlt_f32_e32 vcc, s13, v34
	v_cndmask_b32_e32 v196, v165, v35, vcc
	v_add_f32_e32 v165, 1.0, v196
	v_add_f32_e32 v34, -1.0, v165
	v_sub_f32_e32 v35, v34, v165
	v_add_f32_e32 v35, 1.0, v35
	v_sub_f32_e32 v34, v196, v34
	v_add_f32_e32 v166, v34, v35
	v_frexp_mant_f32_e32 v167, v165
	s_mov_b32 s13, 0x3f2aaaab
	v_cvt_f64_f32_e32 v[34:35], v165
	v_frexp_exp_i32_f64_e32 v34, v[34:35]
	v_cmp_gt_f32_e32 vcc, s13, v167
	v_subbrev_co_u32_e32 v180, vcc, 0, v34, vcc
	v_sub_u32_e32 v34, 0, v180
	v_ldexp_f32 v35, v165, v34
	v_add_f32_e32 v165, -1.0, v35
	v_add_f32_e32 v167, 1.0, v35
	v_ldexp_f32 v34, v166, v34
	v_add_f32_e32 v166, 1.0, v165
	v_add_f32_e32 v176, -1.0, v167
	v_sub_f32_e32 v166, v35, v166
	v_sub_f32_e32 v35, v35, v176
	v_add_f32_e32 v166, v34, v166
	v_add_f32_e32 v34, v34, v35
	;; [unrolled: 1-line block ×3, first 2 shown]
	v_rcp_f32_e32 v183, v181
	v_sub_f32_e32 v35, v167, v181
	v_add_f32_e32 v182, v34, v35
	v_add_f32_e32 v35, v165, v166
	v_sub_f32_e32 v34, v165, v35
	v_mul_f32_e32 v192, v35, v183
	v_add_f32_e32 v165, v166, v34
	v_mul_f32_e32 v166, v181, v192
	v_fma_f32 v176, v192, v181, -v166
	v_fmac_f32_e32 v176, v192, v182
	v_add_f32_e32 v34, v166, v176
	v_sub_f32_e32 v167, v35, v34
	v_pk_add_f32 v[178:179], v[34:35], v[166:167] neg_lo:[0,1] neg_hi:[0,1]
	v_mov_b32_e32 v177, v34
	v_pk_add_f32 v[34:35], v[178:179], v[176:177] neg_lo:[0,1] neg_hi:[0,1]
	v_add_f32_e32 v35, v165, v35
	v_add_f32_e32 v34, v34, v35
	;; [unrolled: 1-line block ×3, first 2 shown]
	v_mul_f32_e32 v165, v183, v35
	v_mul_f32_e32 v166, v181, v165
	v_fma_f32 v176, v165, v181, -v166
	v_fmac_f32_e32 v176, v165, v182
	v_sub_f32_e32 v167, v167, v35
	v_add_f32_e32 v181, v34, v167
	v_add_f32_e32 v34, v166, v176
	v_sub_f32_e32 v167, v35, v34
	v_pk_add_f32 v[178:179], v[34:35], v[166:167] neg_lo:[0,1] neg_hi:[0,1]
	v_mov_b32_e32 v177, v34
	v_pk_add_f32 v[34:35], v[178:179], v[176:177] neg_lo:[0,1] neg_hi:[0,1]
	v_add_f32_e32 v35, v181, v35
	v_add_f32_e32 v34, v34, v35
	;; [unrolled: 1-line block ×4, first 2 shown]
	v_sub_f32_e32 v35, v167, v192
	v_mul_f32_e32 v34, v183, v34
	v_sub_f32_e32 v35, v165, v35
	v_add_f32_e32 v34, v35, v34
	v_add_f32_e32 v165, v167, v34
	v_mul_f32_e32 v176, v165, v165
	v_mov_b32_e32 v166, 0x3ecc95a3
	v_fmac_f32_e32 v166, 0x3e9b6dac, v176
	v_mov_b32_e32 v35, 0x3f2aaada
	v_fmac_f32_e32 v35, v176, v166
	v_cvt_f32_i32_e32 v166, v180
	v_sub_f32_e32 v167, v165, v167
	v_sub_f32_e32 v34, v34, v167
	v_ldexp_f32 v178, v34, 1
	v_mul_f32_e32 v167, v165, v176
	v_mov_b32_e32 v34, 0x3f317218
	s_mov_b32 s13, 0x3f317218
	v_pk_mul_f32 v[34:35], v[166:167], v[34:35]
	v_fma_f32 v176, v166, s13, -v34
	v_ldexp_f32 v177, v165, 1
	v_fmac_f32_e32 v176, 0xb102e308, v166
	v_pk_add_f32 v[166:167], v[34:35], v[176:177]
	v_sub_f32_e32 v165, v167, v177
	v_sub_f32_e32 v165, v35, v165
	v_add_f32_e32 v179, v178, v165
	v_mov_b32_e32 v178, v34
	v_pk_add_f32 v[34:35], v[166:167], v[34:35] neg_lo:[0,1] neg_hi:[0,1]
	v_pk_add_f32 v[180:181], v[166:167], v[178:179]
	v_mov_b32_e32 v35, v181
	v_mov_b32_e32 v177, v166
	v_pk_add_f32 v[182:183], v[176:177], v[34:35] neg_lo:[0,1] neg_hi:[0,1]
	v_pk_add_f32 v[34:35], v[176:177], v[34:35]
	v_mov_b32_e32 v176, v35
	v_pk_add_f32 v[192:193], v[176:177], v[166:167] neg_lo:[0,1] neg_hi:[0,1]
	v_mov_b32_e32 v165, v192
	v_pk_add_f32 v[194:195], v[180:181], v[164:165] neg_lo:[0,1] neg_hi:[0,1]
	v_mov_b32_e32 v34, v181
	v_mov_b32_e32 v180, v167
	;; [unrolled: 1-line block ×4, first 2 shown]
	v_pk_add_f32 v[34:35], v[34:35], v[180:181] neg_lo:[0,1] neg_hi:[0,1]
	v_mov_b32_e32 v178, v179
	v_mov_b32_e32 v179, v166
	v_pk_add_f32 v[34:35], v[178:179], v[34:35] neg_lo:[0,1] neg_hi:[0,1]
	v_mov_b32_e32 v194, v182
	v_pk_add_f32 v[166:167], v[194:195], v[34:35]
	v_mov_b32_e32 v178, v167
	v_pk_add_f32 v[178:179], v[166:167], v[178:179]
	v_pk_add_f32 v[176:177], v[176:177], v[178:179]
	v_mov_b32_e32 v167, v176
	v_pk_add_f32 v[180:181], v[166:167], v[182:183] neg_lo:[0,1] neg_hi:[0,1]
	v_mov_b32_e32 v35, v178
	v_sub_f32_e32 v165, v166, v180
	v_pk_add_f32 v[34:35], v[34:35], v[180:181] neg_lo:[0,1] neg_hi:[0,1]
	v_sub_f32_e32 v165, v182, v165
	s_mov_b32 s68, 0x7f800000
	v_add_f32_e32 v34, v34, v165
	s_mov_b32 s13, 0x33800000
	v_add_f32_e32 v34, v34, v35
	v_cmp_eq_f32_e32 vcc, s68, v196
	v_cmp_lt_f32_e64 s[68:69], |v196|, s13
	v_add_f32_e32 v34, v176, v34
	s_or_b64 vcc, vcc, s[68:69]
	v_cndmask_b32_e32 v34, v34, v196, vcc
	v_add_f32_e32 v34, v33, v34
.LBB444_151:
	s_or_b64 exec, exec, s[60:61]
	v_bfe_u32 v33, v34, 16, 1
	s_movk_i32 s13, 0x7fff
	v_add3_u32 v33, v34, v33, s13
	v_lshrrev_b32_e32 v33, 16, v33
	v_mov_b32_e32 v35, 0x7fc0
	v_cmp_o_f32_e32 vcc, v34, v34
	v_cndmask_b32_e32 v34, v35, v33, vcc
	v_and_b32_e32 v33, 0xffff, v34
.LBB444_152:
	s_or_b64 exec, exec, s[66:67]
	v_cmp_gt_u32_e32 vcc, 32, v147
	s_waitcnt lgkmcnt(0)
	v_cndmask_b32_e64 v35, 0, 1, vcc
	v_lshlrev_b32_e32 v35, 5, v35
	v_add_lshl_u32 v165, v35, v27, 2
	ds_bpermute_b32 v27, v165, v33
	v_add_u32_e32 v166, 32, v147
	v_cmp_le_u32_e32 vcc, v166, v32
	s_and_saveexec_b64 s[66:67], vcc
	s_cbranch_execz .LBB444_156
; %bb.153:
	s_waitcnt lgkmcnt(0)
	v_lshlrev_b32_e32 v32, 16, v27
	v_lshlrev_b32_e32 v27, 16, v33
	v_max_f32_e32 v34, v27, v27
	v_max_f32_e32 v35, v32, v32
	v_min_f32_e32 v33, v35, v34
	v_cmp_u_f32_e32 vcc, v32, v32
	v_max_f32_e32 v34, v35, v34
	v_cndmask_b32_e32 v33, v33, v32, vcc
	v_cmp_u_f32_e64 s[60:61], v27, v27
	v_cndmask_b32_e32 v34, v34, v32, vcc
	v_cndmask_b32_e64 v33, v33, v27, s[60:61]
	v_cndmask_b32_e64 v27, v34, v27, s[60:61]
	s_movk_i32 s13, 0x1f8
	v_cmp_neq_f32_e32 vcc, v33, v27
	v_cmp_class_f32_e64 s[60:61], v33, s13
	s_or_b64 vcc, vcc, s[60:61]
	s_and_saveexec_b64 s[60:61], vcc
	s_cbranch_execz .LBB444_155
; %bb.154:
	v_sub_f32_e32 v32, v33, v27
	s_mov_b32 s13, 0x3fb8aa3b
	v_mul_f32_e32 v33, 0x3fb8aa3b, v32
	v_fma_f32 v34, v32, s13, -v33
	v_rndne_f32_e32 v35, v33
	v_fmac_f32_e32 v34, 0x32a5705f, v32
	v_sub_f32_e32 v33, v33, v35
	v_add_f32_e32 v33, v33, v34
	v_exp_f32_e32 v33, v33
	v_cvt_i32_f32_e32 v34, v35
	s_mov_b32 s13, 0xc2ce8ed0
	v_cmp_ngt_f32_e32 vcc, s13, v32
	s_mov_b32 s13, 0x42b17218
	v_ldexp_f32 v33, v33, v34
	v_cndmask_b32_e32 v33, 0, v33, vcc
	v_mov_b32_e32 v34, 0x7f800000
	v_cmp_nlt_f32_e32 vcc, s13, v32
	v_cndmask_b32_e32 v196, v34, v33, vcc
	v_add_f32_e32 v34, 1.0, v196
	v_add_f32_e32 v32, -1.0, v34
	v_sub_f32_e32 v33, v32, v34
	v_add_f32_e32 v33, 1.0, v33
	v_sub_f32_e32 v32, v196, v32
	v_add_f32_e32 v35, v32, v33
	v_frexp_mant_f32_e32 v167, v34
	s_mov_b32 s13, 0x3f2aaaab
	v_cvt_f64_f32_e32 v[32:33], v34
	v_frexp_exp_i32_f64_e32 v32, v[32:33]
	v_cmp_gt_f32_e32 vcc, s13, v167
	v_subbrev_co_u32_e32 v167, vcc, 0, v32, vcc
	v_sub_u32_e32 v32, 0, v167
	v_ldexp_f32 v33, v34, v32
	v_add_f32_e32 v34, -1.0, v33
	v_add_f32_e32 v176, 1.0, v33
	v_ldexp_f32 v32, v35, v32
	v_add_f32_e32 v35, 1.0, v34
	v_add_f32_e32 v177, -1.0, v176
	v_sub_f32_e32 v35, v33, v35
	v_sub_f32_e32 v33, v33, v177
	v_add_f32_e32 v35, v32, v35
	v_add_f32_e32 v32, v32, v33
	;; [unrolled: 1-line block ×3, first 2 shown]
	v_rcp_f32_e32 v182, v180
	v_sub_f32_e32 v33, v176, v180
	v_add_f32_e32 v181, v32, v33
	v_add_f32_e32 v33, v34, v35
	v_mul_f32_e32 v192, v33, v182
	v_sub_f32_e32 v32, v34, v33
	v_mul_f32_e32 v34, v180, v192
	v_fma_f32 v176, v192, v180, -v34
	v_fmac_f32_e32 v176, v192, v181
	v_add_f32_e32 v183, v35, v32
	v_add_f32_e32 v32, v34, v176
	v_sub_f32_e32 v35, v33, v32
	v_pk_add_f32 v[178:179], v[32:33], v[34:35] neg_lo:[0,1] neg_hi:[0,1]
	v_mov_b32_e32 v177, v32
	v_pk_add_f32 v[32:33], v[178:179], v[176:177] neg_lo:[0,1] neg_hi:[0,1]
	v_add_f32_e32 v33, v183, v33
	v_add_f32_e32 v32, v32, v33
	;; [unrolled: 1-line block ×3, first 2 shown]
	v_mul_f32_e32 v183, v182, v33
	v_mul_f32_e32 v34, v180, v183
	v_fma_f32 v176, v183, v180, -v34
	v_fmac_f32_e32 v176, v183, v181
	v_sub_f32_e32 v35, v35, v33
	v_add_f32_e32 v180, v32, v35
	v_add_f32_e32 v32, v34, v176
	v_sub_f32_e32 v35, v33, v32
	v_pk_add_f32 v[178:179], v[32:33], v[34:35] neg_lo:[0,1] neg_hi:[0,1]
	v_mov_b32_e32 v177, v32
	v_pk_add_f32 v[32:33], v[178:179], v[176:177] neg_lo:[0,1] neg_hi:[0,1]
	v_add_f32_e32 v33, v180, v33
	v_add_f32_e32 v32, v32, v33
	;; [unrolled: 1-line block ×4, first 2 shown]
	v_sub_f32_e32 v33, v35, v192
	v_mul_f32_e32 v32, v182, v32
	v_sub_f32_e32 v33, v183, v33
	v_add_f32_e32 v32, v33, v32
	v_add_f32_e32 v176, v35, v32
	v_mul_f32_e32 v178, v176, v176
	v_mov_b32_e32 v34, 0x3ecc95a3
	v_fmac_f32_e32 v34, 0x3e9b6dac, v178
	v_mov_b32_e32 v33, 0x3f2aaada
	v_fmac_f32_e32 v33, v178, v34
	v_cvt_f32_i32_e32 v34, v167
	v_sub_f32_e32 v35, v176, v35
	v_sub_f32_e32 v32, v32, v35
	v_ldexp_f32 v167, v32, 1
	v_mul_f32_e32 v35, v176, v178
	v_mov_b32_e32 v32, 0x3f317218
	s_mov_b32 s13, 0x3f317218
	v_pk_mul_f32 v[32:33], v[34:35], v[32:33]
	v_ldexp_f32 v177, v176, 1
	v_fma_f32 v176, v34, s13, -v32
	v_fmac_f32_e32 v176, 0xb102e308, v34
	v_pk_add_f32 v[34:35], v[32:33], v[176:177]
	v_sub_f32_e32 v177, v35, v177
	v_sub_f32_e32 v177, v33, v177
	v_add_f32_e32 v179, v167, v177
	v_mov_b32_e32 v178, v32
	v_pk_add_f32 v[32:33], v[34:35], v[32:33] neg_lo:[0,1] neg_hi:[0,1]
	v_pk_add_f32 v[180:181], v[34:35], v[178:179]
	v_mov_b32_e32 v33, v181
	v_mov_b32_e32 v177, v34
	v_pk_add_f32 v[182:183], v[176:177], v[32:33] neg_lo:[0,1] neg_hi:[0,1]
	v_pk_add_f32 v[32:33], v[176:177], v[32:33]
	v_mov_b32_e32 v176, v33
	v_pk_add_f32 v[192:193], v[176:177], v[34:35] neg_lo:[0,1] neg_hi:[0,1]
	v_mov_b32_e32 v167, v192
	v_pk_add_f32 v[194:195], v[180:181], v[166:167] neg_lo:[0,1] neg_hi:[0,1]
	v_mov_b32_e32 v32, v181
	v_mov_b32_e32 v180, v35
	v_mov_b32_e32 v181, v192
	v_mov_b32_e32 v183, v33
	v_pk_add_f32 v[32:33], v[32:33], v[180:181] neg_lo:[0,1] neg_hi:[0,1]
	v_mov_b32_e32 v178, v179
	v_mov_b32_e32 v179, v34
	v_pk_add_f32 v[32:33], v[178:179], v[32:33] neg_lo:[0,1] neg_hi:[0,1]
	v_mov_b32_e32 v194, v182
	v_pk_add_f32 v[34:35], v[194:195], v[32:33]
	v_mov_b32_e32 v178, v35
	v_pk_add_f32 v[178:179], v[34:35], v[178:179]
	v_pk_add_f32 v[176:177], v[176:177], v[178:179]
	v_mov_b32_e32 v35, v176
	v_pk_add_f32 v[180:181], v[34:35], v[182:183] neg_lo:[0,1] neg_hi:[0,1]
	v_mov_b32_e32 v33, v178
	v_sub_f32_e32 v34, v34, v180
	v_pk_add_f32 v[32:33], v[32:33], v[180:181] neg_lo:[0,1] neg_hi:[0,1]
	v_sub_f32_e32 v34, v182, v34
	s_mov_b32 s68, 0x7f800000
	v_add_f32_e32 v32, v32, v34
	s_mov_b32 s13, 0x33800000
	v_add_f32_e32 v32, v32, v33
	v_cmp_eq_f32_e32 vcc, s68, v196
	v_cmp_lt_f32_e64 s[68:69], |v196|, s13
	v_add_f32_e32 v32, v176, v32
	s_or_b64 vcc, vcc, s[68:69]
	v_cndmask_b32_e32 v32, v32, v196, vcc
	v_add_f32_e32 v32, v27, v32
.LBB444_155:
	s_or_b64 exec, exec, s[60:61]
	v_bfe_u32 v27, v32, 16, 1
	s_movk_i32 s13, 0x7fff
	v_add3_u32 v27, v32, v27, s13
	v_lshrrev_b32_e32 v27, 16, v27
	v_mov_b32_e32 v33, 0x7fc0
	v_cmp_o_f32_e32 vcc, v32, v32
	v_cndmask_b32_e32 v34, v33, v27, vcc
.LBB444_156:
	s_or_b64 exec, exec, s[66:67]
	s_waitcnt lgkmcnt(0)
	v_mov_b32_e32 v27, 0
	s_movk_i32 s13, 0x1f8
	s_mov_b32 s68, 0x3fb8aa3b
	s_mov_b32 s69, 0xc2ce8ed0
	;; [unrolled: 1-line block ×5, first 2 shown]
	v_mov_b32_e32 v176, 0x3f2aaada
	s_mov_b32 s73, 0x3f317218
	s_mov_b32 s74, 0x33800000
	s_movk_i32 s75, 0x7fff
	v_mov_b32_e32 v177, 2
	v_mov_b32_e32 v178, 0x7f800000
	;; [unrolled: 1-line block ×4, first 2 shown]
	s_branch .LBB444_158
.LBB444_157:                            ;   in Loop: Header=BB444_158 Depth=1
                                        ; implicit-def: $vgpr34
                                        ; implicit-def: $vgpr146
	s_cbranch_execnz .LBB444_190
.LBB444_158:                            ; =>This Loop Header: Depth=1
                                        ;     Child Loop BB444_161 Depth 2
	v_cmp_ne_u16_sdwa vcc, v146, v177 src0_sel:BYTE_0 src1_sel:DWORD
	v_cndmask_b32_e64 v33, 0, 1, vcc
	;;#ASMSTART
	;;#ASMEND
	v_cmp_ne_u32_e32 vcc, 0, v33
	s_cmp_lg_u64 vcc, exec
	v_mov_b32_e32 v167, v34
	s_cbranch_scc1 .LBB444_157
; %bb.159:                              ;   in Loop: Header=BB444_158 Depth=1
	v_lshlrev_b64 v[34:35], 2, v[26:27]
	v_add_co_u32_e32 v34, vcc, v24, v34
	v_addc_co_u32_e32 v35, vcc, v25, v35, vcc
	flat_load_dword v33, v[34:35] glc
	s_waitcnt vmcnt(0) lgkmcnt(0)
	v_lshrrev_b32_e32 v146, 16, v33
	v_cmp_eq_u16_sdwa s[60:61], v146, v27 src0_sel:BYTE_0 src1_sel:DWORD
	s_and_saveexec_b64 vcc, s[60:61]
	s_cbranch_execz .LBB444_163
; %bb.160:                              ;   in Loop: Header=BB444_158 Depth=1
	s_mov_b64 s[60:61], 0
.LBB444_161:                            ;   Parent Loop BB444_158 Depth=1
                                        ; =>  This Inner Loop Header: Depth=2
	flat_load_dword v33, v[34:35] glc
	s_waitcnt vmcnt(0) lgkmcnt(0)
	v_lshrrev_b32_e32 v146, 16, v33
	v_cmp_ne_u16_sdwa s[66:67], v146, v27 src0_sel:BYTE_0 src1_sel:DWORD
	s_or_b64 s[60:61], s[66:67], s[60:61]
	s_andn2_b64 exec, exec, s[60:61]
	s_cbranch_execnz .LBB444_161
; %bb.162:                              ;   in Loop: Header=BB444_158 Depth=1
	s_or_b64 exec, exec, s[60:61]
.LBB444_163:                            ;   in Loop: Header=BB444_158 Depth=1
	s_or_b64 exec, exec, vcc
	v_cmp_eq_u16_sdwa vcc, v146, v177 src0_sel:BYTE_0 src1_sel:DWORD
	v_and_b32_e32 v34, vcc_hi, v31
	v_and_b32_e32 v35, 0xffff, v33
	v_or_b32_e32 v34, 0x80000000, v34
	ds_bpermute_b32 v180, v148, v35
	v_and_b32_e32 v181, vcc_lo, v30
	v_ffbl_b32_e32 v34, v34
	v_add_u32_e32 v34, 32, v34
	v_ffbl_b32_e32 v181, v181
	v_min_u32_e32 v34, v181, v34
	v_cmp_lt_u32_e32 vcc, v147, v34
	s_and_saveexec_b64 s[66:67], vcc
	s_cbranch_execz .LBB444_167
; %bb.164:                              ;   in Loop: Header=BB444_158 Depth=1
	s_waitcnt lgkmcnt(0)
	v_lshlrev_b32_e32 v33, 16, v180
	v_lshlrev_b32_e32 v35, 16, v35
	v_max_f32_e32 v181, v35, v35
	v_max_f32_e32 v182, v33, v33
	v_min_f32_e32 v180, v182, v181
	v_cmp_u_f32_e32 vcc, v33, v33
	v_max_f32_e32 v181, v182, v181
	v_cndmask_b32_e32 v180, v180, v33, vcc
	v_cmp_u_f32_e64 s[60:61], v35, v35
	v_cndmask_b32_e32 v181, v181, v33, vcc
	v_cndmask_b32_e64 v180, v180, v35, s[60:61]
	v_cndmask_b32_e64 v35, v181, v35, s[60:61]
	v_cmp_neq_f32_e32 vcc, v180, v35
	v_cmp_class_f32_e64 s[60:61], v180, s13
	s_or_b64 vcc, vcc, s[60:61]
	s_and_saveexec_b64 s[60:61], vcc
	s_cbranch_execz .LBB444_166
; %bb.165:                              ;   in Loop: Header=BB444_158 Depth=1
	v_sub_f32_e32 v33, v180, v35
	v_mul_f32_e32 v180, 0x3fb8aa3b, v33
	v_fma_f32 v181, v33, s68, -v180
	v_rndne_f32_e32 v182, v180
	v_fmac_f32_e32 v181, 0x32a5705f, v33
	v_sub_f32_e32 v180, v180, v182
	v_add_f32_e32 v180, v180, v181
	v_cvt_i32_f32_e32 v181, v182
	v_exp_f32_e32 v180, v180
	v_cmp_ngt_f32_e32 vcc, s69, v33
	v_ldexp_f32 v180, v180, v181
	v_cndmask_b32_e32 v180, 0, v180, vcc
	v_cmp_nlt_f32_e32 vcc, s70, v33
	v_cndmask_b32_e32 v212, v178, v180, vcc
	v_add_f32_e32 v33, 1.0, v212
	v_add_f32_e32 v180, -1.0, v33
	v_sub_f32_e32 v181, v180, v33
	v_add_f32_e32 v181, 1.0, v181
	v_sub_f32_e32 v180, v212, v180
	v_add_f32_e32 v182, v180, v181
	v_frexp_mant_f32_e32 v183, v33
	v_cvt_f64_f32_e32 v[180:181], v33
	v_frexp_exp_i32_f64_e32 v180, v[180:181]
	v_cmp_gt_f32_e32 vcc, s72, v183
	v_subbrev_co_u32_e32 v196, vcc, 0, v180, vcc
	v_sub_u32_e32 v180, 0, v196
	v_ldexp_f32 v33, v33, v180
	v_ldexp_f32 v180, v182, v180
	v_add_f32_e32 v182, -1.0, v33
	v_add_f32_e32 v181, 1.0, v182
	v_sub_f32_e32 v181, v33, v181
	v_add_f32_e32 v183, v180, v181
	v_add_f32_e32 v181, 1.0, v33
	v_add_f32_e32 v192, -1.0, v181
	v_sub_f32_e32 v33, v33, v192
	v_add_f32_e32 v33, v180, v33
	v_add_f32_e32 v197, v181, v33
	v_rcp_f32_e32 v198, v197
	v_sub_f32_e32 v180, v181, v197
	v_add_f32_e32 v181, v182, v183
	v_add_f32_e32 v33, v33, v180
	v_mul_f32_e32 v208, v181, v198
	v_sub_f32_e32 v180, v182, v181
	v_mul_f32_e32 v182, v197, v208
	v_fma_f32 v192, v208, v197, -v182
	v_fmac_f32_e32 v192, v208, v33
	v_add_f32_e32 v199, v183, v180
	v_add_f32_e32 v180, v182, v192
	v_sub_f32_e32 v183, v181, v180
	v_pk_add_f32 v[194:195], v[180:181], v[182:183] neg_lo:[0,1] neg_hi:[0,1]
	v_mov_b32_e32 v193, v180
	v_pk_add_f32 v[180:181], v[194:195], v[192:193] neg_lo:[0,1] neg_hi:[0,1]
	v_add_f32_e32 v181, v199, v181
	v_add_f32_e32 v180, v180, v181
	;; [unrolled: 1-line block ×3, first 2 shown]
	v_mul_f32_e32 v199, v198, v181
	v_mul_f32_e32 v182, v197, v199
	v_fma_f32 v192, v199, v197, -v182
	v_fmac_f32_e32 v192, v199, v33
	v_sub_f32_e32 v33, v183, v181
	v_add_f32_e32 v33, v180, v33
	v_add_f32_e32 v180, v182, v192
	v_sub_f32_e32 v183, v181, v180
	v_pk_add_f32 v[194:195], v[180:181], v[182:183] neg_lo:[0,1] neg_hi:[0,1]
	v_mov_b32_e32 v193, v180
	v_pk_add_f32 v[180:181], v[194:195], v[192:193] neg_lo:[0,1] neg_hi:[0,1]
	v_add_f32_e32 v33, v33, v181
	v_add_f32_e32 v33, v180, v33
	;; [unrolled: 1-line block ×4, first 2 shown]
	v_sub_f32_e32 v180, v181, v208
	v_mul_f32_e32 v33, v198, v33
	v_sub_f32_e32 v180, v199, v180
	v_add_f32_e32 v182, v180, v33
	v_add_f32_e32 v192, v181, v182
	v_cvt_f32_i32_e32 v180, v196
	v_mul_f32_e32 v193, v192, v192
	v_mov_b32_e32 v33, 0x3ecc95a3
	v_sub_f32_e32 v181, v192, v181
	v_fmac_f32_e32 v33, 0x3e9b6dac, v193
	v_sub_f32_e32 v181, v182, v181
	v_fma_f32 v33, v193, v33, v176
	v_ldexp_f32 v194, v181, 1
	v_mul_f32_e32 v181, v192, v193
	v_ldexp_f32 v183, v192, 1
	v_pk_mul_f32 v[192:193], v[180:181], v[32:33]
	v_fma_f32 v182, v180, s73, -v192
	v_fmac_f32_e32 v182, 0xb102e308, v180
	v_pk_add_f32 v[180:181], v[192:193], v[182:183]
	v_sub_f32_e32 v33, v181, v183
	v_sub_f32_e32 v33, v193, v33
	v_add_f32_e32 v195, v194, v33
	v_mov_b32_e32 v194, v192
	v_pk_add_f32 v[192:193], v[180:181], v[192:193] neg_lo:[0,1] neg_hi:[0,1]
	v_pk_add_f32 v[196:197], v[180:181], v[194:195]
	v_mov_b32_e32 v193, v197
	v_mov_b32_e32 v183, v180
	v_pk_add_f32 v[198:199], v[182:183], v[192:193] neg_lo:[0,1] neg_hi:[0,1]
	v_pk_add_f32 v[182:183], v[182:183], v[192:193]
	v_mov_b32_e32 v192, v183
	v_pk_add_f32 v[208:209], v[192:193], v[180:181] neg_lo:[0,1] neg_hi:[0,1]
	v_mov_b32_e32 v33, v208
	v_pk_add_f32 v[210:211], v[196:197], v[32:33] neg_lo:[0,1] neg_hi:[0,1]
	v_mov_b32_e32 v182, v197
	v_mov_b32_e32 v196, v181
	;; [unrolled: 1-line block ×4, first 2 shown]
	v_pk_add_f32 v[182:183], v[182:183], v[196:197] neg_lo:[0,1] neg_hi:[0,1]
	v_mov_b32_e32 v194, v195
	v_mov_b32_e32 v195, v180
	v_pk_add_f32 v[180:181], v[194:195], v[182:183] neg_lo:[0,1] neg_hi:[0,1]
	v_mov_b32_e32 v210, v198
	v_pk_add_f32 v[182:183], v[210:211], v[180:181]
	v_mov_b32_e32 v194, v183
	v_pk_add_f32 v[194:195], v[182:183], v[194:195]
	v_pk_add_f32 v[192:193], v[192:193], v[194:195]
	v_mov_b32_e32 v183, v192
	v_pk_add_f32 v[196:197], v[182:183], v[198:199] neg_lo:[0,1] neg_hi:[0,1]
	v_mov_b32_e32 v181, v194
	v_sub_f32_e32 v33, v182, v196
	v_pk_add_f32 v[180:181], v[180:181], v[196:197] neg_lo:[0,1] neg_hi:[0,1]
	v_sub_f32_e32 v33, v198, v33
	v_add_f32_e32 v33, v180, v33
	v_add_f32_e32 v33, v33, v181
	v_cmp_eq_f32_e32 vcc, s71, v212
	v_cmp_lt_f32_e64 s[76:77], |v212|, s74
	v_add_f32_e32 v33, v192, v33
	s_or_b64 vcc, vcc, s[76:77]
	v_cndmask_b32_e32 v33, v33, v212, vcc
	v_add_f32_e32 v33, v35, v33
.LBB444_166:                            ;   in Loop: Header=BB444_158 Depth=1
	s_or_b64 exec, exec, s[60:61]
	v_bfe_u32 v35, v33, 16, 1
	v_add3_u32 v35, v33, v35, s75
	v_lshrrev_b32_e32 v35, 16, v35
	v_cmp_o_f32_e32 vcc, v33, v33
	v_cndmask_b32_e32 v33, v179, v35, vcc
	v_and_b32_e32 v35, 0xffff, v33
.LBB444_167:                            ;   in Loop: Header=BB444_158 Depth=1
	s_or_b64 exec, exec, s[66:67]
	s_waitcnt lgkmcnt(0)
	ds_bpermute_b32 v180, v149, v35
	v_cmp_le_u32_e32 vcc, v150, v34
	s_and_saveexec_b64 s[66:67], vcc
	s_cbranch_execz .LBB444_171
; %bb.168:                              ;   in Loop: Header=BB444_158 Depth=1
	s_waitcnt lgkmcnt(0)
	v_lshlrev_b32_e32 v33, 16, v180
	v_lshlrev_b32_e32 v35, 16, v35
	v_max_f32_e32 v181, v35, v35
	v_max_f32_e32 v182, v33, v33
	v_min_f32_e32 v180, v182, v181
	v_cmp_u_f32_e32 vcc, v33, v33
	v_max_f32_e32 v181, v182, v181
	v_cndmask_b32_e32 v180, v180, v33, vcc
	v_cmp_u_f32_e64 s[60:61], v35, v35
	v_cndmask_b32_e32 v181, v181, v33, vcc
	v_cndmask_b32_e64 v180, v180, v35, s[60:61]
	v_cndmask_b32_e64 v35, v181, v35, s[60:61]
	v_cmp_neq_f32_e32 vcc, v180, v35
	v_cmp_class_f32_e64 s[60:61], v180, s13
	s_or_b64 vcc, vcc, s[60:61]
	s_and_saveexec_b64 s[60:61], vcc
	s_cbranch_execz .LBB444_170
; %bb.169:                              ;   in Loop: Header=BB444_158 Depth=1
	v_sub_f32_e32 v33, v180, v35
	v_mul_f32_e32 v180, 0x3fb8aa3b, v33
	v_fma_f32 v181, v33, s68, -v180
	v_rndne_f32_e32 v182, v180
	v_fmac_f32_e32 v181, 0x32a5705f, v33
	v_sub_f32_e32 v180, v180, v182
	v_add_f32_e32 v180, v180, v181
	v_cvt_i32_f32_e32 v181, v182
	v_exp_f32_e32 v180, v180
	v_cmp_ngt_f32_e32 vcc, s69, v33
	v_ldexp_f32 v180, v180, v181
	v_cndmask_b32_e32 v180, 0, v180, vcc
	v_cmp_nlt_f32_e32 vcc, s70, v33
	v_cndmask_b32_e32 v212, v178, v180, vcc
	v_add_f32_e32 v33, 1.0, v212
	v_add_f32_e32 v180, -1.0, v33
	v_sub_f32_e32 v181, v180, v33
	v_add_f32_e32 v181, 1.0, v181
	v_sub_f32_e32 v180, v212, v180
	v_add_f32_e32 v182, v180, v181
	v_frexp_mant_f32_e32 v183, v33
	v_cvt_f64_f32_e32 v[180:181], v33
	v_frexp_exp_i32_f64_e32 v180, v[180:181]
	v_cmp_gt_f32_e32 vcc, s72, v183
	v_subbrev_co_u32_e32 v196, vcc, 0, v180, vcc
	v_sub_u32_e32 v180, 0, v196
	v_ldexp_f32 v33, v33, v180
	v_ldexp_f32 v180, v182, v180
	v_add_f32_e32 v182, -1.0, v33
	v_add_f32_e32 v181, 1.0, v182
	v_sub_f32_e32 v181, v33, v181
	v_add_f32_e32 v183, v180, v181
	v_add_f32_e32 v181, 1.0, v33
	v_add_f32_e32 v192, -1.0, v181
	v_sub_f32_e32 v33, v33, v192
	v_add_f32_e32 v33, v180, v33
	v_add_f32_e32 v197, v181, v33
	v_rcp_f32_e32 v198, v197
	v_sub_f32_e32 v180, v181, v197
	v_add_f32_e32 v181, v182, v183
	v_add_f32_e32 v33, v33, v180
	v_mul_f32_e32 v208, v181, v198
	v_sub_f32_e32 v180, v182, v181
	v_mul_f32_e32 v182, v197, v208
	v_fma_f32 v192, v208, v197, -v182
	v_fmac_f32_e32 v192, v208, v33
	v_add_f32_e32 v199, v183, v180
	v_add_f32_e32 v180, v182, v192
	v_sub_f32_e32 v183, v181, v180
	v_pk_add_f32 v[194:195], v[180:181], v[182:183] neg_lo:[0,1] neg_hi:[0,1]
	v_mov_b32_e32 v193, v180
	v_pk_add_f32 v[180:181], v[194:195], v[192:193] neg_lo:[0,1] neg_hi:[0,1]
	v_add_f32_e32 v181, v199, v181
	v_add_f32_e32 v180, v180, v181
	;; [unrolled: 1-line block ×3, first 2 shown]
	v_mul_f32_e32 v199, v198, v181
	v_mul_f32_e32 v182, v197, v199
	v_fma_f32 v192, v199, v197, -v182
	v_fmac_f32_e32 v192, v199, v33
	v_sub_f32_e32 v33, v183, v181
	v_add_f32_e32 v33, v180, v33
	v_add_f32_e32 v180, v182, v192
	v_sub_f32_e32 v183, v181, v180
	v_pk_add_f32 v[194:195], v[180:181], v[182:183] neg_lo:[0,1] neg_hi:[0,1]
	v_mov_b32_e32 v193, v180
	v_pk_add_f32 v[180:181], v[194:195], v[192:193] neg_lo:[0,1] neg_hi:[0,1]
	v_add_f32_e32 v33, v33, v181
	v_add_f32_e32 v33, v180, v33
	;; [unrolled: 1-line block ×4, first 2 shown]
	v_sub_f32_e32 v180, v181, v208
	v_mul_f32_e32 v33, v198, v33
	v_sub_f32_e32 v180, v199, v180
	v_add_f32_e32 v182, v180, v33
	v_add_f32_e32 v192, v181, v182
	v_cvt_f32_i32_e32 v180, v196
	v_mul_f32_e32 v193, v192, v192
	v_mov_b32_e32 v33, 0x3ecc95a3
	v_sub_f32_e32 v181, v192, v181
	v_fmac_f32_e32 v33, 0x3e9b6dac, v193
	v_sub_f32_e32 v181, v182, v181
	v_fma_f32 v33, v193, v33, v176
	v_ldexp_f32 v194, v181, 1
	v_mul_f32_e32 v181, v192, v193
	v_ldexp_f32 v183, v192, 1
	v_pk_mul_f32 v[192:193], v[180:181], v[32:33]
	v_fma_f32 v182, v180, s73, -v192
	v_fmac_f32_e32 v182, 0xb102e308, v180
	v_pk_add_f32 v[180:181], v[192:193], v[182:183]
	v_sub_f32_e32 v33, v181, v183
	v_sub_f32_e32 v33, v193, v33
	v_add_f32_e32 v195, v194, v33
	v_mov_b32_e32 v194, v192
	v_pk_add_f32 v[192:193], v[180:181], v[192:193] neg_lo:[0,1] neg_hi:[0,1]
	v_pk_add_f32 v[196:197], v[180:181], v[194:195]
	v_mov_b32_e32 v193, v197
	v_mov_b32_e32 v183, v180
	v_pk_add_f32 v[198:199], v[182:183], v[192:193] neg_lo:[0,1] neg_hi:[0,1]
	v_pk_add_f32 v[182:183], v[182:183], v[192:193]
	v_mov_b32_e32 v192, v183
	v_pk_add_f32 v[208:209], v[192:193], v[180:181] neg_lo:[0,1] neg_hi:[0,1]
	v_mov_b32_e32 v33, v208
	v_pk_add_f32 v[210:211], v[196:197], v[32:33] neg_lo:[0,1] neg_hi:[0,1]
	v_mov_b32_e32 v182, v197
	v_mov_b32_e32 v196, v181
	;; [unrolled: 1-line block ×4, first 2 shown]
	v_pk_add_f32 v[182:183], v[182:183], v[196:197] neg_lo:[0,1] neg_hi:[0,1]
	v_mov_b32_e32 v194, v195
	v_mov_b32_e32 v195, v180
	v_pk_add_f32 v[180:181], v[194:195], v[182:183] neg_lo:[0,1] neg_hi:[0,1]
	v_mov_b32_e32 v210, v198
	v_pk_add_f32 v[182:183], v[210:211], v[180:181]
	v_mov_b32_e32 v194, v183
	v_pk_add_f32 v[194:195], v[182:183], v[194:195]
	v_pk_add_f32 v[192:193], v[192:193], v[194:195]
	v_mov_b32_e32 v183, v192
	v_pk_add_f32 v[196:197], v[182:183], v[198:199] neg_lo:[0,1] neg_hi:[0,1]
	v_mov_b32_e32 v181, v194
	v_sub_f32_e32 v33, v182, v196
	v_pk_add_f32 v[180:181], v[180:181], v[196:197] neg_lo:[0,1] neg_hi:[0,1]
	v_sub_f32_e32 v33, v198, v33
	v_add_f32_e32 v33, v180, v33
	v_add_f32_e32 v33, v33, v181
	v_cmp_eq_f32_e32 vcc, s71, v212
	v_cmp_lt_f32_e64 s[76:77], |v212|, s74
	v_add_f32_e32 v33, v192, v33
	s_or_b64 vcc, vcc, s[76:77]
	v_cndmask_b32_e32 v33, v33, v212, vcc
	v_add_f32_e32 v33, v35, v33
.LBB444_170:                            ;   in Loop: Header=BB444_158 Depth=1
	s_or_b64 exec, exec, s[60:61]
	v_bfe_u32 v35, v33, 16, 1
	v_add3_u32 v35, v33, v35, s75
	v_lshrrev_b32_e32 v35, 16, v35
	v_cmp_o_f32_e32 vcc, v33, v33
	v_cndmask_b32_e32 v33, v179, v35, vcc
	v_and_b32_e32 v35, 0xffff, v33
.LBB444_171:                            ;   in Loop: Header=BB444_158 Depth=1
	s_or_b64 exec, exec, s[66:67]
	s_waitcnt lgkmcnt(0)
	ds_bpermute_b32 v180, v151, v35
	v_cmp_le_u32_e32 vcc, v160, v34
	s_and_saveexec_b64 s[66:67], vcc
	s_cbranch_execz .LBB444_175
; %bb.172:                              ;   in Loop: Header=BB444_158 Depth=1
	s_waitcnt lgkmcnt(0)
	v_lshlrev_b32_e32 v33, 16, v180
	v_lshlrev_b32_e32 v35, 16, v35
	v_max_f32_e32 v181, v35, v35
	v_max_f32_e32 v182, v33, v33
	v_min_f32_e32 v180, v182, v181
	v_cmp_u_f32_e32 vcc, v33, v33
	v_max_f32_e32 v181, v182, v181
	v_cndmask_b32_e32 v180, v180, v33, vcc
	v_cmp_u_f32_e64 s[60:61], v35, v35
	v_cndmask_b32_e32 v181, v181, v33, vcc
	v_cndmask_b32_e64 v180, v180, v35, s[60:61]
	v_cndmask_b32_e64 v35, v181, v35, s[60:61]
	v_cmp_neq_f32_e32 vcc, v180, v35
	v_cmp_class_f32_e64 s[60:61], v180, s13
	s_or_b64 vcc, vcc, s[60:61]
	s_and_saveexec_b64 s[60:61], vcc
	s_cbranch_execz .LBB444_174
; %bb.173:                              ;   in Loop: Header=BB444_158 Depth=1
	v_sub_f32_e32 v33, v180, v35
	v_mul_f32_e32 v180, 0x3fb8aa3b, v33
	v_fma_f32 v181, v33, s68, -v180
	v_rndne_f32_e32 v182, v180
	v_fmac_f32_e32 v181, 0x32a5705f, v33
	v_sub_f32_e32 v180, v180, v182
	v_add_f32_e32 v180, v180, v181
	v_cvt_i32_f32_e32 v181, v182
	v_exp_f32_e32 v180, v180
	v_cmp_ngt_f32_e32 vcc, s69, v33
	v_ldexp_f32 v180, v180, v181
	v_cndmask_b32_e32 v180, 0, v180, vcc
	v_cmp_nlt_f32_e32 vcc, s70, v33
	v_cndmask_b32_e32 v212, v178, v180, vcc
	v_add_f32_e32 v33, 1.0, v212
	v_add_f32_e32 v180, -1.0, v33
	v_sub_f32_e32 v181, v180, v33
	v_add_f32_e32 v181, 1.0, v181
	v_sub_f32_e32 v180, v212, v180
	v_add_f32_e32 v182, v180, v181
	v_frexp_mant_f32_e32 v183, v33
	v_cvt_f64_f32_e32 v[180:181], v33
	v_frexp_exp_i32_f64_e32 v180, v[180:181]
	v_cmp_gt_f32_e32 vcc, s72, v183
	v_subbrev_co_u32_e32 v196, vcc, 0, v180, vcc
	v_sub_u32_e32 v180, 0, v196
	v_ldexp_f32 v33, v33, v180
	v_ldexp_f32 v180, v182, v180
	v_add_f32_e32 v182, -1.0, v33
	v_add_f32_e32 v181, 1.0, v182
	v_sub_f32_e32 v181, v33, v181
	v_add_f32_e32 v183, v180, v181
	v_add_f32_e32 v181, 1.0, v33
	v_add_f32_e32 v192, -1.0, v181
	v_sub_f32_e32 v33, v33, v192
	v_add_f32_e32 v33, v180, v33
	v_add_f32_e32 v197, v181, v33
	v_rcp_f32_e32 v198, v197
	v_sub_f32_e32 v180, v181, v197
	v_add_f32_e32 v181, v182, v183
	v_add_f32_e32 v33, v33, v180
	v_mul_f32_e32 v208, v181, v198
	v_sub_f32_e32 v180, v182, v181
	v_mul_f32_e32 v182, v197, v208
	v_fma_f32 v192, v208, v197, -v182
	v_fmac_f32_e32 v192, v208, v33
	v_add_f32_e32 v199, v183, v180
	v_add_f32_e32 v180, v182, v192
	v_sub_f32_e32 v183, v181, v180
	v_pk_add_f32 v[194:195], v[180:181], v[182:183] neg_lo:[0,1] neg_hi:[0,1]
	v_mov_b32_e32 v193, v180
	v_pk_add_f32 v[180:181], v[194:195], v[192:193] neg_lo:[0,1] neg_hi:[0,1]
	v_add_f32_e32 v181, v199, v181
	v_add_f32_e32 v180, v180, v181
	;; [unrolled: 1-line block ×3, first 2 shown]
	v_mul_f32_e32 v199, v198, v181
	v_mul_f32_e32 v182, v197, v199
	v_fma_f32 v192, v199, v197, -v182
	v_fmac_f32_e32 v192, v199, v33
	v_sub_f32_e32 v33, v183, v181
	v_add_f32_e32 v33, v180, v33
	v_add_f32_e32 v180, v182, v192
	v_sub_f32_e32 v183, v181, v180
	v_pk_add_f32 v[194:195], v[180:181], v[182:183] neg_lo:[0,1] neg_hi:[0,1]
	v_mov_b32_e32 v193, v180
	v_pk_add_f32 v[180:181], v[194:195], v[192:193] neg_lo:[0,1] neg_hi:[0,1]
	v_add_f32_e32 v33, v33, v181
	v_add_f32_e32 v33, v180, v33
	;; [unrolled: 1-line block ×4, first 2 shown]
	v_sub_f32_e32 v180, v181, v208
	v_mul_f32_e32 v33, v198, v33
	v_sub_f32_e32 v180, v199, v180
	v_add_f32_e32 v182, v180, v33
	v_add_f32_e32 v192, v181, v182
	v_cvt_f32_i32_e32 v180, v196
	v_mul_f32_e32 v193, v192, v192
	v_mov_b32_e32 v33, 0x3ecc95a3
	v_sub_f32_e32 v181, v192, v181
	v_fmac_f32_e32 v33, 0x3e9b6dac, v193
	v_sub_f32_e32 v181, v182, v181
	v_fma_f32 v33, v193, v33, v176
	v_ldexp_f32 v194, v181, 1
	v_mul_f32_e32 v181, v192, v193
	v_ldexp_f32 v183, v192, 1
	v_pk_mul_f32 v[192:193], v[180:181], v[32:33]
	v_fma_f32 v182, v180, s73, -v192
	v_fmac_f32_e32 v182, 0xb102e308, v180
	v_pk_add_f32 v[180:181], v[192:193], v[182:183]
	v_sub_f32_e32 v33, v181, v183
	v_sub_f32_e32 v33, v193, v33
	v_add_f32_e32 v195, v194, v33
	v_mov_b32_e32 v194, v192
	v_pk_add_f32 v[192:193], v[180:181], v[192:193] neg_lo:[0,1] neg_hi:[0,1]
	v_pk_add_f32 v[196:197], v[180:181], v[194:195]
	v_mov_b32_e32 v193, v197
	v_mov_b32_e32 v183, v180
	v_pk_add_f32 v[198:199], v[182:183], v[192:193] neg_lo:[0,1] neg_hi:[0,1]
	v_pk_add_f32 v[182:183], v[182:183], v[192:193]
	v_mov_b32_e32 v192, v183
	v_pk_add_f32 v[208:209], v[192:193], v[180:181] neg_lo:[0,1] neg_hi:[0,1]
	v_mov_b32_e32 v33, v208
	v_pk_add_f32 v[210:211], v[196:197], v[32:33] neg_lo:[0,1] neg_hi:[0,1]
	v_mov_b32_e32 v182, v197
	v_mov_b32_e32 v196, v181
	;; [unrolled: 1-line block ×4, first 2 shown]
	v_pk_add_f32 v[182:183], v[182:183], v[196:197] neg_lo:[0,1] neg_hi:[0,1]
	v_mov_b32_e32 v194, v195
	v_mov_b32_e32 v195, v180
	v_pk_add_f32 v[180:181], v[194:195], v[182:183] neg_lo:[0,1] neg_hi:[0,1]
	v_mov_b32_e32 v210, v198
	v_pk_add_f32 v[182:183], v[210:211], v[180:181]
	v_mov_b32_e32 v194, v183
	v_pk_add_f32 v[194:195], v[182:183], v[194:195]
	v_pk_add_f32 v[192:193], v[192:193], v[194:195]
	v_mov_b32_e32 v183, v192
	v_pk_add_f32 v[196:197], v[182:183], v[198:199] neg_lo:[0,1] neg_hi:[0,1]
	v_mov_b32_e32 v181, v194
	v_sub_f32_e32 v33, v182, v196
	v_pk_add_f32 v[180:181], v[180:181], v[196:197] neg_lo:[0,1] neg_hi:[0,1]
	v_sub_f32_e32 v33, v198, v33
	v_add_f32_e32 v33, v180, v33
	v_add_f32_e32 v33, v33, v181
	v_cmp_eq_f32_e32 vcc, s71, v212
	v_cmp_lt_f32_e64 s[76:77], |v212|, s74
	v_add_f32_e32 v33, v192, v33
	s_or_b64 vcc, vcc, s[76:77]
	v_cndmask_b32_e32 v33, v33, v212, vcc
	v_add_f32_e32 v33, v35, v33
.LBB444_174:                            ;   in Loop: Header=BB444_158 Depth=1
	s_or_b64 exec, exec, s[60:61]
	v_bfe_u32 v35, v33, 16, 1
	v_add3_u32 v35, v33, v35, s75
	v_lshrrev_b32_e32 v35, 16, v35
	v_cmp_o_f32_e32 vcc, v33, v33
	v_cndmask_b32_e32 v33, v179, v35, vcc
	v_and_b32_e32 v35, 0xffff, v33
.LBB444_175:                            ;   in Loop: Header=BB444_158 Depth=1
	s_or_b64 exec, exec, s[66:67]
	s_waitcnt lgkmcnt(0)
	ds_bpermute_b32 v180, v161, v35
	v_cmp_le_u32_e32 vcc, v162, v34
	s_and_saveexec_b64 s[66:67], vcc
	s_cbranch_execz .LBB444_179
; %bb.176:                              ;   in Loop: Header=BB444_158 Depth=1
	s_waitcnt lgkmcnt(0)
	v_lshlrev_b32_e32 v33, 16, v180
	v_lshlrev_b32_e32 v35, 16, v35
	v_max_f32_e32 v181, v35, v35
	v_max_f32_e32 v182, v33, v33
	v_min_f32_e32 v180, v182, v181
	v_cmp_u_f32_e32 vcc, v33, v33
	v_max_f32_e32 v181, v182, v181
	v_cndmask_b32_e32 v180, v180, v33, vcc
	v_cmp_u_f32_e64 s[60:61], v35, v35
	v_cndmask_b32_e32 v181, v181, v33, vcc
	v_cndmask_b32_e64 v180, v180, v35, s[60:61]
	v_cndmask_b32_e64 v35, v181, v35, s[60:61]
	v_cmp_neq_f32_e32 vcc, v180, v35
	v_cmp_class_f32_e64 s[60:61], v180, s13
	s_or_b64 vcc, vcc, s[60:61]
	s_and_saveexec_b64 s[60:61], vcc
	s_cbranch_execz .LBB444_178
; %bb.177:                              ;   in Loop: Header=BB444_158 Depth=1
	v_sub_f32_e32 v33, v180, v35
	v_mul_f32_e32 v180, 0x3fb8aa3b, v33
	v_fma_f32 v181, v33, s68, -v180
	v_rndne_f32_e32 v182, v180
	v_fmac_f32_e32 v181, 0x32a5705f, v33
	v_sub_f32_e32 v180, v180, v182
	v_add_f32_e32 v180, v180, v181
	v_cvt_i32_f32_e32 v181, v182
	v_exp_f32_e32 v180, v180
	v_cmp_ngt_f32_e32 vcc, s69, v33
	v_ldexp_f32 v180, v180, v181
	v_cndmask_b32_e32 v180, 0, v180, vcc
	v_cmp_nlt_f32_e32 vcc, s70, v33
	v_cndmask_b32_e32 v212, v178, v180, vcc
	v_add_f32_e32 v33, 1.0, v212
	v_add_f32_e32 v180, -1.0, v33
	v_sub_f32_e32 v181, v180, v33
	v_add_f32_e32 v181, 1.0, v181
	v_sub_f32_e32 v180, v212, v180
	v_add_f32_e32 v182, v180, v181
	v_frexp_mant_f32_e32 v183, v33
	v_cvt_f64_f32_e32 v[180:181], v33
	v_frexp_exp_i32_f64_e32 v180, v[180:181]
	v_cmp_gt_f32_e32 vcc, s72, v183
	v_subbrev_co_u32_e32 v196, vcc, 0, v180, vcc
	v_sub_u32_e32 v180, 0, v196
	v_ldexp_f32 v33, v33, v180
	v_ldexp_f32 v180, v182, v180
	v_add_f32_e32 v182, -1.0, v33
	v_add_f32_e32 v181, 1.0, v182
	v_sub_f32_e32 v181, v33, v181
	v_add_f32_e32 v183, v180, v181
	v_add_f32_e32 v181, 1.0, v33
	v_add_f32_e32 v192, -1.0, v181
	v_sub_f32_e32 v33, v33, v192
	v_add_f32_e32 v33, v180, v33
	v_add_f32_e32 v197, v181, v33
	v_rcp_f32_e32 v198, v197
	v_sub_f32_e32 v180, v181, v197
	v_add_f32_e32 v181, v182, v183
	v_add_f32_e32 v33, v33, v180
	v_mul_f32_e32 v208, v181, v198
	v_sub_f32_e32 v180, v182, v181
	v_mul_f32_e32 v182, v197, v208
	v_fma_f32 v192, v208, v197, -v182
	v_fmac_f32_e32 v192, v208, v33
	v_add_f32_e32 v199, v183, v180
	v_add_f32_e32 v180, v182, v192
	v_sub_f32_e32 v183, v181, v180
	v_pk_add_f32 v[194:195], v[180:181], v[182:183] neg_lo:[0,1] neg_hi:[0,1]
	v_mov_b32_e32 v193, v180
	v_pk_add_f32 v[180:181], v[194:195], v[192:193] neg_lo:[0,1] neg_hi:[0,1]
	v_add_f32_e32 v181, v199, v181
	v_add_f32_e32 v180, v180, v181
	;; [unrolled: 1-line block ×3, first 2 shown]
	v_mul_f32_e32 v199, v198, v181
	v_mul_f32_e32 v182, v197, v199
	v_fma_f32 v192, v199, v197, -v182
	v_fmac_f32_e32 v192, v199, v33
	v_sub_f32_e32 v33, v183, v181
	v_add_f32_e32 v33, v180, v33
	v_add_f32_e32 v180, v182, v192
	v_sub_f32_e32 v183, v181, v180
	v_pk_add_f32 v[194:195], v[180:181], v[182:183] neg_lo:[0,1] neg_hi:[0,1]
	v_mov_b32_e32 v193, v180
	v_pk_add_f32 v[180:181], v[194:195], v[192:193] neg_lo:[0,1] neg_hi:[0,1]
	v_add_f32_e32 v33, v33, v181
	v_add_f32_e32 v33, v180, v33
	;; [unrolled: 1-line block ×4, first 2 shown]
	v_sub_f32_e32 v180, v181, v208
	v_mul_f32_e32 v33, v198, v33
	v_sub_f32_e32 v180, v199, v180
	v_add_f32_e32 v182, v180, v33
	v_add_f32_e32 v192, v181, v182
	v_cvt_f32_i32_e32 v180, v196
	v_mul_f32_e32 v193, v192, v192
	v_mov_b32_e32 v33, 0x3ecc95a3
	v_sub_f32_e32 v181, v192, v181
	v_fmac_f32_e32 v33, 0x3e9b6dac, v193
	v_sub_f32_e32 v181, v182, v181
	v_fma_f32 v33, v193, v33, v176
	v_ldexp_f32 v194, v181, 1
	v_mul_f32_e32 v181, v192, v193
	v_ldexp_f32 v183, v192, 1
	v_pk_mul_f32 v[192:193], v[180:181], v[32:33]
	v_fma_f32 v182, v180, s73, -v192
	v_fmac_f32_e32 v182, 0xb102e308, v180
	v_pk_add_f32 v[180:181], v[192:193], v[182:183]
	v_sub_f32_e32 v33, v181, v183
	v_sub_f32_e32 v33, v193, v33
	v_add_f32_e32 v195, v194, v33
	v_mov_b32_e32 v194, v192
	v_pk_add_f32 v[192:193], v[180:181], v[192:193] neg_lo:[0,1] neg_hi:[0,1]
	v_pk_add_f32 v[196:197], v[180:181], v[194:195]
	v_mov_b32_e32 v193, v197
	v_mov_b32_e32 v183, v180
	v_pk_add_f32 v[198:199], v[182:183], v[192:193] neg_lo:[0,1] neg_hi:[0,1]
	v_pk_add_f32 v[182:183], v[182:183], v[192:193]
	v_mov_b32_e32 v192, v183
	v_pk_add_f32 v[208:209], v[192:193], v[180:181] neg_lo:[0,1] neg_hi:[0,1]
	v_mov_b32_e32 v33, v208
	v_pk_add_f32 v[210:211], v[196:197], v[32:33] neg_lo:[0,1] neg_hi:[0,1]
	v_mov_b32_e32 v182, v197
	v_mov_b32_e32 v196, v181
	;; [unrolled: 1-line block ×4, first 2 shown]
	v_pk_add_f32 v[182:183], v[182:183], v[196:197] neg_lo:[0,1] neg_hi:[0,1]
	v_mov_b32_e32 v194, v195
	v_mov_b32_e32 v195, v180
	v_pk_add_f32 v[180:181], v[194:195], v[182:183] neg_lo:[0,1] neg_hi:[0,1]
	v_mov_b32_e32 v210, v198
	v_pk_add_f32 v[182:183], v[210:211], v[180:181]
	v_mov_b32_e32 v194, v183
	v_pk_add_f32 v[194:195], v[182:183], v[194:195]
	v_pk_add_f32 v[192:193], v[192:193], v[194:195]
	v_mov_b32_e32 v183, v192
	v_pk_add_f32 v[196:197], v[182:183], v[198:199] neg_lo:[0,1] neg_hi:[0,1]
	v_mov_b32_e32 v181, v194
	v_sub_f32_e32 v33, v182, v196
	v_pk_add_f32 v[180:181], v[180:181], v[196:197] neg_lo:[0,1] neg_hi:[0,1]
	v_sub_f32_e32 v33, v198, v33
	v_add_f32_e32 v33, v180, v33
	v_add_f32_e32 v33, v33, v181
	v_cmp_eq_f32_e32 vcc, s71, v212
	v_cmp_lt_f32_e64 s[76:77], |v212|, s74
	v_add_f32_e32 v33, v192, v33
	s_or_b64 vcc, vcc, s[76:77]
	v_cndmask_b32_e32 v33, v33, v212, vcc
	v_add_f32_e32 v33, v35, v33
.LBB444_178:                            ;   in Loop: Header=BB444_158 Depth=1
	s_or_b64 exec, exec, s[60:61]
	v_bfe_u32 v35, v33, 16, 1
	v_add3_u32 v35, v33, v35, s75
	v_lshrrev_b32_e32 v35, 16, v35
	v_cmp_o_f32_e32 vcc, v33, v33
	v_cndmask_b32_e32 v33, v179, v35, vcc
	v_and_b32_e32 v35, 0xffff, v33
.LBB444_179:                            ;   in Loop: Header=BB444_158 Depth=1
	s_or_b64 exec, exec, s[66:67]
	s_waitcnt lgkmcnt(0)
	ds_bpermute_b32 v180, v163, v35
	v_cmp_le_u32_e32 vcc, v164, v34
	s_and_saveexec_b64 s[66:67], vcc
	s_cbranch_execz .LBB444_183
; %bb.180:                              ;   in Loop: Header=BB444_158 Depth=1
	s_waitcnt lgkmcnt(0)
	v_lshlrev_b32_e32 v33, 16, v180
	v_lshlrev_b32_e32 v35, 16, v35
	v_max_f32_e32 v181, v35, v35
	v_max_f32_e32 v182, v33, v33
	v_min_f32_e32 v180, v182, v181
	v_cmp_u_f32_e32 vcc, v33, v33
	v_max_f32_e32 v181, v182, v181
	v_cndmask_b32_e32 v180, v180, v33, vcc
	v_cmp_u_f32_e64 s[60:61], v35, v35
	v_cndmask_b32_e32 v181, v181, v33, vcc
	v_cndmask_b32_e64 v180, v180, v35, s[60:61]
	v_cndmask_b32_e64 v35, v181, v35, s[60:61]
	v_cmp_neq_f32_e32 vcc, v180, v35
	v_cmp_class_f32_e64 s[60:61], v180, s13
	s_or_b64 vcc, vcc, s[60:61]
	s_and_saveexec_b64 s[60:61], vcc
	s_cbranch_execz .LBB444_182
; %bb.181:                              ;   in Loop: Header=BB444_158 Depth=1
	v_sub_f32_e32 v33, v180, v35
	v_mul_f32_e32 v180, 0x3fb8aa3b, v33
	v_fma_f32 v181, v33, s68, -v180
	v_rndne_f32_e32 v182, v180
	v_fmac_f32_e32 v181, 0x32a5705f, v33
	v_sub_f32_e32 v180, v180, v182
	v_add_f32_e32 v180, v180, v181
	v_cvt_i32_f32_e32 v181, v182
	v_exp_f32_e32 v180, v180
	v_cmp_ngt_f32_e32 vcc, s69, v33
	v_ldexp_f32 v180, v180, v181
	v_cndmask_b32_e32 v180, 0, v180, vcc
	v_cmp_nlt_f32_e32 vcc, s70, v33
	v_cndmask_b32_e32 v212, v178, v180, vcc
	v_add_f32_e32 v33, 1.0, v212
	v_add_f32_e32 v180, -1.0, v33
	v_sub_f32_e32 v181, v180, v33
	v_add_f32_e32 v181, 1.0, v181
	v_sub_f32_e32 v180, v212, v180
	v_add_f32_e32 v182, v180, v181
	v_frexp_mant_f32_e32 v183, v33
	v_cvt_f64_f32_e32 v[180:181], v33
	v_frexp_exp_i32_f64_e32 v180, v[180:181]
	v_cmp_gt_f32_e32 vcc, s72, v183
	v_subbrev_co_u32_e32 v196, vcc, 0, v180, vcc
	v_sub_u32_e32 v180, 0, v196
	v_ldexp_f32 v33, v33, v180
	v_ldexp_f32 v180, v182, v180
	v_add_f32_e32 v182, -1.0, v33
	v_add_f32_e32 v181, 1.0, v182
	v_sub_f32_e32 v181, v33, v181
	v_add_f32_e32 v183, v180, v181
	v_add_f32_e32 v181, 1.0, v33
	v_add_f32_e32 v192, -1.0, v181
	v_sub_f32_e32 v33, v33, v192
	v_add_f32_e32 v33, v180, v33
	v_add_f32_e32 v197, v181, v33
	v_rcp_f32_e32 v198, v197
	v_sub_f32_e32 v180, v181, v197
	v_add_f32_e32 v181, v182, v183
	v_add_f32_e32 v33, v33, v180
	v_mul_f32_e32 v208, v181, v198
	v_sub_f32_e32 v180, v182, v181
	v_mul_f32_e32 v182, v197, v208
	v_fma_f32 v192, v208, v197, -v182
	v_fmac_f32_e32 v192, v208, v33
	v_add_f32_e32 v199, v183, v180
	v_add_f32_e32 v180, v182, v192
	v_sub_f32_e32 v183, v181, v180
	v_pk_add_f32 v[194:195], v[180:181], v[182:183] neg_lo:[0,1] neg_hi:[0,1]
	v_mov_b32_e32 v193, v180
	v_pk_add_f32 v[180:181], v[194:195], v[192:193] neg_lo:[0,1] neg_hi:[0,1]
	v_add_f32_e32 v181, v199, v181
	v_add_f32_e32 v180, v180, v181
	;; [unrolled: 1-line block ×3, first 2 shown]
	v_mul_f32_e32 v199, v198, v181
	v_mul_f32_e32 v182, v197, v199
	v_fma_f32 v192, v199, v197, -v182
	v_fmac_f32_e32 v192, v199, v33
	v_sub_f32_e32 v33, v183, v181
	v_add_f32_e32 v33, v180, v33
	v_add_f32_e32 v180, v182, v192
	v_sub_f32_e32 v183, v181, v180
	v_pk_add_f32 v[194:195], v[180:181], v[182:183] neg_lo:[0,1] neg_hi:[0,1]
	v_mov_b32_e32 v193, v180
	v_pk_add_f32 v[180:181], v[194:195], v[192:193] neg_lo:[0,1] neg_hi:[0,1]
	v_add_f32_e32 v33, v33, v181
	v_add_f32_e32 v33, v180, v33
	;; [unrolled: 1-line block ×4, first 2 shown]
	v_sub_f32_e32 v180, v181, v208
	v_mul_f32_e32 v33, v198, v33
	v_sub_f32_e32 v180, v199, v180
	v_add_f32_e32 v182, v180, v33
	v_add_f32_e32 v192, v181, v182
	v_cvt_f32_i32_e32 v180, v196
	v_mul_f32_e32 v193, v192, v192
	v_mov_b32_e32 v33, 0x3ecc95a3
	v_sub_f32_e32 v181, v192, v181
	v_fmac_f32_e32 v33, 0x3e9b6dac, v193
	v_sub_f32_e32 v181, v182, v181
	v_fma_f32 v33, v193, v33, v176
	v_ldexp_f32 v194, v181, 1
	v_mul_f32_e32 v181, v192, v193
	v_ldexp_f32 v183, v192, 1
	v_pk_mul_f32 v[192:193], v[180:181], v[32:33]
	v_fma_f32 v182, v180, s73, -v192
	v_fmac_f32_e32 v182, 0xb102e308, v180
	v_pk_add_f32 v[180:181], v[192:193], v[182:183]
	v_sub_f32_e32 v33, v181, v183
	v_sub_f32_e32 v33, v193, v33
	v_add_f32_e32 v195, v194, v33
	v_mov_b32_e32 v194, v192
	v_pk_add_f32 v[192:193], v[180:181], v[192:193] neg_lo:[0,1] neg_hi:[0,1]
	v_pk_add_f32 v[196:197], v[180:181], v[194:195]
	v_mov_b32_e32 v193, v197
	v_mov_b32_e32 v183, v180
	v_pk_add_f32 v[198:199], v[182:183], v[192:193] neg_lo:[0,1] neg_hi:[0,1]
	v_pk_add_f32 v[182:183], v[182:183], v[192:193]
	v_mov_b32_e32 v192, v183
	v_pk_add_f32 v[208:209], v[192:193], v[180:181] neg_lo:[0,1] neg_hi:[0,1]
	v_mov_b32_e32 v33, v208
	v_pk_add_f32 v[210:211], v[196:197], v[32:33] neg_lo:[0,1] neg_hi:[0,1]
	v_mov_b32_e32 v182, v197
	v_mov_b32_e32 v196, v181
	;; [unrolled: 1-line block ×4, first 2 shown]
	v_pk_add_f32 v[182:183], v[182:183], v[196:197] neg_lo:[0,1] neg_hi:[0,1]
	v_mov_b32_e32 v194, v195
	v_mov_b32_e32 v195, v180
	v_pk_add_f32 v[180:181], v[194:195], v[182:183] neg_lo:[0,1] neg_hi:[0,1]
	v_mov_b32_e32 v210, v198
	v_pk_add_f32 v[182:183], v[210:211], v[180:181]
	v_mov_b32_e32 v194, v183
	v_pk_add_f32 v[194:195], v[182:183], v[194:195]
	v_pk_add_f32 v[192:193], v[192:193], v[194:195]
	v_mov_b32_e32 v183, v192
	v_pk_add_f32 v[196:197], v[182:183], v[198:199] neg_lo:[0,1] neg_hi:[0,1]
	v_mov_b32_e32 v181, v194
	v_sub_f32_e32 v33, v182, v196
	v_pk_add_f32 v[180:181], v[180:181], v[196:197] neg_lo:[0,1] neg_hi:[0,1]
	v_sub_f32_e32 v33, v198, v33
	v_add_f32_e32 v33, v180, v33
	v_add_f32_e32 v33, v33, v181
	v_cmp_eq_f32_e32 vcc, s71, v212
	v_cmp_lt_f32_e64 s[76:77], |v212|, s74
	v_add_f32_e32 v33, v192, v33
	s_or_b64 vcc, vcc, s[76:77]
	v_cndmask_b32_e32 v33, v33, v212, vcc
	v_add_f32_e32 v33, v35, v33
.LBB444_182:                            ;   in Loop: Header=BB444_158 Depth=1
	s_or_b64 exec, exec, s[60:61]
	v_bfe_u32 v35, v33, 16, 1
	v_add3_u32 v35, v33, v35, s75
	v_lshrrev_b32_e32 v35, 16, v35
	v_cmp_o_f32_e32 vcc, v33, v33
	v_cndmask_b32_e32 v33, v179, v35, vcc
	v_and_b32_e32 v35, 0xffff, v33
.LBB444_183:                            ;   in Loop: Header=BB444_158 Depth=1
	s_or_b64 exec, exec, s[66:67]
	s_waitcnt lgkmcnt(0)
	ds_bpermute_b32 v180, v165, v35
	v_cmp_le_u32_e32 vcc, v166, v34
	s_and_saveexec_b64 s[66:67], vcc
	s_cbranch_execz .LBB444_187
; %bb.184:                              ;   in Loop: Header=BB444_158 Depth=1
	s_waitcnt lgkmcnt(0)
	v_lshlrev_b32_e32 v33, 16, v180
	v_lshlrev_b32_e32 v34, 16, v35
	v_max_f32_e32 v180, v34, v34
	v_max_f32_e32 v181, v33, v33
	v_min_f32_e32 v35, v181, v180
	v_cmp_u_f32_e32 vcc, v33, v33
	v_max_f32_e32 v180, v181, v180
	v_cndmask_b32_e32 v35, v35, v33, vcc
	v_cmp_u_f32_e64 s[60:61], v34, v34
	v_cndmask_b32_e32 v180, v180, v33, vcc
	v_cndmask_b32_e64 v35, v35, v34, s[60:61]
	v_cndmask_b32_e64 v34, v180, v34, s[60:61]
	v_cmp_neq_f32_e32 vcc, v35, v34
	v_cmp_class_f32_e64 s[60:61], v35, s13
	s_or_b64 vcc, vcc, s[60:61]
	s_and_saveexec_b64 s[60:61], vcc
	s_cbranch_execz .LBB444_186
; %bb.185:                              ;   in Loop: Header=BB444_158 Depth=1
	v_sub_f32_e32 v33, v35, v34
	v_mul_f32_e32 v35, 0x3fb8aa3b, v33
	v_fma_f32 v180, v33, s68, -v35
	v_rndne_f32_e32 v181, v35
	v_fmac_f32_e32 v180, 0x32a5705f, v33
	v_sub_f32_e32 v35, v35, v181
	v_add_f32_e32 v35, v35, v180
	v_cvt_i32_f32_e32 v180, v181
	v_exp_f32_e32 v35, v35
	v_cmp_ngt_f32_e32 vcc, s69, v33
	v_ldexp_f32 v35, v35, v180
	v_cndmask_b32_e32 v35, 0, v35, vcc
	v_cmp_nlt_f32_e32 vcc, s70, v33
	v_cndmask_b32_e32 v35, v178, v35, vcc
	v_add_f32_e32 v33, 1.0, v35
	v_add_f32_e32 v180, -1.0, v33
	v_sub_f32_e32 v181, v180, v33
	v_add_f32_e32 v181, 1.0, v181
	v_sub_f32_e32 v180, v35, v180
	v_add_f32_e32 v182, v180, v181
	v_frexp_mant_f32_e32 v183, v33
	v_cvt_f64_f32_e32 v[180:181], v33
	v_frexp_exp_i32_f64_e32 v180, v[180:181]
	v_cmp_gt_f32_e32 vcc, s72, v183
	v_subbrev_co_u32_e32 v196, vcc, 0, v180, vcc
	v_sub_u32_e32 v180, 0, v196
	v_ldexp_f32 v33, v33, v180
	v_ldexp_f32 v180, v182, v180
	v_add_f32_e32 v182, -1.0, v33
	v_add_f32_e32 v181, 1.0, v182
	v_sub_f32_e32 v181, v33, v181
	v_add_f32_e32 v183, v180, v181
	v_add_f32_e32 v181, 1.0, v33
	v_add_f32_e32 v192, -1.0, v181
	v_sub_f32_e32 v33, v33, v192
	v_add_f32_e32 v33, v180, v33
	v_add_f32_e32 v197, v181, v33
	v_rcp_f32_e32 v198, v197
	v_sub_f32_e32 v180, v181, v197
	v_add_f32_e32 v181, v182, v183
	v_add_f32_e32 v33, v33, v180
	v_mul_f32_e32 v208, v181, v198
	v_sub_f32_e32 v180, v182, v181
	v_mul_f32_e32 v182, v197, v208
	v_fma_f32 v192, v208, v197, -v182
	v_fmac_f32_e32 v192, v208, v33
	v_add_f32_e32 v199, v183, v180
	v_add_f32_e32 v180, v182, v192
	v_sub_f32_e32 v183, v181, v180
	v_pk_add_f32 v[194:195], v[180:181], v[182:183] neg_lo:[0,1] neg_hi:[0,1]
	v_mov_b32_e32 v193, v180
	v_pk_add_f32 v[180:181], v[194:195], v[192:193] neg_lo:[0,1] neg_hi:[0,1]
	v_add_f32_e32 v181, v199, v181
	v_add_f32_e32 v180, v180, v181
	;; [unrolled: 1-line block ×3, first 2 shown]
	v_mul_f32_e32 v199, v198, v181
	v_mul_f32_e32 v182, v197, v199
	v_fma_f32 v192, v199, v197, -v182
	v_fmac_f32_e32 v192, v199, v33
	v_sub_f32_e32 v33, v183, v181
	v_add_f32_e32 v33, v180, v33
	v_add_f32_e32 v180, v182, v192
	v_sub_f32_e32 v183, v181, v180
	v_pk_add_f32 v[194:195], v[180:181], v[182:183] neg_lo:[0,1] neg_hi:[0,1]
	v_mov_b32_e32 v193, v180
	v_pk_add_f32 v[180:181], v[194:195], v[192:193] neg_lo:[0,1] neg_hi:[0,1]
	v_add_f32_e32 v33, v33, v181
	v_add_f32_e32 v33, v180, v33
	;; [unrolled: 1-line block ×4, first 2 shown]
	v_sub_f32_e32 v180, v181, v208
	v_mul_f32_e32 v33, v198, v33
	v_sub_f32_e32 v180, v199, v180
	v_add_f32_e32 v182, v180, v33
	v_add_f32_e32 v192, v181, v182
	v_cvt_f32_i32_e32 v180, v196
	v_mul_f32_e32 v193, v192, v192
	v_mov_b32_e32 v33, 0x3ecc95a3
	v_sub_f32_e32 v181, v192, v181
	v_fmac_f32_e32 v33, 0x3e9b6dac, v193
	v_sub_f32_e32 v181, v182, v181
	v_fma_f32 v33, v193, v33, v176
	v_ldexp_f32 v194, v181, 1
	v_mul_f32_e32 v181, v192, v193
	v_ldexp_f32 v183, v192, 1
	v_pk_mul_f32 v[192:193], v[180:181], v[32:33]
	v_fma_f32 v182, v180, s73, -v192
	v_fmac_f32_e32 v182, 0xb102e308, v180
	v_pk_add_f32 v[180:181], v[192:193], v[182:183]
	v_sub_f32_e32 v33, v181, v183
	v_sub_f32_e32 v33, v193, v33
	v_add_f32_e32 v195, v194, v33
	v_mov_b32_e32 v194, v192
	v_pk_add_f32 v[192:193], v[180:181], v[192:193] neg_lo:[0,1] neg_hi:[0,1]
	v_pk_add_f32 v[196:197], v[180:181], v[194:195]
	v_mov_b32_e32 v193, v197
	v_mov_b32_e32 v183, v180
	v_pk_add_f32 v[198:199], v[182:183], v[192:193] neg_lo:[0,1] neg_hi:[0,1]
	v_pk_add_f32 v[182:183], v[182:183], v[192:193]
	v_mov_b32_e32 v192, v183
	v_pk_add_f32 v[208:209], v[192:193], v[180:181] neg_lo:[0,1] neg_hi:[0,1]
	v_mov_b32_e32 v33, v208
	v_pk_add_f32 v[210:211], v[196:197], v[32:33] neg_lo:[0,1] neg_hi:[0,1]
	v_mov_b32_e32 v182, v197
	v_mov_b32_e32 v196, v181
	;; [unrolled: 1-line block ×4, first 2 shown]
	v_pk_add_f32 v[182:183], v[182:183], v[196:197] neg_lo:[0,1] neg_hi:[0,1]
	v_mov_b32_e32 v194, v195
	v_mov_b32_e32 v195, v180
	v_pk_add_f32 v[180:181], v[194:195], v[182:183] neg_lo:[0,1] neg_hi:[0,1]
	v_mov_b32_e32 v210, v198
	v_pk_add_f32 v[182:183], v[210:211], v[180:181]
	v_mov_b32_e32 v194, v183
	v_pk_add_f32 v[194:195], v[182:183], v[194:195]
	v_pk_add_f32 v[192:193], v[192:193], v[194:195]
	v_mov_b32_e32 v183, v192
	v_pk_add_f32 v[196:197], v[182:183], v[198:199] neg_lo:[0,1] neg_hi:[0,1]
	v_mov_b32_e32 v181, v194
	v_sub_f32_e32 v33, v182, v196
	v_pk_add_f32 v[180:181], v[180:181], v[196:197] neg_lo:[0,1] neg_hi:[0,1]
	v_sub_f32_e32 v33, v198, v33
	v_add_f32_e32 v33, v180, v33
	v_add_f32_e32 v33, v33, v181
	v_cmp_eq_f32_e32 vcc, s71, v35
	v_cmp_lt_f32_e64 s[76:77], |v35|, s74
	v_add_f32_e32 v33, v192, v33
	s_or_b64 vcc, vcc, s[76:77]
	v_cndmask_b32_e32 v33, v33, v35, vcc
	v_add_f32_e32 v33, v34, v33
.LBB444_186:                            ;   in Loop: Header=BB444_158 Depth=1
	s_or_b64 exec, exec, s[60:61]
	v_bfe_u32 v34, v33, 16, 1
	v_add3_u32 v34, v33, v34, s75
	v_lshrrev_b32_e32 v34, 16, v34
	v_cmp_o_f32_e32 vcc, v33, v33
	v_cndmask_b32_e32 v33, v179, v34, vcc
.LBB444_187:                            ;   in Loop: Header=BB444_158 Depth=1
	s_or_b64 exec, exec, s[66:67]
	v_lshlrev_b32_e32 v33, 16, v33
	v_lshlrev_b32_e32 v34, 16, v167
	s_waitcnt lgkmcnt(0)
	v_max_f32_e32 v180, v34, v34
	v_max_f32_e32 v181, v33, v33
	v_min_f32_e32 v35, v181, v180
	v_cmp_u_f32_e32 vcc, v33, v33
	v_max_f32_e32 v180, v181, v180
	v_cndmask_b32_e32 v35, v35, v33, vcc
	v_cmp_u_f32_e64 s[60:61], v34, v34
	v_cndmask_b32_e32 v180, v180, v33, vcc
	v_cndmask_b32_e64 v35, v35, v34, s[60:61]
	v_cndmask_b32_e64 v34, v180, v34, s[60:61]
	v_cmp_neq_f32_e32 vcc, v35, v34
	v_cmp_class_f32_e64 s[60:61], v35, s13
	s_or_b64 vcc, vcc, s[60:61]
	s_and_saveexec_b64 s[60:61], vcc
	s_cbranch_execz .LBB444_189
; %bb.188:                              ;   in Loop: Header=BB444_158 Depth=1
	v_sub_f32_e32 v33, v35, v34
	v_mul_f32_e32 v35, 0x3fb8aa3b, v33
	v_fma_f32 v180, v33, s68, -v35
	v_rndne_f32_e32 v181, v35
	v_fmac_f32_e32 v180, 0x32a5705f, v33
	v_sub_f32_e32 v35, v35, v181
	v_add_f32_e32 v35, v35, v180
	v_cvt_i32_f32_e32 v180, v181
	v_exp_f32_e32 v35, v35
	v_cmp_ngt_f32_e32 vcc, s69, v33
	v_ldexp_f32 v35, v35, v180
	v_cndmask_b32_e32 v35, 0, v35, vcc
	v_cmp_nlt_f32_e32 vcc, s70, v33
	v_cndmask_b32_e32 v35, v178, v35, vcc
	v_add_f32_e32 v33, 1.0, v35
	v_add_f32_e32 v180, -1.0, v33
	v_sub_f32_e32 v181, v180, v33
	v_add_f32_e32 v181, 1.0, v181
	v_sub_f32_e32 v180, v35, v180
	v_add_f32_e32 v182, v180, v181
	v_frexp_mant_f32_e32 v183, v33
	v_cvt_f64_f32_e32 v[180:181], v33
	v_frexp_exp_i32_f64_e32 v180, v[180:181]
	v_cmp_gt_f32_e32 vcc, s72, v183
	v_subbrev_co_u32_e32 v196, vcc, 0, v180, vcc
	v_sub_u32_e32 v180, 0, v196
	v_ldexp_f32 v33, v33, v180
	v_ldexp_f32 v180, v182, v180
	v_add_f32_e32 v182, -1.0, v33
	v_add_f32_e32 v181, 1.0, v182
	v_sub_f32_e32 v181, v33, v181
	v_add_f32_e32 v183, v180, v181
	v_add_f32_e32 v181, 1.0, v33
	v_add_f32_e32 v192, -1.0, v181
	v_sub_f32_e32 v33, v33, v192
	v_add_f32_e32 v33, v180, v33
	v_add_f32_e32 v197, v181, v33
	v_rcp_f32_e32 v198, v197
	v_sub_f32_e32 v180, v181, v197
	v_add_f32_e32 v181, v182, v183
	v_add_f32_e32 v33, v33, v180
	v_mul_f32_e32 v208, v181, v198
	v_sub_f32_e32 v180, v182, v181
	v_mul_f32_e32 v182, v197, v208
	v_fma_f32 v192, v208, v197, -v182
	v_fmac_f32_e32 v192, v208, v33
	v_add_f32_e32 v199, v183, v180
	v_add_f32_e32 v180, v182, v192
	v_sub_f32_e32 v183, v181, v180
	v_pk_add_f32 v[194:195], v[180:181], v[182:183] neg_lo:[0,1] neg_hi:[0,1]
	v_mov_b32_e32 v193, v180
	v_pk_add_f32 v[180:181], v[194:195], v[192:193] neg_lo:[0,1] neg_hi:[0,1]
	v_add_f32_e32 v181, v199, v181
	v_add_f32_e32 v180, v180, v181
	;; [unrolled: 1-line block ×3, first 2 shown]
	v_mul_f32_e32 v199, v198, v181
	v_mul_f32_e32 v182, v197, v199
	v_fma_f32 v192, v199, v197, -v182
	v_fmac_f32_e32 v192, v199, v33
	v_sub_f32_e32 v33, v183, v181
	v_add_f32_e32 v33, v180, v33
	v_add_f32_e32 v180, v182, v192
	v_sub_f32_e32 v183, v181, v180
	v_pk_add_f32 v[194:195], v[180:181], v[182:183] neg_lo:[0,1] neg_hi:[0,1]
	v_mov_b32_e32 v193, v180
	v_pk_add_f32 v[180:181], v[194:195], v[192:193] neg_lo:[0,1] neg_hi:[0,1]
	v_add_f32_e32 v33, v33, v181
	v_add_f32_e32 v33, v180, v33
	;; [unrolled: 1-line block ×4, first 2 shown]
	v_sub_f32_e32 v180, v181, v208
	v_mul_f32_e32 v33, v198, v33
	v_sub_f32_e32 v180, v199, v180
	v_add_f32_e32 v182, v180, v33
	v_add_f32_e32 v192, v181, v182
	v_cvt_f32_i32_e32 v180, v196
	v_mul_f32_e32 v193, v192, v192
	v_mov_b32_e32 v33, 0x3ecc95a3
	v_sub_f32_e32 v181, v192, v181
	v_fmac_f32_e32 v33, 0x3e9b6dac, v193
	v_sub_f32_e32 v181, v182, v181
	v_fma_f32 v33, v193, v33, v176
	v_ldexp_f32 v194, v181, 1
	v_mul_f32_e32 v181, v192, v193
	v_ldexp_f32 v183, v192, 1
	v_pk_mul_f32 v[192:193], v[180:181], v[32:33]
	v_fma_f32 v182, v180, s73, -v192
	v_fmac_f32_e32 v182, 0xb102e308, v180
	v_pk_add_f32 v[180:181], v[192:193], v[182:183]
	v_sub_f32_e32 v33, v181, v183
	v_sub_f32_e32 v33, v193, v33
	v_add_f32_e32 v195, v194, v33
	v_mov_b32_e32 v194, v192
	v_pk_add_f32 v[192:193], v[180:181], v[192:193] neg_lo:[0,1] neg_hi:[0,1]
	v_pk_add_f32 v[196:197], v[180:181], v[194:195]
	v_mov_b32_e32 v193, v197
	v_mov_b32_e32 v183, v180
	v_pk_add_f32 v[198:199], v[182:183], v[192:193] neg_lo:[0,1] neg_hi:[0,1]
	v_pk_add_f32 v[182:183], v[182:183], v[192:193]
	v_mov_b32_e32 v192, v183
	v_pk_add_f32 v[208:209], v[192:193], v[180:181] neg_lo:[0,1] neg_hi:[0,1]
	v_mov_b32_e32 v33, v208
	v_pk_add_f32 v[210:211], v[196:197], v[32:33] neg_lo:[0,1] neg_hi:[0,1]
	v_mov_b32_e32 v182, v197
	v_mov_b32_e32 v196, v181
	;; [unrolled: 1-line block ×4, first 2 shown]
	v_pk_add_f32 v[182:183], v[182:183], v[196:197] neg_lo:[0,1] neg_hi:[0,1]
	v_mov_b32_e32 v194, v195
	v_mov_b32_e32 v195, v180
	v_pk_add_f32 v[180:181], v[194:195], v[182:183] neg_lo:[0,1] neg_hi:[0,1]
	v_mov_b32_e32 v210, v198
	v_pk_add_f32 v[182:183], v[210:211], v[180:181]
	v_mov_b32_e32 v194, v183
	v_pk_add_f32 v[194:195], v[182:183], v[194:195]
	v_pk_add_f32 v[192:193], v[192:193], v[194:195]
	v_mov_b32_e32 v183, v192
	v_pk_add_f32 v[196:197], v[182:183], v[198:199] neg_lo:[0,1] neg_hi:[0,1]
	v_mov_b32_e32 v181, v194
	v_sub_f32_e32 v33, v182, v196
	v_pk_add_f32 v[180:181], v[180:181], v[196:197] neg_lo:[0,1] neg_hi:[0,1]
	v_sub_f32_e32 v33, v198, v33
	v_add_f32_e32 v33, v180, v33
	v_add_f32_e32 v33, v33, v181
	v_cmp_eq_f32_e32 vcc, s71, v35
	v_cmp_lt_f32_e64 s[66:67], |v35|, s74
	v_add_f32_e32 v33, v192, v33
	s_or_b64 vcc, vcc, s[66:67]
	v_cndmask_b32_e32 v33, v33, v35, vcc
	v_add_f32_e32 v33, v34, v33
.LBB444_189:                            ;   in Loop: Header=BB444_158 Depth=1
	s_or_b64 exec, exec, s[60:61]
	v_bfe_u32 v34, v33, 16, 1
	v_add3_u32 v34, v33, v34, s75
	v_lshrrev_b32_e32 v34, 16, v34
	v_cmp_o_f32_e32 vcc, v33, v33
	v_subrev_u32_e32 v26, 64, v26
	v_cndmask_b32_e32 v34, v179, v34, vcc
	s_branch .LBB444_158
.LBB444_190:
	s_and_saveexec_b64 s[60:61], s[56:57]
	s_cbranch_execz .LBB444_194
; %bb.191:
	v_lshlrev_b32_e32 v27, 16, v167
	v_lshlrev_b32_e32 v26, 16, v145
	v_max_f32_e32 v31, v26, v26
	v_max_f32_e32 v32, v27, v27
	v_min_f32_e32 v30, v32, v31
	v_cmp_u_f32_e32 vcc, v27, v27
	v_max_f32_e32 v31, v32, v31
	v_cndmask_b32_e32 v30, v30, v27, vcc
	v_cmp_u_f32_e64 s[56:57], v26, v26
	v_cndmask_b32_e32 v31, v31, v27, vcc
	v_cndmask_b32_e64 v30, v30, v26, s[56:57]
	v_cndmask_b32_e64 v26, v31, v26, s[56:57]
	s_movk_i32 s13, 0x1f8
	v_cmp_neq_f32_e32 vcc, v30, v26
	v_cmp_class_f32_e64 s[56:57], v30, s13
	s_or_b64 vcc, vcc, s[56:57]
	s_and_saveexec_b64 s[56:57], vcc
	s_cbranch_execz .LBB444_193
; %bb.192:
	v_sub_f32_e32 v27, v30, v26
	s_mov_b32 s13, 0x3fb8aa3b
	v_mul_f32_e32 v30, 0x3fb8aa3b, v27
	v_fma_f32 v31, v27, s13, -v30
	v_rndne_f32_e32 v32, v30
	v_fmac_f32_e32 v31, 0x32a5705f, v27
	v_sub_f32_e32 v30, v30, v32
	v_add_f32_e32 v30, v30, v31
	v_exp_f32_e32 v30, v30
	v_cvt_i32_f32_e32 v31, v32
	s_mov_b32 s13, 0xc2ce8ed0
	v_cmp_ngt_f32_e32 vcc, s13, v27
	s_mov_b32 s13, 0x42b17218
	v_ldexp_f32 v30, v30, v31
	v_cndmask_b32_e32 v30, 0, v30, vcc
	v_mov_b32_e32 v31, 0x7f800000
	v_cmp_nlt_f32_e32 vcc, s13, v27
	v_cndmask_b32_e32 v145, v31, v30, vcc
	v_add_f32_e32 v27, 1.0, v145
	v_add_f32_e32 v30, -1.0, v27
	v_sub_f32_e32 v31, v30, v27
	v_add_f32_e32 v31, 1.0, v31
	v_sub_f32_e32 v30, v145, v30
	v_add_f32_e32 v32, v30, v31
	v_frexp_mant_f32_e32 v33, v27
	s_mov_b32 s13, 0x3f2aaaab
	v_cvt_f64_f32_e32 v[30:31], v27
	v_frexp_exp_i32_f64_e32 v30, v[30:31]
	v_cmp_gt_f32_e32 vcc, s13, v33
	v_subbrev_co_u32_e32 v148, vcc, 0, v30, vcc
	v_sub_u32_e32 v30, 0, v148
	v_ldexp_f32 v27, v27, v30
	v_ldexp_f32 v30, v32, v30
	v_add_f32_e32 v32, -1.0, v27
	v_add_f32_e32 v31, 1.0, v32
	v_sub_f32_e32 v31, v27, v31
	v_add_f32_e32 v33, v30, v31
	v_add_f32_e32 v31, 1.0, v27
	v_add_f32_e32 v34, -1.0, v31
	v_sub_f32_e32 v27, v27, v34
	v_add_f32_e32 v27, v30, v27
	v_add_f32_e32 v149, v31, v27
	v_rcp_f32_e32 v150, v149
	v_sub_f32_e32 v30, v31, v149
	v_add_f32_e32 v31, v32, v33
	v_add_f32_e32 v27, v27, v30
	v_mul_f32_e32 v160, v31, v150
	v_sub_f32_e32 v30, v32, v31
	v_mul_f32_e32 v32, v149, v160
	v_fma_f32 v34, v160, v149, -v32
	v_fmac_f32_e32 v34, v160, v27
	v_add_f32_e32 v151, v33, v30
	v_add_f32_e32 v30, v32, v34
	v_sub_f32_e32 v33, v31, v30
	v_pk_add_f32 v[146:147], v[30:31], v[32:33] neg_lo:[0,1] neg_hi:[0,1]
	v_mov_b32_e32 v35, v30
	v_pk_add_f32 v[30:31], v[146:147], v[34:35] neg_lo:[0,1] neg_hi:[0,1]
	v_add_f32_e32 v31, v151, v31
	v_add_f32_e32 v30, v30, v31
	;; [unrolled: 1-line block ×3, first 2 shown]
	v_mul_f32_e32 v151, v150, v31
	v_mul_f32_e32 v32, v149, v151
	v_fma_f32 v34, v151, v149, -v32
	v_fmac_f32_e32 v34, v151, v27
	v_sub_f32_e32 v27, v33, v31
	v_add_f32_e32 v27, v30, v27
	v_add_f32_e32 v30, v32, v34
	v_sub_f32_e32 v33, v31, v30
	v_pk_add_f32 v[146:147], v[30:31], v[32:33] neg_lo:[0,1] neg_hi:[0,1]
	v_mov_b32_e32 v35, v30
	v_pk_add_f32 v[30:31], v[146:147], v[34:35] neg_lo:[0,1] neg_hi:[0,1]
	v_add_f32_e32 v27, v27, v31
	v_add_f32_e32 v27, v30, v27
	;; [unrolled: 1-line block ×4, first 2 shown]
	v_sub_f32_e32 v31, v30, v160
	v_mul_f32_e32 v27, v150, v27
	v_sub_f32_e32 v31, v151, v31
	v_add_f32_e32 v27, v31, v27
	v_add_f32_e32 v33, v30, v27
	v_mul_f32_e32 v34, v33, v33
	v_mov_b32_e32 v32, 0x3ecc95a3
	v_fmac_f32_e32 v32, 0x3e9b6dac, v34
	v_mov_b32_e32 v31, 0x3f2aaada
	v_fmac_f32_e32 v31, v34, v32
	v_cvt_f32_i32_e32 v32, v148
	v_sub_f32_e32 v30, v33, v30
	v_sub_f32_e32 v27, v27, v30
	v_ldexp_f32 v35, v33, 1
	v_mul_f32_e32 v33, v33, v34
	v_mov_b32_e32 v30, 0x3f317218
	s_mov_b32 s13, 0x3f317218
	v_pk_mul_f32 v[30:31], v[32:33], v[30:31]
	v_fma_f32 v34, v32, s13, -v30
	v_fmac_f32_e32 v34, 0xb102e308, v32
	v_pk_add_f32 v[32:33], v[30:31], v[34:35]
	v_sub_f32_e32 v35, v33, v35
	v_ldexp_f32 v27, v27, 1
	v_sub_f32_e32 v35, v31, v35
	v_add_f32_e32 v147, v27, v35
	v_mov_b32_e32 v146, v30
	v_pk_add_f32 v[30:31], v[32:33], v[30:31] neg_lo:[0,1] neg_hi:[0,1]
	v_pk_add_f32 v[148:149], v[32:33], v[146:147]
	v_mov_b32_e32 v31, v149
	v_mov_b32_e32 v35, v32
	v_pk_add_f32 v[150:151], v[34:35], v[30:31] neg_lo:[0,1] neg_hi:[0,1]
	v_pk_add_f32 v[30:31], v[34:35], v[30:31]
	v_mov_b32_e32 v34, v31
	v_pk_add_f32 v[160:161], v[34:35], v[32:33] neg_lo:[0,1] neg_hi:[0,1]
	v_mov_b32_e32 v27, v160
	v_pk_add_f32 v[162:163], v[148:149], v[26:27] neg_lo:[0,1] neg_hi:[0,1]
	v_mov_b32_e32 v30, v149
	v_mov_b32_e32 v148, v33
	;; [unrolled: 1-line block ×4, first 2 shown]
	v_pk_add_f32 v[30:31], v[30:31], v[148:149] neg_lo:[0,1] neg_hi:[0,1]
	v_mov_b32_e32 v146, v147
	v_mov_b32_e32 v147, v32
	v_pk_add_f32 v[30:31], v[146:147], v[30:31] neg_lo:[0,1] neg_hi:[0,1]
	v_mov_b32_e32 v162, v150
	v_pk_add_f32 v[32:33], v[162:163], v[30:31]
	v_mov_b32_e32 v146, v33
	v_pk_add_f32 v[146:147], v[32:33], v[146:147]
	v_pk_add_f32 v[34:35], v[34:35], v[146:147]
	v_mov_b32_e32 v33, v34
	v_pk_add_f32 v[148:149], v[32:33], v[150:151] neg_lo:[0,1] neg_hi:[0,1]
	v_mov_b32_e32 v31, v146
	v_sub_f32_e32 v27, v32, v148
	v_pk_add_f32 v[30:31], v[30:31], v[148:149] neg_lo:[0,1] neg_hi:[0,1]
	v_sub_f32_e32 v27, v150, v27
	s_mov_b32 s66, 0x7f800000
	v_add_f32_e32 v27, v30, v27
	s_mov_b32 s13, 0x33800000
	v_add_f32_e32 v27, v27, v31
	v_cmp_eq_f32_e32 vcc, s66, v145
	v_cmp_lt_f32_e64 s[66:67], |v145|, s13
	v_add_f32_e32 v27, v34, v27
	s_or_b64 vcc, vcc, s[66:67]
	v_cndmask_b32_e32 v27, v27, v145, vcc
	v_add_f32_e32 v27, v26, v27
.LBB444_193:
	s_or_b64 exec, exec, s[56:57]
	v_bfe_u32 v26, v27, 16, 1
	s_movk_i32 s13, 0x7fff
	v_add3_u32 v26, v27, v26, s13
	s_add_i32 s12, s12, 64
	s_mov_b32 s13, 0
	s_lshl_b64 s[12:13], s[12:13], 2
	v_mov_b32_e32 v31, s13
	v_add_co_u32_e32 v30, vcc, s12, v24
	v_addc_co_u32_e32 v31, vcc, v25, v31, vcc
	s_mov_b32 s12, 0x20000
	v_or_b32_sdwa v26, v26, s12 dst_sel:DWORD dst_unused:UNUSED_PAD src0_sel:WORD_1 src1_sel:DWORD
	v_mov_b32_e32 v32, 0x27fc0
	v_cmp_o_f32_e32 vcc, v27, v27
	v_cndmask_b32_e32 v26, v32, v26, vcc
	flat_store_dword v[30:31], v26
.LBB444_194:
	s_or_b64 exec, exec, s[60:61]
	v_cmp_eq_u32_e32 vcc, 0, v0
	s_and_b64 exec, exec, vcc
	s_cbranch_execz .LBB444_196
; %bb.195:
	v_mov_b32_e32 v26, 0
	ds_write_b16 v26, v167
.LBB444_196:
	s_or_b64 exec, exec, s[64:65]
	v_mov_b32_e32 v26, 0
	s_waitcnt lgkmcnt(0)
	; wave barrier
	s_waitcnt lgkmcnt(0)
	ds_read_u16 v26, v26
	v_cmp_ne_u32_e32 vcc, 0, v0
	s_and_saveexec_b64 s[12:13], vcc
	s_cbranch_execz .LBB444_200
; %bb.197:
	v_lshlrev_b32_e32 v30, 16, v144
	v_max_f32_e32 v27, v30, v30
	v_min_f32_e32 v31, v27, v135
	v_cmp_u_f32_e32 vcc, v30, v30
	v_max_f32_e32 v27, v27, v135
	v_cndmask_b32_e32 v31, v31, v30, vcc
	v_cndmask_b32_e32 v27, v27, v30, vcc
	v_cndmask_b32_e64 v31, v31, v134, s[54:55]
	v_cndmask_b32_e64 v27, v27, v134, s[54:55]
	s_movk_i32 s54, 0x1f8
	v_cmp_neq_f32_e32 vcc, v31, v27
	v_cmp_class_f32_e64 s[54:55], v31, s54
	s_or_b64 vcc, vcc, s[54:55]
	s_and_saveexec_b64 s[54:55], vcc
	s_cbranch_execz .LBB444_199
; %bb.198:
	v_sub_f32_e32 v30, v31, v27
	s_mov_b32 s56, 0x3fb8aa3b
	v_mul_f32_e32 v31, 0x3fb8aa3b, v30
	v_fma_f32 v32, v30, s56, -v31
	v_rndne_f32_e32 v33, v31
	v_fmac_f32_e32 v32, 0x32a5705f, v30
	v_sub_f32_e32 v31, v31, v33
	v_add_f32_e32 v31, v31, v32
	v_exp_f32_e32 v31, v31
	v_cvt_i32_f32_e32 v32, v33
	s_mov_b32 s56, 0xc2ce8ed0
	v_cmp_ngt_f32_e32 vcc, s56, v30
	s_mov_b32 s56, 0x42b17218
	v_ldexp_f32 v31, v31, v32
	v_cndmask_b32_e32 v31, 0, v31, vcc
	v_mov_b32_e32 v32, 0x7f800000
	v_cmp_nlt_f32_e32 vcc, s56, v30
	v_cndmask_b32_e32 v160, v32, v31, vcc
	v_add_f32_e32 v32, 1.0, v160
	v_add_f32_e32 v30, -1.0, v32
	v_sub_f32_e32 v31, v30, v32
	v_add_f32_e32 v31, 1.0, v31
	v_sub_f32_e32 v30, v160, v30
	v_add_f32_e32 v33, v30, v31
	v_frexp_mant_f32_e32 v34, v32
	s_mov_b32 s56, 0x3f2aaaab
	v_cvt_f64_f32_e32 v[30:31], v32
	v_frexp_exp_i32_f64_e32 v30, v[30:31]
	v_cmp_gt_f32_e32 vcc, s56, v34
	v_subbrev_co_u32_e32 v144, vcc, 0, v30, vcc
	v_sub_u32_e32 v30, 0, v144
	v_ldexp_f32 v31, v32, v30
	v_add_f32_e32 v32, -1.0, v31
	v_add_f32_e32 v34, 1.0, v31
	v_ldexp_f32 v30, v33, v30
	v_add_f32_e32 v33, 1.0, v32
	v_add_f32_e32 v35, -1.0, v34
	v_sub_f32_e32 v33, v31, v33
	v_sub_f32_e32 v31, v31, v35
	v_add_f32_e32 v33, v30, v33
	v_add_f32_e32 v30, v30, v31
	;; [unrolled: 1-line block ×3, first 2 shown]
	v_rcp_f32_e32 v147, v145
	v_sub_f32_e32 v31, v34, v145
	v_add_f32_e32 v146, v30, v31
	v_add_f32_e32 v31, v32, v33
	v_mul_f32_e32 v149, v31, v147
	v_sub_f32_e32 v30, v32, v31
	v_mul_f32_e32 v32, v145, v149
	v_fma_f32 v34, v149, v145, -v32
	v_fmac_f32_e32 v34, v149, v146
	v_add_f32_e32 v148, v33, v30
	v_add_f32_e32 v30, v32, v34
	v_sub_f32_e32 v33, v31, v30
	v_pk_add_f32 v[134:135], v[30:31], v[32:33] neg_lo:[0,1] neg_hi:[0,1]
	v_mov_b32_e32 v35, v30
	v_pk_add_f32 v[30:31], v[134:135], v[34:35] neg_lo:[0,1] neg_hi:[0,1]
	v_add_f32_e32 v31, v148, v31
	v_add_f32_e32 v30, v30, v31
	;; [unrolled: 1-line block ×3, first 2 shown]
	v_mul_f32_e32 v148, v147, v31
	v_mul_f32_e32 v32, v145, v148
	v_fma_f32 v34, v148, v145, -v32
	v_fmac_f32_e32 v34, v148, v146
	v_sub_f32_e32 v33, v33, v31
	v_add_f32_e32 v145, v30, v33
	v_add_f32_e32 v30, v32, v34
	v_sub_f32_e32 v33, v31, v30
	v_pk_add_f32 v[134:135], v[30:31], v[32:33] neg_lo:[0,1] neg_hi:[0,1]
	v_mov_b32_e32 v35, v30
	v_pk_add_f32 v[30:31], v[134:135], v[34:35] neg_lo:[0,1] neg_hi:[0,1]
	v_add_f32_e32 v31, v145, v31
	v_add_f32_e32 v30, v30, v31
	v_add_f32_e32 v30, v33, v30
	v_add_f32_e32 v33, v149, v148
	v_sub_f32_e32 v31, v33, v149
	v_mul_f32_e32 v30, v147, v30
	v_sub_f32_e32 v31, v148, v31
	v_add_f32_e32 v30, v31, v30
	v_add_f32_e32 v34, v33, v30
	v_mul_f32_e32 v134, v34, v34
	v_mov_b32_e32 v32, 0x3ecc95a3
	v_fmac_f32_e32 v32, 0x3e9b6dac, v134
	v_mov_b32_e32 v31, 0x3f2aaada
	v_fmac_f32_e32 v31, v134, v32
	v_cvt_f32_i32_e32 v32, v144
	v_sub_f32_e32 v33, v34, v33
	v_sub_f32_e32 v30, v30, v33
	v_ldexp_f32 v135, v30, 1
	v_mul_f32_e32 v33, v34, v134
	v_mov_b32_e32 v30, 0x3f317218
	s_mov_b32 s56, 0x3f317218
	v_pk_mul_f32 v[30:31], v[32:33], v[30:31]
	v_ldexp_f32 v35, v34, 1
	v_fma_f32 v34, v32, s56, -v30
	v_fmac_f32_e32 v34, 0xb102e308, v32
	v_pk_add_f32 v[32:33], v[30:31], v[34:35]
	v_sub_f32_e32 v35, v33, v35
	v_sub_f32_e32 v35, v31, v35
	v_add_f32_e32 v135, v135, v35
	v_mov_b32_e32 v134, v30
	v_pk_add_f32 v[30:31], v[32:33], v[30:31] neg_lo:[0,1] neg_hi:[0,1]
	v_pk_add_f32 v[144:145], v[32:33], v[134:135]
	v_mov_b32_e32 v31, v145
	v_mov_b32_e32 v35, v32
	v_pk_add_f32 v[146:147], v[34:35], v[30:31] neg_lo:[0,1] neg_hi:[0,1]
	v_pk_add_f32 v[30:31], v[34:35], v[30:31]
	v_mov_b32_e32 v34, v31
	v_pk_add_f32 v[148:149], v[34:35], v[32:33] neg_lo:[0,1] neg_hi:[0,1]
	v_mov_b32_e32 v35, v148
	v_pk_add_f32 v[150:151], v[144:145], v[34:35] neg_lo:[0,1] neg_hi:[0,1]
	v_mov_b32_e32 v30, v145
	v_mov_b32_e32 v144, v33
	;; [unrolled: 1-line block ×4, first 2 shown]
	v_pk_add_f32 v[30:31], v[30:31], v[144:145] neg_lo:[0,1] neg_hi:[0,1]
	v_mov_b32_e32 v134, v135
	v_mov_b32_e32 v135, v32
	v_pk_add_f32 v[30:31], v[134:135], v[30:31] neg_lo:[0,1] neg_hi:[0,1]
	v_mov_b32_e32 v150, v146
	v_pk_add_f32 v[32:33], v[150:151], v[30:31]
	v_mov_b32_e32 v134, v33
	v_pk_add_f32 v[134:135], v[32:33], v[134:135]
	v_pk_add_f32 v[34:35], v[34:35], v[134:135]
	v_mov_b32_e32 v33, v34
	v_pk_add_f32 v[144:145], v[32:33], v[146:147] neg_lo:[0,1] neg_hi:[0,1]
	v_mov_b32_e32 v31, v134
	v_sub_f32_e32 v32, v32, v144
	v_pk_add_f32 v[30:31], v[30:31], v[144:145] neg_lo:[0,1] neg_hi:[0,1]
	v_sub_f32_e32 v32, v146, v32
	s_mov_b32 s57, 0x7f800000
	v_add_f32_e32 v30, v30, v32
	s_mov_b32 s56, 0x33800000
	v_add_f32_e32 v30, v30, v31
	v_cmp_eq_f32_e32 vcc, s57, v160
	v_cmp_lt_f32_e64 s[56:57], |v160|, s56
	v_add_f32_e32 v30, v34, v30
	s_or_b64 vcc, vcc, s[56:57]
	v_cndmask_b32_e32 v30, v30, v160, vcc
	v_add_f32_e32 v30, v27, v30
.LBB444_199:
	s_or_b64 exec, exec, s[54:55]
	v_bfe_u32 v27, v30, 16, 1
	s_movk_i32 vcc_lo, 0x7fff
	v_add3_u32 v27, v30, v27, vcc_lo
	v_and_b32_e32 v27, 0xffff0000, v27
	v_mov_b32_e32 v31, 0x7fc00000
	v_cmp_o_f32_e32 vcc, v30, v30
	v_cndmask_b32_e32 v134, v31, v27, vcc
.LBB444_200:
	s_or_b64 exec, exec, s[12:13]
	s_waitcnt lgkmcnt(0)
	v_lshlrev_b32_e32 v30, 16, v26
	v_max_f32_e32 v26, v134, v134
	v_max_f32_e32 v31, v30, v30
	v_min_f32_e32 v27, v31, v26
	v_cmp_u_f32_e32 vcc, v30, v30
	v_max_f32_e32 v26, v31, v26
	v_cndmask_b32_e32 v27, v27, v30, vcc
	v_cmp_u_f32_e64 s[12:13], v134, v134
	v_cndmask_b32_e32 v26, v26, v30, vcc
	v_cndmask_b32_e64 v27, v27, v134, s[12:13]
	v_cndmask_b32_e64 v26, v26, v134, s[12:13]
	s_movk_i32 s54, 0x1f8
	v_cmp_neq_f32_e32 vcc, v27, v26
	v_cmp_class_f32_e64 s[12:13], v27, s54
	s_or_b64 vcc, vcc, s[12:13]
	s_and_saveexec_b64 s[12:13], vcc
	s_cbranch_execz .LBB444_202
; %bb.201:
	v_sub_f32_e32 v27, v27, v26
	s_mov_b32 s55, 0x3fb8aa3b
	v_mul_f32_e32 v30, 0x3fb8aa3b, v27
	v_fma_f32 v31, v27, s55, -v30
	v_rndne_f32_e32 v32, v30
	v_fmac_f32_e32 v31, 0x32a5705f, v27
	v_sub_f32_e32 v30, v30, v32
	v_add_f32_e32 v30, v30, v31
	v_exp_f32_e32 v30, v30
	v_cvt_i32_f32_e32 v31, v32
	s_mov_b32 s55, 0xc2ce8ed0
	v_cmp_ngt_f32_e32 vcc, s55, v27
	s_mov_b32 s55, 0x42b17218
	v_ldexp_f32 v30, v30, v31
	v_cndmask_b32_e32 v30, 0, v30, vcc
	v_mov_b32_e32 v31, 0x7f800000
	v_cmp_nlt_f32_e32 vcc, s55, v27
	v_cndmask_b32_e32 v160, v31, v30, vcc
	v_add_f32_e32 v27, 1.0, v160
	v_add_f32_e32 v30, -1.0, v27
	v_sub_f32_e32 v31, v30, v27
	v_add_f32_e32 v31, 1.0, v31
	v_sub_f32_e32 v30, v160, v30
	v_add_f32_e32 v32, v30, v31
	v_frexp_mant_f32_e32 v33, v27
	s_mov_b32 s55, 0x3f2aaaab
	v_cvt_f64_f32_e32 v[30:31], v27
	v_frexp_exp_i32_f64_e32 v30, v[30:31]
	v_cmp_gt_f32_e32 vcc, s55, v33
	v_subbrev_co_u32_e32 v144, vcc, 0, v30, vcc
	v_sub_u32_e32 v30, 0, v144
	v_ldexp_f32 v27, v27, v30
	v_ldexp_f32 v30, v32, v30
	v_add_f32_e32 v32, -1.0, v27
	v_add_f32_e32 v31, 1.0, v32
	v_sub_f32_e32 v31, v27, v31
	v_add_f32_e32 v33, v30, v31
	v_add_f32_e32 v31, 1.0, v27
	v_add_f32_e32 v34, -1.0, v31
	v_sub_f32_e32 v27, v27, v34
	v_add_f32_e32 v27, v30, v27
	v_add_f32_e32 v145, v31, v27
	v_rcp_f32_e32 v146, v145
	v_sub_f32_e32 v30, v31, v145
	v_add_f32_e32 v31, v32, v33
	v_add_f32_e32 v27, v27, v30
	v_mul_f32_e32 v148, v31, v146
	v_sub_f32_e32 v30, v32, v31
	v_mul_f32_e32 v32, v145, v148
	v_fma_f32 v34, v148, v145, -v32
	v_fmac_f32_e32 v34, v148, v27
	v_add_f32_e32 v147, v33, v30
	v_add_f32_e32 v30, v32, v34
	v_sub_f32_e32 v33, v31, v30
	v_pk_add_f32 v[134:135], v[30:31], v[32:33] neg_lo:[0,1] neg_hi:[0,1]
	v_mov_b32_e32 v35, v30
	v_pk_add_f32 v[30:31], v[134:135], v[34:35] neg_lo:[0,1] neg_hi:[0,1]
	v_add_f32_e32 v31, v147, v31
	v_add_f32_e32 v30, v30, v31
	;; [unrolled: 1-line block ×3, first 2 shown]
	v_mul_f32_e32 v147, v146, v31
	v_mul_f32_e32 v32, v145, v147
	v_fma_f32 v34, v147, v145, -v32
	v_fmac_f32_e32 v34, v147, v27
	v_sub_f32_e32 v27, v33, v31
	v_add_f32_e32 v27, v30, v27
	v_add_f32_e32 v30, v32, v34
	v_sub_f32_e32 v33, v31, v30
	v_pk_add_f32 v[134:135], v[30:31], v[32:33] neg_lo:[0,1] neg_hi:[0,1]
	v_mov_b32_e32 v35, v30
	v_pk_add_f32 v[30:31], v[134:135], v[34:35] neg_lo:[0,1] neg_hi:[0,1]
	v_add_f32_e32 v27, v27, v31
	v_add_f32_e32 v27, v30, v27
	;; [unrolled: 1-line block ×4, first 2 shown]
	v_sub_f32_e32 v31, v30, v148
	v_mul_f32_e32 v27, v146, v27
	v_sub_f32_e32 v31, v147, v31
	v_add_f32_e32 v27, v31, v27
	v_add_f32_e32 v33, v30, v27
	v_mul_f32_e32 v34, v33, v33
	v_mov_b32_e32 v32, 0x3ecc95a3
	v_fmac_f32_e32 v32, 0x3e9b6dac, v34
	v_mov_b32_e32 v31, 0x3f2aaada
	v_fmac_f32_e32 v31, v34, v32
	v_cvt_f32_i32_e32 v32, v144
	v_sub_f32_e32 v30, v33, v30
	v_sub_f32_e32 v27, v27, v30
	v_ldexp_f32 v35, v33, 1
	v_mul_f32_e32 v33, v33, v34
	v_mov_b32_e32 v30, 0x3f317218
	s_mov_b32 s55, 0x3f317218
	v_pk_mul_f32 v[30:31], v[32:33], v[30:31]
	v_fma_f32 v34, v32, s55, -v30
	v_fmac_f32_e32 v34, 0xb102e308, v32
	v_pk_add_f32 v[32:33], v[30:31], v[34:35]
	v_sub_f32_e32 v35, v33, v35
	v_ldexp_f32 v27, v27, 1
	v_sub_f32_e32 v35, v31, v35
	v_add_f32_e32 v135, v27, v35
	v_mov_b32_e32 v134, v30
	v_pk_add_f32 v[30:31], v[32:33], v[30:31] neg_lo:[0,1] neg_hi:[0,1]
	v_pk_add_f32 v[144:145], v[32:33], v[134:135]
	v_mov_b32_e32 v31, v145
	v_mov_b32_e32 v35, v32
	v_pk_add_f32 v[146:147], v[34:35], v[30:31] neg_lo:[0,1] neg_hi:[0,1]
	v_pk_add_f32 v[30:31], v[34:35], v[30:31]
	v_mov_b32_e32 v34, v31
	v_pk_add_f32 v[148:149], v[34:35], v[32:33] neg_lo:[0,1] neg_hi:[0,1]
	v_mov_b32_e32 v27, v148
	v_pk_add_f32 v[150:151], v[144:145], v[26:27] neg_lo:[0,1] neg_hi:[0,1]
	v_mov_b32_e32 v30, v145
	v_mov_b32_e32 v144, v33
	;; [unrolled: 1-line block ×4, first 2 shown]
	v_pk_add_f32 v[30:31], v[30:31], v[144:145] neg_lo:[0,1] neg_hi:[0,1]
	v_mov_b32_e32 v134, v135
	v_mov_b32_e32 v135, v32
	v_pk_add_f32 v[30:31], v[134:135], v[30:31] neg_lo:[0,1] neg_hi:[0,1]
	v_mov_b32_e32 v150, v146
	v_pk_add_f32 v[32:33], v[150:151], v[30:31]
	v_mov_b32_e32 v134, v33
	v_pk_add_f32 v[134:135], v[32:33], v[134:135]
	v_pk_add_f32 v[34:35], v[34:35], v[134:135]
	v_mov_b32_e32 v33, v34
	v_pk_add_f32 v[144:145], v[32:33], v[146:147] neg_lo:[0,1] neg_hi:[0,1]
	v_mov_b32_e32 v31, v134
	v_sub_f32_e32 v27, v32, v144
	v_pk_add_f32 v[30:31], v[30:31], v[144:145] neg_lo:[0,1] neg_hi:[0,1]
	v_sub_f32_e32 v27, v146, v27
	s_mov_b32 s56, 0x7f800000
	v_add_f32_e32 v27, v30, v27
	s_mov_b32 s55, 0x33800000
	v_add_f32_e32 v27, v27, v31
	v_cmp_eq_f32_e32 vcc, s56, v160
	v_cmp_lt_f32_e64 s[56:57], |v160|, s55
	v_add_f32_e32 v27, v34, v27
	s_or_b64 vcc, vcc, s[56:57]
	v_cndmask_b32_e32 v27, v27, v160, vcc
	v_add_f32_e32 v30, v26, v27
.LBB444_202:
	s_or_b64 exec, exec, s[12:13]
	v_bfe_u32 v26, v30, 16, 1
	s_movk_i32 s12, 0x7fff
	v_add3_u32 v26, v30, v26, s12
	v_lshrrev_b32_e32 v26, 16, v26
	v_mov_b32_e32 v27, 0x7fc0
	v_cmp_o_f32_e32 vcc, v30, v30
	v_cndmask_b32_e32 v26, v27, v26, vcc
	v_lshlrev_b32_e32 v31, 16, v26
	v_max_f32_e32 v30, v31, v31
	v_min_f32_e32 v32, v30, v49
	v_cmp_u_f32_e32 vcc, v31, v31
	v_max_f32_e32 v30, v30, v49
	v_cndmask_b32_e32 v32, v32, v31, vcc
	v_cndmask_b32_e32 v30, v30, v31, vcc
	v_cndmask_b32_e64 v32, v32, v48, s[6:7]
	v_cndmask_b32_e64 v30, v30, v48, s[6:7]
	v_cmp_neq_f32_e32 vcc, v32, v30
	v_cmp_class_f32_e64 s[6:7], v32, s54
	s_or_b64 vcc, vcc, s[6:7]
	s_and_saveexec_b64 s[6:7], vcc
	s_cbranch_execz .LBB444_204
; %bb.203:
	v_sub_f32_e32 v31, v32, v30
	s_mov_b32 s13, 0x3fb8aa3b
	v_mul_f32_e32 v32, 0x3fb8aa3b, v31
	v_fma_f32 v33, v31, s13, -v32
	v_rndne_f32_e32 v34, v32
	v_fmac_f32_e32 v33, 0x32a5705f, v31
	v_sub_f32_e32 v32, v32, v34
	v_add_f32_e32 v32, v32, v33
	v_exp_f32_e32 v32, v32
	v_cvt_i32_f32_e32 v33, v34
	s_mov_b32 s13, 0xc2ce8ed0
	v_cmp_ngt_f32_e32 vcc, s13, v31
	s_mov_b32 s13, 0x42b17218
	v_ldexp_f32 v32, v32, v33
	v_cndmask_b32_e32 v32, 0, v32, vcc
	v_mov_b32_e32 v33, 0x7f800000
	v_cmp_nlt_f32_e32 vcc, s13, v31
	v_cndmask_b32_e32 v160, v33, v32, vcc
	v_add_f32_e32 v31, 1.0, v160
	v_add_f32_e32 v32, -1.0, v31
	v_sub_f32_e32 v33, v32, v31
	v_add_f32_e32 v33, 1.0, v33
	v_sub_f32_e32 v32, v160, v32
	v_add_f32_e32 v34, v32, v33
	v_frexp_mant_f32_e32 v35, v31
	s_mov_b32 s13, 0x3f2aaaab
	v_cvt_f64_f32_e32 v[32:33], v31
	v_frexp_exp_i32_f64_e32 v32, v[32:33]
	v_cmp_gt_f32_e32 vcc, s13, v35
	v_subbrev_co_u32_e32 v144, vcc, 0, v32, vcc
	v_sub_u32_e32 v32, 0, v144
	v_ldexp_f32 v31, v31, v32
	v_ldexp_f32 v32, v34, v32
	v_add_f32_e32 v34, -1.0, v31
	v_add_f32_e32 v33, 1.0, v34
	v_sub_f32_e32 v33, v31, v33
	v_add_f32_e32 v35, v32, v33
	v_add_f32_e32 v33, 1.0, v31
	v_add_f32_e32 v48, -1.0, v33
	v_sub_f32_e32 v31, v31, v48
	v_add_f32_e32 v31, v32, v31
	v_add_f32_e32 v145, v33, v31
	v_rcp_f32_e32 v146, v145
	v_sub_f32_e32 v32, v33, v145
	v_add_f32_e32 v33, v34, v35
	v_add_f32_e32 v31, v31, v32
	v_mul_f32_e32 v148, v33, v146
	v_sub_f32_e32 v32, v34, v33
	v_mul_f32_e32 v34, v145, v148
	v_fma_f32 v48, v148, v145, -v34
	v_fmac_f32_e32 v48, v148, v31
	v_add_f32_e32 v147, v35, v32
	v_add_f32_e32 v32, v34, v48
	v_sub_f32_e32 v35, v33, v32
	v_pk_add_f32 v[134:135], v[32:33], v[34:35] neg_lo:[0,1] neg_hi:[0,1]
	v_mov_b32_e32 v49, v32
	v_pk_add_f32 v[32:33], v[134:135], v[48:49] neg_lo:[0,1] neg_hi:[0,1]
	v_add_f32_e32 v33, v147, v33
	v_add_f32_e32 v32, v32, v33
	;; [unrolled: 1-line block ×3, first 2 shown]
	v_mul_f32_e32 v147, v146, v33
	v_mul_f32_e32 v34, v145, v147
	v_fma_f32 v48, v147, v145, -v34
	v_fmac_f32_e32 v48, v147, v31
	v_sub_f32_e32 v31, v35, v33
	v_add_f32_e32 v31, v32, v31
	v_add_f32_e32 v32, v34, v48
	v_sub_f32_e32 v35, v33, v32
	v_pk_add_f32 v[134:135], v[32:33], v[34:35] neg_lo:[0,1] neg_hi:[0,1]
	v_mov_b32_e32 v49, v32
	v_pk_add_f32 v[32:33], v[134:135], v[48:49] neg_lo:[0,1] neg_hi:[0,1]
	v_add_f32_e32 v31, v31, v33
	v_add_f32_e32 v31, v32, v31
	;; [unrolled: 1-line block ×4, first 2 shown]
	v_sub_f32_e32 v33, v32, v148
	v_mul_f32_e32 v31, v146, v31
	v_sub_f32_e32 v33, v147, v33
	v_add_f32_e32 v31, v33, v31
	v_add_f32_e32 v35, v32, v31
	v_mul_f32_e32 v48, v35, v35
	v_mov_b32_e32 v34, 0x3ecc95a3
	v_fmac_f32_e32 v34, 0x3e9b6dac, v48
	v_mov_b32_e32 v33, 0x3f2aaada
	v_fmac_f32_e32 v33, v48, v34
	v_cvt_f32_i32_e32 v34, v144
	v_sub_f32_e32 v32, v35, v32
	v_sub_f32_e32 v31, v31, v32
	v_ldexp_f32 v49, v35, 1
	v_mul_f32_e32 v35, v35, v48
	v_mov_b32_e32 v32, 0x3f317218
	s_mov_b32 s13, 0x3f317218
	v_pk_mul_f32 v[32:33], v[34:35], v[32:33]
	v_fma_f32 v48, v34, s13, -v32
	v_fmac_f32_e32 v48, 0xb102e308, v34
	v_pk_add_f32 v[34:35], v[32:33], v[48:49]
	v_sub_f32_e32 v49, v35, v49
	v_ldexp_f32 v31, v31, 1
	v_sub_f32_e32 v49, v33, v49
	v_add_f32_e32 v135, v31, v49
	v_mov_b32_e32 v134, v32
	v_pk_add_f32 v[32:33], v[34:35], v[32:33] neg_lo:[0,1] neg_hi:[0,1]
	v_pk_add_f32 v[144:145], v[34:35], v[134:135]
	v_mov_b32_e32 v33, v145
	v_mov_b32_e32 v49, v34
	v_pk_add_f32 v[146:147], v[48:49], v[32:33] neg_lo:[0,1] neg_hi:[0,1]
	v_pk_add_f32 v[32:33], v[48:49], v[32:33]
	v_mov_b32_e32 v48, v33
	v_pk_add_f32 v[148:149], v[48:49], v[34:35] neg_lo:[0,1] neg_hi:[0,1]
	v_mov_b32_e32 v31, v148
	v_pk_add_f32 v[150:151], v[144:145], v[30:31] neg_lo:[0,1] neg_hi:[0,1]
	v_mov_b32_e32 v32, v145
	v_mov_b32_e32 v144, v35
	;; [unrolled: 1-line block ×4, first 2 shown]
	v_pk_add_f32 v[32:33], v[32:33], v[144:145] neg_lo:[0,1] neg_hi:[0,1]
	v_mov_b32_e32 v134, v135
	v_mov_b32_e32 v135, v34
	v_pk_add_f32 v[32:33], v[134:135], v[32:33] neg_lo:[0,1] neg_hi:[0,1]
	v_mov_b32_e32 v150, v146
	v_pk_add_f32 v[34:35], v[150:151], v[32:33]
	v_mov_b32_e32 v134, v35
	v_pk_add_f32 v[134:135], v[34:35], v[134:135]
	v_pk_add_f32 v[48:49], v[48:49], v[134:135]
	v_mov_b32_e32 v35, v48
	v_pk_add_f32 v[144:145], v[34:35], v[146:147] neg_lo:[0,1] neg_hi:[0,1]
	v_mov_b32_e32 v33, v134
	v_sub_f32_e32 v31, v34, v144
	v_pk_add_f32 v[32:33], v[32:33], v[144:145] neg_lo:[0,1] neg_hi:[0,1]
	v_sub_f32_e32 v31, v146, v31
	s_mov_b32 s54, 0x7f800000
	v_add_f32_e32 v31, v32, v31
	s_mov_b32 s13, 0x33800000
	v_add_f32_e32 v31, v31, v33
	v_cmp_eq_f32_e32 vcc, s54, v160
	v_cmp_lt_f32_e64 s[54:55], |v160|, s13
	v_add_f32_e32 v31, v48, v31
	s_or_b64 vcc, vcc, s[54:55]
	v_cndmask_b32_e32 v31, v31, v160, vcc
	v_add_f32_e32 v31, v30, v31
.LBB444_204:
	s_or_b64 exec, exec, s[6:7]
	v_bfe_u32 v30, v31, 16, 1
	v_add3_u32 v30, v31, v30, s12
	v_lshrrev_b32_e32 v30, 16, v30
	v_cmp_o_f32_e32 vcc, v31, v31
	v_cndmask_b32_e32 v27, v27, v30, vcc
	v_lshlrev_b32_e32 v32, 16, v27
	v_max_f32_e32 v30, v32, v32
	v_min_f32_e32 v31, v30, v54
	v_cmp_u_f32_e32 vcc, v32, v32
	v_max_f32_e32 v30, v30, v54
	v_cndmask_b32_e32 v31, v31, v32, vcc
	v_cndmask_b32_e32 v30, v30, v32, vcc
	v_cndmask_b32_e64 v31, v31, v50, s[8:9]
	v_cndmask_b32_e64 v30, v30, v50, s[8:9]
	s_movk_i32 s8, 0x1f8
	v_cmp_neq_f32_e32 vcc, v31, v30
	v_cmp_class_f32_e64 s[6:7], v31, s8
	s_or_b64 s[12:13], vcc, s[6:7]
	s_and_saveexec_b64 s[6:7], s[12:13]
	s_cbranch_execz .LBB444_206
; %bb.205:
	v_sub_f32_e32 v31, v31, v30
	s_mov_b32 s9, 0x3fb8aa3b
	v_mul_f32_e32 v32, 0x3fb8aa3b, v31
	v_fma_f32 v33, v31, s9, -v32
	v_rndne_f32_e32 v34, v32
	v_fmac_f32_e32 v33, 0x32a5705f, v31
	v_sub_f32_e32 v32, v32, v34
	v_add_f32_e32 v32, v32, v33
	v_exp_f32_e32 v32, v32
	v_cvt_i32_f32_e32 v33, v34
	s_mov_b32 s9, 0xc2ce8ed0
	v_cmp_ngt_f32_e32 vcc, s9, v31
	s_mov_b32 s9, 0x42b17218
	v_ldexp_f32 v32, v32, v33
	v_cndmask_b32_e32 v32, 0, v32, vcc
	v_mov_b32_e32 v33, 0x7f800000
	v_cmp_nlt_f32_e32 vcc, s9, v31
	v_cndmask_b32_e32 v54, v33, v32, vcc
	v_add_f32_e32 v31, 1.0, v54
	v_add_f32_e32 v32, -1.0, v31
	v_sub_f32_e32 v33, v32, v31
	v_add_f32_e32 v33, 1.0, v33
	v_sub_f32_e32 v32, v54, v32
	v_add_f32_e32 v34, v32, v33
	v_frexp_mant_f32_e32 v35, v31
	s_mov_b32 s9, 0x3f2aaaab
	v_cvt_f64_f32_e32 v[32:33], v31
	v_frexp_exp_i32_f64_e32 v32, v[32:33]
	v_cmp_gt_f32_e32 vcc, s9, v35
	v_subbrev_co_u32_e32 v50, vcc, 0, v32, vcc
	v_sub_u32_e32 v32, 0, v50
	v_ldexp_f32 v31, v31, v32
	v_ldexp_f32 v32, v34, v32
	v_add_f32_e32 v34, -1.0, v31
	v_add_f32_e32 v33, 1.0, v34
	v_sub_f32_e32 v33, v31, v33
	v_add_f32_e32 v35, v32, v33
	v_add_f32_e32 v33, 1.0, v31
	v_add_f32_e32 v48, -1.0, v33
	v_sub_f32_e32 v31, v31, v48
	v_add_f32_e32 v31, v32, v31
	v_add_f32_e32 v144, v33, v31
	v_rcp_f32_e32 v145, v144
	v_sub_f32_e32 v32, v33, v144
	v_add_f32_e32 v33, v34, v35
	v_add_f32_e32 v31, v31, v32
	v_mul_f32_e32 v147, v33, v145
	v_sub_f32_e32 v32, v34, v33
	v_mul_f32_e32 v34, v144, v147
	v_fma_f32 v48, v147, v144, -v34
	v_fmac_f32_e32 v48, v147, v31
	v_add_f32_e32 v146, v35, v32
	v_add_f32_e32 v32, v34, v48
	v_sub_f32_e32 v35, v33, v32
	v_pk_add_f32 v[134:135], v[32:33], v[34:35] neg_lo:[0,1] neg_hi:[0,1]
	v_mov_b32_e32 v49, v32
	v_pk_add_f32 v[32:33], v[134:135], v[48:49] neg_lo:[0,1] neg_hi:[0,1]
	v_add_f32_e32 v33, v146, v33
	v_add_f32_e32 v32, v32, v33
	;; [unrolled: 1-line block ×3, first 2 shown]
	v_mul_f32_e32 v146, v145, v33
	v_mul_f32_e32 v34, v144, v146
	v_fma_f32 v48, v146, v144, -v34
	v_fmac_f32_e32 v48, v146, v31
	v_sub_f32_e32 v31, v35, v33
	v_add_f32_e32 v31, v32, v31
	v_add_f32_e32 v32, v34, v48
	v_sub_f32_e32 v35, v33, v32
	v_pk_add_f32 v[134:135], v[32:33], v[34:35] neg_lo:[0,1] neg_hi:[0,1]
	v_mov_b32_e32 v49, v32
	v_pk_add_f32 v[32:33], v[134:135], v[48:49] neg_lo:[0,1] neg_hi:[0,1]
	v_add_f32_e32 v31, v31, v33
	v_add_f32_e32 v31, v32, v31
	;; [unrolled: 1-line block ×4, first 2 shown]
	v_sub_f32_e32 v33, v32, v147
	v_mul_f32_e32 v31, v145, v31
	v_sub_f32_e32 v33, v146, v33
	v_add_f32_e32 v31, v33, v31
	v_add_f32_e32 v35, v32, v31
	v_mul_f32_e32 v48, v35, v35
	v_mov_b32_e32 v34, 0x3ecc95a3
	v_fmac_f32_e32 v34, 0x3e9b6dac, v48
	v_mov_b32_e32 v33, 0x3f2aaada
	v_fmac_f32_e32 v33, v48, v34
	v_cvt_f32_i32_e32 v34, v50
	v_sub_f32_e32 v32, v35, v32
	v_sub_f32_e32 v31, v31, v32
	v_ldexp_f32 v49, v35, 1
	v_mul_f32_e32 v35, v35, v48
	v_mov_b32_e32 v32, 0x3f317218
	s_mov_b32 s9, 0x3f317218
	v_pk_mul_f32 v[32:33], v[34:35], v[32:33]
	v_fma_f32 v48, v34, s9, -v32
	v_fmac_f32_e32 v48, 0xb102e308, v34
	v_pk_add_f32 v[34:35], v[32:33], v[48:49]
	v_sub_f32_e32 v49, v35, v49
	v_ldexp_f32 v31, v31, 1
	v_sub_f32_e32 v49, v33, v49
	v_add_f32_e32 v135, v31, v49
	v_mov_b32_e32 v134, v32
	v_pk_add_f32 v[32:33], v[34:35], v[32:33] neg_lo:[0,1] neg_hi:[0,1]
	v_pk_add_f32 v[144:145], v[34:35], v[134:135]
	v_mov_b32_e32 v33, v145
	v_mov_b32_e32 v49, v34
	v_pk_add_f32 v[146:147], v[48:49], v[32:33] neg_lo:[0,1] neg_hi:[0,1]
	v_pk_add_f32 v[32:33], v[48:49], v[32:33]
	v_mov_b32_e32 v48, v33
	v_pk_add_f32 v[148:149], v[48:49], v[34:35] neg_lo:[0,1] neg_hi:[0,1]
	v_mov_b32_e32 v31, v148
	v_pk_add_f32 v[150:151], v[144:145], v[30:31] neg_lo:[0,1] neg_hi:[0,1]
	v_mov_b32_e32 v32, v145
	v_mov_b32_e32 v144, v35
	v_mov_b32_e32 v145, v148
	v_mov_b32_e32 v147, v33
	v_pk_add_f32 v[32:33], v[32:33], v[144:145] neg_lo:[0,1] neg_hi:[0,1]
	v_mov_b32_e32 v134, v135
	v_mov_b32_e32 v135, v34
	v_pk_add_f32 v[32:33], v[134:135], v[32:33] neg_lo:[0,1] neg_hi:[0,1]
	v_mov_b32_e32 v150, v146
	v_pk_add_f32 v[34:35], v[150:151], v[32:33]
	v_mov_b32_e32 v50, v35
	v_pk_add_f32 v[134:135], v[34:35], v[50:51]
	v_pk_add_f32 v[48:49], v[48:49], v[134:135]
	v_mov_b32_e32 v35, v48
	v_pk_add_f32 v[144:145], v[34:35], v[146:147] neg_lo:[0,1] neg_hi:[0,1]
	v_mov_b32_e32 v33, v134
	v_sub_f32_e32 v31, v34, v144
	v_pk_add_f32 v[32:33], v[32:33], v[144:145] neg_lo:[0,1] neg_hi:[0,1]
	v_sub_f32_e32 v31, v146, v31
	s_mov_b32 s12, 0x7f800000
	v_add_f32_e32 v31, v32, v31
	s_mov_b32 s9, 0x33800000
	v_add_f32_e32 v31, v31, v33
	v_cmp_eq_f32_e32 vcc, s12, v54
	v_cmp_lt_f32_e64 s[12:13], |v54|, s9
	v_add_f32_e32 v31, v48, v31
	s_or_b64 vcc, vcc, s[12:13]
	v_cndmask_b32_e32 v31, v31, v54, vcc
	v_add_f32_e32 v32, v30, v31
.LBB444_206:
	s_or_b64 exec, exec, s[6:7]
	v_bfe_u32 v30, v32, 16, 1
	s_movk_i32 s9, 0x7fff
	v_add3_u32 v30, v32, v30, s9
	v_lshrrev_b32_e32 v30, 16, v30
	v_mov_b32_e32 v31, 0x7fc0
	v_cmp_o_f32_e32 vcc, v32, v32
	v_cndmask_b32_e32 v30, v31, v30, vcc
	v_lshlrev_b32_e32 v33, 16, v30
	v_max_f32_e32 v32, v33, v33
	v_min_f32_e32 v34, v32, v55
	v_cmp_u_f32_e32 vcc, v33, v33
	v_max_f32_e32 v32, v32, v55
	v_cndmask_b32_e32 v34, v34, v33, vcc
	v_cndmask_b32_e32 v32, v32, v33, vcc
	v_cndmask_b32_e64 v34, v34, v51, s[10:11]
	v_cndmask_b32_e64 v32, v32, v51, s[10:11]
	v_cmp_neq_f32_e32 vcc, v34, v32
	v_cmp_class_f32_e64 s[6:7], v34, s8
	s_or_b64 s[10:11], vcc, s[6:7]
	s_and_saveexec_b64 s[6:7], s[10:11]
	s_cbranch_execz .LBB444_208
; %bb.207:
	v_sub_f32_e32 v33, v34, v32
	s_mov_b32 s8, 0x3fb8aa3b
	v_mul_f32_e32 v34, 0x3fb8aa3b, v33
	v_fma_f32 v35, v33, s8, -v34
	v_rndne_f32_e32 v48, v34
	v_fmac_f32_e32 v35, 0x32a5705f, v33
	v_sub_f32_e32 v34, v34, v48
	v_add_f32_e32 v34, v34, v35
	v_exp_f32_e32 v34, v34
	v_cvt_i32_f32_e32 v35, v48
	s_mov_b32 s8, 0xc2ce8ed0
	v_cmp_ngt_f32_e32 vcc, s8, v33
	s_mov_b32 s8, 0x42b17218
	v_ldexp_f32 v34, v34, v35
	v_cndmask_b32_e32 v34, 0, v34, vcc
	v_mov_b32_e32 v35, 0x7f800000
	v_cmp_nlt_f32_e32 vcc, s8, v33
	v_cndmask_b32_e32 v150, v35, v34, vcc
	v_add_f32_e32 v33, 1.0, v150
	v_add_f32_e32 v34, -1.0, v33
	v_sub_f32_e32 v35, v34, v33
	v_add_f32_e32 v35, 1.0, v35
	v_sub_f32_e32 v34, v150, v34
	v_add_f32_e32 v48, v34, v35
	v_frexp_mant_f32_e32 v49, v33
	s_mov_b32 s8, 0x3f2aaaab
	v_cvt_f64_f32_e32 v[34:35], v33
	v_frexp_exp_i32_f64_e32 v34, v[34:35]
	v_cmp_gt_f32_e32 vcc, s8, v49
	v_subbrev_co_u32_e32 v134, vcc, 0, v34, vcc
	v_sub_u32_e32 v34, 0, v134
	v_ldexp_f32 v33, v33, v34
	v_ldexp_f32 v34, v48, v34
	v_add_f32_e32 v48, -1.0, v33
	v_add_f32_e32 v35, 1.0, v48
	v_sub_f32_e32 v35, v33, v35
	v_add_f32_e32 v49, v34, v35
	v_add_f32_e32 v35, 1.0, v33
	v_add_f32_e32 v50, -1.0, v35
	v_sub_f32_e32 v33, v33, v50
	v_add_f32_e32 v33, v34, v33
	v_add_f32_e32 v135, v35, v33
	v_rcp_f32_e32 v144, v135
	v_sub_f32_e32 v34, v35, v135
	v_add_f32_e32 v35, v48, v49
	v_add_f32_e32 v33, v33, v34
	v_mul_f32_e32 v146, v35, v144
	v_sub_f32_e32 v34, v48, v35
	v_mul_f32_e32 v48, v135, v146
	v_fma_f32 v50, v146, v135, -v48
	v_fmac_f32_e32 v50, v146, v33
	v_add_f32_e32 v145, v49, v34
	v_add_f32_e32 v34, v48, v50
	v_sub_f32_e32 v49, v35, v34
	v_pk_add_f32 v[54:55], v[34:35], v[48:49] neg_lo:[0,1] neg_hi:[0,1]
	v_mov_b32_e32 v51, v34
	v_pk_add_f32 v[34:35], v[54:55], v[50:51] neg_lo:[0,1] neg_hi:[0,1]
	v_add_f32_e32 v35, v145, v35
	v_add_f32_e32 v34, v34, v35
	v_add_f32_e32 v35, v49, v34
	v_mul_f32_e32 v145, v144, v35
	v_mul_f32_e32 v48, v135, v145
	v_fma_f32 v50, v145, v135, -v48
	v_fmac_f32_e32 v50, v145, v33
	v_sub_f32_e32 v33, v49, v35
	v_add_f32_e32 v33, v34, v33
	v_add_f32_e32 v34, v48, v50
	v_sub_f32_e32 v49, v35, v34
	v_pk_add_f32 v[54:55], v[34:35], v[48:49] neg_lo:[0,1] neg_hi:[0,1]
	v_mov_b32_e32 v51, v34
	v_pk_add_f32 v[34:35], v[54:55], v[50:51] neg_lo:[0,1] neg_hi:[0,1]
	v_add_f32_e32 v33, v33, v35
	v_add_f32_e32 v33, v34, v33
	v_add_f32_e32 v34, v146, v145
	v_add_f32_e32 v33, v49, v33
	v_sub_f32_e32 v35, v34, v146
	v_mul_f32_e32 v33, v144, v33
	v_sub_f32_e32 v35, v145, v35
	v_add_f32_e32 v33, v35, v33
	v_add_f32_e32 v49, v34, v33
	v_mul_f32_e32 v50, v49, v49
	v_mov_b32_e32 v48, 0x3ecc95a3
	v_fmac_f32_e32 v48, 0x3e9b6dac, v50
	v_mov_b32_e32 v35, 0x3f2aaada
	v_fmac_f32_e32 v35, v50, v48
	v_cvt_f32_i32_e32 v48, v134
	v_sub_f32_e32 v34, v49, v34
	v_sub_f32_e32 v33, v33, v34
	v_ldexp_f32 v51, v49, 1
	v_mul_f32_e32 v49, v49, v50
	v_mov_b32_e32 v34, 0x3f317218
	s_mov_b32 s8, 0x3f317218
	v_pk_mul_f32 v[34:35], v[48:49], v[34:35]
	v_fma_f32 v50, v48, s8, -v34
	v_fmac_f32_e32 v50, 0xb102e308, v48
	v_pk_add_f32 v[48:49], v[34:35], v[50:51]
	v_sub_f32_e32 v51, v49, v51
	v_ldexp_f32 v33, v33, 1
	v_sub_f32_e32 v51, v35, v51
	v_add_f32_e32 v55, v33, v51
	v_mov_b32_e32 v54, v34
	v_pk_add_f32 v[34:35], v[48:49], v[34:35] neg_lo:[0,1] neg_hi:[0,1]
	v_pk_add_f32 v[134:135], v[48:49], v[54:55]
	v_mov_b32_e32 v35, v135
	v_mov_b32_e32 v51, v48
	v_pk_add_f32 v[144:145], v[50:51], v[34:35] neg_lo:[0,1] neg_hi:[0,1]
	v_pk_add_f32 v[34:35], v[50:51], v[34:35]
	v_mov_b32_e32 v50, v35
	v_pk_add_f32 v[146:147], v[50:51], v[48:49] neg_lo:[0,1] neg_hi:[0,1]
	v_mov_b32_e32 v33, v146
	v_pk_add_f32 v[148:149], v[134:135], v[32:33] neg_lo:[0,1] neg_hi:[0,1]
	v_mov_b32_e32 v34, v135
	v_mov_b32_e32 v134, v49
	;; [unrolled: 1-line block ×4, first 2 shown]
	v_pk_add_f32 v[34:35], v[34:35], v[134:135] neg_lo:[0,1] neg_hi:[0,1]
	v_mov_b32_e32 v54, v55
	v_mov_b32_e32 v55, v48
	v_pk_add_f32 v[34:35], v[54:55], v[34:35] neg_lo:[0,1] neg_hi:[0,1]
	v_mov_b32_e32 v148, v144
	v_pk_add_f32 v[48:49], v[148:149], v[34:35]
	v_mov_b32_e32 v54, v49
	v_pk_add_f32 v[54:55], v[48:49], v[54:55]
	v_pk_add_f32 v[50:51], v[50:51], v[54:55]
	v_mov_b32_e32 v49, v50
	v_pk_add_f32 v[134:135], v[48:49], v[144:145] neg_lo:[0,1] neg_hi:[0,1]
	v_mov_b32_e32 v35, v54
	v_sub_f32_e32 v33, v48, v134
	v_pk_add_f32 v[34:35], v[34:35], v[134:135] neg_lo:[0,1] neg_hi:[0,1]
	v_sub_f32_e32 v33, v144, v33
	s_mov_b32 s10, 0x7f800000
	v_add_f32_e32 v33, v34, v33
	s_mov_b32 s8, 0x33800000
	v_add_f32_e32 v33, v33, v35
	v_cmp_eq_f32_e32 vcc, s10, v150
	v_cmp_lt_f32_e64 s[10:11], |v150|, s8
	v_add_f32_e32 v33, v50, v33
	s_or_b64 vcc, vcc, s[10:11]
	v_cndmask_b32_e32 v33, v33, v150, vcc
	v_add_f32_e32 v33, v32, v33
.LBB444_208:
	s_or_b64 exec, exec, s[6:7]
	v_bfe_u32 v32, v33, 16, 1
	v_add3_u32 v32, v33, v32, s9
	v_lshrrev_b32_e32 v32, 16, v32
	v_cmp_o_f32_e32 vcc, v33, v33
	v_cndmask_b32_e32 v31, v31, v32, vcc
	v_lshlrev_b32_e32 v34, 16, v31
	v_max_f32_e32 v32, v34, v34
	v_min_f32_e32 v33, v32, v66
	v_cmp_u_f32_e32 vcc, v34, v34
	v_max_f32_e32 v32, v32, v66
	v_cndmask_b32_e32 v33, v33, v34, vcc
	v_cndmask_b32_e32 v32, v32, v34, vcc
	v_cndmask_b32_e64 v33, v33, v52, s[58:59]
	v_cndmask_b32_e64 v32, v32, v52, s[58:59]
	s_movk_i32 s8, 0x1f8
	v_cmp_neq_f32_e32 vcc, v33, v32
	v_cmp_class_f32_e64 s[6:7], v33, s8
	s_or_b64 s[10:11], vcc, s[6:7]
	s_and_saveexec_b64 s[6:7], s[10:11]
	s_cbranch_execz .LBB444_210
; %bb.209:
	v_sub_f32_e32 v33, v33, v32
	s_mov_b32 s9, 0x3fb8aa3b
	v_mul_f32_e32 v34, 0x3fb8aa3b, v33
	v_fma_f32 v35, v33, s9, -v34
	v_rndne_f32_e32 v48, v34
	v_fmac_f32_e32 v35, 0x32a5705f, v33
	v_sub_f32_e32 v34, v34, v48
	v_add_f32_e32 v34, v34, v35
	v_exp_f32_e32 v34, v34
	v_cvt_i32_f32_e32 v35, v48
	s_mov_b32 s9, 0xc2ce8ed0
	v_cmp_ngt_f32_e32 vcc, s9, v33
	s_mov_b32 s9, 0x42b17218
	v_ldexp_f32 v34, v34, v35
	v_cndmask_b32_e32 v34, 0, v34, vcc
	v_mov_b32_e32 v35, 0x7f800000
	v_cmp_nlt_f32_e32 vcc, s9, v33
	v_cndmask_b32_e32 v66, v35, v34, vcc
	v_add_f32_e32 v33, 1.0, v66
	v_add_f32_e32 v34, -1.0, v33
	v_sub_f32_e32 v35, v34, v33
	v_add_f32_e32 v35, 1.0, v35
	v_sub_f32_e32 v34, v66, v34
	v_add_f32_e32 v48, v34, v35
	v_frexp_mant_f32_e32 v49, v33
	s_mov_b32 s9, 0x3f2aaaab
	v_cvt_f64_f32_e32 v[34:35], v33
	v_frexp_exp_i32_f64_e32 v34, v[34:35]
	v_cmp_gt_f32_e32 vcc, s9, v49
	v_subbrev_co_u32_e32 v52, vcc, 0, v34, vcc
	v_sub_u32_e32 v34, 0, v52
	v_ldexp_f32 v33, v33, v34
	v_ldexp_f32 v34, v48, v34
	v_add_f32_e32 v48, -1.0, v33
	v_add_f32_e32 v35, 1.0, v48
	v_sub_f32_e32 v35, v33, v35
	v_add_f32_e32 v49, v34, v35
	v_add_f32_e32 v35, 1.0, v33
	v_add_f32_e32 v50, -1.0, v35
	v_sub_f32_e32 v33, v33, v50
	v_add_f32_e32 v33, v34, v33
	v_add_f32_e32 v134, v35, v33
	v_rcp_f32_e32 v135, v134
	v_sub_f32_e32 v34, v35, v134
	v_add_f32_e32 v35, v48, v49
	v_add_f32_e32 v33, v33, v34
	v_mul_f32_e32 v145, v35, v135
	v_sub_f32_e32 v34, v48, v35
	v_mul_f32_e32 v48, v134, v145
	v_fma_f32 v50, v145, v134, -v48
	v_fmac_f32_e32 v50, v145, v33
	v_add_f32_e32 v144, v49, v34
	v_add_f32_e32 v34, v48, v50
	v_sub_f32_e32 v49, v35, v34
	v_pk_add_f32 v[54:55], v[34:35], v[48:49] neg_lo:[0,1] neg_hi:[0,1]
	v_mov_b32_e32 v51, v34
	v_pk_add_f32 v[34:35], v[54:55], v[50:51] neg_lo:[0,1] neg_hi:[0,1]
	v_add_f32_e32 v35, v144, v35
	v_add_f32_e32 v34, v34, v35
	;; [unrolled: 1-line block ×3, first 2 shown]
	v_mul_f32_e32 v144, v135, v35
	v_mul_f32_e32 v48, v134, v144
	v_fma_f32 v50, v144, v134, -v48
	v_fmac_f32_e32 v50, v144, v33
	v_sub_f32_e32 v33, v49, v35
	v_add_f32_e32 v33, v34, v33
	v_add_f32_e32 v34, v48, v50
	v_sub_f32_e32 v49, v35, v34
	v_pk_add_f32 v[54:55], v[34:35], v[48:49] neg_lo:[0,1] neg_hi:[0,1]
	v_mov_b32_e32 v51, v34
	v_pk_add_f32 v[34:35], v[54:55], v[50:51] neg_lo:[0,1] neg_hi:[0,1]
	v_add_f32_e32 v33, v33, v35
	v_add_f32_e32 v33, v34, v33
	;; [unrolled: 1-line block ×4, first 2 shown]
	v_sub_f32_e32 v35, v34, v145
	v_mul_f32_e32 v33, v135, v33
	v_sub_f32_e32 v35, v144, v35
	v_add_f32_e32 v33, v35, v33
	v_add_f32_e32 v49, v34, v33
	v_mul_f32_e32 v50, v49, v49
	v_mov_b32_e32 v48, 0x3ecc95a3
	v_fmac_f32_e32 v48, 0x3e9b6dac, v50
	v_mov_b32_e32 v35, 0x3f2aaada
	v_fmac_f32_e32 v35, v50, v48
	v_cvt_f32_i32_e32 v48, v52
	v_sub_f32_e32 v34, v49, v34
	v_sub_f32_e32 v33, v33, v34
	v_ldexp_f32 v51, v49, 1
	v_mul_f32_e32 v49, v49, v50
	v_mov_b32_e32 v34, 0x3f317218
	s_mov_b32 s9, 0x3f317218
	v_pk_mul_f32 v[34:35], v[48:49], v[34:35]
	v_fma_f32 v50, v48, s9, -v34
	v_fmac_f32_e32 v50, 0xb102e308, v48
	v_pk_add_f32 v[48:49], v[34:35], v[50:51]
	v_sub_f32_e32 v51, v49, v51
	v_ldexp_f32 v33, v33, 1
	v_sub_f32_e32 v51, v35, v51
	v_add_f32_e32 v55, v33, v51
	v_mov_b32_e32 v54, v34
	v_pk_add_f32 v[34:35], v[48:49], v[34:35] neg_lo:[0,1] neg_hi:[0,1]
	v_pk_add_f32 v[134:135], v[48:49], v[54:55]
	v_mov_b32_e32 v35, v135
	v_mov_b32_e32 v51, v48
	v_pk_add_f32 v[144:145], v[50:51], v[34:35] neg_lo:[0,1] neg_hi:[0,1]
	v_pk_add_f32 v[34:35], v[50:51], v[34:35]
	v_mov_b32_e32 v50, v35
	v_pk_add_f32 v[146:147], v[50:51], v[48:49] neg_lo:[0,1] neg_hi:[0,1]
	v_mov_b32_e32 v33, v146
	v_pk_add_f32 v[148:149], v[134:135], v[32:33] neg_lo:[0,1] neg_hi:[0,1]
	v_mov_b32_e32 v34, v135
	v_mov_b32_e32 v134, v49
	;; [unrolled: 1-line block ×4, first 2 shown]
	v_pk_add_f32 v[34:35], v[34:35], v[134:135] neg_lo:[0,1] neg_hi:[0,1]
	v_mov_b32_e32 v54, v55
	v_mov_b32_e32 v55, v48
	v_pk_add_f32 v[34:35], v[54:55], v[34:35] neg_lo:[0,1] neg_hi:[0,1]
	v_mov_b32_e32 v148, v144
	v_pk_add_f32 v[48:49], v[148:149], v[34:35]
	v_mov_b32_e32 v52, v49
	v_pk_add_f32 v[54:55], v[48:49], v[52:53]
	v_pk_add_f32 v[50:51], v[50:51], v[54:55]
	v_mov_b32_e32 v49, v50
	v_pk_add_f32 v[134:135], v[48:49], v[144:145] neg_lo:[0,1] neg_hi:[0,1]
	v_mov_b32_e32 v35, v54
	v_sub_f32_e32 v33, v48, v134
	v_pk_add_f32 v[34:35], v[34:35], v[134:135] neg_lo:[0,1] neg_hi:[0,1]
	v_sub_f32_e32 v33, v144, v33
	s_mov_b32 s10, 0x7f800000
	v_add_f32_e32 v33, v34, v33
	s_mov_b32 s9, 0x33800000
	v_add_f32_e32 v33, v33, v35
	v_cmp_eq_f32_e32 vcc, s10, v66
	v_cmp_lt_f32_e64 s[10:11], |v66|, s9
	v_add_f32_e32 v33, v50, v33
	s_or_b64 vcc, vcc, s[10:11]
	v_cndmask_b32_e32 v33, v33, v66, vcc
	v_add_f32_e32 v34, v32, v33
.LBB444_210:
	s_or_b64 exec, exec, s[6:7]
	v_bfe_u32 v32, v34, 16, 1
	s_movk_i32 s9, 0x7fff
	v_add3_u32 v32, v34, v32, s9
	v_lshrrev_b32_e32 v32, 16, v32
	v_mov_b32_e32 v33, 0x7fc0
	v_cmp_o_f32_e32 vcc, v34, v34
	v_cndmask_b32_e32 v32, v33, v32, vcc
	v_lshlrev_b32_e32 v35, 16, v32
	v_max_f32_e32 v34, v35, v35
	v_min_f32_e32 v48, v34, v67
	v_cmp_u_f32_e32 vcc, v35, v35
	v_max_f32_e32 v34, v34, v67
	v_cndmask_b32_e32 v48, v48, v35, vcc
	v_cndmask_b32_e32 v34, v34, v35, vcc
	v_cndmask_b32_e64 v48, v48, v53, s[14:15]
	v_cndmask_b32_e64 v34, v34, v53, s[14:15]
	v_cmp_neq_f32_e32 vcc, v48, v34
	v_cmp_class_f32_e64 s[6:7], v48, s8
	s_or_b64 s[10:11], vcc, s[6:7]
	s_and_saveexec_b64 s[6:7], s[10:11]
	s_cbranch_execz .LBB444_212
; %bb.211:
	v_sub_f32_e32 v35, v48, v34
	s_mov_b32 s8, 0x3fb8aa3b
	v_mul_f32_e32 v48, 0x3fb8aa3b, v35
	v_fma_f32 v49, v35, s8, -v48
	v_rndne_f32_e32 v50, v48
	v_fmac_f32_e32 v49, 0x32a5705f, v35
	v_sub_f32_e32 v48, v48, v50
	v_add_f32_e32 v48, v48, v49
	v_exp_f32_e32 v48, v48
	v_cvt_i32_f32_e32 v49, v50
	s_mov_b32 s8, 0xc2ce8ed0
	v_cmp_ngt_f32_e32 vcc, s8, v35
	s_mov_b32 s8, 0x42b17218
	v_ldexp_f32 v48, v48, v49
	v_cndmask_b32_e32 v48, 0, v48, vcc
	v_mov_b32_e32 v49, 0x7f800000
	v_cmp_nlt_f32_e32 vcc, s8, v35
	v_cndmask_b32_e32 v148, v49, v48, vcc
	v_add_f32_e32 v35, 1.0, v148
	v_add_f32_e32 v48, -1.0, v35
	v_sub_f32_e32 v49, v48, v35
	v_add_f32_e32 v49, 1.0, v49
	v_sub_f32_e32 v48, v148, v48
	v_add_f32_e32 v50, v48, v49
	v_frexp_mant_f32_e32 v51, v35
	s_mov_b32 s8, 0x3f2aaaab
	v_cvt_f64_f32_e32 v[48:49], v35
	v_frexp_exp_i32_f64_e32 v48, v[48:49]
	v_cmp_gt_f32_e32 vcc, s8, v51
	v_subbrev_co_u32_e32 v66, vcc, 0, v48, vcc
	v_sub_u32_e32 v48, 0, v66
	v_ldexp_f32 v35, v35, v48
	v_ldexp_f32 v48, v50, v48
	v_add_f32_e32 v50, -1.0, v35
	v_add_f32_e32 v49, 1.0, v50
	v_sub_f32_e32 v49, v35, v49
	v_add_f32_e32 v51, v48, v49
	v_add_f32_e32 v49, 1.0, v35
	v_add_f32_e32 v52, -1.0, v49
	v_sub_f32_e32 v35, v35, v52
	v_add_f32_e32 v35, v48, v35
	v_add_f32_e32 v67, v49, v35
	v_rcp_f32_e32 v134, v67
	v_sub_f32_e32 v48, v49, v67
	v_add_f32_e32 v49, v50, v51
	v_add_f32_e32 v35, v35, v48
	v_mul_f32_e32 v144, v49, v134
	v_sub_f32_e32 v48, v50, v49
	v_mul_f32_e32 v50, v67, v144
	v_fma_f32 v52, v144, v67, -v50
	v_fmac_f32_e32 v52, v144, v35
	v_add_f32_e32 v135, v51, v48
	v_add_f32_e32 v48, v50, v52
	v_sub_f32_e32 v51, v49, v48
	v_pk_add_f32 v[54:55], v[48:49], v[50:51] neg_lo:[0,1] neg_hi:[0,1]
	v_mov_b32_e32 v53, v48
	v_pk_add_f32 v[48:49], v[54:55], v[52:53] neg_lo:[0,1] neg_hi:[0,1]
	v_add_f32_e32 v49, v135, v49
	v_add_f32_e32 v48, v48, v49
	;; [unrolled: 1-line block ×3, first 2 shown]
	v_mul_f32_e32 v135, v134, v49
	v_mul_f32_e32 v50, v67, v135
	v_fma_f32 v52, v135, v67, -v50
	v_fmac_f32_e32 v52, v135, v35
	v_sub_f32_e32 v35, v51, v49
	v_add_f32_e32 v35, v48, v35
	v_add_f32_e32 v48, v50, v52
	v_sub_f32_e32 v51, v49, v48
	v_pk_add_f32 v[54:55], v[48:49], v[50:51] neg_lo:[0,1] neg_hi:[0,1]
	v_mov_b32_e32 v53, v48
	v_pk_add_f32 v[48:49], v[54:55], v[52:53] neg_lo:[0,1] neg_hi:[0,1]
	v_add_f32_e32 v35, v35, v49
	v_add_f32_e32 v35, v48, v35
	;; [unrolled: 1-line block ×4, first 2 shown]
	v_sub_f32_e32 v49, v48, v144
	v_mul_f32_e32 v35, v134, v35
	v_sub_f32_e32 v49, v135, v49
	v_add_f32_e32 v35, v49, v35
	v_add_f32_e32 v51, v48, v35
	v_mul_f32_e32 v52, v51, v51
	v_mov_b32_e32 v50, 0x3ecc95a3
	v_fmac_f32_e32 v50, 0x3e9b6dac, v52
	v_mov_b32_e32 v49, 0x3f2aaada
	v_fmac_f32_e32 v49, v52, v50
	v_cvt_f32_i32_e32 v50, v66
	v_sub_f32_e32 v48, v51, v48
	v_sub_f32_e32 v35, v35, v48
	v_ldexp_f32 v53, v51, 1
	v_mul_f32_e32 v51, v51, v52
	v_mov_b32_e32 v48, 0x3f317218
	s_mov_b32 s8, 0x3f317218
	v_pk_mul_f32 v[48:49], v[50:51], v[48:49]
	v_fma_f32 v52, v50, s8, -v48
	v_fmac_f32_e32 v52, 0xb102e308, v50
	v_pk_add_f32 v[50:51], v[48:49], v[52:53]
	v_sub_f32_e32 v53, v51, v53
	v_ldexp_f32 v35, v35, 1
	v_sub_f32_e32 v53, v49, v53
	v_add_f32_e32 v55, v35, v53
	v_mov_b32_e32 v54, v48
	v_pk_add_f32 v[48:49], v[50:51], v[48:49] neg_lo:[0,1] neg_hi:[0,1]
	v_pk_add_f32 v[66:67], v[50:51], v[54:55]
	v_mov_b32_e32 v49, v67
	v_mov_b32_e32 v53, v50
	v_pk_add_f32 v[134:135], v[52:53], v[48:49] neg_lo:[0,1] neg_hi:[0,1]
	v_pk_add_f32 v[48:49], v[52:53], v[48:49]
	v_mov_b32_e32 v52, v49
	v_pk_add_f32 v[144:145], v[52:53], v[50:51] neg_lo:[0,1] neg_hi:[0,1]
	v_mov_b32_e32 v35, v144
	v_pk_add_f32 v[146:147], v[66:67], v[34:35] neg_lo:[0,1] neg_hi:[0,1]
	v_mov_b32_e32 v48, v67
	v_mov_b32_e32 v66, v51
	;; [unrolled: 1-line block ×4, first 2 shown]
	v_pk_add_f32 v[48:49], v[48:49], v[66:67] neg_lo:[0,1] neg_hi:[0,1]
	v_mov_b32_e32 v54, v55
	v_mov_b32_e32 v55, v50
	v_pk_add_f32 v[48:49], v[54:55], v[48:49] neg_lo:[0,1] neg_hi:[0,1]
	v_mov_b32_e32 v146, v134
	v_pk_add_f32 v[50:51], v[146:147], v[48:49]
	v_mov_b32_e32 v54, v51
	v_pk_add_f32 v[54:55], v[50:51], v[54:55]
	v_pk_add_f32 v[52:53], v[52:53], v[54:55]
	v_mov_b32_e32 v51, v52
	v_pk_add_f32 v[66:67], v[50:51], v[134:135] neg_lo:[0,1] neg_hi:[0,1]
	v_mov_b32_e32 v49, v54
	v_sub_f32_e32 v35, v50, v66
	v_pk_add_f32 v[48:49], v[48:49], v[66:67] neg_lo:[0,1] neg_hi:[0,1]
	v_sub_f32_e32 v35, v134, v35
	s_mov_b32 s10, 0x7f800000
	v_add_f32_e32 v35, v48, v35
	s_mov_b32 s8, 0x33800000
	v_add_f32_e32 v35, v35, v49
	v_cmp_eq_f32_e32 vcc, s10, v148
	v_cmp_lt_f32_e64 s[10:11], |v148|, s8
	v_add_f32_e32 v35, v52, v35
	s_or_b64 vcc, vcc, s[10:11]
	v_cndmask_b32_e32 v35, v35, v148, vcc
	v_add_f32_e32 v35, v34, v35
.LBB444_212:
	s_or_b64 exec, exec, s[6:7]
	v_bfe_u32 v34, v35, 16, 1
	v_add3_u32 v34, v35, v34, s9
	v_lshrrev_b32_e32 v34, 16, v34
	v_cmp_o_f32_e32 vcc, v35, v35
	v_cndmask_b32_e32 v33, v33, v34, vcc
	v_lshlrev_b32_e32 v48, 16, v33
	v_max_f32_e32 v34, v48, v48
	v_min_f32_e32 v35, v34, v70
	v_cmp_u_f32_e32 vcc, v48, v48
	v_max_f32_e32 v34, v34, v70
	v_cndmask_b32_e32 v35, v35, v48, vcc
	v_cndmask_b32_e32 v34, v34, v48, vcc
	v_cndmask_b32_e64 v35, v35, v64, s[16:17]
	v_cndmask_b32_e64 v34, v34, v64, s[16:17]
	s_movk_i32 s8, 0x1f8
	v_cmp_neq_f32_e32 vcc, v35, v34
	v_cmp_class_f32_e64 s[6:7], v35, s8
	s_or_b64 s[10:11], vcc, s[6:7]
	s_and_saveexec_b64 s[6:7], s[10:11]
	s_cbranch_execz .LBB444_214
; %bb.213:
	v_sub_f32_e32 v35, v35, v34
	s_mov_b32 s9, 0x3fb8aa3b
	v_mul_f32_e32 v48, 0x3fb8aa3b, v35
	v_fma_f32 v49, v35, s9, -v48
	v_rndne_f32_e32 v50, v48
	v_fmac_f32_e32 v49, 0x32a5705f, v35
	v_sub_f32_e32 v48, v48, v50
	v_add_f32_e32 v48, v48, v49
	v_exp_f32_e32 v48, v48
	v_cvt_i32_f32_e32 v49, v50
	s_mov_b32 s9, 0xc2ce8ed0
	v_cmp_ngt_f32_e32 vcc, s9, v35
	s_mov_b32 s9, 0x42b17218
	v_ldexp_f32 v48, v48, v49
	v_cndmask_b32_e32 v48, 0, v48, vcc
	v_mov_b32_e32 v49, 0x7f800000
	v_cmp_nlt_f32_e32 vcc, s9, v35
	v_cndmask_b32_e32 v64, v49, v48, vcc
	v_add_f32_e32 v35, 1.0, v64
	v_add_f32_e32 v48, -1.0, v35
	v_sub_f32_e32 v49, v48, v35
	v_add_f32_e32 v49, 1.0, v49
	v_sub_f32_e32 v48, v64, v48
	v_add_f32_e32 v50, v48, v49
	v_frexp_mant_f32_e32 v51, v35
	s_mov_b32 s9, 0x3f2aaaab
	v_cvt_f64_f32_e32 v[48:49], v35
	v_frexp_exp_i32_f64_e32 v48, v[48:49]
	v_cmp_gt_f32_e32 vcc, s9, v51
	v_subbrev_co_u32_e32 v66, vcc, 0, v48, vcc
	v_sub_u32_e32 v48, 0, v66
	v_ldexp_f32 v35, v35, v48
	v_ldexp_f32 v48, v50, v48
	v_add_f32_e32 v50, -1.0, v35
	v_add_f32_e32 v49, 1.0, v50
	v_sub_f32_e32 v49, v35, v49
	v_add_f32_e32 v51, v48, v49
	v_add_f32_e32 v49, 1.0, v35
	v_add_f32_e32 v52, -1.0, v49
	v_sub_f32_e32 v35, v35, v52
	v_add_f32_e32 v35, v48, v35
	v_add_f32_e32 v67, v49, v35
	v_rcp_f32_e32 v70, v67
	v_sub_f32_e32 v48, v49, v67
	v_add_f32_e32 v49, v50, v51
	v_add_f32_e32 v35, v35, v48
	v_mul_f32_e32 v135, v49, v70
	v_sub_f32_e32 v48, v50, v49
	v_mul_f32_e32 v50, v67, v135
	v_fma_f32 v52, v135, v67, -v50
	v_fmac_f32_e32 v52, v135, v35
	v_add_f32_e32 v134, v51, v48
	v_add_f32_e32 v48, v50, v52
	v_sub_f32_e32 v51, v49, v48
	v_pk_add_f32 v[54:55], v[48:49], v[50:51] neg_lo:[0,1] neg_hi:[0,1]
	v_mov_b32_e32 v53, v48
	v_pk_add_f32 v[48:49], v[54:55], v[52:53] neg_lo:[0,1] neg_hi:[0,1]
	v_add_f32_e32 v49, v134, v49
	v_add_f32_e32 v48, v48, v49
	;; [unrolled: 1-line block ×3, first 2 shown]
	v_mul_f32_e32 v134, v70, v49
	v_mul_f32_e32 v50, v67, v134
	v_fma_f32 v52, v134, v67, -v50
	v_fmac_f32_e32 v52, v134, v35
	v_sub_f32_e32 v35, v51, v49
	v_add_f32_e32 v35, v48, v35
	v_add_f32_e32 v48, v50, v52
	v_sub_f32_e32 v51, v49, v48
	v_pk_add_f32 v[54:55], v[48:49], v[50:51] neg_lo:[0,1] neg_hi:[0,1]
	v_mov_b32_e32 v53, v48
	v_pk_add_f32 v[48:49], v[54:55], v[52:53] neg_lo:[0,1] neg_hi:[0,1]
	v_add_f32_e32 v35, v35, v49
	v_add_f32_e32 v35, v48, v35
	;; [unrolled: 1-line block ×4, first 2 shown]
	v_sub_f32_e32 v49, v48, v135
	v_mul_f32_e32 v35, v70, v35
	v_sub_f32_e32 v49, v134, v49
	v_add_f32_e32 v35, v49, v35
	v_add_f32_e32 v51, v48, v35
	v_mul_f32_e32 v52, v51, v51
	v_mov_b32_e32 v50, 0x3ecc95a3
	v_fmac_f32_e32 v50, 0x3e9b6dac, v52
	v_mov_b32_e32 v49, 0x3f2aaada
	v_fmac_f32_e32 v49, v52, v50
	v_cvt_f32_i32_e32 v50, v66
	v_sub_f32_e32 v48, v51, v48
	v_sub_f32_e32 v35, v35, v48
	v_ldexp_f32 v53, v51, 1
	v_mul_f32_e32 v51, v51, v52
	v_mov_b32_e32 v48, 0x3f317218
	s_mov_b32 s9, 0x3f317218
	v_pk_mul_f32 v[48:49], v[50:51], v[48:49]
	v_fma_f32 v52, v50, s9, -v48
	v_fmac_f32_e32 v52, 0xb102e308, v50
	v_pk_add_f32 v[50:51], v[48:49], v[52:53]
	v_sub_f32_e32 v53, v51, v53
	v_ldexp_f32 v35, v35, 1
	v_sub_f32_e32 v53, v49, v53
	v_add_f32_e32 v55, v35, v53
	v_mov_b32_e32 v54, v48
	v_pk_add_f32 v[48:49], v[50:51], v[48:49] neg_lo:[0,1] neg_hi:[0,1]
	v_pk_add_f32 v[66:67], v[50:51], v[54:55]
	v_mov_b32_e32 v49, v67
	v_mov_b32_e32 v53, v50
	v_pk_add_f32 v[134:135], v[52:53], v[48:49] neg_lo:[0,1] neg_hi:[0,1]
	v_pk_add_f32 v[48:49], v[52:53], v[48:49]
	v_mov_b32_e32 v52, v49
	v_pk_add_f32 v[144:145], v[52:53], v[50:51] neg_lo:[0,1] neg_hi:[0,1]
	v_mov_b32_e32 v35, v144
	v_pk_add_f32 v[146:147], v[66:67], v[34:35] neg_lo:[0,1] neg_hi:[0,1]
	v_mov_b32_e32 v48, v67
	v_mov_b32_e32 v66, v51
	;; [unrolled: 1-line block ×4, first 2 shown]
	v_pk_add_f32 v[48:49], v[48:49], v[66:67] neg_lo:[0,1] neg_hi:[0,1]
	v_mov_b32_e32 v54, v55
	v_mov_b32_e32 v55, v50
	v_pk_add_f32 v[48:49], v[54:55], v[48:49] neg_lo:[0,1] neg_hi:[0,1]
	v_mov_b32_e32 v146, v134
	v_pk_add_f32 v[50:51], v[146:147], v[48:49]
	v_mov_b32_e32 v54, v51
	v_pk_add_f32 v[54:55], v[50:51], v[54:55]
	v_pk_add_f32 v[52:53], v[52:53], v[54:55]
	v_mov_b32_e32 v51, v52
	v_pk_add_f32 v[66:67], v[50:51], v[134:135] neg_lo:[0,1] neg_hi:[0,1]
	v_mov_b32_e32 v49, v54
	v_sub_f32_e32 v35, v50, v66
	v_pk_add_f32 v[48:49], v[48:49], v[66:67] neg_lo:[0,1] neg_hi:[0,1]
	v_sub_f32_e32 v35, v134, v35
	s_mov_b32 s10, 0x7f800000
	v_add_f32_e32 v35, v48, v35
	s_mov_b32 s9, 0x33800000
	v_add_f32_e32 v35, v35, v49
	v_cmp_eq_f32_e32 vcc, s10, v64
	v_cmp_lt_f32_e64 s[10:11], |v64|, s9
	v_add_f32_e32 v35, v52, v35
	s_or_b64 vcc, vcc, s[10:11]
	v_cndmask_b32_e32 v35, v35, v64, vcc
	v_add_f32_e32 v48, v34, v35
.LBB444_214:
	s_or_b64 exec, exec, s[6:7]
	v_bfe_u32 v34, v48, 16, 1
	s_movk_i32 s9, 0x7fff
	v_add3_u32 v34, v48, v34, s9
	v_lshrrev_b32_e32 v34, 16, v34
	v_mov_b32_e32 v35, 0x7fc0
	v_cmp_o_f32_e32 vcc, v48, v48
	v_cndmask_b32_e32 v34, v35, v34, vcc
	v_lshlrev_b32_e32 v49, 16, v34
	v_max_f32_e32 v48, v49, v49
	v_min_f32_e32 v50, v48, v71
	v_cmp_u_f32_e32 vcc, v49, v49
	v_max_f32_e32 v48, v48, v71
	v_cndmask_b32_e32 v50, v50, v49, vcc
	v_cndmask_b32_e32 v48, v48, v49, vcc
	v_cndmask_b32_e64 v50, v50, v65, s[18:19]
	v_cndmask_b32_e64 v48, v48, v65, s[18:19]
	v_cmp_neq_f32_e32 vcc, v50, v48
	v_cmp_class_f32_e64 s[6:7], v50, s8
	s_or_b64 s[10:11], vcc, s[6:7]
	s_and_saveexec_b64 s[6:7], s[10:11]
	s_cbranch_execz .LBB444_216
; %bb.215:
	v_sub_f32_e32 v49, v50, v48
	s_mov_b32 s8, 0x3fb8aa3b
	v_mul_f32_e32 v50, 0x3fb8aa3b, v49
	v_fma_f32 v51, v49, s8, -v50
	v_rndne_f32_e32 v52, v50
	v_fmac_f32_e32 v51, 0x32a5705f, v49
	v_sub_f32_e32 v50, v50, v52
	v_add_f32_e32 v50, v50, v51
	v_exp_f32_e32 v50, v50
	v_cvt_i32_f32_e32 v51, v52
	s_mov_b32 s8, 0xc2ce8ed0
	v_cmp_ngt_f32_e32 vcc, s8, v49
	s_mov_b32 s8, 0x42b17218
	v_ldexp_f32 v50, v50, v51
	v_cndmask_b32_e32 v50, 0, v50, vcc
	v_mov_b32_e32 v51, 0x7f800000
	v_cmp_nlt_f32_e32 vcc, s8, v49
	v_cndmask_b32_e32 v146, v51, v50, vcc
	v_add_f32_e32 v49, 1.0, v146
	v_add_f32_e32 v50, -1.0, v49
	v_sub_f32_e32 v51, v50, v49
	v_add_f32_e32 v51, 1.0, v51
	v_sub_f32_e32 v50, v146, v50
	v_add_f32_e32 v52, v50, v51
	v_frexp_mant_f32_e32 v53, v49
	s_mov_b32 s8, 0x3f2aaaab
	v_cvt_f64_f32_e32 v[50:51], v49
	v_frexp_exp_i32_f64_e32 v50, v[50:51]
	v_cmp_gt_f32_e32 vcc, s8, v53
	v_subbrev_co_u32_e32 v66, vcc, 0, v50, vcc
	v_sub_u32_e32 v50, 0, v66
	v_ldexp_f32 v49, v49, v50
	v_ldexp_f32 v50, v52, v50
	v_add_f32_e32 v52, -1.0, v49
	v_add_f32_e32 v51, 1.0, v52
	v_sub_f32_e32 v51, v49, v51
	v_add_f32_e32 v53, v50, v51
	v_add_f32_e32 v51, 1.0, v49
	v_add_f32_e32 v54, -1.0, v51
	v_sub_f32_e32 v49, v49, v54
	v_add_f32_e32 v49, v50, v49
	v_add_f32_e32 v67, v51, v49
	v_rcp_f32_e32 v70, v67
	v_sub_f32_e32 v50, v51, v67
	v_add_f32_e32 v51, v52, v53
	v_add_f32_e32 v49, v49, v50
	v_mul_f32_e32 v134, v51, v70
	v_sub_f32_e32 v50, v52, v51
	v_mul_f32_e32 v52, v67, v134
	v_fma_f32 v54, v134, v67, -v52
	v_fmac_f32_e32 v54, v134, v49
	v_add_f32_e32 v71, v53, v50
	v_add_f32_e32 v50, v52, v54
	v_sub_f32_e32 v53, v51, v50
	v_pk_add_f32 v[64:65], v[50:51], v[52:53] neg_lo:[0,1] neg_hi:[0,1]
	v_mov_b32_e32 v55, v50
	v_pk_add_f32 v[50:51], v[64:65], v[54:55] neg_lo:[0,1] neg_hi:[0,1]
	v_add_f32_e32 v51, v71, v51
	v_add_f32_e32 v50, v50, v51
	;; [unrolled: 1-line block ×3, first 2 shown]
	v_mul_f32_e32 v71, v70, v51
	v_mul_f32_e32 v52, v67, v71
	v_fma_f32 v54, v71, v67, -v52
	v_fmac_f32_e32 v54, v71, v49
	v_sub_f32_e32 v49, v53, v51
	v_add_f32_e32 v49, v50, v49
	v_add_f32_e32 v50, v52, v54
	v_sub_f32_e32 v53, v51, v50
	v_pk_add_f32 v[64:65], v[50:51], v[52:53] neg_lo:[0,1] neg_hi:[0,1]
	v_mov_b32_e32 v55, v50
	v_pk_add_f32 v[50:51], v[64:65], v[54:55] neg_lo:[0,1] neg_hi:[0,1]
	v_add_f32_e32 v49, v49, v51
	v_add_f32_e32 v49, v50, v49
	;; [unrolled: 1-line block ×4, first 2 shown]
	v_sub_f32_e32 v51, v50, v134
	v_mul_f32_e32 v49, v70, v49
	v_sub_f32_e32 v51, v71, v51
	v_add_f32_e32 v49, v51, v49
	v_add_f32_e32 v53, v50, v49
	v_mul_f32_e32 v54, v53, v53
	v_mov_b32_e32 v52, 0x3ecc95a3
	v_fmac_f32_e32 v52, 0x3e9b6dac, v54
	v_mov_b32_e32 v51, 0x3f2aaada
	v_fmac_f32_e32 v51, v54, v52
	v_cvt_f32_i32_e32 v52, v66
	v_sub_f32_e32 v50, v53, v50
	v_sub_f32_e32 v49, v49, v50
	v_ldexp_f32 v55, v53, 1
	v_mul_f32_e32 v53, v53, v54
	v_mov_b32_e32 v50, 0x3f317218
	s_mov_b32 s8, 0x3f317218
	v_pk_mul_f32 v[50:51], v[52:53], v[50:51]
	v_fma_f32 v54, v52, s8, -v50
	v_fmac_f32_e32 v54, 0xb102e308, v52
	v_pk_add_f32 v[52:53], v[50:51], v[54:55]
	v_sub_f32_e32 v55, v53, v55
	v_ldexp_f32 v49, v49, 1
	v_sub_f32_e32 v55, v51, v55
	v_add_f32_e32 v65, v49, v55
	v_mov_b32_e32 v64, v50
	v_pk_add_f32 v[50:51], v[52:53], v[50:51] neg_lo:[0,1] neg_hi:[0,1]
	v_pk_add_f32 v[66:67], v[52:53], v[64:65]
	v_mov_b32_e32 v51, v67
	v_mov_b32_e32 v55, v52
	v_pk_add_f32 v[70:71], v[54:55], v[50:51] neg_lo:[0,1] neg_hi:[0,1]
	v_pk_add_f32 v[50:51], v[54:55], v[50:51]
	v_mov_b32_e32 v54, v51
	v_pk_add_f32 v[134:135], v[54:55], v[52:53] neg_lo:[0,1] neg_hi:[0,1]
	v_mov_b32_e32 v49, v134
	v_pk_add_f32 v[144:145], v[66:67], v[48:49] neg_lo:[0,1] neg_hi:[0,1]
	v_mov_b32_e32 v50, v67
	v_mov_b32_e32 v66, v53
	;; [unrolled: 1-line block ×4, first 2 shown]
	v_pk_add_f32 v[50:51], v[50:51], v[66:67] neg_lo:[0,1] neg_hi:[0,1]
	v_mov_b32_e32 v64, v65
	v_mov_b32_e32 v65, v52
	v_pk_add_f32 v[50:51], v[64:65], v[50:51] neg_lo:[0,1] neg_hi:[0,1]
	v_mov_b32_e32 v144, v70
	v_pk_add_f32 v[52:53], v[144:145], v[50:51]
	v_mov_b32_e32 v64, v53
	v_pk_add_f32 v[64:65], v[52:53], v[64:65]
	v_pk_add_f32 v[54:55], v[54:55], v[64:65]
	v_mov_b32_e32 v53, v54
	v_pk_add_f32 v[66:67], v[52:53], v[70:71] neg_lo:[0,1] neg_hi:[0,1]
	v_mov_b32_e32 v51, v64
	v_sub_f32_e32 v49, v52, v66
	v_pk_add_f32 v[50:51], v[50:51], v[66:67] neg_lo:[0,1] neg_hi:[0,1]
	v_sub_f32_e32 v49, v70, v49
	s_mov_b32 s10, 0x7f800000
	v_add_f32_e32 v49, v50, v49
	s_mov_b32 s8, 0x33800000
	v_add_f32_e32 v49, v49, v51
	v_cmp_eq_f32_e32 vcc, s10, v146
	v_cmp_lt_f32_e64 s[10:11], |v146|, s8
	v_add_f32_e32 v49, v54, v49
	s_or_b64 vcc, vcc, s[10:11]
	v_cndmask_b32_e32 v49, v49, v146, vcc
	v_add_f32_e32 v49, v48, v49
.LBB444_216:
	s_or_b64 exec, exec, s[6:7]
	v_bfe_u32 v48, v49, 16, 1
	v_add3_u32 v48, v49, v48, s9
	v_lshrrev_b32_e32 v48, 16, v48
	v_cmp_o_f32_e32 vcc, v49, v49
	v_cndmask_b32_e32 v35, v35, v48, vcc
	v_lshlrev_b32_e32 v50, 16, v35
	v_max_f32_e32 v48, v50, v50
	v_min_f32_e32 v49, v48, v82
	v_cmp_u_f32_e32 vcc, v50, v50
	v_max_f32_e32 v48, v48, v82
	v_cndmask_b32_e32 v49, v49, v50, vcc
	v_cndmask_b32_e32 v48, v48, v50, vcc
	v_cndmask_b32_e64 v49, v49, v68, s[20:21]
	v_cndmask_b32_e64 v48, v48, v68, s[20:21]
	s_movk_i32 s8, 0x1f8
	v_cmp_neq_f32_e32 vcc, v49, v48
	v_cmp_class_f32_e64 s[6:7], v49, s8
	s_or_b64 s[10:11], vcc, s[6:7]
	s_and_saveexec_b64 s[6:7], s[10:11]
	s_cbranch_execz .LBB444_218
; %bb.217:
	v_sub_f32_e32 v49, v49, v48
	s_mov_b32 s9, 0x3fb8aa3b
	v_mul_f32_e32 v50, 0x3fb8aa3b, v49
	v_fma_f32 v51, v49, s9, -v50
	v_rndne_f32_e32 v52, v50
	v_fmac_f32_e32 v51, 0x32a5705f, v49
	v_sub_f32_e32 v50, v50, v52
	v_add_f32_e32 v50, v50, v51
	v_exp_f32_e32 v50, v50
	v_cvt_i32_f32_e32 v51, v52
	s_mov_b32 s9, 0xc2ce8ed0
	v_cmp_ngt_f32_e32 vcc, s9, v49
	s_mov_b32 s9, 0x42b17218
	v_ldexp_f32 v50, v50, v51
	v_cndmask_b32_e32 v50, 0, v50, vcc
	v_mov_b32_e32 v51, 0x7f800000
	v_cmp_nlt_f32_e32 vcc, s9, v49
	v_cndmask_b32_e32 v68, v51, v50, vcc
	v_add_f32_e32 v49, 1.0, v68
	v_add_f32_e32 v50, -1.0, v49
	v_sub_f32_e32 v51, v50, v49
	v_add_f32_e32 v51, 1.0, v51
	v_sub_f32_e32 v50, v68, v50
	v_add_f32_e32 v52, v50, v51
	v_frexp_mant_f32_e32 v53, v49
	s_mov_b32 s9, 0x3f2aaaab
	v_cvt_f64_f32_e32 v[50:51], v49
	v_frexp_exp_i32_f64_e32 v50, v[50:51]
	v_cmp_gt_f32_e32 vcc, s9, v53
	v_subbrev_co_u32_e32 v66, vcc, 0, v50, vcc
	v_sub_u32_e32 v50, 0, v66
	v_ldexp_f32 v49, v49, v50
	v_ldexp_f32 v50, v52, v50
	v_add_f32_e32 v52, -1.0, v49
	v_add_f32_e32 v51, 1.0, v52
	v_sub_f32_e32 v51, v49, v51
	v_add_f32_e32 v53, v50, v51
	v_add_f32_e32 v51, 1.0, v49
	v_add_f32_e32 v54, -1.0, v51
	v_sub_f32_e32 v49, v49, v54
	v_add_f32_e32 v49, v50, v49
	v_add_f32_e32 v67, v51, v49
	v_rcp_f32_e32 v70, v67
	v_sub_f32_e32 v50, v51, v67
	v_add_f32_e32 v51, v52, v53
	v_add_f32_e32 v49, v49, v50
	v_mul_f32_e32 v82, v51, v70
	v_sub_f32_e32 v50, v52, v51
	v_mul_f32_e32 v52, v67, v82
	v_fma_f32 v54, v82, v67, -v52
	v_fmac_f32_e32 v54, v82, v49
	v_add_f32_e32 v71, v53, v50
	v_add_f32_e32 v50, v52, v54
	v_sub_f32_e32 v53, v51, v50
	v_pk_add_f32 v[64:65], v[50:51], v[52:53] neg_lo:[0,1] neg_hi:[0,1]
	v_mov_b32_e32 v55, v50
	v_pk_add_f32 v[50:51], v[64:65], v[54:55] neg_lo:[0,1] neg_hi:[0,1]
	v_add_f32_e32 v51, v71, v51
	v_add_f32_e32 v50, v50, v51
	;; [unrolled: 1-line block ×3, first 2 shown]
	v_mul_f32_e32 v71, v70, v51
	v_mul_f32_e32 v52, v67, v71
	v_fma_f32 v54, v71, v67, -v52
	v_fmac_f32_e32 v54, v71, v49
	v_sub_f32_e32 v49, v53, v51
	v_add_f32_e32 v49, v50, v49
	v_add_f32_e32 v50, v52, v54
	v_sub_f32_e32 v53, v51, v50
	v_pk_add_f32 v[64:65], v[50:51], v[52:53] neg_lo:[0,1] neg_hi:[0,1]
	v_mov_b32_e32 v55, v50
	v_pk_add_f32 v[50:51], v[64:65], v[54:55] neg_lo:[0,1] neg_hi:[0,1]
	v_add_f32_e32 v49, v49, v51
	v_add_f32_e32 v49, v50, v49
	;; [unrolled: 1-line block ×4, first 2 shown]
	v_sub_f32_e32 v51, v50, v82
	v_mul_f32_e32 v49, v70, v49
	v_sub_f32_e32 v51, v71, v51
	v_add_f32_e32 v49, v51, v49
	v_add_f32_e32 v53, v50, v49
	v_mul_f32_e32 v54, v53, v53
	v_mov_b32_e32 v52, 0x3ecc95a3
	v_fmac_f32_e32 v52, 0x3e9b6dac, v54
	v_mov_b32_e32 v51, 0x3f2aaada
	v_fmac_f32_e32 v51, v54, v52
	v_cvt_f32_i32_e32 v52, v66
	v_sub_f32_e32 v50, v53, v50
	v_sub_f32_e32 v49, v49, v50
	v_ldexp_f32 v55, v53, 1
	v_mul_f32_e32 v53, v53, v54
	v_mov_b32_e32 v50, 0x3f317218
	s_mov_b32 s9, 0x3f317218
	v_pk_mul_f32 v[50:51], v[52:53], v[50:51]
	v_fma_f32 v54, v52, s9, -v50
	v_fmac_f32_e32 v54, 0xb102e308, v52
	v_pk_add_f32 v[52:53], v[50:51], v[54:55]
	v_sub_f32_e32 v55, v53, v55
	v_ldexp_f32 v49, v49, 1
	v_sub_f32_e32 v55, v51, v55
	v_add_f32_e32 v65, v49, v55
	v_mov_b32_e32 v64, v50
	v_pk_add_f32 v[50:51], v[52:53], v[50:51] neg_lo:[0,1] neg_hi:[0,1]
	v_pk_add_f32 v[66:67], v[52:53], v[64:65]
	v_mov_b32_e32 v51, v67
	v_mov_b32_e32 v55, v52
	v_pk_add_f32 v[70:71], v[54:55], v[50:51] neg_lo:[0,1] neg_hi:[0,1]
	v_pk_add_f32 v[50:51], v[54:55], v[50:51]
	v_mov_b32_e32 v54, v51
	v_pk_add_f32 v[134:135], v[54:55], v[52:53] neg_lo:[0,1] neg_hi:[0,1]
	v_mov_b32_e32 v49, v134
	v_pk_add_f32 v[144:145], v[66:67], v[48:49] neg_lo:[0,1] neg_hi:[0,1]
	v_mov_b32_e32 v50, v67
	v_mov_b32_e32 v66, v53
	v_mov_b32_e32 v67, v134
	v_mov_b32_e32 v71, v51
	v_pk_add_f32 v[50:51], v[50:51], v[66:67] neg_lo:[0,1] neg_hi:[0,1]
	v_mov_b32_e32 v64, v65
	v_mov_b32_e32 v65, v52
	v_pk_add_f32 v[50:51], v[64:65], v[50:51] neg_lo:[0,1] neg_hi:[0,1]
	v_mov_b32_e32 v144, v70
	v_pk_add_f32 v[52:53], v[144:145], v[50:51]
	v_mov_b32_e32 v64, v53
	v_pk_add_f32 v[64:65], v[52:53], v[64:65]
	v_pk_add_f32 v[54:55], v[54:55], v[64:65]
	v_mov_b32_e32 v53, v54
	v_pk_add_f32 v[66:67], v[52:53], v[70:71] neg_lo:[0,1] neg_hi:[0,1]
	v_mov_b32_e32 v51, v64
	v_sub_f32_e32 v49, v52, v66
	v_pk_add_f32 v[50:51], v[50:51], v[66:67] neg_lo:[0,1] neg_hi:[0,1]
	v_sub_f32_e32 v49, v70, v49
	s_mov_b32 s10, 0x7f800000
	v_add_f32_e32 v49, v50, v49
	s_mov_b32 s9, 0x33800000
	v_add_f32_e32 v49, v49, v51
	v_cmp_eq_f32_e32 vcc, s10, v68
	v_cmp_lt_f32_e64 s[10:11], |v68|, s9
	v_add_f32_e32 v49, v54, v49
	s_or_b64 vcc, vcc, s[10:11]
	v_cndmask_b32_e32 v49, v49, v68, vcc
	v_add_f32_e32 v50, v48, v49
.LBB444_218:
	s_or_b64 exec, exec, s[6:7]
	v_bfe_u32 v48, v50, 16, 1
	s_movk_i32 s9, 0x7fff
	v_add3_u32 v48, v50, v48, s9
	v_lshrrev_b32_e32 v48, 16, v48
	v_mov_b32_e32 v49, 0x7fc0
	v_cmp_o_f32_e32 vcc, v50, v50
	v_cndmask_b32_e32 v48, v49, v48, vcc
	v_lshlrev_b32_e32 v51, 16, v48
	v_max_f32_e32 v50, v51, v51
	v_min_f32_e32 v52, v50, v83
	v_cmp_u_f32_e32 vcc, v51, v51
	v_max_f32_e32 v50, v50, v83
	v_cndmask_b32_e32 v52, v52, v51, vcc
	v_cndmask_b32_e32 v50, v50, v51, vcc
	v_cndmask_b32_e64 v52, v52, v69, s[22:23]
	v_cndmask_b32_e64 v50, v50, v69, s[22:23]
	v_cmp_neq_f32_e32 vcc, v52, v50
	v_cmp_class_f32_e64 s[6:7], v52, s8
	s_or_b64 s[10:11], vcc, s[6:7]
	s_and_saveexec_b64 s[6:7], s[10:11]
	s_cbranch_execz .LBB444_220
; %bb.219:
	v_sub_f32_e32 v51, v52, v50
	s_mov_b32 s8, 0x3fb8aa3b
	v_mul_f32_e32 v52, 0x3fb8aa3b, v51
	v_fma_f32 v53, v51, s8, -v52
	v_rndne_f32_e32 v54, v52
	v_fmac_f32_e32 v53, 0x32a5705f, v51
	v_sub_f32_e32 v52, v52, v54
	v_add_f32_e32 v52, v52, v53
	v_exp_f32_e32 v52, v52
	v_cvt_i32_f32_e32 v53, v54
	s_mov_b32 s8, 0xc2ce8ed0
	v_cmp_ngt_f32_e32 vcc, s8, v51
	s_mov_b32 s8, 0x42b17218
	v_ldexp_f32 v52, v52, v53
	v_cndmask_b32_e32 v52, 0, v52, vcc
	v_mov_b32_e32 v53, 0x7f800000
	v_cmp_nlt_f32_e32 vcc, s8, v51
	v_cndmask_b32_e32 v144, v53, v52, vcc
	v_add_f32_e32 v51, 1.0, v144
	v_add_f32_e32 v52, -1.0, v51
	v_sub_f32_e32 v53, v52, v51
	v_add_f32_e32 v53, 1.0, v53
	v_sub_f32_e32 v52, v144, v52
	v_add_f32_e32 v54, v52, v53
	v_frexp_mant_f32_e32 v55, v51
	s_mov_b32 s8, 0x3f2aaaab
	v_cvt_f64_f32_e32 v[52:53], v51
	v_frexp_exp_i32_f64_e32 v52, v[52:53]
	v_cmp_gt_f32_e32 vcc, s8, v55
	v_subbrev_co_u32_e32 v68, vcc, 0, v52, vcc
	v_sub_u32_e32 v52, 0, v68
	v_ldexp_f32 v51, v51, v52
	v_ldexp_f32 v52, v54, v52
	v_add_f32_e32 v54, -1.0, v51
	v_add_f32_e32 v53, 1.0, v54
	v_sub_f32_e32 v53, v51, v53
	v_add_f32_e32 v55, v52, v53
	v_add_f32_e32 v53, 1.0, v51
	v_add_f32_e32 v64, -1.0, v53
	v_sub_f32_e32 v51, v51, v64
	v_add_f32_e32 v51, v52, v51
	v_add_f32_e32 v69, v53, v51
	v_rcp_f32_e32 v70, v69
	v_sub_f32_e32 v52, v53, v69
	v_add_f32_e32 v53, v54, v55
	v_add_f32_e32 v51, v51, v52
	v_mul_f32_e32 v82, v53, v70
	v_sub_f32_e32 v52, v54, v53
	v_mul_f32_e32 v54, v69, v82
	v_fma_f32 v64, v82, v69, -v54
	v_fmac_f32_e32 v64, v82, v51
	v_add_f32_e32 v71, v55, v52
	v_add_f32_e32 v52, v54, v64
	v_sub_f32_e32 v55, v53, v52
	v_pk_add_f32 v[66:67], v[52:53], v[54:55] neg_lo:[0,1] neg_hi:[0,1]
	v_mov_b32_e32 v65, v52
	v_pk_add_f32 v[52:53], v[66:67], v[64:65] neg_lo:[0,1] neg_hi:[0,1]
	v_add_f32_e32 v53, v71, v53
	v_add_f32_e32 v52, v52, v53
	v_add_f32_e32 v53, v55, v52
	v_mul_f32_e32 v71, v70, v53
	v_mul_f32_e32 v54, v69, v71
	v_fma_f32 v64, v71, v69, -v54
	v_fmac_f32_e32 v64, v71, v51
	v_sub_f32_e32 v51, v55, v53
	v_add_f32_e32 v51, v52, v51
	v_add_f32_e32 v52, v54, v64
	v_sub_f32_e32 v55, v53, v52
	v_pk_add_f32 v[66:67], v[52:53], v[54:55] neg_lo:[0,1] neg_hi:[0,1]
	v_mov_b32_e32 v65, v52
	v_pk_add_f32 v[52:53], v[66:67], v[64:65] neg_lo:[0,1] neg_hi:[0,1]
	v_add_f32_e32 v51, v51, v53
	v_add_f32_e32 v51, v52, v51
	;; [unrolled: 1-line block ×4, first 2 shown]
	v_sub_f32_e32 v53, v52, v82
	v_mul_f32_e32 v51, v70, v51
	v_sub_f32_e32 v53, v71, v53
	v_add_f32_e32 v51, v53, v51
	v_add_f32_e32 v55, v52, v51
	v_mul_f32_e32 v64, v55, v55
	v_mov_b32_e32 v54, 0x3ecc95a3
	v_fmac_f32_e32 v54, 0x3e9b6dac, v64
	v_mov_b32_e32 v53, 0x3f2aaada
	v_fmac_f32_e32 v53, v64, v54
	v_cvt_f32_i32_e32 v54, v68
	v_sub_f32_e32 v52, v55, v52
	v_sub_f32_e32 v51, v51, v52
	v_ldexp_f32 v65, v55, 1
	v_mul_f32_e32 v55, v55, v64
	v_mov_b32_e32 v52, 0x3f317218
	s_mov_b32 s8, 0x3f317218
	v_pk_mul_f32 v[52:53], v[54:55], v[52:53]
	v_fma_f32 v64, v54, s8, -v52
	v_fmac_f32_e32 v64, 0xb102e308, v54
	v_pk_add_f32 v[54:55], v[52:53], v[64:65]
	v_sub_f32_e32 v65, v55, v65
	v_ldexp_f32 v51, v51, 1
	v_sub_f32_e32 v65, v53, v65
	v_add_f32_e32 v67, v51, v65
	v_mov_b32_e32 v66, v52
	v_pk_add_f32 v[52:53], v[54:55], v[52:53] neg_lo:[0,1] neg_hi:[0,1]
	v_pk_add_f32 v[68:69], v[54:55], v[66:67]
	v_mov_b32_e32 v53, v69
	v_mov_b32_e32 v65, v54
	v_pk_add_f32 v[70:71], v[64:65], v[52:53] neg_lo:[0,1] neg_hi:[0,1]
	v_pk_add_f32 v[52:53], v[64:65], v[52:53]
	v_mov_b32_e32 v64, v53
	v_pk_add_f32 v[82:83], v[64:65], v[54:55] neg_lo:[0,1] neg_hi:[0,1]
	v_mov_b32_e32 v51, v82
	v_pk_add_f32 v[134:135], v[68:69], v[50:51] neg_lo:[0,1] neg_hi:[0,1]
	v_mov_b32_e32 v52, v69
	v_mov_b32_e32 v68, v55
	;; [unrolled: 1-line block ×4, first 2 shown]
	v_pk_add_f32 v[52:53], v[52:53], v[68:69] neg_lo:[0,1] neg_hi:[0,1]
	v_mov_b32_e32 v66, v67
	v_mov_b32_e32 v67, v54
	v_pk_add_f32 v[52:53], v[66:67], v[52:53] neg_lo:[0,1] neg_hi:[0,1]
	v_mov_b32_e32 v134, v70
	v_pk_add_f32 v[54:55], v[134:135], v[52:53]
	v_mov_b32_e32 v66, v55
	v_pk_add_f32 v[66:67], v[54:55], v[66:67]
	v_pk_add_f32 v[64:65], v[64:65], v[66:67]
	v_mov_b32_e32 v55, v64
	v_pk_add_f32 v[68:69], v[54:55], v[70:71] neg_lo:[0,1] neg_hi:[0,1]
	v_mov_b32_e32 v53, v66
	v_sub_f32_e32 v51, v54, v68
	v_pk_add_f32 v[52:53], v[52:53], v[68:69] neg_lo:[0,1] neg_hi:[0,1]
	v_sub_f32_e32 v51, v70, v51
	s_mov_b32 s10, 0x7f800000
	v_add_f32_e32 v51, v52, v51
	s_mov_b32 s8, 0x33800000
	v_add_f32_e32 v51, v51, v53
	v_cmp_eq_f32_e32 vcc, s10, v144
	v_cmp_lt_f32_e64 s[10:11], |v144|, s8
	v_add_f32_e32 v51, v64, v51
	s_or_b64 vcc, vcc, s[10:11]
	v_cndmask_b32_e32 v51, v51, v144, vcc
	v_add_f32_e32 v51, v50, v51
.LBB444_220:
	s_or_b64 exec, exec, s[6:7]
	v_bfe_u32 v50, v51, 16, 1
	v_add3_u32 v50, v51, v50, s9
	v_lshrrev_b32_e32 v50, 16, v50
	v_cmp_o_f32_e32 vcc, v51, v51
	v_cndmask_b32_e32 v50, v49, v50, vcc
	v_lshlrev_b32_e32 v52, 16, v50
	v_max_f32_e32 v49, v52, v52
	v_min_f32_e32 v51, v49, v86
	v_cmp_u_f32_e32 vcc, v52, v52
	v_max_f32_e32 v49, v49, v86
	v_cndmask_b32_e32 v51, v51, v52, vcc
	v_cndmask_b32_e32 v49, v49, v52, vcc
	v_cndmask_b32_e64 v51, v51, v80, s[24:25]
	v_cndmask_b32_e64 v49, v49, v80, s[24:25]
	s_movk_i32 s8, 0x1f8
	v_cmp_neq_f32_e32 vcc, v51, v49
	v_cmp_class_f32_e64 s[6:7], v51, s8
	s_or_b64 s[10:11], vcc, s[6:7]
	s_and_saveexec_b64 s[6:7], s[10:11]
	s_cbranch_execz .LBB444_222
; %bb.221:
	v_sub_f32_e32 v51, v51, v49
	s_mov_b32 s9, 0x3fb8aa3b
	v_mul_f32_e32 v52, 0x3fb8aa3b, v51
	v_fma_f32 v53, v51, s9, -v52
	v_rndne_f32_e32 v54, v52
	v_fmac_f32_e32 v53, 0x32a5705f, v51
	v_sub_f32_e32 v52, v52, v54
	v_add_f32_e32 v52, v52, v53
	v_exp_f32_e32 v52, v52
	v_cvt_i32_f32_e32 v53, v54
	s_mov_b32 s9, 0xc2ce8ed0
	v_cmp_ngt_f32_e32 vcc, s9, v51
	s_mov_b32 s9, 0x42b17218
	v_ldexp_f32 v52, v52, v53
	v_cndmask_b32_e32 v52, 0, v52, vcc
	v_mov_b32_e32 v53, 0x7f800000
	v_cmp_nlt_f32_e32 vcc, s9, v51
	v_cndmask_b32_e32 v80, v53, v52, vcc
	v_add_f32_e32 v51, 1.0, v80
	v_add_f32_e32 v52, -1.0, v51
	v_sub_f32_e32 v53, v52, v51
	v_add_f32_e32 v53, 1.0, v53
	v_sub_f32_e32 v52, v80, v52
	v_add_f32_e32 v54, v52, v53
	v_frexp_mant_f32_e32 v55, v51
	s_mov_b32 s9, 0x3f2aaaab
	v_cvt_f64_f32_e32 v[52:53], v51
	v_frexp_exp_i32_f64_e32 v52, v[52:53]
	v_cmp_gt_f32_e32 vcc, s9, v55
	v_subbrev_co_u32_e32 v68, vcc, 0, v52, vcc
	v_sub_u32_e32 v52, 0, v68
	v_ldexp_f32 v51, v51, v52
	v_ldexp_f32 v52, v54, v52
	v_add_f32_e32 v54, -1.0, v51
	v_add_f32_e32 v53, 1.0, v54
	v_sub_f32_e32 v53, v51, v53
	v_add_f32_e32 v55, v52, v53
	v_add_f32_e32 v53, 1.0, v51
	v_add_f32_e32 v64, -1.0, v53
	v_sub_f32_e32 v51, v51, v64
	v_add_f32_e32 v51, v52, v51
	v_add_f32_e32 v69, v53, v51
	v_rcp_f32_e32 v70, v69
	v_sub_f32_e32 v52, v53, v69
	v_add_f32_e32 v53, v54, v55
	v_add_f32_e32 v51, v51, v52
	v_mul_f32_e32 v82, v53, v70
	v_sub_f32_e32 v52, v54, v53
	v_mul_f32_e32 v54, v69, v82
	v_fma_f32 v64, v82, v69, -v54
	v_fmac_f32_e32 v64, v82, v51
	v_add_f32_e32 v71, v55, v52
	v_add_f32_e32 v52, v54, v64
	v_sub_f32_e32 v55, v53, v52
	v_pk_add_f32 v[66:67], v[52:53], v[54:55] neg_lo:[0,1] neg_hi:[0,1]
	v_mov_b32_e32 v65, v52
	v_pk_add_f32 v[52:53], v[66:67], v[64:65] neg_lo:[0,1] neg_hi:[0,1]
	v_add_f32_e32 v53, v71, v53
	v_add_f32_e32 v52, v52, v53
	;; [unrolled: 1-line block ×3, first 2 shown]
	v_mul_f32_e32 v71, v70, v53
	v_mul_f32_e32 v54, v69, v71
	v_fma_f32 v64, v71, v69, -v54
	v_fmac_f32_e32 v64, v71, v51
	v_sub_f32_e32 v51, v55, v53
	v_add_f32_e32 v51, v52, v51
	v_add_f32_e32 v52, v54, v64
	v_sub_f32_e32 v55, v53, v52
	v_pk_add_f32 v[66:67], v[52:53], v[54:55] neg_lo:[0,1] neg_hi:[0,1]
	v_mov_b32_e32 v65, v52
	v_pk_add_f32 v[52:53], v[66:67], v[64:65] neg_lo:[0,1] neg_hi:[0,1]
	v_add_f32_e32 v51, v51, v53
	v_add_f32_e32 v51, v52, v51
	;; [unrolled: 1-line block ×4, first 2 shown]
	v_sub_f32_e32 v53, v52, v82
	v_mul_f32_e32 v51, v70, v51
	v_sub_f32_e32 v53, v71, v53
	v_add_f32_e32 v51, v53, v51
	v_add_f32_e32 v55, v52, v51
	v_mul_f32_e32 v64, v55, v55
	v_mov_b32_e32 v54, 0x3ecc95a3
	v_fmac_f32_e32 v54, 0x3e9b6dac, v64
	v_mov_b32_e32 v53, 0x3f2aaada
	v_fmac_f32_e32 v53, v64, v54
	v_cvt_f32_i32_e32 v54, v68
	v_sub_f32_e32 v52, v55, v52
	v_sub_f32_e32 v51, v51, v52
	v_ldexp_f32 v65, v55, 1
	v_mul_f32_e32 v55, v55, v64
	v_mov_b32_e32 v52, 0x3f317218
	s_mov_b32 s9, 0x3f317218
	v_pk_mul_f32 v[52:53], v[54:55], v[52:53]
	v_fma_f32 v64, v54, s9, -v52
	v_fmac_f32_e32 v64, 0xb102e308, v54
	v_pk_add_f32 v[54:55], v[52:53], v[64:65]
	v_sub_f32_e32 v65, v55, v65
	v_ldexp_f32 v51, v51, 1
	v_sub_f32_e32 v65, v53, v65
	v_add_f32_e32 v67, v51, v65
	v_mov_b32_e32 v66, v52
	v_pk_add_f32 v[52:53], v[54:55], v[52:53] neg_lo:[0,1] neg_hi:[0,1]
	v_pk_add_f32 v[68:69], v[54:55], v[66:67]
	v_mov_b32_e32 v53, v69
	v_mov_b32_e32 v65, v54
	v_pk_add_f32 v[70:71], v[64:65], v[52:53] neg_lo:[0,1] neg_hi:[0,1]
	v_pk_add_f32 v[52:53], v[64:65], v[52:53]
	v_mov_b32_e32 v64, v53
	v_pk_add_f32 v[82:83], v[64:65], v[54:55] neg_lo:[0,1] neg_hi:[0,1]
	v_mov_b32_e32 v51, v82
	v_pk_add_f32 v[134:135], v[68:69], v[50:51] neg_lo:[0,1] neg_hi:[0,1]
	v_mov_b32_e32 v52, v69
	v_mov_b32_e32 v68, v55
	;; [unrolled: 1-line block ×4, first 2 shown]
	v_pk_add_f32 v[52:53], v[52:53], v[68:69] neg_lo:[0,1] neg_hi:[0,1]
	v_mov_b32_e32 v66, v67
	v_mov_b32_e32 v67, v54
	v_pk_add_f32 v[52:53], v[66:67], v[52:53] neg_lo:[0,1] neg_hi:[0,1]
	v_mov_b32_e32 v134, v70
	v_pk_add_f32 v[54:55], v[134:135], v[52:53]
	v_mov_b32_e32 v66, v55
	v_pk_add_f32 v[66:67], v[54:55], v[66:67]
	v_pk_add_f32 v[64:65], v[64:65], v[66:67]
	v_mov_b32_e32 v55, v64
	v_pk_add_f32 v[68:69], v[54:55], v[70:71] neg_lo:[0,1] neg_hi:[0,1]
	v_mov_b32_e32 v53, v66
	v_sub_f32_e32 v51, v54, v68
	v_pk_add_f32 v[52:53], v[52:53], v[68:69] neg_lo:[0,1] neg_hi:[0,1]
	v_sub_f32_e32 v51, v70, v51
	s_mov_b32 s10, 0x7f800000
	v_add_f32_e32 v51, v52, v51
	s_mov_b32 s9, 0x33800000
	v_add_f32_e32 v51, v51, v53
	v_cmp_eq_f32_e32 vcc, s10, v80
	v_cmp_lt_f32_e64 s[10:11], |v80|, s9
	v_add_f32_e32 v51, v64, v51
	s_or_b64 vcc, vcc, s[10:11]
	v_cndmask_b32_e32 v51, v51, v80, vcc
	v_add_f32_e32 v52, v49, v51
.LBB444_222:
	s_or_b64 exec, exec, s[6:7]
	v_bfe_u32 v49, v52, 16, 1
	s_movk_i32 s9, 0x7fff
	v_add3_u32 v49, v52, v49, s9
	v_lshrrev_b32_e32 v49, 16, v49
	v_mov_b32_e32 v51, 0x7fc0
	v_cmp_o_f32_e32 vcc, v52, v52
	v_cndmask_b32_e32 v49, v51, v49, vcc
	v_lshlrev_b32_e32 v53, 16, v49
	v_max_f32_e32 v52, v53, v53
	v_min_f32_e32 v54, v52, v87
	v_cmp_u_f32_e32 vcc, v53, v53
	v_max_f32_e32 v52, v52, v87
	v_cndmask_b32_e32 v54, v54, v53, vcc
	v_cndmask_b32_e32 v52, v52, v53, vcc
	v_cndmask_b32_e64 v54, v54, v81, s[26:27]
	v_cndmask_b32_e64 v52, v52, v81, s[26:27]
	v_cmp_neq_f32_e32 vcc, v54, v52
	v_cmp_class_f32_e64 s[6:7], v54, s8
	s_or_b64 s[10:11], vcc, s[6:7]
	s_and_saveexec_b64 s[6:7], s[10:11]
	s_cbranch_execz .LBB444_224
; %bb.223:
	v_sub_f32_e32 v53, v54, v52
	s_mov_b32 s8, 0x3fb8aa3b
	v_mul_f32_e32 v54, 0x3fb8aa3b, v53
	v_fma_f32 v55, v53, s8, -v54
	v_rndne_f32_e32 v64, v54
	v_fmac_f32_e32 v55, 0x32a5705f, v53
	v_sub_f32_e32 v54, v54, v64
	v_add_f32_e32 v54, v54, v55
	v_exp_f32_e32 v54, v54
	v_cvt_i32_f32_e32 v55, v64
	s_mov_b32 s8, 0xc2ce8ed0
	v_cmp_ngt_f32_e32 vcc, s8, v53
	s_mov_b32 s8, 0x42b17218
	v_ldexp_f32 v54, v54, v55
	v_cndmask_b32_e32 v54, 0, v54, vcc
	v_mov_b32_e32 v55, 0x7f800000
	v_cmp_nlt_f32_e32 vcc, s8, v53
	v_cndmask_b32_e32 v134, v55, v54, vcc
	v_add_f32_e32 v53, 1.0, v134
	v_add_f32_e32 v54, -1.0, v53
	v_sub_f32_e32 v55, v54, v53
	v_add_f32_e32 v55, 1.0, v55
	v_sub_f32_e32 v54, v134, v54
	v_add_f32_e32 v64, v54, v55
	v_frexp_mant_f32_e32 v65, v53
	s_mov_b32 s8, 0x3f2aaaab
	v_cvt_f64_f32_e32 v[54:55], v53
	v_frexp_exp_i32_f64_e32 v54, v[54:55]
	v_cmp_gt_f32_e32 vcc, s8, v65
	v_subbrev_co_u32_e32 v70, vcc, 0, v54, vcc
	v_sub_u32_e32 v54, 0, v70
	v_ldexp_f32 v53, v53, v54
	v_ldexp_f32 v54, v64, v54
	v_add_f32_e32 v64, -1.0, v53
	v_add_f32_e32 v55, 1.0, v64
	v_sub_f32_e32 v55, v53, v55
	v_add_f32_e32 v65, v54, v55
	v_add_f32_e32 v55, 1.0, v53
	v_add_f32_e32 v66, -1.0, v55
	v_sub_f32_e32 v53, v53, v66
	v_add_f32_e32 v53, v54, v53
	v_add_f32_e32 v71, v55, v53
	v_rcp_f32_e32 v80, v71
	v_sub_f32_e32 v54, v55, v71
	v_add_f32_e32 v55, v64, v65
	v_add_f32_e32 v53, v53, v54
	v_mul_f32_e32 v82, v55, v80
	v_sub_f32_e32 v54, v64, v55
	v_mul_f32_e32 v64, v71, v82
	v_fma_f32 v66, v82, v71, -v64
	v_fmac_f32_e32 v66, v82, v53
	v_add_f32_e32 v81, v65, v54
	v_add_f32_e32 v54, v64, v66
	v_sub_f32_e32 v65, v55, v54
	v_pk_add_f32 v[68:69], v[54:55], v[64:65] neg_lo:[0,1] neg_hi:[0,1]
	v_mov_b32_e32 v67, v54
	v_pk_add_f32 v[54:55], v[68:69], v[66:67] neg_lo:[0,1] neg_hi:[0,1]
	v_add_f32_e32 v55, v81, v55
	v_add_f32_e32 v54, v54, v55
	v_add_f32_e32 v55, v65, v54
	v_mul_f32_e32 v81, v80, v55
	v_mul_f32_e32 v64, v71, v81
	v_fma_f32 v66, v81, v71, -v64
	v_fmac_f32_e32 v66, v81, v53
	v_sub_f32_e32 v53, v65, v55
	v_add_f32_e32 v53, v54, v53
	v_add_f32_e32 v54, v64, v66
	v_sub_f32_e32 v65, v55, v54
	v_pk_add_f32 v[68:69], v[54:55], v[64:65] neg_lo:[0,1] neg_hi:[0,1]
	v_mov_b32_e32 v67, v54
	v_pk_add_f32 v[54:55], v[68:69], v[66:67] neg_lo:[0,1] neg_hi:[0,1]
	v_add_f32_e32 v53, v53, v55
	v_add_f32_e32 v53, v54, v53
	;; [unrolled: 1-line block ×4, first 2 shown]
	v_sub_f32_e32 v55, v54, v82
	v_mul_f32_e32 v53, v80, v53
	v_sub_f32_e32 v55, v81, v55
	v_add_f32_e32 v53, v55, v53
	v_add_f32_e32 v65, v54, v53
	v_mul_f32_e32 v66, v65, v65
	v_mov_b32_e32 v64, 0x3ecc95a3
	v_fmac_f32_e32 v64, 0x3e9b6dac, v66
	v_mov_b32_e32 v55, 0x3f2aaada
	v_fmac_f32_e32 v55, v66, v64
	v_cvt_f32_i32_e32 v64, v70
	v_sub_f32_e32 v54, v65, v54
	v_sub_f32_e32 v53, v53, v54
	v_ldexp_f32 v67, v65, 1
	v_mul_f32_e32 v65, v65, v66
	v_mov_b32_e32 v54, 0x3f317218
	s_mov_b32 s8, 0x3f317218
	v_pk_mul_f32 v[54:55], v[64:65], v[54:55]
	v_fma_f32 v66, v64, s8, -v54
	v_fmac_f32_e32 v66, 0xb102e308, v64
	v_pk_add_f32 v[64:65], v[54:55], v[66:67]
	v_sub_f32_e32 v67, v65, v67
	v_ldexp_f32 v53, v53, 1
	v_sub_f32_e32 v67, v55, v67
	v_add_f32_e32 v69, v53, v67
	v_mov_b32_e32 v68, v54
	v_pk_add_f32 v[54:55], v[64:65], v[54:55] neg_lo:[0,1] neg_hi:[0,1]
	v_pk_add_f32 v[70:71], v[64:65], v[68:69]
	v_mov_b32_e32 v55, v71
	v_mov_b32_e32 v67, v64
	v_pk_add_f32 v[80:81], v[66:67], v[54:55] neg_lo:[0,1] neg_hi:[0,1]
	v_pk_add_f32 v[54:55], v[66:67], v[54:55]
	v_mov_b32_e32 v66, v55
	v_pk_add_f32 v[82:83], v[66:67], v[64:65] neg_lo:[0,1] neg_hi:[0,1]
	v_mov_b32_e32 v53, v82
	v_pk_add_f32 v[86:87], v[70:71], v[52:53] neg_lo:[0,1] neg_hi:[0,1]
	v_mov_b32_e32 v54, v71
	v_mov_b32_e32 v70, v65
	;; [unrolled: 1-line block ×4, first 2 shown]
	v_pk_add_f32 v[54:55], v[54:55], v[70:71] neg_lo:[0,1] neg_hi:[0,1]
	v_mov_b32_e32 v68, v69
	v_mov_b32_e32 v69, v64
	v_pk_add_f32 v[54:55], v[68:69], v[54:55] neg_lo:[0,1] neg_hi:[0,1]
	v_mov_b32_e32 v86, v80
	v_pk_add_f32 v[64:65], v[86:87], v[54:55]
	v_mov_b32_e32 v68, v65
	v_pk_add_f32 v[68:69], v[64:65], v[68:69]
	v_pk_add_f32 v[66:67], v[66:67], v[68:69]
	v_mov_b32_e32 v65, v66
	v_pk_add_f32 v[70:71], v[64:65], v[80:81] neg_lo:[0,1] neg_hi:[0,1]
	v_mov_b32_e32 v55, v68
	v_sub_f32_e32 v53, v64, v70
	v_pk_add_f32 v[54:55], v[54:55], v[70:71] neg_lo:[0,1] neg_hi:[0,1]
	v_sub_f32_e32 v53, v80, v53
	s_mov_b32 s10, 0x7f800000
	v_add_f32_e32 v53, v54, v53
	s_mov_b32 s8, 0x33800000
	v_add_f32_e32 v53, v53, v55
	v_cmp_eq_f32_e32 vcc, s10, v134
	v_cmp_lt_f32_e64 s[10:11], |v134|, s8
	v_add_f32_e32 v53, v66, v53
	s_or_b64 vcc, vcc, s[10:11]
	v_cndmask_b32_e32 v53, v53, v134, vcc
	v_add_f32_e32 v53, v52, v53
.LBB444_224:
	s_or_b64 exec, exec, s[6:7]
	v_bfe_u32 v52, v53, 16, 1
	v_add3_u32 v52, v53, v52, s9
	v_lshrrev_b32_e32 v52, 16, v52
	v_cmp_o_f32_e32 vcc, v53, v53
	v_cndmask_b32_e32 v51, v51, v52, vcc
	v_lshlrev_b32_e32 v54, 16, v51
	v_max_f32_e32 v52, v54, v54
	v_min_f32_e32 v53, v52, v98
	v_cmp_u_f32_e32 vcc, v54, v54
	v_max_f32_e32 v52, v52, v98
	v_cndmask_b32_e32 v53, v53, v54, vcc
	v_cndmask_b32_e32 v52, v52, v54, vcc
	v_cndmask_b32_e64 v53, v53, v84, s[28:29]
	v_cndmask_b32_e64 v52, v52, v84, s[28:29]
	s_movk_i32 s8, 0x1f8
	v_cmp_neq_f32_e32 vcc, v53, v52
	v_cmp_class_f32_e64 s[6:7], v53, s8
	s_or_b64 s[10:11], vcc, s[6:7]
	s_and_saveexec_b64 s[6:7], s[10:11]
	s_cbranch_execz .LBB444_226
; %bb.225:
	v_sub_f32_e32 v53, v53, v52
	s_mov_b32 s9, 0x3fb8aa3b
	v_mul_f32_e32 v54, 0x3fb8aa3b, v53
	v_fma_f32 v55, v53, s9, -v54
	v_rndne_f32_e32 v64, v54
	v_fmac_f32_e32 v55, 0x32a5705f, v53
	v_sub_f32_e32 v54, v54, v64
	v_add_f32_e32 v54, v54, v55
	v_exp_f32_e32 v54, v54
	v_cvt_i32_f32_e32 v55, v64
	s_mov_b32 s9, 0xc2ce8ed0
	v_cmp_ngt_f32_e32 vcc, s9, v53
	s_mov_b32 s9, 0x42b17218
	v_ldexp_f32 v54, v54, v55
	v_cndmask_b32_e32 v54, 0, v54, vcc
	v_mov_b32_e32 v55, 0x7f800000
	v_cmp_nlt_f32_e32 vcc, s9, v53
	v_cndmask_b32_e32 v84, v55, v54, vcc
	v_add_f32_e32 v53, 1.0, v84
	v_add_f32_e32 v54, -1.0, v53
	v_sub_f32_e32 v55, v54, v53
	v_add_f32_e32 v55, 1.0, v55
	v_sub_f32_e32 v54, v84, v54
	v_add_f32_e32 v64, v54, v55
	v_frexp_mant_f32_e32 v65, v53
	s_mov_b32 s9, 0x3f2aaaab
	v_cvt_f64_f32_e32 v[54:55], v53
	v_frexp_exp_i32_f64_e32 v54, v[54:55]
	v_cmp_gt_f32_e32 vcc, s9, v65
	v_subbrev_co_u32_e32 v70, vcc, 0, v54, vcc
	v_sub_u32_e32 v54, 0, v70
	v_ldexp_f32 v53, v53, v54
	v_ldexp_f32 v54, v64, v54
	v_add_f32_e32 v64, -1.0, v53
	v_add_f32_e32 v55, 1.0, v64
	v_sub_f32_e32 v55, v53, v55
	v_add_f32_e32 v65, v54, v55
	v_add_f32_e32 v55, 1.0, v53
	v_add_f32_e32 v66, -1.0, v55
	v_sub_f32_e32 v53, v53, v66
	v_add_f32_e32 v53, v54, v53
	v_add_f32_e32 v71, v55, v53
	v_rcp_f32_e32 v80, v71
	v_sub_f32_e32 v54, v55, v71
	v_add_f32_e32 v55, v64, v65
	v_add_f32_e32 v53, v53, v54
	v_mul_f32_e32 v82, v55, v80
	v_sub_f32_e32 v54, v64, v55
	v_mul_f32_e32 v64, v71, v82
	v_fma_f32 v66, v82, v71, -v64
	v_fmac_f32_e32 v66, v82, v53
	v_add_f32_e32 v81, v65, v54
	v_add_f32_e32 v54, v64, v66
	v_sub_f32_e32 v65, v55, v54
	v_pk_add_f32 v[68:69], v[54:55], v[64:65] neg_lo:[0,1] neg_hi:[0,1]
	v_mov_b32_e32 v67, v54
	v_pk_add_f32 v[54:55], v[68:69], v[66:67] neg_lo:[0,1] neg_hi:[0,1]
	v_add_f32_e32 v55, v81, v55
	v_add_f32_e32 v54, v54, v55
	;; [unrolled: 1-line block ×3, first 2 shown]
	v_mul_f32_e32 v81, v80, v55
	v_mul_f32_e32 v64, v71, v81
	v_fma_f32 v66, v81, v71, -v64
	v_fmac_f32_e32 v66, v81, v53
	v_sub_f32_e32 v53, v65, v55
	v_add_f32_e32 v53, v54, v53
	v_add_f32_e32 v54, v64, v66
	v_sub_f32_e32 v65, v55, v54
	v_pk_add_f32 v[68:69], v[54:55], v[64:65] neg_lo:[0,1] neg_hi:[0,1]
	v_mov_b32_e32 v67, v54
	v_pk_add_f32 v[54:55], v[68:69], v[66:67] neg_lo:[0,1] neg_hi:[0,1]
	v_add_f32_e32 v53, v53, v55
	v_add_f32_e32 v53, v54, v53
	;; [unrolled: 1-line block ×4, first 2 shown]
	v_sub_f32_e32 v55, v54, v82
	v_mul_f32_e32 v53, v80, v53
	v_sub_f32_e32 v55, v81, v55
	v_add_f32_e32 v53, v55, v53
	v_add_f32_e32 v65, v54, v53
	v_mul_f32_e32 v66, v65, v65
	v_mov_b32_e32 v64, 0x3ecc95a3
	v_fmac_f32_e32 v64, 0x3e9b6dac, v66
	v_mov_b32_e32 v55, 0x3f2aaada
	v_fmac_f32_e32 v55, v66, v64
	v_cvt_f32_i32_e32 v64, v70
	v_sub_f32_e32 v54, v65, v54
	v_sub_f32_e32 v53, v53, v54
	v_ldexp_f32 v67, v65, 1
	v_mul_f32_e32 v65, v65, v66
	v_mov_b32_e32 v54, 0x3f317218
	s_mov_b32 s9, 0x3f317218
	v_pk_mul_f32 v[54:55], v[64:65], v[54:55]
	v_fma_f32 v66, v64, s9, -v54
	v_fmac_f32_e32 v66, 0xb102e308, v64
	v_pk_add_f32 v[64:65], v[54:55], v[66:67]
	v_sub_f32_e32 v67, v65, v67
	v_ldexp_f32 v53, v53, 1
	v_sub_f32_e32 v67, v55, v67
	v_add_f32_e32 v69, v53, v67
	v_mov_b32_e32 v68, v54
	v_pk_add_f32 v[54:55], v[64:65], v[54:55] neg_lo:[0,1] neg_hi:[0,1]
	v_pk_add_f32 v[70:71], v[64:65], v[68:69]
	v_mov_b32_e32 v55, v71
	v_mov_b32_e32 v67, v64
	v_pk_add_f32 v[80:81], v[66:67], v[54:55] neg_lo:[0,1] neg_hi:[0,1]
	v_pk_add_f32 v[54:55], v[66:67], v[54:55]
	v_mov_b32_e32 v66, v55
	v_pk_add_f32 v[82:83], v[66:67], v[64:65] neg_lo:[0,1] neg_hi:[0,1]
	v_mov_b32_e32 v53, v82
	v_pk_add_f32 v[86:87], v[70:71], v[52:53] neg_lo:[0,1] neg_hi:[0,1]
	v_mov_b32_e32 v54, v71
	v_mov_b32_e32 v70, v65
	;; [unrolled: 1-line block ×4, first 2 shown]
	v_pk_add_f32 v[54:55], v[54:55], v[70:71] neg_lo:[0,1] neg_hi:[0,1]
	v_mov_b32_e32 v68, v69
	v_mov_b32_e32 v69, v64
	v_pk_add_f32 v[54:55], v[68:69], v[54:55] neg_lo:[0,1] neg_hi:[0,1]
	v_mov_b32_e32 v86, v80
	v_pk_add_f32 v[64:65], v[86:87], v[54:55]
	v_mov_b32_e32 v68, v65
	v_pk_add_f32 v[68:69], v[64:65], v[68:69]
	v_pk_add_f32 v[66:67], v[66:67], v[68:69]
	v_mov_b32_e32 v65, v66
	v_pk_add_f32 v[70:71], v[64:65], v[80:81] neg_lo:[0,1] neg_hi:[0,1]
	v_mov_b32_e32 v55, v68
	v_sub_f32_e32 v53, v64, v70
	v_pk_add_f32 v[54:55], v[54:55], v[70:71] neg_lo:[0,1] neg_hi:[0,1]
	v_sub_f32_e32 v53, v80, v53
	s_mov_b32 s10, 0x7f800000
	v_add_f32_e32 v53, v54, v53
	s_mov_b32 s9, 0x33800000
	v_add_f32_e32 v53, v53, v55
	v_cmp_eq_f32_e32 vcc, s10, v84
	v_cmp_lt_f32_e64 s[10:11], |v84|, s9
	v_add_f32_e32 v53, v66, v53
	s_or_b64 vcc, vcc, s[10:11]
	v_cndmask_b32_e32 v53, v53, v84, vcc
	v_add_f32_e32 v54, v52, v53
.LBB444_226:
	s_or_b64 exec, exec, s[6:7]
	v_bfe_u32 v52, v54, 16, 1
	s_movk_i32 s9, 0x7fff
	v_add3_u32 v52, v54, v52, s9
	v_lshrrev_b32_e32 v52, 16, v52
	v_mov_b32_e32 v53, 0x7fc0
	v_cmp_o_f32_e32 vcc, v54, v54
	v_cndmask_b32_e32 v52, v53, v52, vcc
	v_lshlrev_b32_e32 v55, 16, v52
	v_max_f32_e32 v54, v55, v55
	v_min_f32_e32 v64, v54, v99
	v_cmp_u_f32_e32 vcc, v55, v55
	v_max_f32_e32 v54, v54, v99
	v_cndmask_b32_e32 v64, v64, v55, vcc
	v_cndmask_b32_e32 v54, v54, v55, vcc
	v_cndmask_b32_e64 v64, v64, v85, s[30:31]
	v_cndmask_b32_e64 v54, v54, v85, s[30:31]
	v_cmp_neq_f32_e32 vcc, v64, v54
	v_cmp_class_f32_e64 s[6:7], v64, s8
	s_or_b64 s[10:11], vcc, s[6:7]
	s_and_saveexec_b64 s[6:7], s[10:11]
	s_cbranch_execz .LBB444_228
; %bb.227:
	v_sub_f32_e32 v55, v64, v54
	s_mov_b32 s8, 0x3fb8aa3b
	v_mul_f32_e32 v64, 0x3fb8aa3b, v55
	v_fma_f32 v65, v55, s8, -v64
	v_rndne_f32_e32 v66, v64
	v_fmac_f32_e32 v65, 0x32a5705f, v55
	v_sub_f32_e32 v64, v64, v66
	v_add_f32_e32 v64, v64, v65
	v_exp_f32_e32 v64, v64
	v_cvt_i32_f32_e32 v65, v66
	s_mov_b32 s8, 0xc2ce8ed0
	v_cmp_ngt_f32_e32 vcc, s8, v55
	s_mov_b32 s8, 0x42b17218
	v_ldexp_f32 v64, v64, v65
	v_cndmask_b32_e32 v64, 0, v64, vcc
	v_mov_b32_e32 v65, 0x7f800000
	v_cmp_nlt_f32_e32 vcc, s8, v55
	v_cndmask_b32_e32 v98, v65, v64, vcc
	v_add_f32_e32 v55, 1.0, v98
	v_add_f32_e32 v64, -1.0, v55
	v_sub_f32_e32 v65, v64, v55
	v_add_f32_e32 v65, 1.0, v65
	v_sub_f32_e32 v64, v98, v64
	v_add_f32_e32 v66, v64, v65
	v_frexp_mant_f32_e32 v67, v55
	s_mov_b32 s8, 0x3f2aaaab
	v_cvt_f64_f32_e32 v[64:65], v55
	v_frexp_exp_i32_f64_e32 v64, v[64:65]
	v_cmp_gt_f32_e32 vcc, s8, v67
	v_subbrev_co_u32_e32 v80, vcc, 0, v64, vcc
	v_sub_u32_e32 v64, 0, v80
	v_ldexp_f32 v55, v55, v64
	v_ldexp_f32 v64, v66, v64
	v_add_f32_e32 v66, -1.0, v55
	v_add_f32_e32 v65, 1.0, v66
	v_sub_f32_e32 v65, v55, v65
	v_add_f32_e32 v67, v64, v65
	v_add_f32_e32 v65, 1.0, v55
	v_add_f32_e32 v68, -1.0, v65
	v_sub_f32_e32 v55, v55, v68
	v_add_f32_e32 v55, v64, v55
	v_add_f32_e32 v81, v65, v55
	v_rcp_f32_e32 v82, v81
	v_sub_f32_e32 v64, v65, v81
	v_add_f32_e32 v65, v66, v67
	v_add_f32_e32 v55, v55, v64
	v_mul_f32_e32 v84, v65, v82
	v_sub_f32_e32 v64, v66, v65
	v_mul_f32_e32 v66, v81, v84
	v_fma_f32 v68, v84, v81, -v66
	v_fmac_f32_e32 v68, v84, v55
	v_add_f32_e32 v83, v67, v64
	v_add_f32_e32 v64, v66, v68
	v_sub_f32_e32 v67, v65, v64
	v_pk_add_f32 v[70:71], v[64:65], v[66:67] neg_lo:[0,1] neg_hi:[0,1]
	v_mov_b32_e32 v69, v64
	v_pk_add_f32 v[64:65], v[70:71], v[68:69] neg_lo:[0,1] neg_hi:[0,1]
	v_add_f32_e32 v65, v83, v65
	v_add_f32_e32 v64, v64, v65
	;; [unrolled: 1-line block ×3, first 2 shown]
	v_mul_f32_e32 v83, v82, v65
	v_mul_f32_e32 v66, v81, v83
	v_fma_f32 v68, v83, v81, -v66
	v_fmac_f32_e32 v68, v83, v55
	v_sub_f32_e32 v55, v67, v65
	v_add_f32_e32 v55, v64, v55
	v_add_f32_e32 v64, v66, v68
	v_sub_f32_e32 v67, v65, v64
	v_pk_add_f32 v[70:71], v[64:65], v[66:67] neg_lo:[0,1] neg_hi:[0,1]
	v_mov_b32_e32 v69, v64
	v_pk_add_f32 v[64:65], v[70:71], v[68:69] neg_lo:[0,1] neg_hi:[0,1]
	v_add_f32_e32 v55, v55, v65
	v_add_f32_e32 v55, v64, v55
	;; [unrolled: 1-line block ×4, first 2 shown]
	v_sub_f32_e32 v65, v64, v84
	v_mul_f32_e32 v55, v82, v55
	v_sub_f32_e32 v65, v83, v65
	v_add_f32_e32 v55, v65, v55
	v_add_f32_e32 v67, v64, v55
	v_mul_f32_e32 v68, v67, v67
	v_mov_b32_e32 v66, 0x3ecc95a3
	v_fmac_f32_e32 v66, 0x3e9b6dac, v68
	v_mov_b32_e32 v65, 0x3f2aaada
	v_fmac_f32_e32 v65, v68, v66
	v_cvt_f32_i32_e32 v66, v80
	v_sub_f32_e32 v64, v67, v64
	v_sub_f32_e32 v55, v55, v64
	v_ldexp_f32 v69, v67, 1
	v_mul_f32_e32 v67, v67, v68
	v_mov_b32_e32 v64, 0x3f317218
	s_mov_b32 s8, 0x3f317218
	v_pk_mul_f32 v[64:65], v[66:67], v[64:65]
	v_fma_f32 v68, v66, s8, -v64
	v_fmac_f32_e32 v68, 0xb102e308, v66
	v_pk_add_f32 v[66:67], v[64:65], v[68:69]
	v_sub_f32_e32 v69, v67, v69
	v_ldexp_f32 v55, v55, 1
	v_sub_f32_e32 v69, v65, v69
	v_add_f32_e32 v71, v55, v69
	v_mov_b32_e32 v70, v64
	v_pk_add_f32 v[64:65], v[66:67], v[64:65] neg_lo:[0,1] neg_hi:[0,1]
	v_pk_add_f32 v[80:81], v[66:67], v[70:71]
	v_mov_b32_e32 v65, v81
	v_mov_b32_e32 v69, v66
	v_pk_add_f32 v[82:83], v[68:69], v[64:65] neg_lo:[0,1] neg_hi:[0,1]
	v_pk_add_f32 v[64:65], v[68:69], v[64:65]
	v_mov_b32_e32 v68, v65
	v_pk_add_f32 v[84:85], v[68:69], v[66:67] neg_lo:[0,1] neg_hi:[0,1]
	v_mov_b32_e32 v55, v84
	v_pk_add_f32 v[86:87], v[80:81], v[54:55] neg_lo:[0,1] neg_hi:[0,1]
	v_mov_b32_e32 v64, v81
	v_mov_b32_e32 v80, v67
	;; [unrolled: 1-line block ×4, first 2 shown]
	v_pk_add_f32 v[64:65], v[64:65], v[80:81] neg_lo:[0,1] neg_hi:[0,1]
	v_mov_b32_e32 v70, v71
	v_mov_b32_e32 v71, v66
	v_pk_add_f32 v[64:65], v[70:71], v[64:65] neg_lo:[0,1] neg_hi:[0,1]
	v_mov_b32_e32 v86, v82
	v_pk_add_f32 v[66:67], v[86:87], v[64:65]
	v_mov_b32_e32 v70, v67
	v_pk_add_f32 v[70:71], v[66:67], v[70:71]
	v_pk_add_f32 v[68:69], v[68:69], v[70:71]
	v_mov_b32_e32 v67, v68
	v_pk_add_f32 v[80:81], v[66:67], v[82:83] neg_lo:[0,1] neg_hi:[0,1]
	v_mov_b32_e32 v65, v70
	v_sub_f32_e32 v55, v66, v80
	v_pk_add_f32 v[64:65], v[64:65], v[80:81] neg_lo:[0,1] neg_hi:[0,1]
	v_sub_f32_e32 v55, v82, v55
	s_mov_b32 s10, 0x7f800000
	v_add_f32_e32 v55, v64, v55
	s_mov_b32 s8, 0x33800000
	v_add_f32_e32 v55, v55, v65
	v_cmp_eq_f32_e32 vcc, s10, v98
	v_cmp_lt_f32_e64 s[10:11], |v98|, s8
	v_add_f32_e32 v55, v68, v55
	s_or_b64 vcc, vcc, s[10:11]
	v_cndmask_b32_e32 v55, v55, v98, vcc
	v_add_f32_e32 v55, v54, v55
.LBB444_228:
	s_or_b64 exec, exec, s[6:7]
	v_bfe_u32 v54, v55, 16, 1
	v_add3_u32 v54, v55, v54, s9
	v_lshrrev_b32_e32 v54, 16, v54
	v_cmp_o_f32_e32 vcc, v55, v55
	v_cndmask_b32_e32 v53, v53, v54, vcc
	v_lshlrev_b32_e32 v64, 16, v53
	v_max_f32_e32 v54, v64, v64
	v_min_f32_e32 v55, v54, v102
	v_cmp_u_f32_e32 vcc, v64, v64
	v_max_f32_e32 v54, v54, v102
	v_cndmask_b32_e32 v55, v55, v64, vcc
	v_cndmask_b32_e32 v54, v54, v64, vcc
	v_cndmask_b32_e64 v55, v55, v96, s[34:35]
	v_cndmask_b32_e64 v54, v54, v96, s[34:35]
	s_movk_i32 s8, 0x1f8
	v_cmp_neq_f32_e32 vcc, v55, v54
	v_cmp_class_f32_e64 s[6:7], v55, s8
	s_or_b64 s[10:11], vcc, s[6:7]
	s_and_saveexec_b64 s[6:7], s[10:11]
	s_cbranch_execz .LBB444_230
; %bb.229:
	v_sub_f32_e32 v55, v55, v54
	s_mov_b32 s9, 0x3fb8aa3b
	v_mul_f32_e32 v64, 0x3fb8aa3b, v55
	v_fma_f32 v65, v55, s9, -v64
	v_rndne_f32_e32 v66, v64
	v_fmac_f32_e32 v65, 0x32a5705f, v55
	v_sub_f32_e32 v64, v64, v66
	v_add_f32_e32 v64, v64, v65
	v_exp_f32_e32 v64, v64
	v_cvt_i32_f32_e32 v65, v66
	s_mov_b32 s9, 0xc2ce8ed0
	v_cmp_ngt_f32_e32 vcc, s9, v55
	s_mov_b32 s9, 0x42b17218
	v_ldexp_f32 v64, v64, v65
	v_cndmask_b32_e32 v64, 0, v64, vcc
	v_mov_b32_e32 v65, 0x7f800000
	v_cmp_nlt_f32_e32 vcc, s9, v55
	v_cndmask_b32_e32 v96, v65, v64, vcc
	v_add_f32_e32 v55, 1.0, v96
	v_add_f32_e32 v64, -1.0, v55
	v_sub_f32_e32 v65, v64, v55
	v_add_f32_e32 v65, 1.0, v65
	v_sub_f32_e32 v64, v96, v64
	v_add_f32_e32 v66, v64, v65
	v_frexp_mant_f32_e32 v67, v55
	s_mov_b32 s9, 0x3f2aaaab
	v_cvt_f64_f32_e32 v[64:65], v55
	v_frexp_exp_i32_f64_e32 v64, v[64:65]
	v_cmp_gt_f32_e32 vcc, s9, v67
	v_subbrev_co_u32_e32 v80, vcc, 0, v64, vcc
	v_sub_u32_e32 v64, 0, v80
	v_ldexp_f32 v55, v55, v64
	v_ldexp_f32 v64, v66, v64
	v_add_f32_e32 v66, -1.0, v55
	v_add_f32_e32 v65, 1.0, v66
	v_sub_f32_e32 v65, v55, v65
	v_add_f32_e32 v67, v64, v65
	v_add_f32_e32 v65, 1.0, v55
	v_add_f32_e32 v68, -1.0, v65
	v_sub_f32_e32 v55, v55, v68
	v_add_f32_e32 v55, v64, v55
	v_add_f32_e32 v81, v65, v55
	v_rcp_f32_e32 v82, v81
	v_sub_f32_e32 v64, v65, v81
	v_add_f32_e32 v65, v66, v67
	v_add_f32_e32 v55, v55, v64
	v_mul_f32_e32 v84, v65, v82
	v_sub_f32_e32 v64, v66, v65
	v_mul_f32_e32 v66, v81, v84
	v_fma_f32 v68, v84, v81, -v66
	v_fmac_f32_e32 v68, v84, v55
	v_add_f32_e32 v83, v67, v64
	v_add_f32_e32 v64, v66, v68
	v_sub_f32_e32 v67, v65, v64
	v_pk_add_f32 v[70:71], v[64:65], v[66:67] neg_lo:[0,1] neg_hi:[0,1]
	v_mov_b32_e32 v69, v64
	v_pk_add_f32 v[64:65], v[70:71], v[68:69] neg_lo:[0,1] neg_hi:[0,1]
	v_add_f32_e32 v65, v83, v65
	v_add_f32_e32 v64, v64, v65
	;; [unrolled: 1-line block ×3, first 2 shown]
	v_mul_f32_e32 v83, v82, v65
	v_mul_f32_e32 v66, v81, v83
	v_fma_f32 v68, v83, v81, -v66
	v_fmac_f32_e32 v68, v83, v55
	v_sub_f32_e32 v55, v67, v65
	v_add_f32_e32 v55, v64, v55
	v_add_f32_e32 v64, v66, v68
	v_sub_f32_e32 v67, v65, v64
	v_pk_add_f32 v[70:71], v[64:65], v[66:67] neg_lo:[0,1] neg_hi:[0,1]
	v_mov_b32_e32 v69, v64
	v_pk_add_f32 v[64:65], v[70:71], v[68:69] neg_lo:[0,1] neg_hi:[0,1]
	v_add_f32_e32 v55, v55, v65
	v_add_f32_e32 v55, v64, v55
	;; [unrolled: 1-line block ×4, first 2 shown]
	v_sub_f32_e32 v65, v64, v84
	v_mul_f32_e32 v55, v82, v55
	v_sub_f32_e32 v65, v83, v65
	v_add_f32_e32 v55, v65, v55
	v_add_f32_e32 v67, v64, v55
	v_mul_f32_e32 v68, v67, v67
	v_mov_b32_e32 v66, 0x3ecc95a3
	v_fmac_f32_e32 v66, 0x3e9b6dac, v68
	v_mov_b32_e32 v65, 0x3f2aaada
	v_fmac_f32_e32 v65, v68, v66
	v_cvt_f32_i32_e32 v66, v80
	v_sub_f32_e32 v64, v67, v64
	v_sub_f32_e32 v55, v55, v64
	v_ldexp_f32 v69, v67, 1
	v_mul_f32_e32 v67, v67, v68
	v_mov_b32_e32 v64, 0x3f317218
	s_mov_b32 s9, 0x3f317218
	v_pk_mul_f32 v[64:65], v[66:67], v[64:65]
	v_fma_f32 v68, v66, s9, -v64
	v_fmac_f32_e32 v68, 0xb102e308, v66
	v_pk_add_f32 v[66:67], v[64:65], v[68:69]
	v_sub_f32_e32 v69, v67, v69
	v_ldexp_f32 v55, v55, 1
	v_sub_f32_e32 v69, v65, v69
	v_add_f32_e32 v71, v55, v69
	v_mov_b32_e32 v70, v64
	v_pk_add_f32 v[64:65], v[66:67], v[64:65] neg_lo:[0,1] neg_hi:[0,1]
	v_pk_add_f32 v[80:81], v[66:67], v[70:71]
	v_mov_b32_e32 v65, v81
	v_mov_b32_e32 v69, v66
	v_pk_add_f32 v[82:83], v[68:69], v[64:65] neg_lo:[0,1] neg_hi:[0,1]
	v_pk_add_f32 v[64:65], v[68:69], v[64:65]
	v_mov_b32_e32 v68, v65
	v_pk_add_f32 v[84:85], v[68:69], v[66:67] neg_lo:[0,1] neg_hi:[0,1]
	v_mov_b32_e32 v55, v84
	v_pk_add_f32 v[86:87], v[80:81], v[54:55] neg_lo:[0,1] neg_hi:[0,1]
	v_mov_b32_e32 v64, v81
	v_mov_b32_e32 v80, v67
	;; [unrolled: 1-line block ×4, first 2 shown]
	v_pk_add_f32 v[64:65], v[64:65], v[80:81] neg_lo:[0,1] neg_hi:[0,1]
	v_mov_b32_e32 v70, v71
	v_mov_b32_e32 v71, v66
	v_pk_add_f32 v[64:65], v[70:71], v[64:65] neg_lo:[0,1] neg_hi:[0,1]
	v_mov_b32_e32 v86, v82
	v_pk_add_f32 v[66:67], v[86:87], v[64:65]
	v_mov_b32_e32 v70, v67
	v_pk_add_f32 v[70:71], v[66:67], v[70:71]
	v_pk_add_f32 v[68:69], v[68:69], v[70:71]
	v_mov_b32_e32 v67, v68
	v_pk_add_f32 v[80:81], v[66:67], v[82:83] neg_lo:[0,1] neg_hi:[0,1]
	v_mov_b32_e32 v65, v70
	v_sub_f32_e32 v55, v66, v80
	v_pk_add_f32 v[64:65], v[64:65], v[80:81] neg_lo:[0,1] neg_hi:[0,1]
	v_sub_f32_e32 v55, v82, v55
	s_mov_b32 s10, 0x7f800000
	v_add_f32_e32 v55, v64, v55
	s_mov_b32 s9, 0x33800000
	v_add_f32_e32 v55, v55, v65
	v_cmp_eq_f32_e32 vcc, s10, v96
	v_cmp_lt_f32_e64 s[10:11], |v96|, s9
	v_add_f32_e32 v55, v68, v55
	s_or_b64 vcc, vcc, s[10:11]
	v_cndmask_b32_e32 v55, v55, v96, vcc
	v_add_f32_e32 v64, v54, v55
.LBB444_230:
	s_or_b64 exec, exec, s[6:7]
	v_bfe_u32 v54, v64, 16, 1
	s_movk_i32 s9, 0x7fff
	v_add3_u32 v54, v64, v54, s9
	v_lshrrev_b32_e32 v54, 16, v54
	v_mov_b32_e32 v55, 0x7fc0
	v_cmp_o_f32_e32 vcc, v64, v64
	v_cndmask_b32_e32 v54, v55, v54, vcc
	v_lshlrev_b32_e32 v65, 16, v54
	v_max_f32_e32 v64, v65, v65
	v_min_f32_e32 v66, v64, v103
	v_cmp_u_f32_e32 vcc, v65, v65
	v_max_f32_e32 v64, v64, v103
	v_cndmask_b32_e32 v66, v66, v65, vcc
	v_cndmask_b32_e32 v64, v64, v65, vcc
	v_cndmask_b32_e64 v66, v66, v97, s[36:37]
	v_cndmask_b32_e64 v64, v64, v97, s[36:37]
	v_cmp_neq_f32_e32 vcc, v66, v64
	v_cmp_class_f32_e64 s[6:7], v66, s8
	s_or_b64 s[10:11], vcc, s[6:7]
	s_and_saveexec_b64 s[6:7], s[10:11]
	s_cbranch_execz .LBB444_232
; %bb.231:
	v_sub_f32_e32 v65, v66, v64
	s_mov_b32 s8, 0x3fb8aa3b
	v_mul_f32_e32 v66, 0x3fb8aa3b, v65
	v_fma_f32 v67, v65, s8, -v66
	v_rndne_f32_e32 v68, v66
	v_fmac_f32_e32 v67, 0x32a5705f, v65
	v_sub_f32_e32 v66, v66, v68
	v_add_f32_e32 v66, v66, v67
	v_exp_f32_e32 v66, v66
	v_cvt_i32_f32_e32 v67, v68
	s_mov_b32 s8, 0xc2ce8ed0
	v_cmp_ngt_f32_e32 vcc, s8, v65
	s_mov_b32 s8, 0x42b17218
	v_ldexp_f32 v66, v66, v67
	v_cndmask_b32_e32 v66, 0, v66, vcc
	v_mov_b32_e32 v67, 0x7f800000
	v_cmp_nlt_f32_e32 vcc, s8, v65
	v_cndmask_b32_e32 v98, v67, v66, vcc
	v_add_f32_e32 v65, 1.0, v98
	v_add_f32_e32 v66, -1.0, v65
	v_sub_f32_e32 v67, v66, v65
	v_add_f32_e32 v67, 1.0, v67
	v_sub_f32_e32 v66, v98, v66
	v_add_f32_e32 v68, v66, v67
	v_frexp_mant_f32_e32 v69, v65
	s_mov_b32 s8, 0x3f2aaaab
	v_cvt_f64_f32_e32 v[66:67], v65
	v_frexp_exp_i32_f64_e32 v66, v[66:67]
	v_cmp_gt_f32_e32 vcc, s8, v69
	v_subbrev_co_u32_e32 v82, vcc, 0, v66, vcc
	v_sub_u32_e32 v66, 0, v82
	v_ldexp_f32 v65, v65, v66
	v_ldexp_f32 v66, v68, v66
	v_add_f32_e32 v68, -1.0, v65
	v_add_f32_e32 v67, 1.0, v68
	v_sub_f32_e32 v67, v65, v67
	v_add_f32_e32 v69, v66, v67
	v_add_f32_e32 v67, 1.0, v65
	v_add_f32_e32 v70, -1.0, v67
	v_sub_f32_e32 v65, v65, v70
	v_add_f32_e32 v65, v66, v65
	v_add_f32_e32 v83, v67, v65
	v_rcp_f32_e32 v84, v83
	v_sub_f32_e32 v66, v67, v83
	v_add_f32_e32 v67, v68, v69
	v_add_f32_e32 v65, v65, v66
	v_mul_f32_e32 v86, v67, v84
	v_sub_f32_e32 v66, v68, v67
	v_mul_f32_e32 v68, v83, v86
	v_fma_f32 v70, v86, v83, -v68
	v_fmac_f32_e32 v70, v86, v65
	v_add_f32_e32 v85, v69, v66
	v_add_f32_e32 v66, v68, v70
	v_sub_f32_e32 v69, v67, v66
	v_pk_add_f32 v[80:81], v[66:67], v[68:69] neg_lo:[0,1] neg_hi:[0,1]
	v_mov_b32_e32 v71, v66
	v_pk_add_f32 v[66:67], v[80:81], v[70:71] neg_lo:[0,1] neg_hi:[0,1]
	v_add_f32_e32 v67, v85, v67
	v_add_f32_e32 v66, v66, v67
	;; [unrolled: 1-line block ×3, first 2 shown]
	v_mul_f32_e32 v85, v84, v67
	v_mul_f32_e32 v68, v83, v85
	v_fma_f32 v70, v85, v83, -v68
	v_fmac_f32_e32 v70, v85, v65
	v_sub_f32_e32 v65, v69, v67
	v_add_f32_e32 v65, v66, v65
	v_add_f32_e32 v66, v68, v70
	v_sub_f32_e32 v69, v67, v66
	v_pk_add_f32 v[80:81], v[66:67], v[68:69] neg_lo:[0,1] neg_hi:[0,1]
	v_mov_b32_e32 v71, v66
	v_pk_add_f32 v[66:67], v[80:81], v[70:71] neg_lo:[0,1] neg_hi:[0,1]
	v_add_f32_e32 v65, v65, v67
	v_add_f32_e32 v65, v66, v65
	;; [unrolled: 1-line block ×4, first 2 shown]
	v_sub_f32_e32 v67, v66, v86
	v_mul_f32_e32 v65, v84, v65
	v_sub_f32_e32 v67, v85, v67
	v_add_f32_e32 v65, v67, v65
	v_add_f32_e32 v69, v66, v65
	v_mul_f32_e32 v70, v69, v69
	v_mov_b32_e32 v68, 0x3ecc95a3
	v_fmac_f32_e32 v68, 0x3e9b6dac, v70
	v_mov_b32_e32 v67, 0x3f2aaada
	v_fmac_f32_e32 v67, v70, v68
	v_cvt_f32_i32_e32 v68, v82
	v_sub_f32_e32 v66, v69, v66
	v_sub_f32_e32 v65, v65, v66
	v_ldexp_f32 v71, v69, 1
	v_mul_f32_e32 v69, v69, v70
	v_mov_b32_e32 v66, 0x3f317218
	s_mov_b32 s8, 0x3f317218
	v_pk_mul_f32 v[66:67], v[68:69], v[66:67]
	v_fma_f32 v70, v68, s8, -v66
	v_fmac_f32_e32 v70, 0xb102e308, v68
	v_pk_add_f32 v[68:69], v[66:67], v[70:71]
	v_sub_f32_e32 v71, v69, v71
	v_ldexp_f32 v65, v65, 1
	v_sub_f32_e32 v71, v67, v71
	v_add_f32_e32 v81, v65, v71
	v_mov_b32_e32 v80, v66
	v_pk_add_f32 v[66:67], v[68:69], v[66:67] neg_lo:[0,1] neg_hi:[0,1]
	v_pk_add_f32 v[82:83], v[68:69], v[80:81]
	v_mov_b32_e32 v67, v83
	v_mov_b32_e32 v71, v68
	v_pk_add_f32 v[84:85], v[70:71], v[66:67] neg_lo:[0,1] neg_hi:[0,1]
	v_pk_add_f32 v[66:67], v[70:71], v[66:67]
	v_mov_b32_e32 v70, v67
	v_pk_add_f32 v[86:87], v[70:71], v[68:69] neg_lo:[0,1] neg_hi:[0,1]
	v_mov_b32_e32 v65, v86
	v_pk_add_f32 v[96:97], v[82:83], v[64:65] neg_lo:[0,1] neg_hi:[0,1]
	v_mov_b32_e32 v66, v83
	v_mov_b32_e32 v82, v69
	;; [unrolled: 1-line block ×4, first 2 shown]
	v_pk_add_f32 v[66:67], v[66:67], v[82:83] neg_lo:[0,1] neg_hi:[0,1]
	v_mov_b32_e32 v80, v81
	v_mov_b32_e32 v81, v68
	v_pk_add_f32 v[66:67], v[80:81], v[66:67] neg_lo:[0,1] neg_hi:[0,1]
	v_mov_b32_e32 v96, v84
	v_pk_add_f32 v[68:69], v[96:97], v[66:67]
	v_mov_b32_e32 v80, v69
	v_pk_add_f32 v[80:81], v[68:69], v[80:81]
	v_pk_add_f32 v[70:71], v[70:71], v[80:81]
	v_mov_b32_e32 v69, v70
	v_pk_add_f32 v[82:83], v[68:69], v[84:85] neg_lo:[0,1] neg_hi:[0,1]
	v_mov_b32_e32 v67, v80
	v_sub_f32_e32 v65, v68, v82
	v_pk_add_f32 v[66:67], v[66:67], v[82:83] neg_lo:[0,1] neg_hi:[0,1]
	v_sub_f32_e32 v65, v84, v65
	s_mov_b32 s10, 0x7f800000
	v_add_f32_e32 v65, v66, v65
	s_mov_b32 s8, 0x33800000
	v_add_f32_e32 v65, v65, v67
	v_cmp_eq_f32_e32 vcc, s10, v98
	v_cmp_lt_f32_e64 s[10:11], |v98|, s8
	v_add_f32_e32 v65, v70, v65
	s_or_b64 vcc, vcc, s[10:11]
	v_cndmask_b32_e32 v65, v65, v98, vcc
	v_add_f32_e32 v65, v64, v65
.LBB444_232:
	s_or_b64 exec, exec, s[6:7]
	v_bfe_u32 v64, v65, 16, 1
	v_add3_u32 v64, v65, v64, s9
	v_lshrrev_b32_e32 v64, 16, v64
	v_cmp_o_f32_e32 vcc, v65, v65
	v_cndmask_b32_e32 v55, v55, v64, vcc
	v_lshlrev_b32_e32 v66, 16, v55
	v_max_f32_e32 v64, v66, v66
	v_min_f32_e32 v65, v64, v114
	v_cmp_u_f32_e32 vcc, v66, v66
	v_max_f32_e32 v64, v64, v114
	v_cndmask_b32_e32 v65, v65, v66, vcc
	v_cndmask_b32_e32 v64, v64, v66, vcc
	v_cndmask_b32_e64 v65, v65, v100, s[38:39]
	v_cndmask_b32_e64 v64, v64, v100, s[38:39]
	s_movk_i32 s8, 0x1f8
	v_cmp_neq_f32_e32 vcc, v65, v64
	v_cmp_class_f32_e64 s[6:7], v65, s8
	s_or_b64 s[10:11], vcc, s[6:7]
	s_and_saveexec_b64 s[6:7], s[10:11]
	s_cbranch_execz .LBB444_234
; %bb.233:
	v_sub_f32_e32 v65, v65, v64
	s_mov_b32 s9, 0x3fb8aa3b
	v_mul_f32_e32 v66, 0x3fb8aa3b, v65
	v_fma_f32 v67, v65, s9, -v66
	v_rndne_f32_e32 v68, v66
	v_fmac_f32_e32 v67, 0x32a5705f, v65
	v_sub_f32_e32 v66, v66, v68
	v_add_f32_e32 v66, v66, v67
	v_exp_f32_e32 v66, v66
	v_cvt_i32_f32_e32 v67, v68
	s_mov_b32 s9, 0xc2ce8ed0
	v_cmp_ngt_f32_e32 vcc, s9, v65
	s_mov_b32 s9, 0x42b17218
	v_ldexp_f32 v66, v66, v67
	v_cndmask_b32_e32 v66, 0, v66, vcc
	v_mov_b32_e32 v67, 0x7f800000
	v_cmp_nlt_f32_e32 vcc, s9, v65
	v_cndmask_b32_e32 v98, v67, v66, vcc
	v_add_f32_e32 v65, 1.0, v98
	v_add_f32_e32 v66, -1.0, v65
	v_sub_f32_e32 v67, v66, v65
	v_add_f32_e32 v67, 1.0, v67
	v_sub_f32_e32 v66, v98, v66
	v_add_f32_e32 v68, v66, v67
	v_frexp_mant_f32_e32 v69, v65
	s_mov_b32 s9, 0x3f2aaaab
	v_cvt_f64_f32_e32 v[66:67], v65
	v_frexp_exp_i32_f64_e32 v66, v[66:67]
	v_cmp_gt_f32_e32 vcc, s9, v69
	v_subbrev_co_u32_e32 v82, vcc, 0, v66, vcc
	v_sub_u32_e32 v66, 0, v82
	v_ldexp_f32 v65, v65, v66
	v_ldexp_f32 v66, v68, v66
	v_add_f32_e32 v68, -1.0, v65
	v_add_f32_e32 v67, 1.0, v68
	v_sub_f32_e32 v67, v65, v67
	v_add_f32_e32 v69, v66, v67
	v_add_f32_e32 v67, 1.0, v65
	v_add_f32_e32 v70, -1.0, v67
	v_sub_f32_e32 v65, v65, v70
	v_add_f32_e32 v65, v66, v65
	v_add_f32_e32 v83, v67, v65
	v_rcp_f32_e32 v84, v83
	v_sub_f32_e32 v66, v67, v83
	v_add_f32_e32 v67, v68, v69
	v_add_f32_e32 v65, v65, v66
	v_mul_f32_e32 v86, v67, v84
	v_sub_f32_e32 v66, v68, v67
	v_mul_f32_e32 v68, v83, v86
	v_fma_f32 v70, v86, v83, -v68
	v_fmac_f32_e32 v70, v86, v65
	v_add_f32_e32 v85, v69, v66
	v_add_f32_e32 v66, v68, v70
	v_sub_f32_e32 v69, v67, v66
	v_pk_add_f32 v[80:81], v[66:67], v[68:69] neg_lo:[0,1] neg_hi:[0,1]
	v_mov_b32_e32 v71, v66
	v_pk_add_f32 v[66:67], v[80:81], v[70:71] neg_lo:[0,1] neg_hi:[0,1]
	v_add_f32_e32 v67, v85, v67
	v_add_f32_e32 v66, v66, v67
	;; [unrolled: 1-line block ×3, first 2 shown]
	v_mul_f32_e32 v85, v84, v67
	v_mul_f32_e32 v68, v83, v85
	v_fma_f32 v70, v85, v83, -v68
	v_fmac_f32_e32 v70, v85, v65
	v_sub_f32_e32 v65, v69, v67
	v_add_f32_e32 v65, v66, v65
	v_add_f32_e32 v66, v68, v70
	v_sub_f32_e32 v69, v67, v66
	v_pk_add_f32 v[80:81], v[66:67], v[68:69] neg_lo:[0,1] neg_hi:[0,1]
	v_mov_b32_e32 v71, v66
	v_pk_add_f32 v[66:67], v[80:81], v[70:71] neg_lo:[0,1] neg_hi:[0,1]
	v_add_f32_e32 v65, v65, v67
	v_add_f32_e32 v65, v66, v65
	;; [unrolled: 1-line block ×4, first 2 shown]
	v_sub_f32_e32 v67, v66, v86
	v_mul_f32_e32 v65, v84, v65
	v_sub_f32_e32 v67, v85, v67
	v_add_f32_e32 v65, v67, v65
	v_add_f32_e32 v69, v66, v65
	v_mul_f32_e32 v70, v69, v69
	v_mov_b32_e32 v68, 0x3ecc95a3
	v_fmac_f32_e32 v68, 0x3e9b6dac, v70
	v_mov_b32_e32 v67, 0x3f2aaada
	v_fmac_f32_e32 v67, v70, v68
	v_cvt_f32_i32_e32 v68, v82
	v_sub_f32_e32 v66, v69, v66
	v_sub_f32_e32 v65, v65, v66
	v_ldexp_f32 v71, v69, 1
	v_mul_f32_e32 v69, v69, v70
	v_mov_b32_e32 v66, 0x3f317218
	s_mov_b32 s9, 0x3f317218
	v_pk_mul_f32 v[66:67], v[68:69], v[66:67]
	v_fma_f32 v70, v68, s9, -v66
	v_fmac_f32_e32 v70, 0xb102e308, v68
	v_pk_add_f32 v[68:69], v[66:67], v[70:71]
	v_sub_f32_e32 v71, v69, v71
	v_ldexp_f32 v65, v65, 1
	v_sub_f32_e32 v71, v67, v71
	v_add_f32_e32 v81, v65, v71
	v_mov_b32_e32 v80, v66
	v_pk_add_f32 v[66:67], v[68:69], v[66:67] neg_lo:[0,1] neg_hi:[0,1]
	v_pk_add_f32 v[82:83], v[68:69], v[80:81]
	v_mov_b32_e32 v67, v83
	v_mov_b32_e32 v71, v68
	v_pk_add_f32 v[84:85], v[70:71], v[66:67] neg_lo:[0,1] neg_hi:[0,1]
	v_pk_add_f32 v[66:67], v[70:71], v[66:67]
	v_mov_b32_e32 v70, v67
	v_pk_add_f32 v[86:87], v[70:71], v[68:69] neg_lo:[0,1] neg_hi:[0,1]
	v_mov_b32_e32 v65, v86
	v_pk_add_f32 v[96:97], v[82:83], v[64:65] neg_lo:[0,1] neg_hi:[0,1]
	v_mov_b32_e32 v66, v83
	v_mov_b32_e32 v82, v69
	;; [unrolled: 1-line block ×4, first 2 shown]
	v_pk_add_f32 v[66:67], v[66:67], v[82:83] neg_lo:[0,1] neg_hi:[0,1]
	v_mov_b32_e32 v80, v81
	v_mov_b32_e32 v81, v68
	v_pk_add_f32 v[66:67], v[80:81], v[66:67] neg_lo:[0,1] neg_hi:[0,1]
	v_mov_b32_e32 v96, v84
	v_pk_add_f32 v[68:69], v[96:97], v[66:67]
	v_mov_b32_e32 v80, v69
	v_pk_add_f32 v[80:81], v[68:69], v[80:81]
	v_pk_add_f32 v[70:71], v[70:71], v[80:81]
	v_mov_b32_e32 v69, v70
	v_pk_add_f32 v[82:83], v[68:69], v[84:85] neg_lo:[0,1] neg_hi:[0,1]
	v_mov_b32_e32 v67, v80
	v_sub_f32_e32 v65, v68, v82
	v_pk_add_f32 v[66:67], v[66:67], v[82:83] neg_lo:[0,1] neg_hi:[0,1]
	v_sub_f32_e32 v65, v84, v65
	s_mov_b32 s10, 0x7f800000
	v_add_f32_e32 v65, v66, v65
	s_mov_b32 s9, 0x33800000
	v_add_f32_e32 v65, v65, v67
	v_cmp_eq_f32_e32 vcc, s10, v98
	v_cmp_lt_f32_e64 s[10:11], |v98|, s9
	v_add_f32_e32 v65, v70, v65
	s_or_b64 vcc, vcc, s[10:11]
	v_cndmask_b32_e32 v65, v65, v98, vcc
	v_add_f32_e32 v66, v64, v65
.LBB444_234:
	s_or_b64 exec, exec, s[6:7]
	v_bfe_u32 v64, v66, 16, 1
	s_movk_i32 s9, 0x7fff
	v_add3_u32 v64, v66, v64, s9
	v_lshrrev_b32_e32 v64, 16, v64
	v_mov_b32_e32 v65, 0x7fc0
	v_cmp_o_f32_e32 vcc, v66, v66
	v_cndmask_b32_e32 v64, v65, v64, vcc
	v_lshlrev_b32_e32 v67, 16, v64
	v_max_f32_e32 v66, v67, v67
	v_min_f32_e32 v68, v66, v115
	v_cmp_u_f32_e32 vcc, v67, v67
	v_max_f32_e32 v66, v66, v115
	v_cndmask_b32_e32 v68, v68, v67, vcc
	v_cndmask_b32_e32 v66, v66, v67, vcc
	v_cndmask_b32_e64 v68, v68, v101, s[40:41]
	v_cndmask_b32_e64 v66, v66, v101, s[40:41]
	v_cmp_neq_f32_e32 vcc, v68, v66
	v_cmp_class_f32_e64 s[6:7], v68, s8
	s_or_b64 s[10:11], vcc, s[6:7]
	s_and_saveexec_b64 s[6:7], s[10:11]
	s_cbranch_execz .LBB444_236
; %bb.235:
	v_sub_f32_e32 v67, v68, v66
	s_mov_b32 s8, 0x3fb8aa3b
	v_mul_f32_e32 v68, 0x3fb8aa3b, v67
	v_fma_f32 v69, v67, s8, -v68
	v_rndne_f32_e32 v70, v68
	v_fmac_f32_e32 v69, 0x32a5705f, v67
	v_sub_f32_e32 v68, v68, v70
	v_add_f32_e32 v68, v68, v69
	v_exp_f32_e32 v68, v68
	v_cvt_i32_f32_e32 v69, v70
	s_mov_b32 s8, 0xc2ce8ed0
	v_cmp_ngt_f32_e32 vcc, s8, v67
	s_mov_b32 s8, 0x42b17218
	v_ldexp_f32 v68, v68, v69
	v_cndmask_b32_e32 v68, 0, v68, vcc
	v_mov_b32_e32 v69, 0x7f800000
	v_cmp_nlt_f32_e32 vcc, s8, v67
	v_cndmask_b32_e32 v100, v69, v68, vcc
	v_add_f32_e32 v67, 1.0, v100
	v_add_f32_e32 v68, -1.0, v67
	v_sub_f32_e32 v69, v68, v67
	v_add_f32_e32 v69, 1.0, v69
	v_sub_f32_e32 v68, v100, v68
	v_add_f32_e32 v70, v68, v69
	v_frexp_mant_f32_e32 v71, v67
	s_mov_b32 s8, 0x3f2aaaab
	v_cvt_f64_f32_e32 v[68:69], v67
	v_frexp_exp_i32_f64_e32 v68, v[68:69]
	v_cmp_gt_f32_e32 vcc, s8, v71
	v_subbrev_co_u32_e32 v84, vcc, 0, v68, vcc
	v_sub_u32_e32 v68, 0, v84
	v_ldexp_f32 v67, v67, v68
	v_ldexp_f32 v68, v70, v68
	v_add_f32_e32 v70, -1.0, v67
	v_add_f32_e32 v69, 1.0, v70
	v_sub_f32_e32 v69, v67, v69
	v_add_f32_e32 v71, v68, v69
	v_add_f32_e32 v69, 1.0, v67
	v_add_f32_e32 v80, -1.0, v69
	v_sub_f32_e32 v67, v67, v80
	v_add_f32_e32 v67, v68, v67
	v_add_f32_e32 v85, v69, v67
	v_rcp_f32_e32 v86, v85
	v_sub_f32_e32 v68, v69, v85
	v_add_f32_e32 v69, v70, v71
	v_add_f32_e32 v67, v67, v68
	v_mul_f32_e32 v96, v69, v86
	v_sub_f32_e32 v68, v70, v69
	v_mul_f32_e32 v70, v85, v96
	v_fma_f32 v80, v96, v85, -v70
	v_fmac_f32_e32 v80, v96, v67
	v_add_f32_e32 v87, v71, v68
	v_add_f32_e32 v68, v70, v80
	v_sub_f32_e32 v71, v69, v68
	v_pk_add_f32 v[82:83], v[68:69], v[70:71] neg_lo:[0,1] neg_hi:[0,1]
	v_mov_b32_e32 v81, v68
	v_pk_add_f32 v[68:69], v[82:83], v[80:81] neg_lo:[0,1] neg_hi:[0,1]
	v_add_f32_e32 v69, v87, v69
	v_add_f32_e32 v68, v68, v69
	;; [unrolled: 1-line block ×3, first 2 shown]
	v_mul_f32_e32 v87, v86, v69
	v_mul_f32_e32 v70, v85, v87
	v_fma_f32 v80, v87, v85, -v70
	v_fmac_f32_e32 v80, v87, v67
	v_sub_f32_e32 v67, v71, v69
	v_add_f32_e32 v67, v68, v67
	v_add_f32_e32 v68, v70, v80
	v_sub_f32_e32 v71, v69, v68
	v_pk_add_f32 v[82:83], v[68:69], v[70:71] neg_lo:[0,1] neg_hi:[0,1]
	v_mov_b32_e32 v81, v68
	v_pk_add_f32 v[68:69], v[82:83], v[80:81] neg_lo:[0,1] neg_hi:[0,1]
	v_add_f32_e32 v67, v67, v69
	v_add_f32_e32 v67, v68, v67
	;; [unrolled: 1-line block ×4, first 2 shown]
	v_sub_f32_e32 v69, v68, v96
	v_mul_f32_e32 v67, v86, v67
	v_sub_f32_e32 v69, v87, v69
	v_add_f32_e32 v67, v69, v67
	v_add_f32_e32 v71, v68, v67
	v_mul_f32_e32 v80, v71, v71
	v_mov_b32_e32 v70, 0x3ecc95a3
	v_fmac_f32_e32 v70, 0x3e9b6dac, v80
	v_mov_b32_e32 v69, 0x3f2aaada
	v_fmac_f32_e32 v69, v80, v70
	v_cvt_f32_i32_e32 v70, v84
	v_sub_f32_e32 v68, v71, v68
	v_sub_f32_e32 v67, v67, v68
	v_ldexp_f32 v81, v71, 1
	v_mul_f32_e32 v71, v71, v80
	v_mov_b32_e32 v68, 0x3f317218
	s_mov_b32 s8, 0x3f317218
	v_pk_mul_f32 v[68:69], v[70:71], v[68:69]
	v_fma_f32 v80, v70, s8, -v68
	v_fmac_f32_e32 v80, 0xb102e308, v70
	v_pk_add_f32 v[70:71], v[68:69], v[80:81]
	v_sub_f32_e32 v81, v71, v81
	v_ldexp_f32 v67, v67, 1
	v_sub_f32_e32 v81, v69, v81
	v_add_f32_e32 v83, v67, v81
	v_mov_b32_e32 v82, v68
	v_pk_add_f32 v[68:69], v[70:71], v[68:69] neg_lo:[0,1] neg_hi:[0,1]
	v_pk_add_f32 v[84:85], v[70:71], v[82:83]
	v_mov_b32_e32 v69, v85
	v_mov_b32_e32 v81, v70
	v_pk_add_f32 v[86:87], v[80:81], v[68:69] neg_lo:[0,1] neg_hi:[0,1]
	v_pk_add_f32 v[68:69], v[80:81], v[68:69]
	v_mov_b32_e32 v80, v69
	v_pk_add_f32 v[96:97], v[80:81], v[70:71] neg_lo:[0,1] neg_hi:[0,1]
	v_mov_b32_e32 v67, v96
	v_pk_add_f32 v[98:99], v[84:85], v[66:67] neg_lo:[0,1] neg_hi:[0,1]
	v_mov_b32_e32 v68, v85
	v_mov_b32_e32 v84, v71
	;; [unrolled: 1-line block ×4, first 2 shown]
	v_pk_add_f32 v[68:69], v[68:69], v[84:85] neg_lo:[0,1] neg_hi:[0,1]
	v_mov_b32_e32 v82, v83
	v_mov_b32_e32 v83, v70
	v_pk_add_f32 v[68:69], v[82:83], v[68:69] neg_lo:[0,1] neg_hi:[0,1]
	v_mov_b32_e32 v98, v86
	v_pk_add_f32 v[70:71], v[98:99], v[68:69]
	v_mov_b32_e32 v82, v71
	v_pk_add_f32 v[82:83], v[70:71], v[82:83]
	v_pk_add_f32 v[80:81], v[80:81], v[82:83]
	v_mov_b32_e32 v71, v80
	v_pk_add_f32 v[84:85], v[70:71], v[86:87] neg_lo:[0,1] neg_hi:[0,1]
	v_mov_b32_e32 v69, v82
	v_sub_f32_e32 v67, v70, v84
	v_pk_add_f32 v[68:69], v[68:69], v[84:85] neg_lo:[0,1] neg_hi:[0,1]
	v_sub_f32_e32 v67, v86, v67
	s_mov_b32 s10, 0x7f800000
	v_add_f32_e32 v67, v68, v67
	s_mov_b32 s8, 0x33800000
	v_add_f32_e32 v67, v67, v69
	v_cmp_eq_f32_e32 vcc, s10, v100
	v_cmp_lt_f32_e64 s[10:11], |v100|, s8
	v_add_f32_e32 v67, v80, v67
	s_or_b64 vcc, vcc, s[10:11]
	v_cndmask_b32_e32 v67, v67, v100, vcc
	v_add_f32_e32 v67, v66, v67
.LBB444_236:
	s_or_b64 exec, exec, s[6:7]
	v_bfe_u32 v66, v67, 16, 1
	v_add3_u32 v66, v67, v66, s9
	v_lshrrev_b32_e32 v66, 16, v66
	v_cmp_o_f32_e32 vcc, v67, v67
	v_cndmask_b32_e32 v65, v65, v66, vcc
	v_lshlrev_b32_e32 v68, 16, v65
	v_max_f32_e32 v66, v68, v68
	v_min_f32_e32 v67, v66, v118
	v_cmp_u_f32_e32 vcc, v68, v68
	v_max_f32_e32 v66, v66, v118
	v_cndmask_b32_e32 v67, v67, v68, vcc
	v_cndmask_b32_e32 v66, v66, v68, vcc
	v_cndmask_b32_e64 v67, v67, v112, s[42:43]
	v_cndmask_b32_e64 v66, v66, v112, s[42:43]
	s_movk_i32 s8, 0x1f8
	v_cmp_neq_f32_e32 vcc, v67, v66
	v_cmp_class_f32_e64 s[6:7], v67, s8
	s_or_b64 s[10:11], vcc, s[6:7]
	s_and_saveexec_b64 s[6:7], s[10:11]
	s_cbranch_execz .LBB444_238
; %bb.237:
	v_sub_f32_e32 v67, v67, v66
	s_mov_b32 s9, 0x3fb8aa3b
	v_mul_f32_e32 v68, 0x3fb8aa3b, v67
	v_fma_f32 v69, v67, s9, -v68
	v_rndne_f32_e32 v70, v68
	v_fmac_f32_e32 v69, 0x32a5705f, v67
	v_sub_f32_e32 v68, v68, v70
	v_add_f32_e32 v68, v68, v69
	v_exp_f32_e32 v68, v68
	v_cvt_i32_f32_e32 v69, v70
	s_mov_b32 s9, 0xc2ce8ed0
	v_cmp_ngt_f32_e32 vcc, s9, v67
	s_mov_b32 s9, 0x42b17218
	v_ldexp_f32 v68, v68, v69
	v_cndmask_b32_e32 v68, 0, v68, vcc
	v_mov_b32_e32 v69, 0x7f800000
	v_cmp_nlt_f32_e32 vcc, s9, v67
	v_cndmask_b32_e32 v100, v69, v68, vcc
	v_add_f32_e32 v67, 1.0, v100
	v_add_f32_e32 v68, -1.0, v67
	v_sub_f32_e32 v69, v68, v67
	v_add_f32_e32 v69, 1.0, v69
	v_sub_f32_e32 v68, v100, v68
	v_add_f32_e32 v70, v68, v69
	v_frexp_mant_f32_e32 v71, v67
	s_mov_b32 s9, 0x3f2aaaab
	v_cvt_f64_f32_e32 v[68:69], v67
	v_frexp_exp_i32_f64_e32 v68, v[68:69]
	v_cmp_gt_f32_e32 vcc, s9, v71
	v_subbrev_co_u32_e32 v84, vcc, 0, v68, vcc
	v_sub_u32_e32 v68, 0, v84
	v_ldexp_f32 v67, v67, v68
	v_ldexp_f32 v68, v70, v68
	v_add_f32_e32 v70, -1.0, v67
	v_add_f32_e32 v69, 1.0, v70
	v_sub_f32_e32 v69, v67, v69
	v_add_f32_e32 v71, v68, v69
	v_add_f32_e32 v69, 1.0, v67
	v_add_f32_e32 v80, -1.0, v69
	v_sub_f32_e32 v67, v67, v80
	v_add_f32_e32 v67, v68, v67
	v_add_f32_e32 v85, v69, v67
	v_rcp_f32_e32 v86, v85
	v_sub_f32_e32 v68, v69, v85
	v_add_f32_e32 v69, v70, v71
	v_add_f32_e32 v67, v67, v68
	v_mul_f32_e32 v96, v69, v86
	v_sub_f32_e32 v68, v70, v69
	v_mul_f32_e32 v70, v85, v96
	v_fma_f32 v80, v96, v85, -v70
	v_fmac_f32_e32 v80, v96, v67
	v_add_f32_e32 v87, v71, v68
	v_add_f32_e32 v68, v70, v80
	v_sub_f32_e32 v71, v69, v68
	v_pk_add_f32 v[82:83], v[68:69], v[70:71] neg_lo:[0,1] neg_hi:[0,1]
	v_mov_b32_e32 v81, v68
	v_pk_add_f32 v[68:69], v[82:83], v[80:81] neg_lo:[0,1] neg_hi:[0,1]
	v_add_f32_e32 v69, v87, v69
	v_add_f32_e32 v68, v68, v69
	;; [unrolled: 1-line block ×3, first 2 shown]
	v_mul_f32_e32 v87, v86, v69
	v_mul_f32_e32 v70, v85, v87
	v_fma_f32 v80, v87, v85, -v70
	v_fmac_f32_e32 v80, v87, v67
	v_sub_f32_e32 v67, v71, v69
	v_add_f32_e32 v67, v68, v67
	v_add_f32_e32 v68, v70, v80
	v_sub_f32_e32 v71, v69, v68
	v_pk_add_f32 v[82:83], v[68:69], v[70:71] neg_lo:[0,1] neg_hi:[0,1]
	v_mov_b32_e32 v81, v68
	v_pk_add_f32 v[68:69], v[82:83], v[80:81] neg_lo:[0,1] neg_hi:[0,1]
	v_add_f32_e32 v67, v67, v69
	v_add_f32_e32 v67, v68, v67
	v_add_f32_e32 v68, v96, v87
	v_add_f32_e32 v67, v71, v67
	v_sub_f32_e32 v69, v68, v96
	v_mul_f32_e32 v67, v86, v67
	v_sub_f32_e32 v69, v87, v69
	v_add_f32_e32 v67, v69, v67
	v_add_f32_e32 v71, v68, v67
	v_mul_f32_e32 v80, v71, v71
	v_mov_b32_e32 v70, 0x3ecc95a3
	v_fmac_f32_e32 v70, 0x3e9b6dac, v80
	v_mov_b32_e32 v69, 0x3f2aaada
	v_fmac_f32_e32 v69, v80, v70
	v_cvt_f32_i32_e32 v70, v84
	v_sub_f32_e32 v68, v71, v68
	v_sub_f32_e32 v67, v67, v68
	v_ldexp_f32 v81, v71, 1
	v_mul_f32_e32 v71, v71, v80
	v_mov_b32_e32 v68, 0x3f317218
	s_mov_b32 s9, 0x3f317218
	v_pk_mul_f32 v[68:69], v[70:71], v[68:69]
	v_fma_f32 v80, v70, s9, -v68
	v_fmac_f32_e32 v80, 0xb102e308, v70
	v_pk_add_f32 v[70:71], v[68:69], v[80:81]
	v_sub_f32_e32 v81, v71, v81
	v_ldexp_f32 v67, v67, 1
	v_sub_f32_e32 v81, v69, v81
	v_add_f32_e32 v83, v67, v81
	v_mov_b32_e32 v82, v68
	v_pk_add_f32 v[68:69], v[70:71], v[68:69] neg_lo:[0,1] neg_hi:[0,1]
	v_pk_add_f32 v[84:85], v[70:71], v[82:83]
	v_mov_b32_e32 v69, v85
	v_mov_b32_e32 v81, v70
	v_pk_add_f32 v[86:87], v[80:81], v[68:69] neg_lo:[0,1] neg_hi:[0,1]
	v_pk_add_f32 v[68:69], v[80:81], v[68:69]
	v_mov_b32_e32 v80, v69
	v_pk_add_f32 v[96:97], v[80:81], v[70:71] neg_lo:[0,1] neg_hi:[0,1]
	v_mov_b32_e32 v67, v96
	v_pk_add_f32 v[98:99], v[84:85], v[66:67] neg_lo:[0,1] neg_hi:[0,1]
	v_mov_b32_e32 v68, v85
	v_mov_b32_e32 v84, v71
	;; [unrolled: 1-line block ×4, first 2 shown]
	v_pk_add_f32 v[68:69], v[68:69], v[84:85] neg_lo:[0,1] neg_hi:[0,1]
	v_mov_b32_e32 v82, v83
	v_mov_b32_e32 v83, v70
	v_pk_add_f32 v[68:69], v[82:83], v[68:69] neg_lo:[0,1] neg_hi:[0,1]
	v_mov_b32_e32 v98, v86
	v_pk_add_f32 v[70:71], v[98:99], v[68:69]
	v_mov_b32_e32 v82, v71
	v_pk_add_f32 v[82:83], v[70:71], v[82:83]
	v_pk_add_f32 v[80:81], v[80:81], v[82:83]
	v_mov_b32_e32 v71, v80
	v_pk_add_f32 v[84:85], v[70:71], v[86:87] neg_lo:[0,1] neg_hi:[0,1]
	v_mov_b32_e32 v69, v82
	v_sub_f32_e32 v67, v70, v84
	v_pk_add_f32 v[68:69], v[68:69], v[84:85] neg_lo:[0,1] neg_hi:[0,1]
	v_sub_f32_e32 v67, v86, v67
	s_mov_b32 s10, 0x7f800000
	v_add_f32_e32 v67, v68, v67
	s_mov_b32 s9, 0x33800000
	v_add_f32_e32 v67, v67, v69
	v_cmp_eq_f32_e32 vcc, s10, v100
	v_cmp_lt_f32_e64 s[10:11], |v100|, s9
	v_add_f32_e32 v67, v80, v67
	s_or_b64 vcc, vcc, s[10:11]
	v_cndmask_b32_e32 v67, v67, v100, vcc
	v_add_f32_e32 v68, v66, v67
.LBB444_238:
	s_or_b64 exec, exec, s[6:7]
	v_bfe_u32 v66, v68, 16, 1
	s_movk_i32 s9, 0x7fff
	v_add3_u32 v66, v68, v66, s9
	v_lshrrev_b32_e32 v66, 16, v66
	v_mov_b32_e32 v67, 0x7fc0
	v_cmp_o_f32_e32 vcc, v68, v68
	v_cndmask_b32_e32 v66, v67, v66, vcc
	v_lshlrev_b32_e32 v69, 16, v66
	v_max_f32_e32 v68, v69, v69
	v_min_f32_e32 v70, v68, v119
	v_cmp_u_f32_e32 vcc, v69, v69
	v_max_f32_e32 v68, v68, v119
	v_cndmask_b32_e32 v70, v70, v69, vcc
	v_cndmask_b32_e32 v68, v68, v69, vcc
	v_cndmask_b32_e64 v70, v70, v113, s[44:45]
	v_cndmask_b32_e64 v68, v68, v113, s[44:45]
	v_cmp_neq_f32_e32 vcc, v70, v68
	v_cmp_class_f32_e64 s[6:7], v70, s8
	s_or_b64 s[10:11], vcc, s[6:7]
	s_and_saveexec_b64 s[6:7], s[10:11]
	s_cbranch_execz .LBB444_240
; %bb.239:
	v_sub_f32_e32 v69, v70, v68
	s_mov_b32 s8, 0x3fb8aa3b
	v_mul_f32_e32 v70, 0x3fb8aa3b, v69
	v_fma_f32 v71, v69, s8, -v70
	v_rndne_f32_e32 v80, v70
	v_fmac_f32_e32 v71, 0x32a5705f, v69
	v_sub_f32_e32 v70, v70, v80
	v_add_f32_e32 v70, v70, v71
	v_exp_f32_e32 v70, v70
	v_cvt_i32_f32_e32 v71, v80
	s_mov_b32 s8, 0xc2ce8ed0
	v_cmp_ngt_f32_e32 vcc, s8, v69
	s_mov_b32 s8, 0x42b17218
	v_ldexp_f32 v70, v70, v71
	v_cndmask_b32_e32 v70, 0, v70, vcc
	v_mov_b32_e32 v71, 0x7f800000
	v_cmp_nlt_f32_e32 vcc, s8, v69
	v_cndmask_b32_e32 v102, v71, v70, vcc
	v_add_f32_e32 v69, 1.0, v102
	v_add_f32_e32 v70, -1.0, v69
	v_sub_f32_e32 v71, v70, v69
	v_add_f32_e32 v71, 1.0, v71
	v_sub_f32_e32 v70, v102, v70
	v_add_f32_e32 v80, v70, v71
	v_frexp_mant_f32_e32 v81, v69
	s_mov_b32 s8, 0x3f2aaaab
	v_cvt_f64_f32_e32 v[70:71], v69
	v_frexp_exp_i32_f64_e32 v70, v[70:71]
	v_cmp_gt_f32_e32 vcc, s8, v81
	v_subbrev_co_u32_e32 v86, vcc, 0, v70, vcc
	v_sub_u32_e32 v70, 0, v86
	v_ldexp_f32 v69, v69, v70
	v_ldexp_f32 v70, v80, v70
	v_add_f32_e32 v80, -1.0, v69
	v_add_f32_e32 v71, 1.0, v80
	v_sub_f32_e32 v71, v69, v71
	v_add_f32_e32 v81, v70, v71
	v_add_f32_e32 v71, 1.0, v69
	v_add_f32_e32 v82, -1.0, v71
	v_sub_f32_e32 v69, v69, v82
	v_add_f32_e32 v69, v70, v69
	v_add_f32_e32 v87, v71, v69
	v_rcp_f32_e32 v96, v87
	v_sub_f32_e32 v70, v71, v87
	v_add_f32_e32 v71, v80, v81
	v_add_f32_e32 v69, v69, v70
	v_mul_f32_e32 v98, v71, v96
	v_sub_f32_e32 v70, v80, v71
	v_mul_f32_e32 v80, v87, v98
	v_fma_f32 v82, v98, v87, -v80
	v_fmac_f32_e32 v82, v98, v69
	v_add_f32_e32 v97, v81, v70
	v_add_f32_e32 v70, v80, v82
	v_sub_f32_e32 v81, v71, v70
	v_pk_add_f32 v[84:85], v[70:71], v[80:81] neg_lo:[0,1] neg_hi:[0,1]
	v_mov_b32_e32 v83, v70
	v_pk_add_f32 v[70:71], v[84:85], v[82:83] neg_lo:[0,1] neg_hi:[0,1]
	v_add_f32_e32 v71, v97, v71
	v_add_f32_e32 v70, v70, v71
	;; [unrolled: 1-line block ×3, first 2 shown]
	v_mul_f32_e32 v97, v96, v71
	v_mul_f32_e32 v80, v87, v97
	v_fma_f32 v82, v97, v87, -v80
	v_fmac_f32_e32 v82, v97, v69
	v_sub_f32_e32 v69, v81, v71
	v_add_f32_e32 v69, v70, v69
	v_add_f32_e32 v70, v80, v82
	v_sub_f32_e32 v81, v71, v70
	v_pk_add_f32 v[84:85], v[70:71], v[80:81] neg_lo:[0,1] neg_hi:[0,1]
	v_mov_b32_e32 v83, v70
	v_pk_add_f32 v[70:71], v[84:85], v[82:83] neg_lo:[0,1] neg_hi:[0,1]
	v_add_f32_e32 v69, v69, v71
	v_add_f32_e32 v69, v70, v69
	;; [unrolled: 1-line block ×4, first 2 shown]
	v_sub_f32_e32 v71, v70, v98
	v_mul_f32_e32 v69, v96, v69
	v_sub_f32_e32 v71, v97, v71
	v_add_f32_e32 v69, v71, v69
	v_add_f32_e32 v81, v70, v69
	v_mul_f32_e32 v82, v81, v81
	v_mov_b32_e32 v80, 0x3ecc95a3
	v_fmac_f32_e32 v80, 0x3e9b6dac, v82
	v_mov_b32_e32 v71, 0x3f2aaada
	v_fmac_f32_e32 v71, v82, v80
	v_cvt_f32_i32_e32 v80, v86
	v_sub_f32_e32 v70, v81, v70
	v_sub_f32_e32 v69, v69, v70
	v_ldexp_f32 v83, v81, 1
	v_mul_f32_e32 v81, v81, v82
	v_mov_b32_e32 v70, 0x3f317218
	s_mov_b32 s8, 0x3f317218
	v_pk_mul_f32 v[70:71], v[80:81], v[70:71]
	v_fma_f32 v82, v80, s8, -v70
	v_fmac_f32_e32 v82, 0xb102e308, v80
	v_pk_add_f32 v[80:81], v[70:71], v[82:83]
	v_sub_f32_e32 v83, v81, v83
	v_ldexp_f32 v69, v69, 1
	v_sub_f32_e32 v83, v71, v83
	v_add_f32_e32 v85, v69, v83
	v_mov_b32_e32 v84, v70
	v_pk_add_f32 v[70:71], v[80:81], v[70:71] neg_lo:[0,1] neg_hi:[0,1]
	v_pk_add_f32 v[86:87], v[80:81], v[84:85]
	v_mov_b32_e32 v71, v87
	v_mov_b32_e32 v83, v80
	v_pk_add_f32 v[96:97], v[82:83], v[70:71] neg_lo:[0,1] neg_hi:[0,1]
	v_pk_add_f32 v[70:71], v[82:83], v[70:71]
	v_mov_b32_e32 v82, v71
	v_pk_add_f32 v[98:99], v[82:83], v[80:81] neg_lo:[0,1] neg_hi:[0,1]
	v_mov_b32_e32 v69, v98
	v_pk_add_f32 v[100:101], v[86:87], v[68:69] neg_lo:[0,1] neg_hi:[0,1]
	v_mov_b32_e32 v70, v87
	v_mov_b32_e32 v86, v81
	;; [unrolled: 1-line block ×4, first 2 shown]
	v_pk_add_f32 v[70:71], v[70:71], v[86:87] neg_lo:[0,1] neg_hi:[0,1]
	v_mov_b32_e32 v84, v85
	v_mov_b32_e32 v85, v80
	v_pk_add_f32 v[70:71], v[84:85], v[70:71] neg_lo:[0,1] neg_hi:[0,1]
	v_mov_b32_e32 v100, v96
	v_pk_add_f32 v[80:81], v[100:101], v[70:71]
	v_mov_b32_e32 v84, v81
	v_pk_add_f32 v[84:85], v[80:81], v[84:85]
	v_pk_add_f32 v[82:83], v[82:83], v[84:85]
	v_mov_b32_e32 v81, v82
	v_pk_add_f32 v[86:87], v[80:81], v[96:97] neg_lo:[0,1] neg_hi:[0,1]
	v_mov_b32_e32 v71, v84
	v_sub_f32_e32 v69, v80, v86
	v_pk_add_f32 v[70:71], v[70:71], v[86:87] neg_lo:[0,1] neg_hi:[0,1]
	v_sub_f32_e32 v69, v96, v69
	s_mov_b32 s10, 0x7f800000
	v_add_f32_e32 v69, v70, v69
	s_mov_b32 s8, 0x33800000
	v_add_f32_e32 v69, v69, v71
	v_cmp_eq_f32_e32 vcc, s10, v102
	v_cmp_lt_f32_e64 s[10:11], |v102|, s8
	v_add_f32_e32 v69, v82, v69
	s_or_b64 vcc, vcc, s[10:11]
	v_cndmask_b32_e32 v69, v69, v102, vcc
	v_add_f32_e32 v69, v68, v69
.LBB444_240:
	s_or_b64 exec, exec, s[6:7]
	v_bfe_u32 v68, v69, 16, 1
	v_add3_u32 v68, v69, v68, s9
	v_lshrrev_b32_e32 v68, 16, v68
	v_cmp_o_f32_e32 vcc, v69, v69
	v_cndmask_b32_e32 v67, v67, v68, vcc
	v_lshlrev_b32_e32 v70, 16, v67
	v_max_f32_e32 v68, v70, v70
	v_min_f32_e32 v69, v68, v130
	v_cmp_u_f32_e32 vcc, v70, v70
	v_max_f32_e32 v68, v68, v130
	v_cndmask_b32_e32 v69, v69, v70, vcc
	v_cndmask_b32_e32 v68, v68, v70, vcc
	v_cndmask_b32_e64 v69, v69, v116, s[46:47]
	v_cndmask_b32_e64 v68, v68, v116, s[46:47]
	s_movk_i32 s8, 0x1f8
	v_cmp_neq_f32_e32 vcc, v69, v68
	v_cmp_class_f32_e64 s[6:7], v69, s8
	s_or_b64 s[10:11], vcc, s[6:7]
	s_and_saveexec_b64 s[6:7], s[10:11]
	s_cbranch_execz .LBB444_242
; %bb.241:
	v_sub_f32_e32 v69, v69, v68
	s_mov_b32 s9, 0x3fb8aa3b
	v_mul_f32_e32 v70, 0x3fb8aa3b, v69
	v_fma_f32 v71, v69, s9, -v70
	v_rndne_f32_e32 v80, v70
	v_fmac_f32_e32 v71, 0x32a5705f, v69
	v_sub_f32_e32 v70, v70, v80
	v_add_f32_e32 v70, v70, v71
	v_exp_f32_e32 v70, v70
	v_cvt_i32_f32_e32 v71, v80
	s_mov_b32 s9, 0xc2ce8ed0
	v_cmp_ngt_f32_e32 vcc, s9, v69
	s_mov_b32 s9, 0x42b17218
	v_ldexp_f32 v70, v70, v71
	v_cndmask_b32_e32 v70, 0, v70, vcc
	v_mov_b32_e32 v71, 0x7f800000
	v_cmp_nlt_f32_e32 vcc, s9, v69
	v_cndmask_b32_e32 v102, v71, v70, vcc
	v_add_f32_e32 v69, 1.0, v102
	v_add_f32_e32 v70, -1.0, v69
	v_sub_f32_e32 v71, v70, v69
	v_add_f32_e32 v71, 1.0, v71
	v_sub_f32_e32 v70, v102, v70
	v_add_f32_e32 v80, v70, v71
	v_frexp_mant_f32_e32 v81, v69
	s_mov_b32 s9, 0x3f2aaaab
	v_cvt_f64_f32_e32 v[70:71], v69
	v_frexp_exp_i32_f64_e32 v70, v[70:71]
	v_cmp_gt_f32_e32 vcc, s9, v81
	v_subbrev_co_u32_e32 v86, vcc, 0, v70, vcc
	v_sub_u32_e32 v70, 0, v86
	v_ldexp_f32 v69, v69, v70
	v_ldexp_f32 v70, v80, v70
	v_add_f32_e32 v80, -1.0, v69
	v_add_f32_e32 v71, 1.0, v80
	v_sub_f32_e32 v71, v69, v71
	v_add_f32_e32 v81, v70, v71
	v_add_f32_e32 v71, 1.0, v69
	v_add_f32_e32 v82, -1.0, v71
	v_sub_f32_e32 v69, v69, v82
	v_add_f32_e32 v69, v70, v69
	v_add_f32_e32 v87, v71, v69
	v_rcp_f32_e32 v96, v87
	v_sub_f32_e32 v70, v71, v87
	v_add_f32_e32 v71, v80, v81
	v_add_f32_e32 v69, v69, v70
	v_mul_f32_e32 v98, v71, v96
	v_sub_f32_e32 v70, v80, v71
	v_mul_f32_e32 v80, v87, v98
	v_fma_f32 v82, v98, v87, -v80
	v_fmac_f32_e32 v82, v98, v69
	v_add_f32_e32 v97, v81, v70
	v_add_f32_e32 v70, v80, v82
	v_sub_f32_e32 v81, v71, v70
	v_pk_add_f32 v[84:85], v[70:71], v[80:81] neg_lo:[0,1] neg_hi:[0,1]
	v_mov_b32_e32 v83, v70
	v_pk_add_f32 v[70:71], v[84:85], v[82:83] neg_lo:[0,1] neg_hi:[0,1]
	v_add_f32_e32 v71, v97, v71
	v_add_f32_e32 v70, v70, v71
	;; [unrolled: 1-line block ×3, first 2 shown]
	v_mul_f32_e32 v97, v96, v71
	v_mul_f32_e32 v80, v87, v97
	v_fma_f32 v82, v97, v87, -v80
	v_fmac_f32_e32 v82, v97, v69
	v_sub_f32_e32 v69, v81, v71
	v_add_f32_e32 v69, v70, v69
	v_add_f32_e32 v70, v80, v82
	v_sub_f32_e32 v81, v71, v70
	v_pk_add_f32 v[84:85], v[70:71], v[80:81] neg_lo:[0,1] neg_hi:[0,1]
	v_mov_b32_e32 v83, v70
	v_pk_add_f32 v[70:71], v[84:85], v[82:83] neg_lo:[0,1] neg_hi:[0,1]
	v_add_f32_e32 v69, v69, v71
	v_add_f32_e32 v69, v70, v69
	;; [unrolled: 1-line block ×4, first 2 shown]
	v_sub_f32_e32 v71, v70, v98
	v_mul_f32_e32 v69, v96, v69
	v_sub_f32_e32 v71, v97, v71
	v_add_f32_e32 v69, v71, v69
	v_add_f32_e32 v81, v70, v69
	v_mul_f32_e32 v82, v81, v81
	v_mov_b32_e32 v80, 0x3ecc95a3
	v_fmac_f32_e32 v80, 0x3e9b6dac, v82
	v_mov_b32_e32 v71, 0x3f2aaada
	v_fmac_f32_e32 v71, v82, v80
	v_cvt_f32_i32_e32 v80, v86
	v_sub_f32_e32 v70, v81, v70
	v_sub_f32_e32 v69, v69, v70
	v_ldexp_f32 v83, v81, 1
	v_mul_f32_e32 v81, v81, v82
	v_mov_b32_e32 v70, 0x3f317218
	s_mov_b32 s9, 0x3f317218
	v_pk_mul_f32 v[70:71], v[80:81], v[70:71]
	v_fma_f32 v82, v80, s9, -v70
	v_fmac_f32_e32 v82, 0xb102e308, v80
	v_pk_add_f32 v[80:81], v[70:71], v[82:83]
	v_sub_f32_e32 v83, v81, v83
	v_ldexp_f32 v69, v69, 1
	v_sub_f32_e32 v83, v71, v83
	v_add_f32_e32 v85, v69, v83
	v_mov_b32_e32 v84, v70
	v_pk_add_f32 v[70:71], v[80:81], v[70:71] neg_lo:[0,1] neg_hi:[0,1]
	v_pk_add_f32 v[86:87], v[80:81], v[84:85]
	v_mov_b32_e32 v71, v87
	v_mov_b32_e32 v83, v80
	v_pk_add_f32 v[96:97], v[82:83], v[70:71] neg_lo:[0,1] neg_hi:[0,1]
	v_pk_add_f32 v[70:71], v[82:83], v[70:71]
	v_mov_b32_e32 v82, v71
	v_pk_add_f32 v[98:99], v[82:83], v[80:81] neg_lo:[0,1] neg_hi:[0,1]
	v_mov_b32_e32 v69, v98
	v_pk_add_f32 v[100:101], v[86:87], v[68:69] neg_lo:[0,1] neg_hi:[0,1]
	v_mov_b32_e32 v70, v87
	v_mov_b32_e32 v86, v81
	;; [unrolled: 1-line block ×4, first 2 shown]
	v_pk_add_f32 v[70:71], v[70:71], v[86:87] neg_lo:[0,1] neg_hi:[0,1]
	v_mov_b32_e32 v84, v85
	v_mov_b32_e32 v85, v80
	v_pk_add_f32 v[70:71], v[84:85], v[70:71] neg_lo:[0,1] neg_hi:[0,1]
	v_mov_b32_e32 v100, v96
	v_pk_add_f32 v[80:81], v[100:101], v[70:71]
	v_mov_b32_e32 v84, v81
	v_pk_add_f32 v[84:85], v[80:81], v[84:85]
	v_pk_add_f32 v[82:83], v[82:83], v[84:85]
	v_mov_b32_e32 v81, v82
	v_pk_add_f32 v[86:87], v[80:81], v[96:97] neg_lo:[0,1] neg_hi:[0,1]
	v_mov_b32_e32 v71, v84
	v_sub_f32_e32 v69, v80, v86
	v_pk_add_f32 v[70:71], v[70:71], v[86:87] neg_lo:[0,1] neg_hi:[0,1]
	v_sub_f32_e32 v69, v96, v69
	s_mov_b32 s10, 0x7f800000
	v_add_f32_e32 v69, v70, v69
	s_mov_b32 s9, 0x33800000
	v_add_f32_e32 v69, v69, v71
	v_cmp_eq_f32_e32 vcc, s10, v102
	v_cmp_lt_f32_e64 s[10:11], |v102|, s9
	v_add_f32_e32 v69, v82, v69
	s_or_b64 vcc, vcc, s[10:11]
	v_cndmask_b32_e32 v69, v69, v102, vcc
	v_add_f32_e32 v70, v68, v69
.LBB444_242:
	s_or_b64 exec, exec, s[6:7]
	v_bfe_u32 v68, v70, 16, 1
	s_movk_i32 s9, 0x7fff
	v_add3_u32 v68, v70, v68, s9
	v_lshrrev_b32_e32 v68, 16, v68
	v_mov_b32_e32 v69, 0x7fc0
	v_cmp_o_f32_e32 vcc, v70, v70
	v_cndmask_b32_e32 v68, v69, v68, vcc
	v_lshlrev_b32_e32 v71, 16, v68
	v_max_f32_e32 v70, v71, v71
	v_min_f32_e32 v80, v70, v131
	v_cmp_u_f32_e32 vcc, v71, v71
	v_max_f32_e32 v70, v70, v131
	v_cndmask_b32_e32 v80, v80, v71, vcc
	v_cndmask_b32_e32 v70, v70, v71, vcc
	v_cndmask_b32_e64 v80, v80, v117, s[48:49]
	v_cndmask_b32_e64 v70, v70, v117, s[48:49]
	v_cmp_neq_f32_e32 vcc, v80, v70
	v_cmp_class_f32_e64 s[6:7], v80, s8
	s_or_b64 s[10:11], vcc, s[6:7]
	s_and_saveexec_b64 s[6:7], s[10:11]
	s_cbranch_execz .LBB444_244
; %bb.243:
	v_sub_f32_e32 v71, v80, v70
	s_mov_b32 s8, 0x3fb8aa3b
	v_mul_f32_e32 v80, 0x3fb8aa3b, v71
	v_fma_f32 v81, v71, s8, -v80
	v_rndne_f32_e32 v82, v80
	v_fmac_f32_e32 v81, 0x32a5705f, v71
	v_sub_f32_e32 v80, v80, v82
	v_add_f32_e32 v80, v80, v81
	v_exp_f32_e32 v80, v80
	v_cvt_i32_f32_e32 v81, v82
	s_mov_b32 s8, 0xc2ce8ed0
	v_cmp_ngt_f32_e32 vcc, s8, v71
	s_mov_b32 s8, 0x42b17218
	v_ldexp_f32 v80, v80, v81
	v_cndmask_b32_e32 v80, 0, v80, vcc
	v_mov_b32_e32 v81, 0x7f800000
	v_cmp_nlt_f32_e32 vcc, s8, v71
	v_cndmask_b32_e32 v112, v81, v80, vcc
	v_add_f32_e32 v71, 1.0, v112
	v_add_f32_e32 v80, -1.0, v71
	v_sub_f32_e32 v81, v80, v71
	v_add_f32_e32 v81, 1.0, v81
	v_sub_f32_e32 v80, v112, v80
	v_add_f32_e32 v82, v80, v81
	v_frexp_mant_f32_e32 v83, v71
	s_mov_b32 s8, 0x3f2aaaab
	v_cvt_f64_f32_e32 v[80:81], v71
	v_frexp_exp_i32_f64_e32 v80, v[80:81]
	v_cmp_gt_f32_e32 vcc, s8, v83
	v_subbrev_co_u32_e32 v96, vcc, 0, v80, vcc
	v_sub_u32_e32 v80, 0, v96
	v_ldexp_f32 v71, v71, v80
	v_ldexp_f32 v80, v82, v80
	v_add_f32_e32 v82, -1.0, v71
	v_add_f32_e32 v81, 1.0, v82
	v_sub_f32_e32 v81, v71, v81
	v_add_f32_e32 v83, v80, v81
	v_add_f32_e32 v81, 1.0, v71
	v_add_f32_e32 v84, -1.0, v81
	v_sub_f32_e32 v71, v71, v84
	v_add_f32_e32 v71, v80, v71
	v_add_f32_e32 v97, v81, v71
	v_rcp_f32_e32 v98, v97
	v_sub_f32_e32 v80, v81, v97
	v_add_f32_e32 v81, v82, v83
	v_add_f32_e32 v71, v71, v80
	v_mul_f32_e32 v100, v81, v98
	v_sub_f32_e32 v80, v82, v81
	v_mul_f32_e32 v82, v97, v100
	v_fma_f32 v84, v100, v97, -v82
	v_fmac_f32_e32 v84, v100, v71
	v_add_f32_e32 v99, v83, v80
	v_add_f32_e32 v80, v82, v84
	v_sub_f32_e32 v83, v81, v80
	v_pk_add_f32 v[86:87], v[80:81], v[82:83] neg_lo:[0,1] neg_hi:[0,1]
	v_mov_b32_e32 v85, v80
	v_pk_add_f32 v[80:81], v[86:87], v[84:85] neg_lo:[0,1] neg_hi:[0,1]
	v_add_f32_e32 v81, v99, v81
	v_add_f32_e32 v80, v80, v81
	;; [unrolled: 1-line block ×3, first 2 shown]
	v_mul_f32_e32 v99, v98, v81
	v_mul_f32_e32 v82, v97, v99
	v_fma_f32 v84, v99, v97, -v82
	v_fmac_f32_e32 v84, v99, v71
	v_sub_f32_e32 v71, v83, v81
	v_add_f32_e32 v71, v80, v71
	v_add_f32_e32 v80, v82, v84
	v_sub_f32_e32 v83, v81, v80
	v_pk_add_f32 v[86:87], v[80:81], v[82:83] neg_lo:[0,1] neg_hi:[0,1]
	v_mov_b32_e32 v85, v80
	v_pk_add_f32 v[80:81], v[86:87], v[84:85] neg_lo:[0,1] neg_hi:[0,1]
	v_add_f32_e32 v71, v71, v81
	v_add_f32_e32 v71, v80, v71
	;; [unrolled: 1-line block ×4, first 2 shown]
	v_sub_f32_e32 v81, v80, v100
	v_mul_f32_e32 v71, v98, v71
	v_sub_f32_e32 v81, v99, v81
	v_add_f32_e32 v71, v81, v71
	v_add_f32_e32 v83, v80, v71
	v_mul_f32_e32 v84, v83, v83
	v_mov_b32_e32 v82, 0x3ecc95a3
	v_fmac_f32_e32 v82, 0x3e9b6dac, v84
	v_mov_b32_e32 v81, 0x3f2aaada
	v_fmac_f32_e32 v81, v84, v82
	v_cvt_f32_i32_e32 v82, v96
	v_sub_f32_e32 v80, v83, v80
	v_sub_f32_e32 v71, v71, v80
	v_ldexp_f32 v85, v83, 1
	v_mul_f32_e32 v83, v83, v84
	v_mov_b32_e32 v80, 0x3f317218
	s_mov_b32 s8, 0x3f317218
	v_pk_mul_f32 v[80:81], v[82:83], v[80:81]
	v_fma_f32 v84, v82, s8, -v80
	v_fmac_f32_e32 v84, 0xb102e308, v82
	v_pk_add_f32 v[82:83], v[80:81], v[84:85]
	v_sub_f32_e32 v85, v83, v85
	v_ldexp_f32 v71, v71, 1
	v_sub_f32_e32 v85, v81, v85
	v_add_f32_e32 v87, v71, v85
	v_mov_b32_e32 v86, v80
	v_pk_add_f32 v[80:81], v[82:83], v[80:81] neg_lo:[0,1] neg_hi:[0,1]
	v_pk_add_f32 v[96:97], v[82:83], v[86:87]
	v_mov_b32_e32 v81, v97
	v_mov_b32_e32 v85, v82
	v_pk_add_f32 v[98:99], v[84:85], v[80:81] neg_lo:[0,1] neg_hi:[0,1]
	v_pk_add_f32 v[80:81], v[84:85], v[80:81]
	v_mov_b32_e32 v84, v81
	v_pk_add_f32 v[100:101], v[84:85], v[82:83] neg_lo:[0,1] neg_hi:[0,1]
	v_mov_b32_e32 v71, v100
	v_pk_add_f32 v[102:103], v[96:97], v[70:71] neg_lo:[0,1] neg_hi:[0,1]
	v_mov_b32_e32 v80, v97
	v_mov_b32_e32 v96, v83
	;; [unrolled: 1-line block ×4, first 2 shown]
	v_pk_add_f32 v[80:81], v[80:81], v[96:97] neg_lo:[0,1] neg_hi:[0,1]
	v_mov_b32_e32 v86, v87
	v_mov_b32_e32 v87, v82
	v_pk_add_f32 v[80:81], v[86:87], v[80:81] neg_lo:[0,1] neg_hi:[0,1]
	v_mov_b32_e32 v102, v98
	v_pk_add_f32 v[82:83], v[102:103], v[80:81]
	v_mov_b32_e32 v86, v83
	v_pk_add_f32 v[86:87], v[82:83], v[86:87]
	v_pk_add_f32 v[84:85], v[84:85], v[86:87]
	v_mov_b32_e32 v83, v84
	v_pk_add_f32 v[96:97], v[82:83], v[98:99] neg_lo:[0,1] neg_hi:[0,1]
	v_mov_b32_e32 v81, v86
	v_sub_f32_e32 v71, v82, v96
	v_pk_add_f32 v[80:81], v[80:81], v[96:97] neg_lo:[0,1] neg_hi:[0,1]
	v_sub_f32_e32 v71, v98, v71
	s_mov_b32 s10, 0x7f800000
	v_add_f32_e32 v71, v80, v71
	s_mov_b32 s8, 0x33800000
	v_add_f32_e32 v71, v71, v81
	v_cmp_eq_f32_e32 vcc, s10, v112
	v_cmp_lt_f32_e64 s[10:11], |v112|, s8
	v_add_f32_e32 v71, v84, v71
	s_or_b64 vcc, vcc, s[10:11]
	v_cndmask_b32_e32 v71, v71, v112, vcc
	v_add_f32_e32 v71, v70, v71
.LBB444_244:
	s_or_b64 exec, exec, s[6:7]
	v_bfe_u32 v70, v71, 16, 1
	v_add3_u32 v70, v71, v70, s9
	v_lshrrev_b32_e32 v70, 16, v70
	v_cmp_o_f32_e32 vcc, v71, v71
	v_cndmask_b32_e32 v69, v69, v70, vcc
	v_lshlrev_b32_e32 v80, 16, v69
	v_max_f32_e32 v70, v80, v80
	v_min_f32_e32 v71, v70, v132
	v_cmp_u_f32_e32 vcc, v80, v80
	v_max_f32_e32 v70, v70, v132
	v_cndmask_b32_e32 v71, v71, v80, vcc
	v_cndmask_b32_e32 v70, v70, v80, vcc
	v_cndmask_b32_e64 v71, v71, v128, s[50:51]
	v_cndmask_b32_e64 v70, v70, v128, s[50:51]
	s_movk_i32 s8, 0x1f8
	v_cmp_neq_f32_e32 vcc, v71, v70
	v_cmp_class_f32_e64 s[6:7], v71, s8
	s_or_b64 s[10:11], vcc, s[6:7]
	s_and_saveexec_b64 s[6:7], s[10:11]
	s_cbranch_execz .LBB444_246
; %bb.245:
	v_sub_f32_e32 v71, v71, v70
	s_mov_b32 s9, 0x3fb8aa3b
	v_mul_f32_e32 v80, 0x3fb8aa3b, v71
	v_fma_f32 v81, v71, s9, -v80
	v_rndne_f32_e32 v82, v80
	v_fmac_f32_e32 v81, 0x32a5705f, v71
	v_sub_f32_e32 v80, v80, v82
	v_add_f32_e32 v80, v80, v81
	v_exp_f32_e32 v80, v80
	v_cvt_i32_f32_e32 v81, v82
	s_mov_b32 s9, 0xc2ce8ed0
	v_cmp_ngt_f32_e32 vcc, s9, v71
	s_mov_b32 s9, 0x42b17218
	v_ldexp_f32 v80, v80, v81
	v_cndmask_b32_e32 v80, 0, v80, vcc
	v_mov_b32_e32 v81, 0x7f800000
	v_cmp_nlt_f32_e32 vcc, s9, v71
	v_cndmask_b32_e32 v112, v81, v80, vcc
	v_add_f32_e32 v71, 1.0, v112
	v_add_f32_e32 v80, -1.0, v71
	v_sub_f32_e32 v81, v80, v71
	v_add_f32_e32 v81, 1.0, v81
	v_sub_f32_e32 v80, v112, v80
	v_add_f32_e32 v82, v80, v81
	v_frexp_mant_f32_e32 v83, v71
	s_mov_b32 s9, 0x3f2aaaab
	v_cvt_f64_f32_e32 v[80:81], v71
	v_frexp_exp_i32_f64_e32 v80, v[80:81]
	v_cmp_gt_f32_e32 vcc, s9, v83
	v_subbrev_co_u32_e32 v96, vcc, 0, v80, vcc
	v_sub_u32_e32 v80, 0, v96
	v_ldexp_f32 v71, v71, v80
	v_ldexp_f32 v80, v82, v80
	v_add_f32_e32 v82, -1.0, v71
	v_add_f32_e32 v81, 1.0, v82
	v_sub_f32_e32 v81, v71, v81
	v_add_f32_e32 v83, v80, v81
	v_add_f32_e32 v81, 1.0, v71
	v_add_f32_e32 v84, -1.0, v81
	v_sub_f32_e32 v71, v71, v84
	v_add_f32_e32 v71, v80, v71
	v_add_f32_e32 v97, v81, v71
	v_rcp_f32_e32 v98, v97
	v_sub_f32_e32 v80, v81, v97
	v_add_f32_e32 v81, v82, v83
	v_add_f32_e32 v71, v71, v80
	v_mul_f32_e32 v100, v81, v98
	v_sub_f32_e32 v80, v82, v81
	v_mul_f32_e32 v82, v97, v100
	v_fma_f32 v84, v100, v97, -v82
	v_fmac_f32_e32 v84, v100, v71
	v_add_f32_e32 v99, v83, v80
	v_add_f32_e32 v80, v82, v84
	v_sub_f32_e32 v83, v81, v80
	v_pk_add_f32 v[86:87], v[80:81], v[82:83] neg_lo:[0,1] neg_hi:[0,1]
	v_mov_b32_e32 v85, v80
	v_pk_add_f32 v[80:81], v[86:87], v[84:85] neg_lo:[0,1] neg_hi:[0,1]
	v_add_f32_e32 v81, v99, v81
	v_add_f32_e32 v80, v80, v81
	;; [unrolled: 1-line block ×3, first 2 shown]
	v_mul_f32_e32 v99, v98, v81
	v_mul_f32_e32 v82, v97, v99
	v_fma_f32 v84, v99, v97, -v82
	v_fmac_f32_e32 v84, v99, v71
	v_sub_f32_e32 v71, v83, v81
	v_add_f32_e32 v71, v80, v71
	v_add_f32_e32 v80, v82, v84
	v_sub_f32_e32 v83, v81, v80
	v_pk_add_f32 v[86:87], v[80:81], v[82:83] neg_lo:[0,1] neg_hi:[0,1]
	v_mov_b32_e32 v85, v80
	v_pk_add_f32 v[80:81], v[86:87], v[84:85] neg_lo:[0,1] neg_hi:[0,1]
	v_add_f32_e32 v71, v71, v81
	v_add_f32_e32 v71, v80, v71
	;; [unrolled: 1-line block ×4, first 2 shown]
	v_sub_f32_e32 v81, v80, v100
	v_mul_f32_e32 v71, v98, v71
	v_sub_f32_e32 v81, v99, v81
	v_add_f32_e32 v71, v81, v71
	v_add_f32_e32 v83, v80, v71
	v_mul_f32_e32 v84, v83, v83
	v_mov_b32_e32 v82, 0x3ecc95a3
	v_fmac_f32_e32 v82, 0x3e9b6dac, v84
	v_mov_b32_e32 v81, 0x3f2aaada
	v_fmac_f32_e32 v81, v84, v82
	v_cvt_f32_i32_e32 v82, v96
	v_sub_f32_e32 v80, v83, v80
	v_sub_f32_e32 v71, v71, v80
	v_ldexp_f32 v85, v83, 1
	v_mul_f32_e32 v83, v83, v84
	v_mov_b32_e32 v80, 0x3f317218
	s_mov_b32 s9, 0x3f317218
	v_pk_mul_f32 v[80:81], v[82:83], v[80:81]
	v_fma_f32 v84, v82, s9, -v80
	v_fmac_f32_e32 v84, 0xb102e308, v82
	v_pk_add_f32 v[82:83], v[80:81], v[84:85]
	v_sub_f32_e32 v85, v83, v85
	v_ldexp_f32 v71, v71, 1
	v_sub_f32_e32 v85, v81, v85
	v_add_f32_e32 v87, v71, v85
	v_mov_b32_e32 v86, v80
	v_pk_add_f32 v[80:81], v[82:83], v[80:81] neg_lo:[0,1] neg_hi:[0,1]
	v_pk_add_f32 v[96:97], v[82:83], v[86:87]
	v_mov_b32_e32 v81, v97
	v_mov_b32_e32 v85, v82
	v_pk_add_f32 v[98:99], v[84:85], v[80:81] neg_lo:[0,1] neg_hi:[0,1]
	v_pk_add_f32 v[80:81], v[84:85], v[80:81]
	v_mov_b32_e32 v84, v81
	v_pk_add_f32 v[100:101], v[84:85], v[82:83] neg_lo:[0,1] neg_hi:[0,1]
	v_mov_b32_e32 v71, v100
	v_pk_add_f32 v[102:103], v[96:97], v[70:71] neg_lo:[0,1] neg_hi:[0,1]
	v_mov_b32_e32 v80, v97
	v_mov_b32_e32 v96, v83
	;; [unrolled: 1-line block ×4, first 2 shown]
	v_pk_add_f32 v[80:81], v[80:81], v[96:97] neg_lo:[0,1] neg_hi:[0,1]
	v_mov_b32_e32 v86, v87
	v_mov_b32_e32 v87, v82
	v_pk_add_f32 v[80:81], v[86:87], v[80:81] neg_lo:[0,1] neg_hi:[0,1]
	v_mov_b32_e32 v102, v98
	v_pk_add_f32 v[82:83], v[102:103], v[80:81]
	v_mov_b32_e32 v86, v83
	v_pk_add_f32 v[86:87], v[82:83], v[86:87]
	v_pk_add_f32 v[84:85], v[84:85], v[86:87]
	v_mov_b32_e32 v83, v84
	v_pk_add_f32 v[96:97], v[82:83], v[98:99] neg_lo:[0,1] neg_hi:[0,1]
	v_mov_b32_e32 v81, v86
	v_sub_f32_e32 v71, v82, v96
	v_pk_add_f32 v[80:81], v[80:81], v[96:97] neg_lo:[0,1] neg_hi:[0,1]
	v_sub_f32_e32 v71, v98, v71
	s_mov_b32 s10, 0x7f800000
	v_add_f32_e32 v71, v80, v71
	s_mov_b32 s9, 0x33800000
	v_add_f32_e32 v71, v71, v81
	v_cmp_eq_f32_e32 vcc, s10, v112
	v_cmp_lt_f32_e64 s[10:11], |v112|, s9
	v_add_f32_e32 v71, v84, v71
	s_or_b64 vcc, vcc, s[10:11]
	v_cndmask_b32_e32 v71, v71, v112, vcc
	v_add_f32_e32 v80, v70, v71
.LBB444_246:
	s_or_b64 exec, exec, s[6:7]
	v_bfe_u32 v70, v80, 16, 1
	s_movk_i32 s9, 0x7fff
	v_add3_u32 v70, v80, v70, s9
	v_lshrrev_b32_e32 v70, 16, v70
	v_mov_b32_e32 v71, 0x7fc0
	v_cmp_o_f32_e32 vcc, v80, v80
	v_cndmask_b32_e32 v70, v71, v70, vcc
	v_lshlrev_b32_e32 v81, 16, v70
	v_max_f32_e32 v80, v81, v81
	v_min_f32_e32 v82, v80, v133
	v_cmp_u_f32_e32 vcc, v81, v81
	v_max_f32_e32 v80, v80, v133
	v_cndmask_b32_e32 v82, v82, v81, vcc
	v_cndmask_b32_e32 v80, v80, v81, vcc
	v_cndmask_b32_e64 v82, v82, v129, s[52:53]
	v_cndmask_b32_e64 v80, v80, v129, s[52:53]
	v_cmp_neq_f32_e32 vcc, v82, v80
	v_cmp_class_f32_e64 s[6:7], v82, s8
	s_or_b64 s[10:11], vcc, s[6:7]
	s_and_saveexec_b64 s[6:7], s[10:11]
	s_cbranch_execz .LBB444_248
; %bb.247:
	v_sub_f32_e32 v81, v82, v80
	s_mov_b32 s8, 0x3fb8aa3b
	v_mul_f32_e32 v82, 0x3fb8aa3b, v81
	v_fma_f32 v83, v81, s8, -v82
	v_rndne_f32_e32 v84, v82
	v_fmac_f32_e32 v83, 0x32a5705f, v81
	v_sub_f32_e32 v82, v82, v84
	v_add_f32_e32 v82, v82, v83
	v_exp_f32_e32 v82, v82
	v_cvt_i32_f32_e32 v83, v84
	s_mov_b32 s8, 0xc2ce8ed0
	v_cmp_ngt_f32_e32 vcc, s8, v81
	s_mov_b32 s8, 0x42b17218
	v_ldexp_f32 v82, v82, v83
	v_cndmask_b32_e32 v82, 0, v82, vcc
	v_mov_b32_e32 v83, 0x7f800000
	v_cmp_nlt_f32_e32 vcc, s8, v81
	v_cndmask_b32_e32 v114, v83, v82, vcc
	v_add_f32_e32 v81, 1.0, v114
	v_add_f32_e32 v82, -1.0, v81
	v_sub_f32_e32 v83, v82, v81
	v_add_f32_e32 v83, 1.0, v83
	v_sub_f32_e32 v82, v114, v82
	v_add_f32_e32 v84, v82, v83
	v_frexp_mant_f32_e32 v85, v81
	s_mov_b32 s8, 0x3f2aaaab
	v_cvt_f64_f32_e32 v[82:83], v81
	v_frexp_exp_i32_f64_e32 v82, v[82:83]
	v_cmp_gt_f32_e32 vcc, s8, v85
	v_subbrev_co_u32_e32 v98, vcc, 0, v82, vcc
	v_sub_u32_e32 v82, 0, v98
	v_ldexp_f32 v81, v81, v82
	v_ldexp_f32 v82, v84, v82
	v_add_f32_e32 v84, -1.0, v81
	v_add_f32_e32 v83, 1.0, v84
	v_sub_f32_e32 v83, v81, v83
	v_add_f32_e32 v85, v82, v83
	v_add_f32_e32 v83, 1.0, v81
	v_add_f32_e32 v86, -1.0, v83
	v_sub_f32_e32 v81, v81, v86
	v_add_f32_e32 v81, v82, v81
	v_add_f32_e32 v99, v83, v81
	v_rcp_f32_e32 v100, v99
	v_sub_f32_e32 v82, v83, v99
	v_add_f32_e32 v83, v84, v85
	v_add_f32_e32 v81, v81, v82
	v_mul_f32_e32 v102, v83, v100
	v_sub_f32_e32 v82, v84, v83
	v_mul_f32_e32 v84, v99, v102
	v_fma_f32 v86, v102, v99, -v84
	v_fmac_f32_e32 v86, v102, v81
	v_add_f32_e32 v101, v85, v82
	v_add_f32_e32 v82, v84, v86
	v_sub_f32_e32 v85, v83, v82
	v_pk_add_f32 v[96:97], v[82:83], v[84:85] neg_lo:[0,1] neg_hi:[0,1]
	v_mov_b32_e32 v87, v82
	v_pk_add_f32 v[82:83], v[96:97], v[86:87] neg_lo:[0,1] neg_hi:[0,1]
	v_add_f32_e32 v83, v101, v83
	v_add_f32_e32 v82, v82, v83
	;; [unrolled: 1-line block ×3, first 2 shown]
	v_mul_f32_e32 v101, v100, v83
	v_mul_f32_e32 v84, v99, v101
	v_fma_f32 v86, v101, v99, -v84
	v_fmac_f32_e32 v86, v101, v81
	v_sub_f32_e32 v81, v85, v83
	v_add_f32_e32 v81, v82, v81
	v_add_f32_e32 v82, v84, v86
	v_sub_f32_e32 v85, v83, v82
	v_pk_add_f32 v[96:97], v[82:83], v[84:85] neg_lo:[0,1] neg_hi:[0,1]
	v_mov_b32_e32 v87, v82
	v_pk_add_f32 v[82:83], v[96:97], v[86:87] neg_lo:[0,1] neg_hi:[0,1]
	v_add_f32_e32 v81, v81, v83
	v_add_f32_e32 v81, v82, v81
	;; [unrolled: 1-line block ×4, first 2 shown]
	v_sub_f32_e32 v83, v82, v102
	v_mul_f32_e32 v81, v100, v81
	v_sub_f32_e32 v83, v101, v83
	v_add_f32_e32 v81, v83, v81
	v_add_f32_e32 v85, v82, v81
	v_mul_f32_e32 v86, v85, v85
	v_mov_b32_e32 v84, 0x3ecc95a3
	v_fmac_f32_e32 v84, 0x3e9b6dac, v86
	v_mov_b32_e32 v83, 0x3f2aaada
	v_fmac_f32_e32 v83, v86, v84
	v_cvt_f32_i32_e32 v84, v98
	v_sub_f32_e32 v82, v85, v82
	v_sub_f32_e32 v81, v81, v82
	v_ldexp_f32 v87, v85, 1
	v_mul_f32_e32 v85, v85, v86
	v_mov_b32_e32 v82, 0x3f317218
	s_mov_b32 s8, 0x3f317218
	v_pk_mul_f32 v[82:83], v[84:85], v[82:83]
	v_fma_f32 v86, v84, s8, -v82
	v_fmac_f32_e32 v86, 0xb102e308, v84
	v_pk_add_f32 v[84:85], v[82:83], v[86:87]
	v_sub_f32_e32 v87, v85, v87
	v_ldexp_f32 v81, v81, 1
	v_sub_f32_e32 v87, v83, v87
	v_add_f32_e32 v97, v81, v87
	v_mov_b32_e32 v96, v82
	v_pk_add_f32 v[82:83], v[84:85], v[82:83] neg_lo:[0,1] neg_hi:[0,1]
	v_pk_add_f32 v[98:99], v[84:85], v[96:97]
	v_mov_b32_e32 v83, v99
	v_mov_b32_e32 v87, v84
	v_pk_add_f32 v[100:101], v[86:87], v[82:83] neg_lo:[0,1] neg_hi:[0,1]
	v_pk_add_f32 v[82:83], v[86:87], v[82:83]
	v_mov_b32_e32 v86, v83
	v_pk_add_f32 v[102:103], v[86:87], v[84:85] neg_lo:[0,1] neg_hi:[0,1]
	v_mov_b32_e32 v81, v102
	v_pk_add_f32 v[112:113], v[98:99], v[80:81] neg_lo:[0,1] neg_hi:[0,1]
	v_mov_b32_e32 v82, v99
	v_mov_b32_e32 v98, v85
	;; [unrolled: 1-line block ×4, first 2 shown]
	v_pk_add_f32 v[82:83], v[82:83], v[98:99] neg_lo:[0,1] neg_hi:[0,1]
	v_mov_b32_e32 v96, v97
	v_mov_b32_e32 v97, v84
	v_pk_add_f32 v[82:83], v[96:97], v[82:83] neg_lo:[0,1] neg_hi:[0,1]
	v_mov_b32_e32 v112, v100
	v_pk_add_f32 v[84:85], v[112:113], v[82:83]
	v_mov_b32_e32 v96, v85
	v_pk_add_f32 v[96:97], v[84:85], v[96:97]
	v_pk_add_f32 v[86:87], v[86:87], v[96:97]
	v_mov_b32_e32 v85, v86
	v_pk_add_f32 v[98:99], v[84:85], v[100:101] neg_lo:[0,1] neg_hi:[0,1]
	v_mov_b32_e32 v83, v96
	v_sub_f32_e32 v81, v84, v98
	v_pk_add_f32 v[82:83], v[82:83], v[98:99] neg_lo:[0,1] neg_hi:[0,1]
	v_sub_f32_e32 v81, v100, v81
	s_mov_b32 s10, 0x7f800000
	v_add_f32_e32 v81, v82, v81
	s_mov_b32 s8, 0x33800000
	v_add_f32_e32 v81, v81, v83
	v_cmp_eq_f32_e32 vcc, s10, v114
	v_cmp_lt_f32_e64 s[10:11], |v114|, s8
	v_add_f32_e32 v81, v86, v81
	s_or_b64 vcc, vcc, s[10:11]
	v_cndmask_b32_e32 v81, v81, v114, vcc
	v_add_f32_e32 v81, v80, v81
.LBB444_248:
	s_or_b64 exec, exec, s[6:7]
	v_bfe_u32 v80, v81, 16, 1
	v_add3_u32 v80, v81, v80, s9
	v_lshrrev_b32_e32 v80, 16, v80
	v_cmp_o_f32_e32 vcc, v81, v81
	v_cndmask_b32_e32 v71, v71, v80, vcc
	s_branch .LBB444_379
.LBB444_249:
                                        ; implicit-def: $vgpr26
                                        ; implicit-def: $vgpr27
                                        ; implicit-def: $vgpr30
                                        ; implicit-def: $vgpr31
                                        ; implicit-def: $vgpr32
                                        ; implicit-def: $vgpr33
                                        ; implicit-def: $vgpr34
                                        ; implicit-def: $vgpr35
                                        ; implicit-def: $vgpr48
                                        ; implicit-def: $vgpr50
                                        ; implicit-def: $vgpr49
                                        ; implicit-def: $vgpr51
                                        ; implicit-def: $vgpr52
                                        ; implicit-def: $vgpr53
                                        ; implicit-def: $vgpr54
                                        ; implicit-def: $vgpr55
                                        ; implicit-def: $vgpr64
                                        ; implicit-def: $vgpr65
                                        ; implicit-def: $vgpr66
                                        ; implicit-def: $vgpr67
                                        ; implicit-def: $vgpr68
                                        ; implicit-def: $vgpr69
                                        ; implicit-def: $vgpr70
                                        ; implicit-def: $vgpr71
	s_cbranch_execz .LBB444_379
; %bb.250:
	v_cmp_ne_u64_e64 s[6:7], 0, v[6:7]
	v_cmp_eq_u32_e64 s[8:9], 0, v0
	v_cmp_ne_u32_e32 vcc, 0, v0
	s_and_b64 s[6:7], s[8:9], s[6:7]
	v_mov_b32_e32 v26, v20
	s_and_saveexec_b64 s[8:9], s[6:7]
	s_cbranch_execz .LBB444_254
; %bb.251:
	flat_load_ushort v2, v[2:3]
	v_lshlrev_b32_e32 v7, 16, v20
	v_max_f32_e32 v6, v7, v7
	s_movk_i32 s10, 0x1f8
	s_waitcnt vmcnt(0) lgkmcnt(0)
	v_lshlrev_b32_e32 v3, 16, v2
	v_max_f32_e32 v2, v3, v3
	v_min_f32_e32 v26, v2, v6
	v_max_f32_e32 v2, v2, v6
	v_cmp_u_f32_e64 s[6:7], v3, v3
	v_cndmask_b32_e64 v6, v26, v3, s[6:7]
	v_cndmask_b32_e64 v2, v2, v3, s[6:7]
	v_cmp_u_f32_e64 s[6:7], v7, v7
	v_cndmask_b32_e64 v6, v6, v7, s[6:7]
	v_cndmask_b32_e64 v2, v2, v7, s[6:7]
	v_cmp_neq_f32_e64 s[6:7], v6, v2
	v_cmp_class_f32_e64 s[10:11], v6, s10
	s_or_b64 s[6:7], s[6:7], s[10:11]
	s_and_saveexec_b64 s[10:11], s[6:7]
	s_cbranch_execz .LBB444_253
; %bb.252:
	v_sub_f32_e32 v3, v6, v2
	s_mov_b32 s6, 0x3fb8aa3b
	v_mul_f32_e32 v6, 0x3fb8aa3b, v3
	v_fma_f32 v7, v3, s6, -v6
	v_rndne_f32_e32 v26, v6
	v_fmac_f32_e32 v7, 0x32a5705f, v3
	v_sub_f32_e32 v6, v6, v26
	v_add_f32_e32 v6, v6, v7
	v_exp_f32_e32 v6, v6
	v_cvt_i32_f32_e32 v7, v26
	s_mov_b32 s6, 0xc2ce8ed0
	v_cmp_ngt_f32_e64 s[6:7], s6, v3
	s_mov_b32 s12, 0x7f800000
	v_ldexp_f32 v6, v6, v7
	v_cndmask_b32_e64 v6, 0, v6, s[6:7]
	s_mov_b32 s6, 0x42b17218
	v_mov_b32_e32 v7, 0x7f800000
	v_cmp_nlt_f32_e64 s[6:7], s6, v3
	v_cndmask_b32_e64 v54, v7, v6, s[6:7]
	v_add_f32_e32 v3, 1.0, v54
	v_add_f32_e32 v6, -1.0, v3
	v_sub_f32_e32 v7, v6, v3
	v_add_f32_e32 v7, 1.0, v7
	v_sub_f32_e32 v6, v54, v6
	v_add_f32_e32 v26, v6, v7
	v_frexp_mant_f32_e32 v27, v3
	s_mov_b32 s6, 0x3f2aaaab
	v_cvt_f64_f32_e32 v[6:7], v3
	v_frexp_exp_i32_f64_e32 v6, v[6:7]
	v_cmp_gt_f32_e64 s[6:7], s6, v27
	v_subbrev_co_u32_e64 v34, s[6:7], 0, v6, s[6:7]
	v_sub_u32_e32 v6, 0, v34
	v_ldexp_f32 v3, v3, v6
	v_ldexp_f32 v6, v26, v6
	v_add_f32_e32 v26, -1.0, v3
	v_add_f32_e32 v7, 1.0, v26
	v_sub_f32_e32 v7, v3, v7
	v_add_f32_e32 v27, v6, v7
	v_add_f32_e32 v7, 1.0, v3
	v_add_f32_e32 v30, -1.0, v7
	v_sub_f32_e32 v3, v3, v30
	v_add_f32_e32 v3, v6, v3
	v_add_f32_e32 v35, v7, v3
	v_rcp_f32_e32 v48, v35
	v_sub_f32_e32 v6, v7, v35
	v_add_f32_e32 v7, v26, v27
	v_add_f32_e32 v3, v3, v6
	v_mul_f32_e32 v50, v7, v48
	v_sub_f32_e32 v6, v26, v7
	v_mul_f32_e32 v26, v35, v50
	v_fma_f32 v30, v50, v35, -v26
	v_fmac_f32_e32 v30, v50, v3
	v_add_f32_e32 v49, v27, v6
	v_add_f32_e32 v6, v26, v30
	v_sub_f32_e32 v27, v7, v6
	v_pk_add_f32 v[32:33], v[6:7], v[26:27] neg_lo:[0,1] neg_hi:[0,1]
	v_mov_b32_e32 v31, v6
	v_pk_add_f32 v[6:7], v[32:33], v[30:31] neg_lo:[0,1] neg_hi:[0,1]
	v_add_f32_e32 v7, v49, v7
	v_add_f32_e32 v6, v6, v7
	;; [unrolled: 1-line block ×3, first 2 shown]
	v_mul_f32_e32 v49, v48, v7
	v_mul_f32_e32 v26, v35, v49
	v_fma_f32 v30, v49, v35, -v26
	v_fmac_f32_e32 v30, v49, v3
	v_sub_f32_e32 v3, v27, v7
	v_add_f32_e32 v3, v6, v3
	v_add_f32_e32 v6, v26, v30
	v_sub_f32_e32 v27, v7, v6
	v_pk_add_f32 v[32:33], v[6:7], v[26:27] neg_lo:[0,1] neg_hi:[0,1]
	v_mov_b32_e32 v31, v6
	v_pk_add_f32 v[6:7], v[32:33], v[30:31] neg_lo:[0,1] neg_hi:[0,1]
	v_add_f32_e32 v3, v3, v7
	v_add_f32_e32 v3, v6, v3
	;; [unrolled: 1-line block ×4, first 2 shown]
	v_sub_f32_e32 v7, v6, v50
	v_mul_f32_e32 v3, v48, v3
	v_sub_f32_e32 v7, v49, v7
	v_add_f32_e32 v3, v7, v3
	v_add_f32_e32 v27, v6, v3
	v_mul_f32_e32 v30, v27, v27
	v_mov_b32_e32 v26, 0x3ecc95a3
	v_fmac_f32_e32 v26, 0x3e9b6dac, v30
	v_mov_b32_e32 v7, 0x3f2aaada
	v_fmac_f32_e32 v7, v30, v26
	v_cvt_f32_i32_e32 v26, v34
	v_sub_f32_e32 v6, v27, v6
	v_sub_f32_e32 v3, v3, v6
	v_ldexp_f32 v31, v27, 1
	v_mul_f32_e32 v27, v27, v30
	v_mov_b32_e32 v6, 0x3f317218
	s_mov_b32 s6, 0x3f317218
	v_pk_mul_f32 v[6:7], v[26:27], v[6:7]
	v_fma_f32 v30, v26, s6, -v6
	v_fmac_f32_e32 v30, 0xb102e308, v26
	v_pk_add_f32 v[26:27], v[6:7], v[30:31]
	v_sub_f32_e32 v31, v27, v31
	v_ldexp_f32 v3, v3, 1
	v_sub_f32_e32 v31, v7, v31
	v_add_f32_e32 v33, v3, v31
	v_mov_b32_e32 v32, v6
	v_pk_add_f32 v[6:7], v[26:27], v[6:7] neg_lo:[0,1] neg_hi:[0,1]
	v_pk_add_f32 v[34:35], v[26:27], v[32:33]
	v_mov_b32_e32 v7, v35
	v_mov_b32_e32 v31, v26
	v_pk_add_f32 v[48:49], v[30:31], v[6:7] neg_lo:[0,1] neg_hi:[0,1]
	v_pk_add_f32 v[6:7], v[30:31], v[6:7]
	v_mov_b32_e32 v30, v7
	v_pk_add_f32 v[50:51], v[30:31], v[26:27] neg_lo:[0,1] neg_hi:[0,1]
	v_mov_b32_e32 v3, v50
	v_pk_add_f32 v[52:53], v[34:35], v[2:3] neg_lo:[0,1] neg_hi:[0,1]
	v_mov_b32_e32 v6, v35
	v_mov_b32_e32 v34, v27
	;; [unrolled: 1-line block ×4, first 2 shown]
	v_pk_add_f32 v[6:7], v[6:7], v[34:35] neg_lo:[0,1] neg_hi:[0,1]
	v_mov_b32_e32 v32, v33
	v_mov_b32_e32 v33, v26
	v_pk_add_f32 v[6:7], v[32:33], v[6:7] neg_lo:[0,1] neg_hi:[0,1]
	v_mov_b32_e32 v52, v48
	v_pk_add_f32 v[26:27], v[52:53], v[6:7]
	v_mov_b32_e32 v32, v27
	v_pk_add_f32 v[32:33], v[26:27], v[32:33]
	v_pk_add_f32 v[30:31], v[30:31], v[32:33]
	v_mov_b32_e32 v27, v30
	v_pk_add_f32 v[34:35], v[26:27], v[48:49] neg_lo:[0,1] neg_hi:[0,1]
	v_mov_b32_e32 v7, v32
	v_sub_f32_e32 v3, v26, v34
	v_pk_add_f32 v[6:7], v[6:7], v[34:35] neg_lo:[0,1] neg_hi:[0,1]
	v_sub_f32_e32 v3, v48, v3
	v_add_f32_e32 v3, v6, v3
	v_cmp_eq_f32_e64 s[6:7], s12, v54
	s_mov_b32 s12, 0x33800000
	v_add_f32_e32 v3, v3, v7
	v_cmp_lt_f32_e64 s[12:13], |v54|, s12
	v_add_f32_e32 v3, v30, v3
	s_or_b64 s[6:7], s[6:7], s[12:13]
	v_cndmask_b32_e64 v3, v3, v54, s[6:7]
	v_add_f32_e32 v3, v2, v3
.LBB444_253:
	s_or_b64 exec, exec, s[10:11]
	v_bfe_u32 v2, v3, 16, 1
	s_movk_i32 s6, 0x7fff
	v_add3_u32 v2, v3, v2, s6
	v_lshrrev_b32_e32 v2, 16, v2
	v_mov_b32_e32 v6, 0x7fc0
	v_cmp_o_f32_e64 s[6:7], v3, v3
	v_cndmask_b32_e64 v26, v6, v2, s[6:7]
.LBB444_254:
	s_or_b64 exec, exec, s[8:9]
	v_mov_b32_e32 v3, 16
	v_lshlrev_b32_e32 v30, 16, v26
	v_lshlrev_b32_sdwa v2, v3, v20 dst_sel:DWORD dst_unused:UNUSED_PAD src0_sel:DWORD src1_sel:WORD_1
	v_max_f32_e32 v27, v2, v2
	v_max_f32_e32 v98, v30, v30
	v_min_f32_e32 v96, v98, v27
	v_cmp_u_f32_e64 s[54:55], v30, v30
	v_cndmask_b32_e64 v6, v96, v30, s[54:55]
	v_cmp_u_f32_e64 s[6:7], v2, v2
	v_max_f32_e32 v97, v98, v27
	v_cndmask_b32_e64 v20, v6, v2, s[6:7]
	v_cndmask_b32_e64 v6, v97, v30, s[54:55]
	;; [unrolled: 1-line block ×3, first 2 shown]
	s_movk_i32 s12, 0x1f8
	v_cmp_neq_f32_e64 s[8:9], v20, v6
	v_cmp_class_f32_e64 s[10:11], v20, s12
	s_or_b64 s[8:9], s[8:9], s[10:11]
	v_mov_b32_e32 v7, v30
	s_and_saveexec_b64 s[10:11], s[8:9]
	s_cbranch_execz .LBB444_256
; %bb.255:
	v_sub_f32_e32 v7, v20, v6
	s_mov_b32 s8, 0x3fb8aa3b
	v_mul_f32_e32 v20, 0x3fb8aa3b, v7
	v_fma_f32 v31, v7, s8, -v20
	v_rndne_f32_e32 v32, v20
	v_fmac_f32_e32 v31, 0x32a5705f, v7
	v_sub_f32_e32 v20, v20, v32
	v_add_f32_e32 v20, v20, v31
	v_exp_f32_e32 v20, v20
	v_cvt_i32_f32_e32 v31, v32
	s_mov_b32 s8, 0xc2ce8ed0
	v_cmp_ngt_f32_e64 s[8:9], s8, v7
	s_mov_b32 s13, 0x7f800000
	v_ldexp_f32 v20, v20, v31
	v_cndmask_b32_e64 v20, 0, v20, s[8:9]
	s_mov_b32 s8, 0x42b17218
	v_mov_b32_e32 v31, 0x7f800000
	v_cmp_nlt_f32_e64 s[8:9], s8, v7
	v_cndmask_b32_e64 v31, v31, v20, s[8:9]
	v_add_f32_e32 v7, 1.0, v31
	v_add_f32_e32 v20, -1.0, v7
	v_sub_f32_e32 v32, v20, v7
	v_add_f32_e32 v32, 1.0, v32
	v_sub_f32_e32 v20, v31, v20
	v_add_f32_e32 v20, v20, v32
	v_frexp_mant_f32_e32 v34, v7
	s_mov_b32 s8, 0x3f2aaaab
	v_cvt_f64_f32_e32 v[32:33], v7
	v_frexp_exp_i32_f64_e32 v32, v[32:33]
	v_cmp_gt_f32_e64 s[8:9], s8, v34
	v_subbrev_co_u32_e64 v52, s[8:9], 0, v32, s[8:9]
	v_sub_u32_e32 v32, 0, v52
	v_ldexp_f32 v7, v7, v32
	v_ldexp_f32 v20, v20, v32
	v_add_f32_e32 v32, -1.0, v7
	v_add_f32_e32 v33, 1.0, v32
	v_sub_f32_e32 v33, v7, v33
	v_add_f32_e32 v34, v20, v33
	v_add_f32_e32 v33, 1.0, v7
	v_add_f32_e32 v35, -1.0, v33
	v_sub_f32_e32 v7, v7, v35
	v_add_f32_e32 v7, v20, v7
	v_add_f32_e32 v20, v33, v7
	v_rcp_f32_e32 v53, v20
	v_sub_f32_e32 v33, v33, v20
	v_add_f32_e32 v7, v7, v33
	v_add_f32_e32 v33, v32, v34
	v_sub_f32_e32 v32, v32, v33
	v_mul_f32_e32 v55, v33, v53
	v_add_f32_e32 v54, v34, v32
	v_mul_f32_e32 v34, v20, v55
	v_fma_f32 v48, v55, v20, -v34
	v_fmac_f32_e32 v48, v55, v7
	v_add_f32_e32 v32, v34, v48
	v_sub_f32_e32 v35, v33, v32
	v_pk_add_f32 v[50:51], v[32:33], v[34:35] neg_lo:[0,1] neg_hi:[0,1]
	v_mov_b32_e32 v49, v32
	v_pk_add_f32 v[32:33], v[50:51], v[48:49] neg_lo:[0,1] neg_hi:[0,1]
	v_add_f32_e32 v33, v54, v33
	v_add_f32_e32 v32, v32, v33
	;; [unrolled: 1-line block ×3, first 2 shown]
	v_mul_f32_e32 v54, v53, v33
	v_mul_f32_e32 v34, v20, v54
	v_fma_f32 v48, v54, v20, -v34
	v_fmac_f32_e32 v48, v54, v7
	v_sub_f32_e32 v7, v35, v33
	v_add_f32_e32 v7, v32, v7
	v_add_f32_e32 v32, v34, v48
	v_sub_f32_e32 v35, v33, v32
	v_pk_add_f32 v[50:51], v[32:33], v[34:35] neg_lo:[0,1] neg_hi:[0,1]
	v_mov_b32_e32 v49, v32
	v_pk_add_f32 v[32:33], v[50:51], v[48:49] neg_lo:[0,1] neg_hi:[0,1]
	v_add_f32_e32 v7, v7, v33
	v_add_f32_e32 v7, v32, v7
	;; [unrolled: 1-line block ×4, first 2 shown]
	v_sub_f32_e32 v32, v20, v55
	v_mul_f32_e32 v7, v53, v7
	v_sub_f32_e32 v32, v54, v32
	v_add_f32_e32 v7, v32, v7
	v_add_f32_e32 v32, v20, v7
	v_mul_f32_e32 v35, v32, v32
	v_mov_b32_e32 v34, 0x3ecc95a3
	v_fmac_f32_e32 v34, 0x3e9b6dac, v35
	v_mov_b32_e32 v33, 0x3f2aaada
	v_fmac_f32_e32 v33, v35, v34
	v_cvt_f32_i32_e32 v34, v52
	v_sub_f32_e32 v20, v32, v20
	v_ldexp_f32 v49, v32, 1
	v_mul_f32_e32 v35, v32, v35
	v_mov_b32_e32 v32, 0x3f317218
	s_mov_b32 s8, 0x3f317218
	v_pk_mul_f32 v[32:33], v[34:35], v[32:33]
	v_fma_f32 v48, v34, s8, -v32
	v_fmac_f32_e32 v48, 0xb102e308, v34
	v_pk_add_f32 v[34:35], v[32:33], v[48:49]
	v_sub_f32_e32 v7, v7, v20
	v_sub_f32_e32 v20, v35, v49
	v_ldexp_f32 v7, v7, 1
	v_sub_f32_e32 v20, v33, v20
	v_add_f32_e32 v51, v7, v20
	v_mov_b32_e32 v50, v32
	v_pk_add_f32 v[32:33], v[34:35], v[32:33] neg_lo:[0,1] neg_hi:[0,1]
	v_pk_add_f32 v[52:53], v[34:35], v[50:51]
	v_mov_b32_e32 v33, v53
	v_mov_b32_e32 v49, v34
	v_pk_add_f32 v[54:55], v[48:49], v[32:33] neg_lo:[0,1] neg_hi:[0,1]
	v_pk_add_f32 v[32:33], v[48:49], v[32:33]
	v_mov_b32_e32 v20, v33
	v_pk_add_f32 v[48:49], v[20:21], v[34:35] neg_lo:[0,1] neg_hi:[0,1]
	v_mov_b32_e32 v7, v48
	v_pk_add_f32 v[64:65], v[52:53], v[6:7] neg_lo:[0,1] neg_hi:[0,1]
	v_mov_b32_e32 v32, v53
	v_mov_b32_e32 v52, v35
	;; [unrolled: 1-line block ×4, first 2 shown]
	v_pk_add_f32 v[32:33], v[32:33], v[52:53] neg_lo:[0,1] neg_hi:[0,1]
	v_mov_b32_e32 v48, v51
	v_mov_b32_e32 v49, v34
	v_pk_add_f32 v[32:33], v[48:49], v[32:33] neg_lo:[0,1] neg_hi:[0,1]
	v_mov_b32_e32 v64, v54
	v_pk_add_f32 v[34:35], v[64:65], v[32:33]
	v_mov_b32_e32 v48, v35
	v_pk_add_f32 v[48:49], v[34:35], v[48:49]
	v_pk_add_f32 v[50:51], v[20:21], v[48:49]
	v_mov_b32_e32 v35, v50
	v_pk_add_f32 v[52:53], v[34:35], v[54:55] neg_lo:[0,1] neg_hi:[0,1]
	v_mov_b32_e32 v33, v48
	v_sub_f32_e32 v7, v34, v52
	v_pk_add_f32 v[32:33], v[32:33], v[52:53] neg_lo:[0,1] neg_hi:[0,1]
	v_sub_f32_e32 v7, v54, v7
	v_add_f32_e32 v7, v32, v7
	v_cmp_eq_f32_e64 s[8:9], s13, v31
	s_mov_b32 s13, 0x33800000
	v_add_f32_e32 v7, v7, v33
	v_cmp_lt_f32_e64 s[14:15], |v31|, s13
	v_add_f32_e32 v7, v50, v7
	s_or_b64 s[8:9], s[8:9], s[14:15]
	v_cndmask_b32_e64 v7, v7, v31, s[8:9]
	v_add_f32_e32 v7, v6, v7
.LBB444_256:
	s_or_b64 exec, exec, s[10:11]
	v_bfe_u32 v6, v7, 16, 1
	s_movk_i32 s14, 0x7fff
	v_add3_u32 v6, v7, v6, s14
	v_and_b32_e32 v20, 0xffff0000, v6
	v_mov_b32_e32 v6, 0x7fc00000
	v_cmp_o_f32_e64 s[8:9], v7, v7
	v_cndmask_b32_e64 v31, v6, v20, s[8:9]
	v_lshlrev_b32_sdwa v3, v3, v21 dst_sel:DWORD dst_unused:UNUSED_PAD src0_sel:DWORD src1_sel:WORD_0
	v_max_f32_e32 v7, v31, v31
	v_max_f32_e32 v20, v3, v3
	v_min_f32_e32 v32, v7, v20
	v_cmp_u_f32_e64 s[10:11], v31, v31
	v_max_f32_e32 v7, v7, v20
	v_cndmask_b32_e64 v32, v32, v31, s[10:11]
	v_cmp_u_f32_e64 s[8:9], v3, v3
	v_cndmask_b32_e64 v7, v7, v31, s[10:11]
	v_cndmask_b32_e64 v32, v32, v3, s[8:9]
	;; [unrolled: 1-line block ×3, first 2 shown]
	v_cmp_neq_f32_e64 s[10:11], v32, v7
	v_cmp_class_f32_e64 s[12:13], v32, s12
	s_or_b64 s[10:11], s[10:11], s[12:13]
	s_and_saveexec_b64 s[12:13], s[10:11]
	s_cbranch_execz .LBB444_258
; %bb.257:
	v_sub_f32_e32 v31, v32, v7
	s_mov_b32 s10, 0x3fb8aa3b
	v_mul_f32_e32 v32, 0x3fb8aa3b, v31
	v_fma_f32 v33, v31, s10, -v32
	v_rndne_f32_e32 v34, v32
	v_fmac_f32_e32 v33, 0x32a5705f, v31
	v_sub_f32_e32 v32, v32, v34
	v_add_f32_e32 v32, v32, v33
	v_exp_f32_e32 v32, v32
	v_cvt_i32_f32_e32 v33, v34
	s_mov_b32 s10, 0xc2ce8ed0
	v_cmp_ngt_f32_e64 s[10:11], s10, v31
	s_mov_b32 s15, 0x7f800000
	v_ldexp_f32 v32, v32, v33
	v_cndmask_b32_e64 v32, 0, v32, s[10:11]
	s_mov_b32 s10, 0x42b17218
	v_mov_b32_e32 v33, 0x7f800000
	v_cmp_nlt_f32_e64 s[10:11], s10, v31
	v_cndmask_b32_e64 v68, v33, v32, s[10:11]
	v_add_f32_e32 v31, 1.0, v68
	v_add_f32_e32 v32, -1.0, v31
	v_sub_f32_e32 v33, v32, v31
	v_add_f32_e32 v33, 1.0, v33
	v_sub_f32_e32 v32, v68, v32
	v_add_f32_e32 v34, v32, v33
	v_frexp_mant_f32_e32 v35, v31
	s_mov_b32 s10, 0x3f2aaaab
	v_cvt_f64_f32_e32 v[32:33], v31
	v_frexp_exp_i32_f64_e32 v32, v[32:33]
	v_cmp_gt_f32_e64 s[10:11], s10, v35
	v_subbrev_co_u32_e64 v52, s[10:11], 0, v32, s[10:11]
	v_sub_u32_e32 v32, 0, v52
	v_ldexp_f32 v31, v31, v32
	v_ldexp_f32 v32, v34, v32
	v_add_f32_e32 v34, -1.0, v31
	v_add_f32_e32 v33, 1.0, v34
	v_sub_f32_e32 v33, v31, v33
	v_add_f32_e32 v35, v32, v33
	v_add_f32_e32 v33, 1.0, v31
	v_add_f32_e32 v48, -1.0, v33
	v_sub_f32_e32 v31, v31, v48
	v_add_f32_e32 v31, v32, v31
	v_add_f32_e32 v53, v33, v31
	v_rcp_f32_e32 v54, v53
	v_sub_f32_e32 v32, v33, v53
	v_add_f32_e32 v33, v34, v35
	v_add_f32_e32 v31, v31, v32
	v_mul_f32_e32 v64, v33, v54
	v_sub_f32_e32 v32, v34, v33
	v_mul_f32_e32 v34, v53, v64
	v_fma_f32 v48, v64, v53, -v34
	v_fmac_f32_e32 v48, v64, v31
	v_add_f32_e32 v55, v35, v32
	v_add_f32_e32 v32, v34, v48
	v_sub_f32_e32 v35, v33, v32
	v_pk_add_f32 v[50:51], v[32:33], v[34:35] neg_lo:[0,1] neg_hi:[0,1]
	v_mov_b32_e32 v49, v32
	v_pk_add_f32 v[32:33], v[50:51], v[48:49] neg_lo:[0,1] neg_hi:[0,1]
	v_add_f32_e32 v33, v55, v33
	v_add_f32_e32 v32, v32, v33
	;; [unrolled: 1-line block ×3, first 2 shown]
	v_mul_f32_e32 v55, v54, v33
	v_mul_f32_e32 v34, v53, v55
	v_fma_f32 v48, v55, v53, -v34
	v_fmac_f32_e32 v48, v55, v31
	v_sub_f32_e32 v31, v35, v33
	v_add_f32_e32 v31, v32, v31
	v_add_f32_e32 v32, v34, v48
	v_sub_f32_e32 v35, v33, v32
	v_pk_add_f32 v[50:51], v[32:33], v[34:35] neg_lo:[0,1] neg_hi:[0,1]
	v_mov_b32_e32 v49, v32
	v_pk_add_f32 v[32:33], v[50:51], v[48:49] neg_lo:[0,1] neg_hi:[0,1]
	v_add_f32_e32 v31, v31, v33
	v_add_f32_e32 v31, v32, v31
	;; [unrolled: 1-line block ×4, first 2 shown]
	v_sub_f32_e32 v33, v32, v64
	v_mul_f32_e32 v31, v54, v31
	v_sub_f32_e32 v33, v55, v33
	v_add_f32_e32 v31, v33, v31
	v_add_f32_e32 v35, v32, v31
	v_mul_f32_e32 v48, v35, v35
	v_mov_b32_e32 v34, 0x3ecc95a3
	v_fmac_f32_e32 v34, 0x3e9b6dac, v48
	v_mov_b32_e32 v33, 0x3f2aaada
	v_fmac_f32_e32 v33, v48, v34
	v_cvt_f32_i32_e32 v34, v52
	v_sub_f32_e32 v32, v35, v32
	v_sub_f32_e32 v31, v31, v32
	v_ldexp_f32 v49, v35, 1
	v_mul_f32_e32 v35, v35, v48
	v_mov_b32_e32 v32, 0x3f317218
	s_mov_b32 s10, 0x3f317218
	v_pk_mul_f32 v[32:33], v[34:35], v[32:33]
	v_fma_f32 v48, v34, s10, -v32
	v_fmac_f32_e32 v48, 0xb102e308, v34
	v_pk_add_f32 v[34:35], v[32:33], v[48:49]
	v_sub_f32_e32 v49, v35, v49
	v_ldexp_f32 v31, v31, 1
	v_sub_f32_e32 v49, v33, v49
	v_add_f32_e32 v51, v31, v49
	v_mov_b32_e32 v50, v32
	v_pk_add_f32 v[32:33], v[34:35], v[32:33] neg_lo:[0,1] neg_hi:[0,1]
	v_pk_add_f32 v[52:53], v[34:35], v[50:51]
	v_mov_b32_e32 v33, v53
	v_mov_b32_e32 v49, v34
	v_pk_add_f32 v[54:55], v[48:49], v[32:33] neg_lo:[0,1] neg_hi:[0,1]
	v_pk_add_f32 v[32:33], v[48:49], v[32:33]
	v_mov_b32_e32 v48, v33
	v_pk_add_f32 v[64:65], v[48:49], v[34:35] neg_lo:[0,1] neg_hi:[0,1]
	v_mov_b32_e32 v31, v64
	v_pk_add_f32 v[66:67], v[52:53], v[30:31] neg_lo:[0,1] neg_hi:[0,1]
	v_mov_b32_e32 v32, v53
	v_mov_b32_e32 v52, v35
	;; [unrolled: 1-line block ×4, first 2 shown]
	v_pk_add_f32 v[32:33], v[32:33], v[52:53] neg_lo:[0,1] neg_hi:[0,1]
	v_mov_b32_e32 v50, v51
	v_mov_b32_e32 v51, v34
	v_pk_add_f32 v[32:33], v[50:51], v[32:33] neg_lo:[0,1] neg_hi:[0,1]
	v_mov_b32_e32 v66, v54
	v_pk_add_f32 v[34:35], v[66:67], v[32:33]
	v_mov_b32_e32 v50, v35
	v_pk_add_f32 v[50:51], v[34:35], v[50:51]
	v_pk_add_f32 v[48:49], v[48:49], v[50:51]
	v_mov_b32_e32 v35, v48
	v_pk_add_f32 v[52:53], v[34:35], v[54:55] neg_lo:[0,1] neg_hi:[0,1]
	v_mov_b32_e32 v33, v50
	v_sub_f32_e32 v31, v34, v52
	v_pk_add_f32 v[32:33], v[32:33], v[52:53] neg_lo:[0,1] neg_hi:[0,1]
	v_sub_f32_e32 v31, v54, v31
	v_add_f32_e32 v31, v32, v31
	v_cmp_eq_f32_e64 s[10:11], s15, v68
	s_mov_b32 s15, 0x33800000
	v_add_f32_e32 v31, v31, v33
	v_cmp_lt_f32_e64 s[16:17], |v68|, s15
	v_add_f32_e32 v31, v48, v31
	s_or_b64 s[10:11], s[10:11], s[16:17]
	v_cndmask_b32_e64 v31, v31, v68, s[10:11]
	v_add_f32_e32 v31, v7, v31
.LBB444_258:
	s_or_b64 exec, exec, s[12:13]
	v_bfe_u32 v7, v31, 16, 1
	v_add3_u32 v7, v31, v7, s14
	v_and_b32_e32 v7, 0xffff0000, v7
	v_cmp_o_f32_e64 s[10:11], v31, v31
	v_cndmask_b32_e64 v32, v6, v7, s[10:11]
	v_mov_b32_e32 v7, 16
	v_lshlrev_b32_sdwa v6, v7, v21 dst_sel:DWORD dst_unused:UNUSED_PAD src0_sel:DWORD src1_sel:WORD_1
	v_max_f32_e32 v21, v32, v32
	v_max_f32_e32 v31, v6, v6
	v_min_f32_e32 v33, v21, v31
	v_cmp_u_f32_e64 s[12:13], v32, v32
	v_max_f32_e32 v21, v21, v31
	v_cndmask_b32_e64 v33, v33, v32, s[12:13]
	v_cmp_u_f32_e64 s[10:11], v6, v6
	v_cndmask_b32_e64 v21, v21, v32, s[12:13]
	v_cndmask_b32_e64 v33, v33, v6, s[10:11]
	;; [unrolled: 1-line block ×3, first 2 shown]
	s_movk_i32 s16, 0x1f8
	v_cmp_neq_f32_e64 s[12:13], v33, v21
	v_cmp_class_f32_e64 s[14:15], v33, s16
	s_or_b64 s[12:13], s[12:13], s[14:15]
	s_and_saveexec_b64 s[14:15], s[12:13]
	s_cbranch_execz .LBB444_260
; %bb.259:
	v_sub_f32_e32 v32, v33, v21
	s_mov_b32 s12, 0x3fb8aa3b
	v_mul_f32_e32 v33, 0x3fb8aa3b, v32
	v_fma_f32 v34, v32, s12, -v33
	v_rndne_f32_e32 v35, v33
	v_fmac_f32_e32 v34, 0x32a5705f, v32
	v_sub_f32_e32 v33, v33, v35
	v_add_f32_e32 v33, v33, v34
	v_exp_f32_e32 v33, v33
	v_cvt_i32_f32_e32 v34, v35
	s_mov_b32 s12, 0xc2ce8ed0
	v_cmp_ngt_f32_e64 s[12:13], s12, v32
	s_mov_b32 s17, 0x7f800000
	v_ldexp_f32 v33, v33, v34
	v_cndmask_b32_e64 v33, 0, v33, s[12:13]
	s_mov_b32 s12, 0x42b17218
	v_mov_b32_e32 v34, 0x7f800000
	v_cmp_nlt_f32_e64 s[12:13], s12, v32
	v_cndmask_b32_e64 v68, v34, v33, s[12:13]
	v_add_f32_e32 v34, 1.0, v68
	v_add_f32_e32 v32, -1.0, v34
	v_sub_f32_e32 v33, v32, v34
	v_add_f32_e32 v33, 1.0, v33
	v_sub_f32_e32 v32, v68, v32
	v_add_f32_e32 v35, v32, v33
	v_frexp_mant_f32_e32 v48, v34
	s_mov_b32 s12, 0x3f2aaaab
	v_cvt_f64_f32_e32 v[32:33], v34
	v_frexp_exp_i32_f64_e32 v32, v[32:33]
	v_cmp_gt_f32_e64 s[12:13], s12, v48
	v_subbrev_co_u32_e64 v52, s[12:13], 0, v32, s[12:13]
	v_sub_u32_e32 v32, 0, v52
	v_ldexp_f32 v33, v34, v32
	v_add_f32_e32 v34, -1.0, v33
	v_add_f32_e32 v48, 1.0, v33
	v_ldexp_f32 v32, v35, v32
	v_add_f32_e32 v35, 1.0, v34
	v_add_f32_e32 v49, -1.0, v48
	v_sub_f32_e32 v35, v33, v35
	v_sub_f32_e32 v33, v33, v49
	v_add_f32_e32 v35, v32, v35
	v_add_f32_e32 v32, v32, v33
	;; [unrolled: 1-line block ×3, first 2 shown]
	v_rcp_f32_e32 v55, v53
	v_sub_f32_e32 v33, v48, v53
	v_add_f32_e32 v54, v32, v33
	v_add_f32_e32 v33, v34, v35
	v_mul_f32_e32 v65, v33, v55
	v_sub_f32_e32 v32, v34, v33
	v_mul_f32_e32 v34, v53, v65
	v_fma_f32 v48, v65, v53, -v34
	v_fmac_f32_e32 v48, v65, v54
	v_add_f32_e32 v64, v35, v32
	v_add_f32_e32 v32, v34, v48
	v_sub_f32_e32 v35, v33, v32
	v_pk_add_f32 v[50:51], v[32:33], v[34:35] neg_lo:[0,1] neg_hi:[0,1]
	v_mov_b32_e32 v49, v32
	v_pk_add_f32 v[32:33], v[50:51], v[48:49] neg_lo:[0,1] neg_hi:[0,1]
	v_add_f32_e32 v33, v64, v33
	v_add_f32_e32 v32, v32, v33
	;; [unrolled: 1-line block ×3, first 2 shown]
	v_mul_f32_e32 v64, v55, v33
	v_mul_f32_e32 v34, v53, v64
	v_fma_f32 v48, v64, v53, -v34
	v_fmac_f32_e32 v48, v64, v54
	v_sub_f32_e32 v35, v35, v33
	v_add_f32_e32 v53, v32, v35
	v_add_f32_e32 v32, v34, v48
	v_sub_f32_e32 v35, v33, v32
	v_pk_add_f32 v[50:51], v[32:33], v[34:35] neg_lo:[0,1] neg_hi:[0,1]
	v_mov_b32_e32 v49, v32
	v_pk_add_f32 v[32:33], v[50:51], v[48:49] neg_lo:[0,1] neg_hi:[0,1]
	v_add_f32_e32 v33, v53, v33
	v_add_f32_e32 v32, v32, v33
	;; [unrolled: 1-line block ×4, first 2 shown]
	v_sub_f32_e32 v33, v35, v65
	v_mul_f32_e32 v32, v55, v32
	v_sub_f32_e32 v33, v64, v33
	v_add_f32_e32 v32, v33, v32
	v_add_f32_e32 v48, v35, v32
	v_mul_f32_e32 v50, v48, v48
	v_mov_b32_e32 v34, 0x3ecc95a3
	v_fmac_f32_e32 v34, 0x3e9b6dac, v50
	v_mov_b32_e32 v33, 0x3f2aaada
	v_fmac_f32_e32 v33, v50, v34
	v_cvt_f32_i32_e32 v34, v52
	v_sub_f32_e32 v35, v48, v35
	v_sub_f32_e32 v32, v32, v35
	v_ldexp_f32 v51, v32, 1
	v_mul_f32_e32 v35, v48, v50
	v_mov_b32_e32 v32, 0x3f317218
	s_mov_b32 s12, 0x3f317218
	v_pk_mul_f32 v[32:33], v[34:35], v[32:33]
	v_ldexp_f32 v49, v48, 1
	v_fma_f32 v48, v34, s12, -v32
	v_fmac_f32_e32 v48, 0xb102e308, v34
	v_pk_add_f32 v[34:35], v[32:33], v[48:49]
	v_sub_f32_e32 v49, v35, v49
	v_sub_f32_e32 v49, v33, v49
	v_add_f32_e32 v51, v51, v49
	v_mov_b32_e32 v50, v32
	v_pk_add_f32 v[32:33], v[34:35], v[32:33] neg_lo:[0,1] neg_hi:[0,1]
	v_pk_add_f32 v[52:53], v[34:35], v[50:51]
	v_mov_b32_e32 v33, v53
	v_mov_b32_e32 v49, v34
	v_pk_add_f32 v[54:55], v[48:49], v[32:33] neg_lo:[0,1] neg_hi:[0,1]
	v_pk_add_f32 v[32:33], v[48:49], v[32:33]
	v_mov_b32_e32 v48, v33
	v_pk_add_f32 v[64:65], v[48:49], v[34:35] neg_lo:[0,1] neg_hi:[0,1]
	v_mov_b32_e32 v49, v64
	v_pk_add_f32 v[66:67], v[52:53], v[48:49] neg_lo:[0,1] neg_hi:[0,1]
	v_mov_b32_e32 v32, v53
	v_mov_b32_e32 v52, v35
	;; [unrolled: 1-line block ×4, first 2 shown]
	v_pk_add_f32 v[32:33], v[32:33], v[52:53] neg_lo:[0,1] neg_hi:[0,1]
	v_mov_b32_e32 v50, v51
	v_mov_b32_e32 v51, v34
	v_pk_add_f32 v[32:33], v[50:51], v[32:33] neg_lo:[0,1] neg_hi:[0,1]
	v_mov_b32_e32 v66, v54
	v_pk_add_f32 v[34:35], v[66:67], v[32:33]
	v_mov_b32_e32 v50, v35
	v_pk_add_f32 v[50:51], v[34:35], v[50:51]
	v_pk_add_f32 v[48:49], v[48:49], v[50:51]
	v_mov_b32_e32 v35, v48
	v_pk_add_f32 v[52:53], v[34:35], v[54:55] neg_lo:[0,1] neg_hi:[0,1]
	v_mov_b32_e32 v33, v50
	v_sub_f32_e32 v34, v34, v52
	v_pk_add_f32 v[32:33], v[32:33], v[52:53] neg_lo:[0,1] neg_hi:[0,1]
	v_sub_f32_e32 v34, v54, v34
	v_add_f32_e32 v32, v32, v34
	v_cmp_eq_f32_e64 s[12:13], s17, v68
	s_mov_b32 s17, 0x33800000
	v_add_f32_e32 v32, v32, v33
	v_cmp_lt_f32_e64 s[18:19], |v68|, s17
	v_add_f32_e32 v32, v48, v32
	s_or_b64 s[12:13], s[12:13], s[18:19]
	v_cndmask_b32_e64 v32, v32, v68, s[12:13]
	v_add_f32_e32 v32, v21, v32
.LBB444_260:
	s_or_b64 exec, exec, s[14:15]
	v_bfe_u32 v21, v32, 16, 1
	s_movk_i32 s18, 0x7fff
	v_add3_u32 v21, v32, v21, s18
	v_and_b32_e32 v33, 0xffff0000, v21
	v_mov_b32_e32 v21, 0x7fc00000
	v_cmp_o_f32_e64 s[12:13], v32, v32
	v_cndmask_b32_e64 v34, v21, v33, s[12:13]
	v_lshlrev_b32_sdwa v7, v7, v22 dst_sel:DWORD dst_unused:UNUSED_PAD src0_sel:DWORD src1_sel:WORD_0
	v_max_f32_e32 v33, v34, v34
	v_max_f32_e32 v32, v7, v7
	v_min_f32_e32 v35, v33, v32
	v_cmp_u_f32_e64 s[14:15], v34, v34
	v_max_f32_e32 v33, v33, v32
	v_cndmask_b32_e64 v35, v35, v34, s[14:15]
	v_cmp_u_f32_e64 s[12:13], v7, v7
	v_cndmask_b32_e64 v33, v33, v34, s[14:15]
	v_cndmask_b32_e64 v35, v35, v7, s[12:13]
	;; [unrolled: 1-line block ×3, first 2 shown]
	v_cmp_neq_f32_e64 s[14:15], v35, v33
	v_cmp_class_f32_e64 s[16:17], v35, s16
	s_or_b64 s[14:15], s[14:15], s[16:17]
	s_and_saveexec_b64 s[16:17], s[14:15]
	s_cbranch_execz .LBB444_262
; %bb.261:
	v_sub_f32_e32 v34, v35, v33
	s_mov_b32 s14, 0x3fb8aa3b
	v_mul_f32_e32 v35, 0x3fb8aa3b, v34
	v_fma_f32 v48, v34, s14, -v35
	v_rndne_f32_e32 v49, v35
	v_fmac_f32_e32 v48, 0x32a5705f, v34
	v_sub_f32_e32 v35, v35, v49
	v_add_f32_e32 v35, v35, v48
	v_exp_f32_e32 v35, v35
	v_cvt_i32_f32_e32 v48, v49
	s_mov_b32 s14, 0xc2ce8ed0
	v_cmp_ngt_f32_e64 s[14:15], s14, v34
	s_mov_b32 s19, 0x7f800000
	v_ldexp_f32 v35, v35, v48
	v_cndmask_b32_e64 v35, 0, v35, s[14:15]
	s_mov_b32 s14, 0x42b17218
	v_mov_b32_e32 v48, 0x7f800000
	v_cmp_nlt_f32_e64 s[14:15], s14, v34
	v_cndmask_b32_e64 v70, v48, v35, s[14:15]
	v_add_f32_e32 v48, 1.0, v70
	v_add_f32_e32 v34, -1.0, v48
	v_sub_f32_e32 v35, v34, v48
	v_add_f32_e32 v35, 1.0, v35
	v_sub_f32_e32 v34, v70, v34
	v_add_f32_e32 v49, v34, v35
	v_frexp_mant_f32_e32 v50, v48
	s_mov_b32 s14, 0x3f2aaaab
	v_cvt_f64_f32_e32 v[34:35], v48
	v_frexp_exp_i32_f64_e32 v34, v[34:35]
	v_cmp_gt_f32_e64 s[14:15], s14, v50
	v_subbrev_co_u32_e64 v54, s[14:15], 0, v34, s[14:15]
	v_sub_u32_e32 v34, 0, v54
	v_ldexp_f32 v35, v48, v34
	v_add_f32_e32 v48, -1.0, v35
	v_add_f32_e32 v50, 1.0, v35
	v_ldexp_f32 v34, v49, v34
	v_add_f32_e32 v49, 1.0, v48
	v_add_f32_e32 v51, -1.0, v50
	v_sub_f32_e32 v49, v35, v49
	v_sub_f32_e32 v35, v35, v51
	v_add_f32_e32 v49, v34, v49
	v_add_f32_e32 v34, v34, v35
	v_add_f32_e32 v55, v50, v34
	v_rcp_f32_e32 v65, v55
	v_sub_f32_e32 v35, v50, v55
	v_add_f32_e32 v64, v34, v35
	v_add_f32_e32 v35, v48, v49
	v_mul_f32_e32 v67, v35, v65
	v_sub_f32_e32 v34, v48, v35
	v_mul_f32_e32 v48, v55, v67
	v_fma_f32 v50, v67, v55, -v48
	v_fmac_f32_e32 v50, v67, v64
	v_add_f32_e32 v66, v49, v34
	v_add_f32_e32 v34, v48, v50
	v_sub_f32_e32 v49, v35, v34
	v_pk_add_f32 v[52:53], v[34:35], v[48:49] neg_lo:[0,1] neg_hi:[0,1]
	v_mov_b32_e32 v51, v34
	v_pk_add_f32 v[34:35], v[52:53], v[50:51] neg_lo:[0,1] neg_hi:[0,1]
	v_add_f32_e32 v35, v66, v35
	v_add_f32_e32 v34, v34, v35
	;; [unrolled: 1-line block ×3, first 2 shown]
	v_mul_f32_e32 v66, v65, v35
	v_mul_f32_e32 v48, v55, v66
	v_fma_f32 v50, v66, v55, -v48
	v_fmac_f32_e32 v50, v66, v64
	v_sub_f32_e32 v49, v49, v35
	v_add_f32_e32 v55, v34, v49
	v_add_f32_e32 v34, v48, v50
	v_sub_f32_e32 v49, v35, v34
	v_pk_add_f32 v[52:53], v[34:35], v[48:49] neg_lo:[0,1] neg_hi:[0,1]
	v_mov_b32_e32 v51, v34
	v_pk_add_f32 v[34:35], v[52:53], v[50:51] neg_lo:[0,1] neg_hi:[0,1]
	v_add_f32_e32 v35, v55, v35
	v_add_f32_e32 v34, v34, v35
	;; [unrolled: 1-line block ×4, first 2 shown]
	v_sub_f32_e32 v35, v49, v67
	v_mul_f32_e32 v34, v65, v34
	v_sub_f32_e32 v35, v66, v35
	v_add_f32_e32 v34, v35, v34
	v_add_f32_e32 v50, v49, v34
	v_mul_f32_e32 v52, v50, v50
	v_mov_b32_e32 v48, 0x3ecc95a3
	v_fmac_f32_e32 v48, 0x3e9b6dac, v52
	v_mov_b32_e32 v35, 0x3f2aaada
	v_fmac_f32_e32 v35, v52, v48
	v_cvt_f32_i32_e32 v48, v54
	v_sub_f32_e32 v49, v50, v49
	v_sub_f32_e32 v34, v34, v49
	v_ldexp_f32 v53, v34, 1
	v_mul_f32_e32 v49, v50, v52
	v_mov_b32_e32 v34, 0x3f317218
	s_mov_b32 s14, 0x3f317218
	v_pk_mul_f32 v[34:35], v[48:49], v[34:35]
	v_ldexp_f32 v51, v50, 1
	v_fma_f32 v50, v48, s14, -v34
	v_fmac_f32_e32 v50, 0xb102e308, v48
	v_pk_add_f32 v[48:49], v[34:35], v[50:51]
	v_sub_f32_e32 v51, v49, v51
	v_sub_f32_e32 v51, v35, v51
	v_add_f32_e32 v53, v53, v51
	v_mov_b32_e32 v52, v34
	v_pk_add_f32 v[34:35], v[48:49], v[34:35] neg_lo:[0,1] neg_hi:[0,1]
	v_pk_add_f32 v[54:55], v[48:49], v[52:53]
	v_mov_b32_e32 v35, v55
	v_mov_b32_e32 v51, v48
	v_pk_add_f32 v[64:65], v[50:51], v[34:35] neg_lo:[0,1] neg_hi:[0,1]
	v_pk_add_f32 v[34:35], v[50:51], v[34:35]
	v_mov_b32_e32 v50, v35
	v_pk_add_f32 v[66:67], v[50:51], v[48:49] neg_lo:[0,1] neg_hi:[0,1]
	v_mov_b32_e32 v51, v66
	v_pk_add_f32 v[68:69], v[54:55], v[50:51] neg_lo:[0,1] neg_hi:[0,1]
	v_mov_b32_e32 v34, v55
	v_mov_b32_e32 v54, v49
	;; [unrolled: 1-line block ×4, first 2 shown]
	v_pk_add_f32 v[34:35], v[34:35], v[54:55] neg_lo:[0,1] neg_hi:[0,1]
	v_mov_b32_e32 v52, v53
	v_mov_b32_e32 v53, v48
	v_pk_add_f32 v[34:35], v[52:53], v[34:35] neg_lo:[0,1] neg_hi:[0,1]
	v_mov_b32_e32 v68, v64
	v_pk_add_f32 v[48:49], v[68:69], v[34:35]
	v_mov_b32_e32 v52, v49
	v_pk_add_f32 v[52:53], v[48:49], v[52:53]
	v_pk_add_f32 v[50:51], v[50:51], v[52:53]
	v_mov_b32_e32 v49, v50
	v_pk_add_f32 v[54:55], v[48:49], v[64:65] neg_lo:[0,1] neg_hi:[0,1]
	v_mov_b32_e32 v35, v52
	v_sub_f32_e32 v48, v48, v54
	v_pk_add_f32 v[34:35], v[34:35], v[54:55] neg_lo:[0,1] neg_hi:[0,1]
	v_sub_f32_e32 v48, v64, v48
	v_add_f32_e32 v34, v34, v48
	v_cmp_eq_f32_e64 s[14:15], s19, v70
	s_mov_b32 s19, 0x33800000
	v_add_f32_e32 v34, v34, v35
	v_cmp_lt_f32_e64 s[20:21], |v70|, s19
	v_add_f32_e32 v34, v50, v34
	s_or_b64 s[14:15], s[14:15], s[20:21]
	v_cndmask_b32_e64 v34, v34, v70, s[14:15]
	v_add_f32_e32 v34, v33, v34
.LBB444_262:
	s_or_b64 exec, exec, s[16:17]
	v_bfe_u32 v33, v34, 16, 1
	v_add3_u32 v33, v34, v33, s18
	v_and_b32_e32 v33, 0xffff0000, v33
	v_cmp_o_f32_e64 s[14:15], v34, v34
	v_mov_b32_e32 v34, 16
	v_cndmask_b32_e64 v48, v21, v33, s[14:15]
	v_lshlrev_b32_sdwa v21, v34, v22 dst_sel:DWORD dst_unused:UNUSED_PAD src0_sel:DWORD src1_sel:WORD_1
	v_max_f32_e32 v22, v48, v48
	v_max_f32_e32 v33, v21, v21
	v_min_f32_e32 v35, v22, v33
	v_cmp_u_f32_e64 s[16:17], v48, v48
	v_max_f32_e32 v22, v22, v33
	v_cndmask_b32_e64 v35, v35, v48, s[16:17]
	v_cmp_u_f32_e64 s[14:15], v21, v21
	v_cndmask_b32_e64 v22, v22, v48, s[16:17]
	v_cndmask_b32_e64 v35, v35, v21, s[14:15]
	;; [unrolled: 1-line block ×3, first 2 shown]
	s_movk_i32 s20, 0x1f8
	v_cmp_neq_f32_e64 s[16:17], v35, v22
	v_cmp_class_f32_e64 s[18:19], v35, s20
	s_or_b64 s[16:17], s[16:17], s[18:19]
	s_and_saveexec_b64 s[18:19], s[16:17]
	s_cbranch_execz .LBB444_264
; %bb.263:
	v_sub_f32_e32 v35, v35, v22
	s_mov_b32 s16, 0x3fb8aa3b
	v_mul_f32_e32 v48, 0x3fb8aa3b, v35
	v_fma_f32 v49, v35, s16, -v48
	v_rndne_f32_e32 v50, v48
	v_fmac_f32_e32 v49, 0x32a5705f, v35
	v_sub_f32_e32 v48, v48, v50
	v_add_f32_e32 v48, v48, v49
	v_exp_f32_e32 v48, v48
	v_cvt_i32_f32_e32 v49, v50
	s_mov_b32 s16, 0xc2ce8ed0
	v_cmp_ngt_f32_e64 s[16:17], s16, v35
	s_mov_b32 s21, 0x7f800000
	v_ldexp_f32 v48, v48, v49
	v_cndmask_b32_e64 v48, 0, v48, s[16:17]
	s_mov_b32 s16, 0x42b17218
	v_mov_b32_e32 v49, 0x7f800000
	v_cmp_nlt_f32_e64 s[16:17], s16, v35
	v_cndmask_b32_e64 v80, v49, v48, s[16:17]
	v_add_f32_e32 v35, 1.0, v80
	v_add_f32_e32 v48, -1.0, v35
	v_sub_f32_e32 v49, v48, v35
	v_add_f32_e32 v49, 1.0, v49
	v_sub_f32_e32 v48, v80, v48
	v_add_f32_e32 v50, v48, v49
	v_frexp_mant_f32_e32 v51, v35
	s_mov_b32 s16, 0x3f2aaaab
	v_cvt_f64_f32_e32 v[48:49], v35
	v_frexp_exp_i32_f64_e32 v48, v[48:49]
	v_cmp_gt_f32_e64 s[16:17], s16, v51
	v_subbrev_co_u32_e64 v64, s[16:17], 0, v48, s[16:17]
	v_sub_u32_e32 v48, 0, v64
	v_ldexp_f32 v35, v35, v48
	v_ldexp_f32 v48, v50, v48
	v_add_f32_e32 v50, -1.0, v35
	v_add_f32_e32 v49, 1.0, v50
	v_sub_f32_e32 v49, v35, v49
	v_add_f32_e32 v51, v48, v49
	v_add_f32_e32 v49, 1.0, v35
	v_add_f32_e32 v52, -1.0, v49
	v_sub_f32_e32 v35, v35, v52
	v_add_f32_e32 v35, v48, v35
	v_add_f32_e32 v65, v49, v35
	v_rcp_f32_e32 v66, v65
	v_sub_f32_e32 v48, v49, v65
	v_add_f32_e32 v49, v50, v51
	v_add_f32_e32 v35, v35, v48
	v_mul_f32_e32 v68, v49, v66
	v_sub_f32_e32 v48, v50, v49
	v_mul_f32_e32 v50, v65, v68
	v_fma_f32 v52, v68, v65, -v50
	v_fmac_f32_e32 v52, v68, v35
	v_add_f32_e32 v67, v51, v48
	v_add_f32_e32 v48, v50, v52
	v_sub_f32_e32 v51, v49, v48
	v_pk_add_f32 v[54:55], v[48:49], v[50:51] neg_lo:[0,1] neg_hi:[0,1]
	v_mov_b32_e32 v53, v48
	v_pk_add_f32 v[48:49], v[54:55], v[52:53] neg_lo:[0,1] neg_hi:[0,1]
	v_add_f32_e32 v49, v67, v49
	v_add_f32_e32 v48, v48, v49
	v_add_f32_e32 v49, v51, v48
	v_mul_f32_e32 v67, v66, v49
	v_mul_f32_e32 v50, v65, v67
	v_fma_f32 v52, v67, v65, -v50
	v_fmac_f32_e32 v52, v67, v35
	v_sub_f32_e32 v35, v51, v49
	v_add_f32_e32 v35, v48, v35
	v_add_f32_e32 v48, v50, v52
	v_sub_f32_e32 v51, v49, v48
	v_pk_add_f32 v[54:55], v[48:49], v[50:51] neg_lo:[0,1] neg_hi:[0,1]
	v_mov_b32_e32 v53, v48
	v_pk_add_f32 v[48:49], v[54:55], v[52:53] neg_lo:[0,1] neg_hi:[0,1]
	v_add_f32_e32 v35, v35, v49
	v_add_f32_e32 v35, v48, v35
	;; [unrolled: 1-line block ×4, first 2 shown]
	v_sub_f32_e32 v49, v48, v68
	v_mul_f32_e32 v35, v66, v35
	v_sub_f32_e32 v49, v67, v49
	v_add_f32_e32 v35, v49, v35
	v_add_f32_e32 v51, v48, v35
	v_mul_f32_e32 v52, v51, v51
	v_mov_b32_e32 v50, 0x3ecc95a3
	v_fmac_f32_e32 v50, 0x3e9b6dac, v52
	v_mov_b32_e32 v49, 0x3f2aaada
	v_fmac_f32_e32 v49, v52, v50
	v_cvt_f32_i32_e32 v50, v64
	v_sub_f32_e32 v48, v51, v48
	v_sub_f32_e32 v35, v35, v48
	v_ldexp_f32 v53, v51, 1
	v_mul_f32_e32 v51, v51, v52
	v_mov_b32_e32 v48, 0x3f317218
	s_mov_b32 s16, 0x3f317218
	v_pk_mul_f32 v[48:49], v[50:51], v[48:49]
	v_fma_f32 v52, v50, s16, -v48
	v_fmac_f32_e32 v52, 0xb102e308, v50
	v_pk_add_f32 v[50:51], v[48:49], v[52:53]
	v_sub_f32_e32 v53, v51, v53
	v_ldexp_f32 v35, v35, 1
	v_sub_f32_e32 v53, v49, v53
	v_add_f32_e32 v55, v35, v53
	v_mov_b32_e32 v54, v48
	v_pk_add_f32 v[48:49], v[50:51], v[48:49] neg_lo:[0,1] neg_hi:[0,1]
	v_pk_add_f32 v[64:65], v[50:51], v[54:55]
	v_mov_b32_e32 v49, v65
	v_mov_b32_e32 v53, v50
	v_pk_add_f32 v[66:67], v[52:53], v[48:49] neg_lo:[0,1] neg_hi:[0,1]
	v_pk_add_f32 v[48:49], v[52:53], v[48:49]
	v_mov_b32_e32 v52, v49
	v_pk_add_f32 v[68:69], v[52:53], v[50:51] neg_lo:[0,1] neg_hi:[0,1]
	v_mov_b32_e32 v35, v68
	v_pk_add_f32 v[70:71], v[64:65], v[34:35] neg_lo:[0,1] neg_hi:[0,1]
	v_mov_b32_e32 v48, v65
	v_mov_b32_e32 v64, v51
	;; [unrolled: 1-line block ×4, first 2 shown]
	v_pk_add_f32 v[48:49], v[48:49], v[64:65] neg_lo:[0,1] neg_hi:[0,1]
	v_mov_b32_e32 v54, v55
	v_mov_b32_e32 v55, v50
	v_pk_add_f32 v[48:49], v[54:55], v[48:49] neg_lo:[0,1] neg_hi:[0,1]
	v_mov_b32_e32 v70, v66
	v_pk_add_f32 v[50:51], v[70:71], v[48:49]
	v_mov_b32_e32 v54, v51
	v_pk_add_f32 v[54:55], v[50:51], v[54:55]
	v_pk_add_f32 v[52:53], v[52:53], v[54:55]
	v_mov_b32_e32 v51, v52
	v_pk_add_f32 v[64:65], v[50:51], v[66:67] neg_lo:[0,1] neg_hi:[0,1]
	v_mov_b32_e32 v49, v54
	v_sub_f32_e32 v35, v50, v64
	v_pk_add_f32 v[48:49], v[48:49], v[64:65] neg_lo:[0,1] neg_hi:[0,1]
	v_sub_f32_e32 v35, v66, v35
	v_add_f32_e32 v35, v48, v35
	v_cmp_eq_f32_e64 s[16:17], s21, v80
	s_mov_b32 s21, 0x33800000
	v_add_f32_e32 v35, v35, v49
	v_cmp_lt_f32_e64 s[22:23], |v80|, s21
	v_add_f32_e32 v35, v52, v35
	s_or_b64 s[16:17], s[16:17], s[22:23]
	v_cndmask_b32_e64 v35, v35, v80, s[16:17]
	v_add_f32_e32 v48, v22, v35
.LBB444_264:
	s_or_b64 exec, exec, s[18:19]
	v_bfe_u32 v22, v48, 16, 1
	s_movk_i32 s22, 0x7fff
	v_add3_u32 v22, v48, v22, s22
	v_and_b32_e32 v22, 0xffff0000, v22
	v_mov_b32_e32 v35, 0x7fc00000
	v_cmp_o_f32_e64 s[16:17], v48, v48
	v_cndmask_b32_e64 v49, v35, v22, s[16:17]
	v_lshlrev_b32_sdwa v22, v34, v23 dst_sel:DWORD dst_unused:UNUSED_PAD src0_sel:DWORD src1_sel:WORD_0
	v_max_f32_e32 v48, v49, v49
	v_max_f32_e32 v34, v22, v22
	v_min_f32_e32 v50, v48, v34
	v_cmp_u_f32_e64 s[18:19], v49, v49
	v_max_f32_e32 v48, v48, v34
	v_cndmask_b32_e64 v50, v50, v49, s[18:19]
	v_cmp_u_f32_e64 s[16:17], v22, v22
	v_cndmask_b32_e64 v48, v48, v49, s[18:19]
	v_cndmask_b32_e64 v50, v50, v22, s[16:17]
	;; [unrolled: 1-line block ×3, first 2 shown]
	v_cmp_neq_f32_e64 s[18:19], v50, v48
	v_cmp_class_f32_e64 s[20:21], v50, s20
	s_or_b64 s[18:19], s[18:19], s[20:21]
	s_and_saveexec_b64 s[20:21], s[18:19]
	s_cbranch_execz .LBB444_266
; %bb.265:
	v_sub_f32_e32 v49, v50, v48
	s_mov_b32 s18, 0x3fb8aa3b
	v_mul_f32_e32 v50, 0x3fb8aa3b, v49
	v_fma_f32 v51, v49, s18, -v50
	v_rndne_f32_e32 v52, v50
	v_fmac_f32_e32 v51, 0x32a5705f, v49
	v_sub_f32_e32 v50, v50, v52
	v_add_f32_e32 v50, v50, v51
	v_exp_f32_e32 v50, v50
	v_cvt_i32_f32_e32 v51, v52
	s_mov_b32 s18, 0xc2ce8ed0
	v_cmp_ngt_f32_e64 s[18:19], s18, v49
	s_mov_b32 s23, 0x7f800000
	v_ldexp_f32 v50, v50, v51
	v_cndmask_b32_e64 v50, 0, v50, s[18:19]
	s_mov_b32 s18, 0x42b17218
	v_mov_b32_e32 v51, 0x7f800000
	v_cmp_nlt_f32_e64 s[18:19], s18, v49
	v_cndmask_b32_e64 v82, v51, v50, s[18:19]
	v_add_f32_e32 v49, 1.0, v82
	v_add_f32_e32 v50, -1.0, v49
	v_sub_f32_e32 v51, v50, v49
	v_add_f32_e32 v51, 1.0, v51
	v_sub_f32_e32 v50, v82, v50
	v_add_f32_e32 v52, v50, v51
	v_frexp_mant_f32_e32 v53, v49
	s_mov_b32 s18, 0x3f2aaaab
	v_cvt_f64_f32_e32 v[50:51], v49
	v_frexp_exp_i32_f64_e32 v50, v[50:51]
	v_cmp_gt_f32_e64 s[18:19], s18, v53
	v_subbrev_co_u32_e64 v66, s[18:19], 0, v50, s[18:19]
	v_sub_u32_e32 v50, 0, v66
	v_ldexp_f32 v49, v49, v50
	v_ldexp_f32 v50, v52, v50
	v_add_f32_e32 v52, -1.0, v49
	v_add_f32_e32 v51, 1.0, v52
	v_sub_f32_e32 v51, v49, v51
	v_add_f32_e32 v53, v50, v51
	v_add_f32_e32 v51, 1.0, v49
	v_add_f32_e32 v54, -1.0, v51
	v_sub_f32_e32 v49, v49, v54
	v_add_f32_e32 v49, v50, v49
	v_add_f32_e32 v67, v51, v49
	v_rcp_f32_e32 v68, v67
	v_sub_f32_e32 v50, v51, v67
	v_add_f32_e32 v51, v52, v53
	v_add_f32_e32 v49, v49, v50
	v_mul_f32_e32 v70, v51, v68
	v_sub_f32_e32 v50, v52, v51
	v_mul_f32_e32 v52, v67, v70
	v_fma_f32 v54, v70, v67, -v52
	v_fmac_f32_e32 v54, v70, v49
	v_add_f32_e32 v69, v53, v50
	v_add_f32_e32 v50, v52, v54
	v_sub_f32_e32 v53, v51, v50
	v_pk_add_f32 v[64:65], v[50:51], v[52:53] neg_lo:[0,1] neg_hi:[0,1]
	v_mov_b32_e32 v55, v50
	v_pk_add_f32 v[50:51], v[64:65], v[54:55] neg_lo:[0,1] neg_hi:[0,1]
	v_add_f32_e32 v51, v69, v51
	v_add_f32_e32 v50, v50, v51
	;; [unrolled: 1-line block ×3, first 2 shown]
	v_mul_f32_e32 v69, v68, v51
	v_mul_f32_e32 v52, v67, v69
	v_fma_f32 v54, v69, v67, -v52
	v_fmac_f32_e32 v54, v69, v49
	v_sub_f32_e32 v49, v53, v51
	v_add_f32_e32 v49, v50, v49
	v_add_f32_e32 v50, v52, v54
	v_sub_f32_e32 v53, v51, v50
	v_pk_add_f32 v[64:65], v[50:51], v[52:53] neg_lo:[0,1] neg_hi:[0,1]
	v_mov_b32_e32 v55, v50
	v_pk_add_f32 v[50:51], v[64:65], v[54:55] neg_lo:[0,1] neg_hi:[0,1]
	v_add_f32_e32 v49, v49, v51
	v_add_f32_e32 v49, v50, v49
	v_add_f32_e32 v50, v70, v69
	v_add_f32_e32 v49, v53, v49
	v_sub_f32_e32 v51, v50, v70
	v_mul_f32_e32 v49, v68, v49
	v_sub_f32_e32 v51, v69, v51
	v_add_f32_e32 v49, v51, v49
	v_add_f32_e32 v53, v50, v49
	v_mul_f32_e32 v54, v53, v53
	v_mov_b32_e32 v52, 0x3ecc95a3
	v_fmac_f32_e32 v52, 0x3e9b6dac, v54
	v_mov_b32_e32 v51, 0x3f2aaada
	v_fmac_f32_e32 v51, v54, v52
	v_cvt_f32_i32_e32 v52, v66
	v_sub_f32_e32 v50, v53, v50
	v_sub_f32_e32 v49, v49, v50
	v_ldexp_f32 v55, v53, 1
	v_mul_f32_e32 v53, v53, v54
	v_mov_b32_e32 v50, 0x3f317218
	s_mov_b32 s18, 0x3f317218
	v_pk_mul_f32 v[50:51], v[52:53], v[50:51]
	v_fma_f32 v54, v52, s18, -v50
	v_fmac_f32_e32 v54, 0xb102e308, v52
	v_pk_add_f32 v[52:53], v[50:51], v[54:55]
	v_sub_f32_e32 v55, v53, v55
	v_ldexp_f32 v49, v49, 1
	v_sub_f32_e32 v55, v51, v55
	v_add_f32_e32 v65, v49, v55
	v_mov_b32_e32 v64, v50
	v_pk_add_f32 v[50:51], v[52:53], v[50:51] neg_lo:[0,1] neg_hi:[0,1]
	v_pk_add_f32 v[66:67], v[52:53], v[64:65]
	v_mov_b32_e32 v51, v67
	v_mov_b32_e32 v55, v52
	v_pk_add_f32 v[68:69], v[54:55], v[50:51] neg_lo:[0,1] neg_hi:[0,1]
	v_pk_add_f32 v[50:51], v[54:55], v[50:51]
	v_mov_b32_e32 v54, v51
	v_pk_add_f32 v[70:71], v[54:55], v[52:53] neg_lo:[0,1] neg_hi:[0,1]
	v_mov_b32_e32 v49, v70
	v_pk_add_f32 v[80:81], v[66:67], v[48:49] neg_lo:[0,1] neg_hi:[0,1]
	v_mov_b32_e32 v50, v67
	v_mov_b32_e32 v66, v53
	;; [unrolled: 1-line block ×4, first 2 shown]
	v_pk_add_f32 v[50:51], v[50:51], v[66:67] neg_lo:[0,1] neg_hi:[0,1]
	v_mov_b32_e32 v64, v65
	v_mov_b32_e32 v65, v52
	v_pk_add_f32 v[50:51], v[64:65], v[50:51] neg_lo:[0,1] neg_hi:[0,1]
	v_mov_b32_e32 v80, v68
	v_pk_add_f32 v[52:53], v[80:81], v[50:51]
	v_mov_b32_e32 v64, v53
	v_pk_add_f32 v[64:65], v[52:53], v[64:65]
	v_pk_add_f32 v[54:55], v[54:55], v[64:65]
	v_mov_b32_e32 v53, v54
	v_pk_add_f32 v[66:67], v[52:53], v[68:69] neg_lo:[0,1] neg_hi:[0,1]
	v_mov_b32_e32 v51, v64
	v_sub_f32_e32 v49, v52, v66
	v_pk_add_f32 v[50:51], v[50:51], v[66:67] neg_lo:[0,1] neg_hi:[0,1]
	v_sub_f32_e32 v49, v68, v49
	v_add_f32_e32 v49, v50, v49
	v_cmp_eq_f32_e64 s[18:19], s23, v82
	s_mov_b32 s23, 0x33800000
	v_add_f32_e32 v49, v49, v51
	v_cmp_lt_f32_e64 s[24:25], |v82|, s23
	v_add_f32_e32 v49, v54, v49
	s_or_b64 s[18:19], s[18:19], s[24:25]
	v_cndmask_b32_e64 v49, v49, v82, s[18:19]
	v_add_f32_e32 v49, v48, v49
.LBB444_266:
	s_or_b64 exec, exec, s[20:21]
	v_bfe_u32 v48, v49, 16, 1
	v_add3_u32 v48, v49, v48, s22
	v_and_b32_e32 v48, 0xffff0000, v48
	v_cmp_o_f32_e64 s[18:19], v49, v49
	v_cndmask_b32_e64 v50, v35, v48, s[18:19]
	v_mov_b32_e32 v48, 16
	v_lshlrev_b32_sdwa v23, v48, v23 dst_sel:DWORD dst_unused:UNUSED_PAD src0_sel:DWORD src1_sel:WORD_1
	v_max_f32_e32 v49, v50, v50
	v_max_f32_e32 v35, v23, v23
	v_min_f32_e32 v51, v49, v35
	v_cmp_u_f32_e64 s[20:21], v50, v50
	v_max_f32_e32 v49, v49, v35
	v_cndmask_b32_e64 v51, v51, v50, s[20:21]
	v_cmp_u_f32_e64 s[18:19], v23, v23
	v_cndmask_b32_e64 v49, v49, v50, s[20:21]
	v_cndmask_b32_e64 v51, v51, v23, s[18:19]
	;; [unrolled: 1-line block ×3, first 2 shown]
	s_movk_i32 s24, 0x1f8
	v_cmp_neq_f32_e64 s[20:21], v51, v49
	v_cmp_class_f32_e64 s[22:23], v51, s24
	s_or_b64 s[20:21], s[20:21], s[22:23]
	s_and_saveexec_b64 s[22:23], s[20:21]
	s_cbranch_execz .LBB444_268
; %bb.267:
	v_sub_f32_e32 v50, v51, v49
	s_mov_b32 s20, 0x3fb8aa3b
	v_mul_f32_e32 v51, 0x3fb8aa3b, v50
	v_fma_f32 v52, v50, s20, -v51
	v_rndne_f32_e32 v53, v51
	v_fmac_f32_e32 v52, 0x32a5705f, v50
	v_sub_f32_e32 v51, v51, v53
	v_add_f32_e32 v51, v51, v52
	v_exp_f32_e32 v51, v51
	v_cvt_i32_f32_e32 v52, v53
	s_mov_b32 s20, 0xc2ce8ed0
	v_cmp_ngt_f32_e64 s[20:21], s20, v50
	s_mov_b32 s25, 0x7f800000
	v_ldexp_f32 v51, v51, v52
	v_cndmask_b32_e64 v51, 0, v51, s[20:21]
	s_mov_b32 s20, 0x42b17218
	v_mov_b32_e32 v52, 0x7f800000
	v_cmp_nlt_f32_e64 s[20:21], s20, v50
	v_cndmask_b32_e64 v82, v52, v51, s[20:21]
	v_add_f32_e32 v52, 1.0, v82
	v_add_f32_e32 v50, -1.0, v52
	v_sub_f32_e32 v51, v50, v52
	v_add_f32_e32 v51, 1.0, v51
	v_sub_f32_e32 v50, v82, v50
	v_add_f32_e32 v53, v50, v51
	v_frexp_mant_f32_e32 v54, v52
	s_mov_b32 s20, 0x3f2aaaab
	v_cvt_f64_f32_e32 v[50:51], v52
	v_frexp_exp_i32_f64_e32 v50, v[50:51]
	v_cmp_gt_f32_e64 s[20:21], s20, v54
	v_subbrev_co_u32_e64 v66, s[20:21], 0, v50, s[20:21]
	v_sub_u32_e32 v50, 0, v66
	v_ldexp_f32 v51, v52, v50
	v_add_f32_e32 v52, -1.0, v51
	v_add_f32_e32 v54, 1.0, v51
	v_ldexp_f32 v50, v53, v50
	v_add_f32_e32 v53, 1.0, v52
	v_add_f32_e32 v55, -1.0, v54
	v_sub_f32_e32 v53, v51, v53
	v_sub_f32_e32 v51, v51, v55
	v_add_f32_e32 v53, v50, v53
	v_add_f32_e32 v50, v50, v51
	;; [unrolled: 1-line block ×3, first 2 shown]
	v_rcp_f32_e32 v69, v67
	v_sub_f32_e32 v51, v54, v67
	v_add_f32_e32 v68, v50, v51
	v_add_f32_e32 v51, v52, v53
	v_mul_f32_e32 v71, v51, v69
	v_sub_f32_e32 v50, v52, v51
	v_mul_f32_e32 v52, v67, v71
	v_fma_f32 v54, v71, v67, -v52
	v_fmac_f32_e32 v54, v71, v68
	v_add_f32_e32 v70, v53, v50
	v_add_f32_e32 v50, v52, v54
	v_sub_f32_e32 v53, v51, v50
	v_pk_add_f32 v[64:65], v[50:51], v[52:53] neg_lo:[0,1] neg_hi:[0,1]
	v_mov_b32_e32 v55, v50
	v_pk_add_f32 v[50:51], v[64:65], v[54:55] neg_lo:[0,1] neg_hi:[0,1]
	v_add_f32_e32 v51, v70, v51
	v_add_f32_e32 v50, v50, v51
	;; [unrolled: 1-line block ×3, first 2 shown]
	v_mul_f32_e32 v70, v69, v51
	v_mul_f32_e32 v52, v67, v70
	v_fma_f32 v54, v70, v67, -v52
	v_fmac_f32_e32 v54, v70, v68
	v_sub_f32_e32 v53, v53, v51
	v_add_f32_e32 v67, v50, v53
	v_add_f32_e32 v50, v52, v54
	v_sub_f32_e32 v53, v51, v50
	v_pk_add_f32 v[64:65], v[50:51], v[52:53] neg_lo:[0,1] neg_hi:[0,1]
	v_mov_b32_e32 v55, v50
	v_pk_add_f32 v[50:51], v[64:65], v[54:55] neg_lo:[0,1] neg_hi:[0,1]
	v_add_f32_e32 v51, v67, v51
	v_add_f32_e32 v50, v50, v51
	;; [unrolled: 1-line block ×4, first 2 shown]
	v_sub_f32_e32 v51, v53, v71
	v_mul_f32_e32 v50, v69, v50
	v_sub_f32_e32 v51, v70, v51
	v_add_f32_e32 v50, v51, v50
	v_add_f32_e32 v54, v53, v50
	v_mul_f32_e32 v64, v54, v54
	v_mov_b32_e32 v52, 0x3ecc95a3
	v_fmac_f32_e32 v52, 0x3e9b6dac, v64
	v_mov_b32_e32 v51, 0x3f2aaada
	v_fmac_f32_e32 v51, v64, v52
	v_cvt_f32_i32_e32 v52, v66
	v_sub_f32_e32 v53, v54, v53
	v_sub_f32_e32 v50, v50, v53
	v_ldexp_f32 v65, v50, 1
	v_mul_f32_e32 v53, v54, v64
	v_mov_b32_e32 v50, 0x3f317218
	s_mov_b32 s20, 0x3f317218
	v_pk_mul_f32 v[50:51], v[52:53], v[50:51]
	v_ldexp_f32 v55, v54, 1
	v_fma_f32 v54, v52, s20, -v50
	v_fmac_f32_e32 v54, 0xb102e308, v52
	v_pk_add_f32 v[52:53], v[50:51], v[54:55]
	v_sub_f32_e32 v55, v53, v55
	v_sub_f32_e32 v55, v51, v55
	v_add_f32_e32 v65, v65, v55
	v_mov_b32_e32 v64, v50
	v_pk_add_f32 v[50:51], v[52:53], v[50:51] neg_lo:[0,1] neg_hi:[0,1]
	v_pk_add_f32 v[66:67], v[52:53], v[64:65]
	v_mov_b32_e32 v51, v67
	v_mov_b32_e32 v55, v52
	v_pk_add_f32 v[68:69], v[54:55], v[50:51] neg_lo:[0,1] neg_hi:[0,1]
	v_pk_add_f32 v[50:51], v[54:55], v[50:51]
	v_mov_b32_e32 v54, v51
	v_pk_add_f32 v[70:71], v[54:55], v[52:53] neg_lo:[0,1] neg_hi:[0,1]
	v_mov_b32_e32 v55, v70
	v_pk_add_f32 v[80:81], v[66:67], v[54:55] neg_lo:[0,1] neg_hi:[0,1]
	v_mov_b32_e32 v50, v67
	v_mov_b32_e32 v66, v53
	;; [unrolled: 1-line block ×4, first 2 shown]
	v_pk_add_f32 v[50:51], v[50:51], v[66:67] neg_lo:[0,1] neg_hi:[0,1]
	v_mov_b32_e32 v64, v65
	v_mov_b32_e32 v65, v52
	v_pk_add_f32 v[50:51], v[64:65], v[50:51] neg_lo:[0,1] neg_hi:[0,1]
	v_mov_b32_e32 v80, v68
	v_pk_add_f32 v[52:53], v[80:81], v[50:51]
	v_mov_b32_e32 v64, v53
	v_pk_add_f32 v[64:65], v[52:53], v[64:65]
	v_pk_add_f32 v[54:55], v[54:55], v[64:65]
	v_mov_b32_e32 v53, v54
	v_pk_add_f32 v[66:67], v[52:53], v[68:69] neg_lo:[0,1] neg_hi:[0,1]
	v_mov_b32_e32 v51, v64
	v_sub_f32_e32 v52, v52, v66
	v_pk_add_f32 v[50:51], v[50:51], v[66:67] neg_lo:[0,1] neg_hi:[0,1]
	v_sub_f32_e32 v52, v68, v52
	v_add_f32_e32 v50, v50, v52
	v_cmp_eq_f32_e64 s[20:21], s25, v82
	s_mov_b32 s25, 0x33800000
	v_add_f32_e32 v50, v50, v51
	v_cmp_lt_f32_e64 s[26:27], |v82|, s25
	v_add_f32_e32 v50, v54, v50
	s_or_b64 s[20:21], s[20:21], s[26:27]
	v_cndmask_b32_e64 v50, v50, v82, s[20:21]
	v_add_f32_e32 v50, v49, v50
.LBB444_268:
	s_or_b64 exec, exec, s[22:23]
	v_bfe_u32 v49, v50, 16, 1
	s_movk_i32 s26, 0x7fff
	v_add3_u32 v49, v50, v49, s26
	v_and_b32_e32 v51, 0xffff0000, v49
	v_mov_b32_e32 v49, 0x7fc00000
	v_cmp_o_f32_e64 s[20:21], v50, v50
	v_cndmask_b32_e64 v52, v49, v51, s[20:21]
	v_lshlrev_b32_sdwa v48, v48, v16 dst_sel:DWORD dst_unused:UNUSED_PAD src0_sel:DWORD src1_sel:WORD_0
	v_max_f32_e32 v51, v52, v52
	v_max_f32_e32 v50, v48, v48
	v_min_f32_e32 v53, v51, v50
	v_cmp_u_f32_e64 s[22:23], v52, v52
	v_max_f32_e32 v51, v51, v50
	v_cndmask_b32_e64 v53, v53, v52, s[22:23]
	v_cmp_u_f32_e64 s[20:21], v48, v48
	v_cndmask_b32_e64 v51, v51, v52, s[22:23]
	v_cndmask_b32_e64 v53, v53, v48, s[20:21]
	v_cndmask_b32_e64 v51, v51, v48, s[20:21]
	v_cmp_neq_f32_e64 s[22:23], v53, v51
	v_cmp_class_f32_e64 s[24:25], v53, s24
	s_or_b64 s[22:23], s[22:23], s[24:25]
	s_and_saveexec_b64 s[24:25], s[22:23]
	s_cbranch_execz .LBB444_270
; %bb.269:
	v_sub_f32_e32 v52, v53, v51
	s_mov_b32 s22, 0x3fb8aa3b
	v_mul_f32_e32 v53, 0x3fb8aa3b, v52
	v_fma_f32 v54, v52, s22, -v53
	v_rndne_f32_e32 v55, v53
	v_fmac_f32_e32 v54, 0x32a5705f, v52
	v_sub_f32_e32 v53, v53, v55
	v_add_f32_e32 v53, v53, v54
	v_exp_f32_e32 v53, v53
	v_cvt_i32_f32_e32 v54, v55
	s_mov_b32 s22, 0xc2ce8ed0
	v_cmp_ngt_f32_e64 s[22:23], s22, v52
	s_mov_b32 s27, 0x7f800000
	v_ldexp_f32 v53, v53, v54
	v_cndmask_b32_e64 v53, 0, v53, s[22:23]
	s_mov_b32 s22, 0x42b17218
	v_mov_b32_e32 v54, 0x7f800000
	v_cmp_nlt_f32_e64 s[22:23], s22, v52
	v_cndmask_b32_e64 v84, v54, v53, s[22:23]
	v_add_f32_e32 v54, 1.0, v84
	v_add_f32_e32 v52, -1.0, v54
	v_sub_f32_e32 v53, v52, v54
	v_add_f32_e32 v53, 1.0, v53
	v_sub_f32_e32 v52, v84, v52
	v_add_f32_e32 v55, v52, v53
	v_frexp_mant_f32_e32 v64, v54
	s_mov_b32 s22, 0x3f2aaaab
	v_cvt_f64_f32_e32 v[52:53], v54
	v_frexp_exp_i32_f64_e32 v52, v[52:53]
	v_cmp_gt_f32_e64 s[22:23], s22, v64
	v_subbrev_co_u32_e64 v68, s[22:23], 0, v52, s[22:23]
	v_sub_u32_e32 v52, 0, v68
	v_ldexp_f32 v53, v54, v52
	v_add_f32_e32 v54, -1.0, v53
	v_add_f32_e32 v64, 1.0, v53
	v_ldexp_f32 v52, v55, v52
	v_add_f32_e32 v55, 1.0, v54
	v_add_f32_e32 v65, -1.0, v64
	v_sub_f32_e32 v55, v53, v55
	v_sub_f32_e32 v53, v53, v65
	v_add_f32_e32 v55, v52, v55
	v_add_f32_e32 v52, v52, v53
	;; [unrolled: 1-line block ×3, first 2 shown]
	v_rcp_f32_e32 v71, v69
	v_sub_f32_e32 v53, v64, v69
	v_add_f32_e32 v70, v52, v53
	v_add_f32_e32 v53, v54, v55
	v_mul_f32_e32 v81, v53, v71
	v_sub_f32_e32 v52, v54, v53
	v_mul_f32_e32 v54, v69, v81
	v_fma_f32 v64, v81, v69, -v54
	v_fmac_f32_e32 v64, v81, v70
	v_add_f32_e32 v80, v55, v52
	v_add_f32_e32 v52, v54, v64
	v_sub_f32_e32 v55, v53, v52
	v_pk_add_f32 v[66:67], v[52:53], v[54:55] neg_lo:[0,1] neg_hi:[0,1]
	v_mov_b32_e32 v65, v52
	v_pk_add_f32 v[52:53], v[66:67], v[64:65] neg_lo:[0,1] neg_hi:[0,1]
	v_add_f32_e32 v53, v80, v53
	v_add_f32_e32 v52, v52, v53
	;; [unrolled: 1-line block ×3, first 2 shown]
	v_mul_f32_e32 v80, v71, v53
	v_mul_f32_e32 v54, v69, v80
	v_fma_f32 v64, v80, v69, -v54
	v_fmac_f32_e32 v64, v80, v70
	v_sub_f32_e32 v55, v55, v53
	v_add_f32_e32 v69, v52, v55
	v_add_f32_e32 v52, v54, v64
	v_sub_f32_e32 v55, v53, v52
	v_pk_add_f32 v[66:67], v[52:53], v[54:55] neg_lo:[0,1] neg_hi:[0,1]
	v_mov_b32_e32 v65, v52
	v_pk_add_f32 v[52:53], v[66:67], v[64:65] neg_lo:[0,1] neg_hi:[0,1]
	v_add_f32_e32 v53, v69, v53
	v_add_f32_e32 v52, v52, v53
	;; [unrolled: 1-line block ×4, first 2 shown]
	v_sub_f32_e32 v53, v55, v81
	v_mul_f32_e32 v52, v71, v52
	v_sub_f32_e32 v53, v80, v53
	v_add_f32_e32 v52, v53, v52
	v_add_f32_e32 v64, v55, v52
	v_mul_f32_e32 v66, v64, v64
	v_mov_b32_e32 v54, 0x3ecc95a3
	v_fmac_f32_e32 v54, 0x3e9b6dac, v66
	v_mov_b32_e32 v53, 0x3f2aaada
	v_fmac_f32_e32 v53, v66, v54
	v_cvt_f32_i32_e32 v54, v68
	v_sub_f32_e32 v55, v64, v55
	v_sub_f32_e32 v52, v52, v55
	v_ldexp_f32 v67, v52, 1
	v_mul_f32_e32 v55, v64, v66
	v_mov_b32_e32 v52, 0x3f317218
	s_mov_b32 s22, 0x3f317218
	v_pk_mul_f32 v[52:53], v[54:55], v[52:53]
	v_ldexp_f32 v65, v64, 1
	v_fma_f32 v64, v54, s22, -v52
	v_fmac_f32_e32 v64, 0xb102e308, v54
	v_pk_add_f32 v[54:55], v[52:53], v[64:65]
	v_sub_f32_e32 v65, v55, v65
	v_sub_f32_e32 v65, v53, v65
	v_add_f32_e32 v67, v67, v65
	v_mov_b32_e32 v66, v52
	v_pk_add_f32 v[52:53], v[54:55], v[52:53] neg_lo:[0,1] neg_hi:[0,1]
	v_pk_add_f32 v[68:69], v[54:55], v[66:67]
	v_mov_b32_e32 v53, v69
	v_mov_b32_e32 v65, v54
	v_pk_add_f32 v[70:71], v[64:65], v[52:53] neg_lo:[0,1] neg_hi:[0,1]
	v_pk_add_f32 v[52:53], v[64:65], v[52:53]
	v_mov_b32_e32 v64, v53
	v_pk_add_f32 v[80:81], v[64:65], v[54:55] neg_lo:[0,1] neg_hi:[0,1]
	v_mov_b32_e32 v65, v80
	v_pk_add_f32 v[82:83], v[68:69], v[64:65] neg_lo:[0,1] neg_hi:[0,1]
	v_mov_b32_e32 v52, v69
	v_mov_b32_e32 v68, v55
	;; [unrolled: 1-line block ×4, first 2 shown]
	v_pk_add_f32 v[52:53], v[52:53], v[68:69] neg_lo:[0,1] neg_hi:[0,1]
	v_mov_b32_e32 v66, v67
	v_mov_b32_e32 v67, v54
	v_pk_add_f32 v[52:53], v[66:67], v[52:53] neg_lo:[0,1] neg_hi:[0,1]
	v_mov_b32_e32 v82, v70
	v_pk_add_f32 v[54:55], v[82:83], v[52:53]
	v_mov_b32_e32 v66, v55
	v_pk_add_f32 v[66:67], v[54:55], v[66:67]
	v_pk_add_f32 v[64:65], v[64:65], v[66:67]
	v_mov_b32_e32 v55, v64
	v_pk_add_f32 v[68:69], v[54:55], v[70:71] neg_lo:[0,1] neg_hi:[0,1]
	v_mov_b32_e32 v53, v66
	v_sub_f32_e32 v54, v54, v68
	v_pk_add_f32 v[52:53], v[52:53], v[68:69] neg_lo:[0,1] neg_hi:[0,1]
	v_sub_f32_e32 v54, v70, v54
	v_add_f32_e32 v52, v52, v54
	v_cmp_eq_f32_e64 s[22:23], s27, v84
	s_mov_b32 s27, 0x33800000
	v_add_f32_e32 v52, v52, v53
	v_cmp_lt_f32_e64 s[28:29], |v84|, s27
	v_add_f32_e32 v52, v64, v52
	s_or_b64 s[22:23], s[22:23], s[28:29]
	v_cndmask_b32_e64 v52, v52, v84, s[22:23]
	v_add_f32_e32 v52, v51, v52
.LBB444_270:
	s_or_b64 exec, exec, s[24:25]
	v_bfe_u32 v51, v52, 16, 1
	v_add3_u32 v51, v52, v51, s26
	v_and_b32_e32 v51, 0xffff0000, v51
	v_cmp_o_f32_e64 s[22:23], v52, v52
	v_cndmask_b32_e64 v53, v49, v51, s[22:23]
	v_mov_b32_e32 v49, 16
	v_lshlrev_b32_sdwa v16, v49, v16 dst_sel:DWORD dst_unused:UNUSED_PAD src0_sel:DWORD src1_sel:WORD_1
	v_max_f32_e32 v52, v53, v53
	v_max_f32_e32 v51, v16, v16
	v_min_f32_e32 v54, v52, v51
	v_cmp_u_f32_e64 s[24:25], v53, v53
	v_max_f32_e32 v52, v52, v51
	v_cndmask_b32_e64 v54, v54, v53, s[24:25]
	v_cmp_u_f32_e64 s[22:23], v16, v16
	v_cndmask_b32_e64 v52, v52, v53, s[24:25]
	v_cndmask_b32_e64 v54, v54, v16, s[22:23]
	;; [unrolled: 1-line block ×3, first 2 shown]
	s_movk_i32 s28, 0x1f8
	v_cmp_neq_f32_e64 s[24:25], v54, v52
	v_cmp_class_f32_e64 s[26:27], v54, s28
	s_or_b64 s[24:25], s[24:25], s[26:27]
	s_and_saveexec_b64 s[26:27], s[24:25]
	s_cbranch_execz .LBB444_272
; %bb.271:
	v_sub_f32_e32 v53, v54, v52
	s_mov_b32 s24, 0x3fb8aa3b
	v_mul_f32_e32 v54, 0x3fb8aa3b, v53
	v_fma_f32 v55, v53, s24, -v54
	v_rndne_f32_e32 v64, v54
	v_fmac_f32_e32 v55, 0x32a5705f, v53
	v_sub_f32_e32 v54, v54, v64
	v_add_f32_e32 v54, v54, v55
	v_exp_f32_e32 v54, v54
	v_cvt_i32_f32_e32 v55, v64
	s_mov_b32 s24, 0xc2ce8ed0
	v_cmp_ngt_f32_e64 s[24:25], s24, v53
	s_mov_b32 s29, 0x7f800000
	v_ldexp_f32 v54, v54, v55
	v_cndmask_b32_e64 v54, 0, v54, s[24:25]
	s_mov_b32 s24, 0x42b17218
	v_mov_b32_e32 v55, 0x7f800000
	v_cmp_nlt_f32_e64 s[24:25], s24, v53
	v_cndmask_b32_e64 v86, v55, v54, s[24:25]
	v_add_f32_e32 v53, 1.0, v86
	v_add_f32_e32 v54, -1.0, v53
	v_sub_f32_e32 v55, v54, v53
	v_add_f32_e32 v55, 1.0, v55
	v_sub_f32_e32 v54, v86, v54
	v_add_f32_e32 v64, v54, v55
	v_frexp_mant_f32_e32 v65, v53
	s_mov_b32 s24, 0x3f2aaaab
	v_cvt_f64_f32_e32 v[54:55], v53
	v_frexp_exp_i32_f64_e32 v54, v[54:55]
	v_cmp_gt_f32_e64 s[24:25], s24, v65
	v_subbrev_co_u32_e64 v70, s[24:25], 0, v54, s[24:25]
	v_sub_u32_e32 v54, 0, v70
	v_ldexp_f32 v53, v53, v54
	v_ldexp_f32 v54, v64, v54
	v_add_f32_e32 v64, -1.0, v53
	v_add_f32_e32 v55, 1.0, v64
	v_sub_f32_e32 v55, v53, v55
	v_add_f32_e32 v65, v54, v55
	v_add_f32_e32 v55, 1.0, v53
	v_add_f32_e32 v66, -1.0, v55
	v_sub_f32_e32 v53, v53, v66
	v_add_f32_e32 v53, v54, v53
	v_add_f32_e32 v71, v55, v53
	v_rcp_f32_e32 v80, v71
	v_sub_f32_e32 v54, v55, v71
	v_add_f32_e32 v55, v64, v65
	v_add_f32_e32 v53, v53, v54
	v_mul_f32_e32 v82, v55, v80
	v_sub_f32_e32 v54, v64, v55
	v_mul_f32_e32 v64, v71, v82
	v_fma_f32 v66, v82, v71, -v64
	v_fmac_f32_e32 v66, v82, v53
	v_add_f32_e32 v81, v65, v54
	v_add_f32_e32 v54, v64, v66
	v_sub_f32_e32 v65, v55, v54
	v_pk_add_f32 v[68:69], v[54:55], v[64:65] neg_lo:[0,1] neg_hi:[0,1]
	v_mov_b32_e32 v67, v54
	v_pk_add_f32 v[54:55], v[68:69], v[66:67] neg_lo:[0,1] neg_hi:[0,1]
	v_add_f32_e32 v55, v81, v55
	v_add_f32_e32 v54, v54, v55
	;; [unrolled: 1-line block ×3, first 2 shown]
	v_mul_f32_e32 v81, v80, v55
	v_mul_f32_e32 v64, v71, v81
	v_fma_f32 v66, v81, v71, -v64
	v_fmac_f32_e32 v66, v81, v53
	v_sub_f32_e32 v53, v65, v55
	v_add_f32_e32 v53, v54, v53
	v_add_f32_e32 v54, v64, v66
	v_sub_f32_e32 v65, v55, v54
	v_pk_add_f32 v[68:69], v[54:55], v[64:65] neg_lo:[0,1] neg_hi:[0,1]
	v_mov_b32_e32 v67, v54
	v_pk_add_f32 v[54:55], v[68:69], v[66:67] neg_lo:[0,1] neg_hi:[0,1]
	v_add_f32_e32 v53, v53, v55
	v_add_f32_e32 v53, v54, v53
	;; [unrolled: 1-line block ×4, first 2 shown]
	v_sub_f32_e32 v55, v54, v82
	v_mul_f32_e32 v53, v80, v53
	v_sub_f32_e32 v55, v81, v55
	v_add_f32_e32 v53, v55, v53
	v_add_f32_e32 v65, v54, v53
	v_mul_f32_e32 v66, v65, v65
	v_mov_b32_e32 v64, 0x3ecc95a3
	v_fmac_f32_e32 v64, 0x3e9b6dac, v66
	v_mov_b32_e32 v55, 0x3f2aaada
	v_fmac_f32_e32 v55, v66, v64
	v_cvt_f32_i32_e32 v64, v70
	v_sub_f32_e32 v54, v65, v54
	v_sub_f32_e32 v53, v53, v54
	v_ldexp_f32 v67, v65, 1
	v_mul_f32_e32 v65, v65, v66
	v_mov_b32_e32 v54, 0x3f317218
	s_mov_b32 s24, 0x3f317218
	v_pk_mul_f32 v[54:55], v[64:65], v[54:55]
	v_fma_f32 v66, v64, s24, -v54
	v_fmac_f32_e32 v66, 0xb102e308, v64
	v_pk_add_f32 v[64:65], v[54:55], v[66:67]
	v_sub_f32_e32 v67, v65, v67
	v_ldexp_f32 v53, v53, 1
	v_sub_f32_e32 v67, v55, v67
	v_add_f32_e32 v69, v53, v67
	v_mov_b32_e32 v68, v54
	v_pk_add_f32 v[54:55], v[64:65], v[54:55] neg_lo:[0,1] neg_hi:[0,1]
	v_pk_add_f32 v[70:71], v[64:65], v[68:69]
	v_mov_b32_e32 v55, v71
	v_mov_b32_e32 v67, v64
	v_pk_add_f32 v[80:81], v[66:67], v[54:55] neg_lo:[0,1] neg_hi:[0,1]
	v_pk_add_f32 v[54:55], v[66:67], v[54:55]
	v_mov_b32_e32 v66, v55
	v_pk_add_f32 v[82:83], v[66:67], v[64:65] neg_lo:[0,1] neg_hi:[0,1]
	v_mov_b32_e32 v53, v82
	v_pk_add_f32 v[84:85], v[70:71], v[52:53] neg_lo:[0,1] neg_hi:[0,1]
	v_mov_b32_e32 v54, v71
	v_mov_b32_e32 v70, v65
	;; [unrolled: 1-line block ×4, first 2 shown]
	v_pk_add_f32 v[54:55], v[54:55], v[70:71] neg_lo:[0,1] neg_hi:[0,1]
	v_mov_b32_e32 v68, v69
	v_mov_b32_e32 v69, v64
	v_pk_add_f32 v[54:55], v[68:69], v[54:55] neg_lo:[0,1] neg_hi:[0,1]
	v_mov_b32_e32 v84, v80
	v_pk_add_f32 v[64:65], v[84:85], v[54:55]
	v_mov_b32_e32 v68, v65
	v_pk_add_f32 v[68:69], v[64:65], v[68:69]
	v_pk_add_f32 v[66:67], v[66:67], v[68:69]
	v_mov_b32_e32 v65, v66
	v_pk_add_f32 v[70:71], v[64:65], v[80:81] neg_lo:[0,1] neg_hi:[0,1]
	v_mov_b32_e32 v55, v68
	v_sub_f32_e32 v53, v64, v70
	v_pk_add_f32 v[54:55], v[54:55], v[70:71] neg_lo:[0,1] neg_hi:[0,1]
	v_sub_f32_e32 v53, v80, v53
	v_add_f32_e32 v53, v54, v53
	v_cmp_eq_f32_e64 s[24:25], s29, v86
	s_mov_b32 s29, 0x33800000
	v_add_f32_e32 v53, v53, v55
	v_cmp_lt_f32_e64 s[30:31], |v86|, s29
	v_add_f32_e32 v53, v66, v53
	s_or_b64 s[24:25], s[24:25], s[30:31]
	v_cndmask_b32_e64 v53, v53, v86, s[24:25]
	v_add_f32_e32 v53, v52, v53
.LBB444_272:
	s_or_b64 exec, exec, s[26:27]
	v_bfe_u32 v52, v53, 16, 1
	s_movk_i32 s30, 0x7fff
	v_add3_u32 v52, v53, v52, s30
	v_and_b32_e32 v54, 0xffff0000, v52
	v_mov_b32_e32 v52, 0x7fc00000
	v_cmp_o_f32_e64 s[24:25], v53, v53
	v_cndmask_b32_e64 v55, v52, v54, s[24:25]
	v_lshlrev_b32_sdwa v49, v49, v17 dst_sel:DWORD dst_unused:UNUSED_PAD src0_sel:DWORD src1_sel:WORD_0
	v_max_f32_e32 v54, v55, v55
	v_max_f32_e32 v53, v49, v49
	v_min_f32_e32 v64, v54, v53
	v_cmp_u_f32_e64 s[26:27], v55, v55
	v_max_f32_e32 v54, v54, v53
	v_cndmask_b32_e64 v64, v64, v55, s[26:27]
	v_cmp_u_f32_e64 s[24:25], v49, v49
	v_cndmask_b32_e64 v54, v54, v55, s[26:27]
	v_cndmask_b32_e64 v64, v64, v49, s[24:25]
	;; [unrolled: 1-line block ×3, first 2 shown]
	v_cmp_neq_f32_e64 s[26:27], v64, v54
	v_cmp_class_f32_e64 s[28:29], v64, s28
	s_or_b64 s[26:27], s[26:27], s[28:29]
	s_and_saveexec_b64 s[28:29], s[26:27]
	s_cbranch_execz .LBB444_274
; %bb.273:
	v_sub_f32_e32 v55, v64, v54
	s_mov_b32 s26, 0x3fb8aa3b
	v_mul_f32_e32 v64, 0x3fb8aa3b, v55
	v_fma_f32 v65, v55, s26, -v64
	v_rndne_f32_e32 v66, v64
	v_fmac_f32_e32 v65, 0x32a5705f, v55
	v_sub_f32_e32 v64, v64, v66
	v_add_f32_e32 v64, v64, v65
	v_exp_f32_e32 v64, v64
	v_cvt_i32_f32_e32 v65, v66
	s_mov_b32 s26, 0xc2ce8ed0
	v_cmp_ngt_f32_e64 s[26:27], s26, v55
	s_mov_b32 s31, 0x7f800000
	v_ldexp_f32 v64, v64, v65
	v_cndmask_b32_e64 v64, 0, v64, s[26:27]
	s_mov_b32 s26, 0x42b17218
	v_mov_b32_e32 v65, 0x7f800000
	v_cmp_nlt_f32_e64 s[26:27], s26, v55
	v_cndmask_b32_e64 v99, v65, v64, s[26:27]
	v_add_f32_e32 v55, 1.0, v99
	v_add_f32_e32 v64, -1.0, v55
	v_sub_f32_e32 v65, v64, v55
	v_add_f32_e32 v65, 1.0, v65
	v_sub_f32_e32 v64, v99, v64
	v_add_f32_e32 v66, v64, v65
	v_frexp_mant_f32_e32 v67, v55
	s_mov_b32 s26, 0x3f2aaaab
	v_cvt_f64_f32_e32 v[64:65], v55
	v_frexp_exp_i32_f64_e32 v64, v[64:65]
	v_cmp_gt_f32_e64 s[26:27], s26, v67
	v_subbrev_co_u32_e64 v80, s[26:27], 0, v64, s[26:27]
	v_sub_u32_e32 v64, 0, v80
	v_ldexp_f32 v55, v55, v64
	v_ldexp_f32 v64, v66, v64
	v_add_f32_e32 v66, -1.0, v55
	v_add_f32_e32 v65, 1.0, v66
	v_sub_f32_e32 v65, v55, v65
	v_add_f32_e32 v67, v64, v65
	v_add_f32_e32 v65, 1.0, v55
	v_add_f32_e32 v68, -1.0, v65
	v_sub_f32_e32 v55, v55, v68
	v_add_f32_e32 v55, v64, v55
	v_add_f32_e32 v81, v65, v55
	v_rcp_f32_e32 v82, v81
	v_sub_f32_e32 v64, v65, v81
	v_add_f32_e32 v65, v66, v67
	v_add_f32_e32 v55, v55, v64
	v_mul_f32_e32 v84, v65, v82
	v_sub_f32_e32 v64, v66, v65
	v_mul_f32_e32 v66, v81, v84
	v_fma_f32 v68, v84, v81, -v66
	v_fmac_f32_e32 v68, v84, v55
	v_add_f32_e32 v83, v67, v64
	v_add_f32_e32 v64, v66, v68
	v_sub_f32_e32 v67, v65, v64
	v_pk_add_f32 v[70:71], v[64:65], v[66:67] neg_lo:[0,1] neg_hi:[0,1]
	v_mov_b32_e32 v69, v64
	v_pk_add_f32 v[64:65], v[70:71], v[68:69] neg_lo:[0,1] neg_hi:[0,1]
	v_add_f32_e32 v65, v83, v65
	v_add_f32_e32 v64, v64, v65
	;; [unrolled: 1-line block ×3, first 2 shown]
	v_mul_f32_e32 v83, v82, v65
	v_mul_f32_e32 v66, v81, v83
	v_fma_f32 v68, v83, v81, -v66
	v_fmac_f32_e32 v68, v83, v55
	v_sub_f32_e32 v55, v67, v65
	v_add_f32_e32 v55, v64, v55
	v_add_f32_e32 v64, v66, v68
	v_sub_f32_e32 v67, v65, v64
	v_pk_add_f32 v[70:71], v[64:65], v[66:67] neg_lo:[0,1] neg_hi:[0,1]
	v_mov_b32_e32 v69, v64
	v_pk_add_f32 v[64:65], v[70:71], v[68:69] neg_lo:[0,1] neg_hi:[0,1]
	v_add_f32_e32 v55, v55, v65
	v_add_f32_e32 v55, v64, v55
	;; [unrolled: 1-line block ×4, first 2 shown]
	v_sub_f32_e32 v65, v64, v84
	v_mul_f32_e32 v55, v82, v55
	v_sub_f32_e32 v65, v83, v65
	v_add_f32_e32 v55, v65, v55
	v_add_f32_e32 v67, v64, v55
	v_mul_f32_e32 v68, v67, v67
	v_mov_b32_e32 v66, 0x3ecc95a3
	v_fmac_f32_e32 v66, 0x3e9b6dac, v68
	v_mov_b32_e32 v65, 0x3f2aaada
	v_fmac_f32_e32 v65, v68, v66
	v_cvt_f32_i32_e32 v66, v80
	v_sub_f32_e32 v64, v67, v64
	v_sub_f32_e32 v55, v55, v64
	v_ldexp_f32 v69, v67, 1
	v_mul_f32_e32 v67, v67, v68
	v_mov_b32_e32 v64, 0x3f317218
	s_mov_b32 s26, 0x3f317218
	v_pk_mul_f32 v[64:65], v[66:67], v[64:65]
	v_fma_f32 v68, v66, s26, -v64
	v_fmac_f32_e32 v68, 0xb102e308, v66
	v_pk_add_f32 v[66:67], v[64:65], v[68:69]
	v_sub_f32_e32 v69, v67, v69
	v_ldexp_f32 v55, v55, 1
	v_sub_f32_e32 v69, v65, v69
	v_add_f32_e32 v71, v55, v69
	v_mov_b32_e32 v70, v64
	v_pk_add_f32 v[64:65], v[66:67], v[64:65] neg_lo:[0,1] neg_hi:[0,1]
	v_pk_add_f32 v[80:81], v[66:67], v[70:71]
	v_mov_b32_e32 v65, v81
	v_mov_b32_e32 v69, v66
	v_pk_add_f32 v[82:83], v[68:69], v[64:65] neg_lo:[0,1] neg_hi:[0,1]
	v_pk_add_f32 v[64:65], v[68:69], v[64:65]
	v_mov_b32_e32 v68, v65
	v_pk_add_f32 v[84:85], v[68:69], v[66:67] neg_lo:[0,1] neg_hi:[0,1]
	v_mov_b32_e32 v55, v84
	v_pk_add_f32 v[86:87], v[80:81], v[54:55] neg_lo:[0,1] neg_hi:[0,1]
	v_mov_b32_e32 v64, v81
	v_mov_b32_e32 v80, v67
	;; [unrolled: 1-line block ×4, first 2 shown]
	v_pk_add_f32 v[64:65], v[64:65], v[80:81] neg_lo:[0,1] neg_hi:[0,1]
	v_mov_b32_e32 v70, v71
	v_mov_b32_e32 v71, v66
	v_pk_add_f32 v[64:65], v[70:71], v[64:65] neg_lo:[0,1] neg_hi:[0,1]
	v_mov_b32_e32 v86, v82
	v_pk_add_f32 v[66:67], v[86:87], v[64:65]
	v_mov_b32_e32 v70, v67
	v_pk_add_f32 v[70:71], v[66:67], v[70:71]
	v_pk_add_f32 v[68:69], v[68:69], v[70:71]
	v_mov_b32_e32 v67, v68
	v_pk_add_f32 v[80:81], v[66:67], v[82:83] neg_lo:[0,1] neg_hi:[0,1]
	v_mov_b32_e32 v65, v70
	v_sub_f32_e32 v55, v66, v80
	v_pk_add_f32 v[64:65], v[64:65], v[80:81] neg_lo:[0,1] neg_hi:[0,1]
	v_sub_f32_e32 v55, v82, v55
	v_add_f32_e32 v55, v64, v55
	v_cmp_eq_f32_e64 s[26:27], s31, v99
	s_mov_b32 s31, 0x33800000
	v_add_f32_e32 v55, v55, v65
	v_cmp_lt_f32_e64 s[34:35], |v99|, s31
	v_add_f32_e32 v55, v68, v55
	s_or_b64 s[26:27], s[26:27], s[34:35]
	v_cndmask_b32_e64 v55, v55, v99, s[26:27]
	v_add_f32_e32 v55, v54, v55
.LBB444_274:
	s_or_b64 exec, exec, s[28:29]
	v_bfe_u32 v54, v55, 16, 1
	v_add3_u32 v54, v55, v54, s30
	v_and_b32_e32 v54, 0xffff0000, v54
	v_cmp_o_f32_e64 s[26:27], v55, v55
	v_cndmask_b32_e64 v64, v52, v54, s[26:27]
	v_mov_b32_e32 v52, 16
	v_lshlrev_b32_sdwa v17, v52, v17 dst_sel:DWORD dst_unused:UNUSED_PAD src0_sel:DWORD src1_sel:WORD_1
	v_max_f32_e32 v55, v64, v64
	v_max_f32_e32 v54, v17, v17
	v_min_f32_e32 v65, v55, v54
	v_cmp_u_f32_e64 s[28:29], v64, v64
	v_max_f32_e32 v55, v55, v54
	v_cndmask_b32_e64 v65, v65, v64, s[28:29]
	v_cmp_u_f32_e64 s[26:27], v17, v17
	v_cndmask_b32_e64 v55, v55, v64, s[28:29]
	v_cndmask_b32_e64 v65, v65, v17, s[26:27]
	;; [unrolled: 1-line block ×3, first 2 shown]
	s_movk_i32 s34, 0x1f8
	v_cmp_neq_f32_e64 s[28:29], v65, v55
	v_cmp_class_f32_e64 s[30:31], v65, s34
	s_or_b64 s[28:29], s[28:29], s[30:31]
	s_and_saveexec_b64 s[30:31], s[28:29]
	s_cbranch_execz .LBB444_276
; %bb.275:
	v_sub_f32_e32 v64, v65, v55
	s_mov_b32 s28, 0x3fb8aa3b
	v_mul_f32_e32 v65, 0x3fb8aa3b, v64
	v_fma_f32 v66, v64, s28, -v65
	v_rndne_f32_e32 v67, v65
	v_fmac_f32_e32 v66, 0x32a5705f, v64
	v_sub_f32_e32 v65, v65, v67
	v_add_f32_e32 v65, v65, v66
	v_exp_f32_e32 v65, v65
	v_cvt_i32_f32_e32 v66, v67
	s_mov_b32 s28, 0xc2ce8ed0
	v_cmp_ngt_f32_e64 s[28:29], s28, v64
	s_mov_b32 s35, 0x7f800000
	v_ldexp_f32 v65, v65, v66
	v_cndmask_b32_e64 v65, 0, v65, s[28:29]
	s_mov_b32 s28, 0x42b17218
	v_mov_b32_e32 v66, 0x7f800000
	v_cmp_nlt_f32_e64 s[28:29], s28, v64
	v_cndmask_b32_e64 v99, v66, v65, s[28:29]
	v_add_f32_e32 v66, 1.0, v99
	v_add_f32_e32 v64, -1.0, v66
	v_sub_f32_e32 v65, v64, v66
	v_add_f32_e32 v65, 1.0, v65
	v_sub_f32_e32 v64, v99, v64
	v_add_f32_e32 v67, v64, v65
	v_frexp_mant_f32_e32 v68, v66
	s_mov_b32 s28, 0x3f2aaaab
	v_cvt_f64_f32_e32 v[64:65], v66
	v_frexp_exp_i32_f64_e32 v64, v[64:65]
	v_cmp_gt_f32_e64 s[28:29], s28, v68
	v_subbrev_co_u32_e64 v80, s[28:29], 0, v64, s[28:29]
	v_sub_u32_e32 v64, 0, v80
	v_ldexp_f32 v65, v66, v64
	v_add_f32_e32 v66, -1.0, v65
	v_add_f32_e32 v68, 1.0, v65
	v_ldexp_f32 v64, v67, v64
	v_add_f32_e32 v67, 1.0, v66
	v_add_f32_e32 v69, -1.0, v68
	v_sub_f32_e32 v67, v65, v67
	v_sub_f32_e32 v65, v65, v69
	v_add_f32_e32 v67, v64, v67
	v_add_f32_e32 v64, v64, v65
	;; [unrolled: 1-line block ×3, first 2 shown]
	v_rcp_f32_e32 v83, v81
	v_sub_f32_e32 v65, v68, v81
	v_add_f32_e32 v82, v64, v65
	v_add_f32_e32 v65, v66, v67
	v_mul_f32_e32 v85, v65, v83
	v_sub_f32_e32 v64, v66, v65
	v_mul_f32_e32 v66, v81, v85
	v_fma_f32 v68, v85, v81, -v66
	v_fmac_f32_e32 v68, v85, v82
	v_add_f32_e32 v84, v67, v64
	v_add_f32_e32 v64, v66, v68
	v_sub_f32_e32 v67, v65, v64
	v_pk_add_f32 v[70:71], v[64:65], v[66:67] neg_lo:[0,1] neg_hi:[0,1]
	v_mov_b32_e32 v69, v64
	v_pk_add_f32 v[64:65], v[70:71], v[68:69] neg_lo:[0,1] neg_hi:[0,1]
	v_add_f32_e32 v65, v84, v65
	v_add_f32_e32 v64, v64, v65
	;; [unrolled: 1-line block ×3, first 2 shown]
	v_mul_f32_e32 v84, v83, v65
	v_mul_f32_e32 v66, v81, v84
	v_fma_f32 v68, v84, v81, -v66
	v_fmac_f32_e32 v68, v84, v82
	v_sub_f32_e32 v67, v67, v65
	v_add_f32_e32 v81, v64, v67
	v_add_f32_e32 v64, v66, v68
	v_sub_f32_e32 v67, v65, v64
	v_pk_add_f32 v[70:71], v[64:65], v[66:67] neg_lo:[0,1] neg_hi:[0,1]
	v_mov_b32_e32 v69, v64
	v_pk_add_f32 v[64:65], v[70:71], v[68:69] neg_lo:[0,1] neg_hi:[0,1]
	v_add_f32_e32 v65, v81, v65
	v_add_f32_e32 v64, v64, v65
	;; [unrolled: 1-line block ×4, first 2 shown]
	v_sub_f32_e32 v65, v67, v85
	v_mul_f32_e32 v64, v83, v64
	v_sub_f32_e32 v65, v84, v65
	v_add_f32_e32 v64, v65, v64
	v_add_f32_e32 v68, v67, v64
	v_mul_f32_e32 v70, v68, v68
	v_mov_b32_e32 v66, 0x3ecc95a3
	v_fmac_f32_e32 v66, 0x3e9b6dac, v70
	v_mov_b32_e32 v65, 0x3f2aaada
	v_fmac_f32_e32 v65, v70, v66
	v_cvt_f32_i32_e32 v66, v80
	v_sub_f32_e32 v67, v68, v67
	v_sub_f32_e32 v64, v64, v67
	v_ldexp_f32 v71, v64, 1
	v_mul_f32_e32 v67, v68, v70
	v_mov_b32_e32 v64, 0x3f317218
	s_mov_b32 s28, 0x3f317218
	v_pk_mul_f32 v[64:65], v[66:67], v[64:65]
	v_ldexp_f32 v69, v68, 1
	v_fma_f32 v68, v66, s28, -v64
	v_fmac_f32_e32 v68, 0xb102e308, v66
	v_pk_add_f32 v[66:67], v[64:65], v[68:69]
	v_sub_f32_e32 v69, v67, v69
	v_sub_f32_e32 v69, v65, v69
	v_add_f32_e32 v71, v71, v69
	v_mov_b32_e32 v70, v64
	v_pk_add_f32 v[64:65], v[66:67], v[64:65] neg_lo:[0,1] neg_hi:[0,1]
	v_pk_add_f32 v[80:81], v[66:67], v[70:71]
	v_mov_b32_e32 v65, v81
	v_mov_b32_e32 v69, v66
	v_pk_add_f32 v[82:83], v[68:69], v[64:65] neg_lo:[0,1] neg_hi:[0,1]
	v_pk_add_f32 v[64:65], v[68:69], v[64:65]
	v_mov_b32_e32 v68, v65
	v_pk_add_f32 v[84:85], v[68:69], v[66:67] neg_lo:[0,1] neg_hi:[0,1]
	v_mov_b32_e32 v69, v84
	v_pk_add_f32 v[86:87], v[80:81], v[68:69] neg_lo:[0,1] neg_hi:[0,1]
	v_mov_b32_e32 v64, v81
	v_mov_b32_e32 v80, v67
	;; [unrolled: 1-line block ×4, first 2 shown]
	v_pk_add_f32 v[64:65], v[64:65], v[80:81] neg_lo:[0,1] neg_hi:[0,1]
	v_mov_b32_e32 v70, v71
	v_mov_b32_e32 v71, v66
	v_pk_add_f32 v[64:65], v[70:71], v[64:65] neg_lo:[0,1] neg_hi:[0,1]
	v_mov_b32_e32 v86, v82
	v_pk_add_f32 v[66:67], v[86:87], v[64:65]
	v_mov_b32_e32 v70, v67
	v_pk_add_f32 v[70:71], v[66:67], v[70:71]
	v_pk_add_f32 v[68:69], v[68:69], v[70:71]
	v_mov_b32_e32 v67, v68
	v_pk_add_f32 v[80:81], v[66:67], v[82:83] neg_lo:[0,1] neg_hi:[0,1]
	v_mov_b32_e32 v65, v70
	v_sub_f32_e32 v66, v66, v80
	v_pk_add_f32 v[64:65], v[64:65], v[80:81] neg_lo:[0,1] neg_hi:[0,1]
	v_sub_f32_e32 v66, v82, v66
	v_add_f32_e32 v64, v64, v66
	v_cmp_eq_f32_e64 s[28:29], s35, v99
	s_mov_b32 s35, 0x33800000
	v_add_f32_e32 v64, v64, v65
	v_cmp_lt_f32_e64 s[36:37], |v99|, s35
	v_add_f32_e32 v64, v68, v64
	s_or_b64 s[28:29], s[28:29], s[36:37]
	v_cndmask_b32_e64 v64, v64, v99, s[28:29]
	v_add_f32_e32 v64, v55, v64
.LBB444_276:
	s_or_b64 exec, exec, s[30:31]
	v_bfe_u32 v55, v64, 16, 1
	s_movk_i32 s36, 0x7fff
	v_add3_u32 v55, v64, v55, s36
	v_and_b32_e32 v65, 0xffff0000, v55
	v_mov_b32_e32 v55, 0x7fc00000
	v_cmp_o_f32_e64 s[28:29], v64, v64
	v_cndmask_b32_e64 v66, v55, v65, s[28:29]
	v_lshlrev_b32_sdwa v52, v52, v18 dst_sel:DWORD dst_unused:UNUSED_PAD src0_sel:DWORD src1_sel:WORD_0
	v_max_f32_e32 v65, v66, v66
	v_max_f32_e32 v64, v52, v52
	v_min_f32_e32 v67, v65, v64
	v_cmp_u_f32_e64 s[30:31], v66, v66
	v_max_f32_e32 v65, v65, v64
	v_cndmask_b32_e64 v67, v67, v66, s[30:31]
	v_cmp_u_f32_e64 s[28:29], v52, v52
	v_cndmask_b32_e64 v65, v65, v66, s[30:31]
	v_cndmask_b32_e64 v67, v67, v52, s[28:29]
	v_cndmask_b32_e64 v65, v65, v52, s[28:29]
	v_cmp_neq_f32_e64 s[30:31], v67, v65
	v_cmp_class_f32_e64 s[34:35], v67, s34
	s_or_b64 s[30:31], s[30:31], s[34:35]
	s_and_saveexec_b64 s[34:35], s[30:31]
	s_cbranch_execz .LBB444_278
; %bb.277:
	v_sub_f32_e32 v66, v67, v65
	s_mov_b32 s30, 0x3fb8aa3b
	v_mul_f32_e32 v67, 0x3fb8aa3b, v66
	v_fma_f32 v68, v66, s30, -v67
	v_rndne_f32_e32 v69, v67
	v_fmac_f32_e32 v68, 0x32a5705f, v66
	v_sub_f32_e32 v67, v67, v69
	v_add_f32_e32 v67, v67, v68
	v_exp_f32_e32 v67, v67
	v_cvt_i32_f32_e32 v68, v69
	s_mov_b32 s30, 0xc2ce8ed0
	v_cmp_ngt_f32_e64 s[30:31], s30, v66
	s_mov_b32 s37, 0x7f800000
	v_ldexp_f32 v67, v67, v68
	v_cndmask_b32_e64 v67, 0, v67, s[30:31]
	s_mov_b32 s30, 0x42b17218
	v_mov_b32_e32 v68, 0x7f800000
	v_cmp_nlt_f32_e64 s[30:31], s30, v66
	v_cndmask_b32_e64 v99, v68, v67, s[30:31]
	v_add_f32_e32 v68, 1.0, v99
	v_add_f32_e32 v66, -1.0, v68
	v_sub_f32_e32 v67, v66, v68
	v_add_f32_e32 v67, 1.0, v67
	v_sub_f32_e32 v66, v99, v66
	v_add_f32_e32 v69, v66, v67
	v_frexp_mant_f32_e32 v70, v68
	s_mov_b32 s30, 0x3f2aaaab
	v_cvt_f64_f32_e32 v[66:67], v68
	v_frexp_exp_i32_f64_e32 v66, v[66:67]
	v_cmp_gt_f32_e64 s[30:31], s30, v70
	v_subbrev_co_u32_e64 v82, s[30:31], 0, v66, s[30:31]
	v_sub_u32_e32 v66, 0, v82
	v_ldexp_f32 v67, v68, v66
	v_add_f32_e32 v68, -1.0, v67
	v_add_f32_e32 v70, 1.0, v67
	v_ldexp_f32 v66, v69, v66
	v_add_f32_e32 v69, 1.0, v68
	v_add_f32_e32 v71, -1.0, v70
	v_sub_f32_e32 v69, v67, v69
	v_sub_f32_e32 v67, v67, v71
	v_add_f32_e32 v69, v66, v69
	v_add_f32_e32 v66, v66, v67
	;; [unrolled: 1-line block ×3, first 2 shown]
	v_rcp_f32_e32 v85, v83
	v_sub_f32_e32 v67, v70, v83
	v_add_f32_e32 v84, v66, v67
	v_add_f32_e32 v67, v68, v69
	v_mul_f32_e32 v87, v67, v85
	v_sub_f32_e32 v66, v68, v67
	v_mul_f32_e32 v68, v83, v87
	v_fma_f32 v70, v87, v83, -v68
	v_fmac_f32_e32 v70, v87, v84
	v_add_f32_e32 v86, v69, v66
	v_add_f32_e32 v66, v68, v70
	v_sub_f32_e32 v69, v67, v66
	v_pk_add_f32 v[80:81], v[66:67], v[68:69] neg_lo:[0,1] neg_hi:[0,1]
	v_mov_b32_e32 v71, v66
	v_pk_add_f32 v[66:67], v[80:81], v[70:71] neg_lo:[0,1] neg_hi:[0,1]
	v_add_f32_e32 v67, v86, v67
	v_add_f32_e32 v66, v66, v67
	;; [unrolled: 1-line block ×3, first 2 shown]
	v_mul_f32_e32 v86, v85, v67
	v_mul_f32_e32 v68, v83, v86
	v_fma_f32 v70, v86, v83, -v68
	v_fmac_f32_e32 v70, v86, v84
	v_sub_f32_e32 v69, v69, v67
	v_add_f32_e32 v83, v66, v69
	v_add_f32_e32 v66, v68, v70
	v_sub_f32_e32 v69, v67, v66
	v_pk_add_f32 v[80:81], v[66:67], v[68:69] neg_lo:[0,1] neg_hi:[0,1]
	v_mov_b32_e32 v71, v66
	v_pk_add_f32 v[66:67], v[80:81], v[70:71] neg_lo:[0,1] neg_hi:[0,1]
	v_add_f32_e32 v67, v83, v67
	v_add_f32_e32 v66, v66, v67
	v_add_f32_e32 v66, v69, v66
	v_add_f32_e32 v69, v87, v86
	v_sub_f32_e32 v67, v69, v87
	v_mul_f32_e32 v66, v85, v66
	v_sub_f32_e32 v67, v86, v67
	v_add_f32_e32 v66, v67, v66
	v_add_f32_e32 v70, v69, v66
	v_mul_f32_e32 v80, v70, v70
	v_mov_b32_e32 v68, 0x3ecc95a3
	v_fmac_f32_e32 v68, 0x3e9b6dac, v80
	v_mov_b32_e32 v67, 0x3f2aaada
	v_fmac_f32_e32 v67, v80, v68
	v_cvt_f32_i32_e32 v68, v82
	v_sub_f32_e32 v69, v70, v69
	v_sub_f32_e32 v66, v66, v69
	v_ldexp_f32 v81, v66, 1
	v_mul_f32_e32 v69, v70, v80
	v_mov_b32_e32 v66, 0x3f317218
	s_mov_b32 s30, 0x3f317218
	v_pk_mul_f32 v[66:67], v[68:69], v[66:67]
	v_ldexp_f32 v71, v70, 1
	v_fma_f32 v70, v68, s30, -v66
	v_fmac_f32_e32 v70, 0xb102e308, v68
	v_pk_add_f32 v[68:69], v[66:67], v[70:71]
	v_sub_f32_e32 v71, v69, v71
	v_sub_f32_e32 v71, v67, v71
	v_add_f32_e32 v81, v81, v71
	v_mov_b32_e32 v80, v66
	v_pk_add_f32 v[66:67], v[68:69], v[66:67] neg_lo:[0,1] neg_hi:[0,1]
	v_pk_add_f32 v[82:83], v[68:69], v[80:81]
	v_mov_b32_e32 v67, v83
	v_mov_b32_e32 v71, v68
	v_pk_add_f32 v[84:85], v[70:71], v[66:67] neg_lo:[0,1] neg_hi:[0,1]
	v_pk_add_f32 v[66:67], v[70:71], v[66:67]
	v_mov_b32_e32 v70, v67
	v_pk_add_f32 v[86:87], v[70:71], v[68:69] neg_lo:[0,1] neg_hi:[0,1]
	v_mov_b32_e32 v71, v86
	v_pk_add_f32 v[100:101], v[82:83], v[70:71] neg_lo:[0,1] neg_hi:[0,1]
	v_mov_b32_e32 v66, v83
	v_mov_b32_e32 v82, v69
	;; [unrolled: 1-line block ×4, first 2 shown]
	v_pk_add_f32 v[66:67], v[66:67], v[82:83] neg_lo:[0,1] neg_hi:[0,1]
	v_mov_b32_e32 v80, v81
	v_mov_b32_e32 v81, v68
	v_pk_add_f32 v[66:67], v[80:81], v[66:67] neg_lo:[0,1] neg_hi:[0,1]
	v_mov_b32_e32 v100, v84
	v_pk_add_f32 v[68:69], v[100:101], v[66:67]
	v_mov_b32_e32 v80, v69
	v_pk_add_f32 v[80:81], v[68:69], v[80:81]
	v_pk_add_f32 v[70:71], v[70:71], v[80:81]
	v_mov_b32_e32 v69, v70
	v_pk_add_f32 v[82:83], v[68:69], v[84:85] neg_lo:[0,1] neg_hi:[0,1]
	v_mov_b32_e32 v67, v80
	v_sub_f32_e32 v68, v68, v82
	v_pk_add_f32 v[66:67], v[66:67], v[82:83] neg_lo:[0,1] neg_hi:[0,1]
	v_sub_f32_e32 v68, v84, v68
	v_add_f32_e32 v66, v66, v68
	v_cmp_eq_f32_e64 s[30:31], s37, v99
	s_mov_b32 s37, 0x33800000
	v_add_f32_e32 v66, v66, v67
	v_cmp_lt_f32_e64 s[38:39], |v99|, s37
	v_add_f32_e32 v66, v70, v66
	s_or_b64 s[30:31], s[30:31], s[38:39]
	v_cndmask_b32_e64 v66, v66, v99, s[30:31]
	v_add_f32_e32 v66, v65, v66
.LBB444_278:
	s_or_b64 exec, exec, s[34:35]
	v_bfe_u32 v65, v66, 16, 1
	v_add3_u32 v65, v66, v65, s36
	v_and_b32_e32 v65, 0xffff0000, v65
	v_cmp_o_f32_e64 s[30:31], v66, v66
	v_cndmask_b32_e64 v67, v55, v65, s[30:31]
	v_mov_b32_e32 v55, 16
	v_lshlrev_b32_sdwa v18, v55, v18 dst_sel:DWORD dst_unused:UNUSED_PAD src0_sel:DWORD src1_sel:WORD_1
	v_max_f32_e32 v66, v67, v67
	v_max_f32_e32 v65, v18, v18
	v_min_f32_e32 v68, v66, v65
	v_cmp_u_f32_e64 s[34:35], v67, v67
	v_max_f32_e32 v66, v66, v65
	v_cndmask_b32_e64 v68, v68, v67, s[34:35]
	v_cmp_u_f32_e64 s[30:31], v18, v18
	v_cndmask_b32_e64 v66, v66, v67, s[34:35]
	v_cndmask_b32_e64 v68, v68, v18, s[30:31]
	;; [unrolled: 1-line block ×3, first 2 shown]
	s_movk_i32 s38, 0x1f8
	v_cmp_neq_f32_e64 s[34:35], v68, v66
	v_cmp_class_f32_e64 s[36:37], v68, s38
	s_or_b64 s[34:35], s[34:35], s[36:37]
	s_and_saveexec_b64 s[36:37], s[34:35]
	s_cbranch_execz .LBB444_280
; %bb.279:
	v_sub_f32_e32 v67, v68, v66
	s_mov_b32 s34, 0x3fb8aa3b
	v_mul_f32_e32 v68, 0x3fb8aa3b, v67
	v_fma_f32 v69, v67, s34, -v68
	v_rndne_f32_e32 v70, v68
	v_fmac_f32_e32 v69, 0x32a5705f, v67
	v_sub_f32_e32 v68, v68, v70
	v_add_f32_e32 v68, v68, v69
	v_exp_f32_e32 v68, v68
	v_cvt_i32_f32_e32 v69, v70
	s_mov_b32 s34, 0xc2ce8ed0
	v_cmp_ngt_f32_e64 s[34:35], s34, v67
	s_mov_b32 s39, 0x7f800000
	v_ldexp_f32 v68, v68, v69
	v_cndmask_b32_e64 v68, 0, v68, s[34:35]
	s_mov_b32 s34, 0x42b17218
	v_mov_b32_e32 v69, 0x7f800000
	v_cmp_nlt_f32_e64 s[34:35], s34, v67
	v_cndmask_b32_e64 v99, v69, v68, s[34:35]
	v_add_f32_e32 v67, 1.0, v99
	v_add_f32_e32 v68, -1.0, v67
	v_sub_f32_e32 v69, v68, v67
	v_add_f32_e32 v69, 1.0, v69
	v_sub_f32_e32 v68, v99, v68
	v_add_f32_e32 v70, v68, v69
	v_frexp_mant_f32_e32 v71, v67
	s_mov_b32 s34, 0x3f2aaaab
	v_cvt_f64_f32_e32 v[68:69], v67
	v_frexp_exp_i32_f64_e32 v68, v[68:69]
	v_cmp_gt_f32_e64 s[34:35], s34, v71
	v_subbrev_co_u32_e64 v84, s[34:35], 0, v68, s[34:35]
	v_sub_u32_e32 v68, 0, v84
	v_ldexp_f32 v67, v67, v68
	v_ldexp_f32 v68, v70, v68
	v_add_f32_e32 v70, -1.0, v67
	v_add_f32_e32 v69, 1.0, v70
	v_sub_f32_e32 v69, v67, v69
	v_add_f32_e32 v71, v68, v69
	v_add_f32_e32 v69, 1.0, v67
	v_add_f32_e32 v80, -1.0, v69
	v_sub_f32_e32 v67, v67, v80
	v_add_f32_e32 v67, v68, v67
	v_add_f32_e32 v85, v69, v67
	v_rcp_f32_e32 v86, v85
	v_sub_f32_e32 v68, v69, v85
	v_add_f32_e32 v69, v70, v71
	v_add_f32_e32 v67, v67, v68
	v_mul_f32_e32 v100, v69, v86
	v_sub_f32_e32 v68, v70, v69
	v_mul_f32_e32 v70, v85, v100
	v_fma_f32 v80, v100, v85, -v70
	v_fmac_f32_e32 v80, v100, v67
	v_add_f32_e32 v87, v71, v68
	v_add_f32_e32 v68, v70, v80
	v_sub_f32_e32 v71, v69, v68
	v_pk_add_f32 v[82:83], v[68:69], v[70:71] neg_lo:[0,1] neg_hi:[0,1]
	v_mov_b32_e32 v81, v68
	v_pk_add_f32 v[68:69], v[82:83], v[80:81] neg_lo:[0,1] neg_hi:[0,1]
	v_add_f32_e32 v69, v87, v69
	v_add_f32_e32 v68, v68, v69
	;; [unrolled: 1-line block ×3, first 2 shown]
	v_mul_f32_e32 v87, v86, v69
	v_mul_f32_e32 v70, v85, v87
	v_fma_f32 v80, v87, v85, -v70
	v_fmac_f32_e32 v80, v87, v67
	v_sub_f32_e32 v67, v71, v69
	v_add_f32_e32 v67, v68, v67
	v_add_f32_e32 v68, v70, v80
	v_sub_f32_e32 v71, v69, v68
	v_pk_add_f32 v[82:83], v[68:69], v[70:71] neg_lo:[0,1] neg_hi:[0,1]
	v_mov_b32_e32 v81, v68
	v_pk_add_f32 v[68:69], v[82:83], v[80:81] neg_lo:[0,1] neg_hi:[0,1]
	v_add_f32_e32 v67, v67, v69
	v_add_f32_e32 v67, v68, v67
	;; [unrolled: 1-line block ×4, first 2 shown]
	v_sub_f32_e32 v69, v68, v100
	v_mul_f32_e32 v67, v86, v67
	v_sub_f32_e32 v69, v87, v69
	v_add_f32_e32 v67, v69, v67
	v_add_f32_e32 v71, v68, v67
	v_mul_f32_e32 v80, v71, v71
	v_mov_b32_e32 v70, 0x3ecc95a3
	v_fmac_f32_e32 v70, 0x3e9b6dac, v80
	v_mov_b32_e32 v69, 0x3f2aaada
	v_fmac_f32_e32 v69, v80, v70
	v_cvt_f32_i32_e32 v70, v84
	v_sub_f32_e32 v68, v71, v68
	v_sub_f32_e32 v67, v67, v68
	v_ldexp_f32 v81, v71, 1
	v_mul_f32_e32 v71, v71, v80
	v_mov_b32_e32 v68, 0x3f317218
	s_mov_b32 s34, 0x3f317218
	v_pk_mul_f32 v[68:69], v[70:71], v[68:69]
	v_fma_f32 v80, v70, s34, -v68
	v_fmac_f32_e32 v80, 0xb102e308, v70
	v_pk_add_f32 v[70:71], v[68:69], v[80:81]
	v_sub_f32_e32 v81, v71, v81
	v_ldexp_f32 v67, v67, 1
	v_sub_f32_e32 v81, v69, v81
	v_add_f32_e32 v83, v67, v81
	v_mov_b32_e32 v82, v68
	v_pk_add_f32 v[68:69], v[70:71], v[68:69] neg_lo:[0,1] neg_hi:[0,1]
	v_pk_add_f32 v[84:85], v[70:71], v[82:83]
	v_mov_b32_e32 v69, v85
	v_mov_b32_e32 v81, v70
	v_pk_add_f32 v[86:87], v[80:81], v[68:69] neg_lo:[0,1] neg_hi:[0,1]
	v_pk_add_f32 v[68:69], v[80:81], v[68:69]
	v_mov_b32_e32 v80, v69
	v_pk_add_f32 v[100:101], v[80:81], v[70:71] neg_lo:[0,1] neg_hi:[0,1]
	v_mov_b32_e32 v67, v100
	v_pk_add_f32 v[102:103], v[84:85], v[66:67] neg_lo:[0,1] neg_hi:[0,1]
	v_mov_b32_e32 v68, v85
	v_mov_b32_e32 v84, v71
	;; [unrolled: 1-line block ×4, first 2 shown]
	v_pk_add_f32 v[68:69], v[68:69], v[84:85] neg_lo:[0,1] neg_hi:[0,1]
	v_mov_b32_e32 v82, v83
	v_mov_b32_e32 v83, v70
	v_pk_add_f32 v[68:69], v[82:83], v[68:69] neg_lo:[0,1] neg_hi:[0,1]
	v_mov_b32_e32 v102, v86
	v_pk_add_f32 v[70:71], v[102:103], v[68:69]
	v_mov_b32_e32 v82, v71
	v_pk_add_f32 v[82:83], v[70:71], v[82:83]
	v_pk_add_f32 v[80:81], v[80:81], v[82:83]
	v_mov_b32_e32 v71, v80
	v_pk_add_f32 v[84:85], v[70:71], v[86:87] neg_lo:[0,1] neg_hi:[0,1]
	v_mov_b32_e32 v69, v82
	v_sub_f32_e32 v67, v70, v84
	v_pk_add_f32 v[68:69], v[68:69], v[84:85] neg_lo:[0,1] neg_hi:[0,1]
	v_sub_f32_e32 v67, v86, v67
	v_add_f32_e32 v67, v68, v67
	v_cmp_eq_f32_e64 s[34:35], s39, v99
	s_mov_b32 s39, 0x33800000
	v_add_f32_e32 v67, v67, v69
	v_cmp_lt_f32_e64 s[40:41], |v99|, s39
	v_add_f32_e32 v67, v80, v67
	s_or_b64 s[34:35], s[34:35], s[40:41]
	v_cndmask_b32_e64 v67, v67, v99, s[34:35]
	v_add_f32_e32 v67, v66, v67
.LBB444_280:
	s_or_b64 exec, exec, s[36:37]
	v_bfe_u32 v66, v67, 16, 1
	s_movk_i32 s40, 0x7fff
	v_add3_u32 v66, v67, v66, s40
	v_and_b32_e32 v68, 0xffff0000, v66
	v_mov_b32_e32 v66, 0x7fc00000
	v_cmp_o_f32_e64 s[34:35], v67, v67
	v_cndmask_b32_e64 v69, v66, v68, s[34:35]
	v_lshlrev_b32_sdwa v55, v55, v19 dst_sel:DWORD dst_unused:UNUSED_PAD src0_sel:DWORD src1_sel:WORD_0
	v_max_f32_e32 v68, v69, v69
	v_max_f32_e32 v67, v55, v55
	v_min_f32_e32 v70, v68, v67
	v_cmp_u_f32_e64 s[36:37], v69, v69
	v_max_f32_e32 v68, v68, v67
	v_cndmask_b32_e64 v70, v70, v69, s[36:37]
	v_cmp_u_f32_e64 s[34:35], v55, v55
	v_cndmask_b32_e64 v68, v68, v69, s[36:37]
	v_cndmask_b32_e64 v70, v70, v55, s[34:35]
	v_cndmask_b32_e64 v68, v68, v55, s[34:35]
	v_cmp_neq_f32_e64 s[36:37], v70, v68
	v_cmp_class_f32_e64 s[38:39], v70, s38
	s_or_b64 s[36:37], s[36:37], s[38:39]
	s_and_saveexec_b64 s[38:39], s[36:37]
	s_cbranch_execz .LBB444_282
; %bb.281:
	v_sub_f32_e32 v69, v70, v68
	s_mov_b32 s36, 0x3fb8aa3b
	v_mul_f32_e32 v70, 0x3fb8aa3b, v69
	v_fma_f32 v71, v69, s36, -v70
	v_rndne_f32_e32 v80, v70
	v_fmac_f32_e32 v71, 0x32a5705f, v69
	v_sub_f32_e32 v70, v70, v80
	v_add_f32_e32 v70, v70, v71
	v_exp_f32_e32 v70, v70
	v_cvt_i32_f32_e32 v71, v80
	s_mov_b32 s36, 0xc2ce8ed0
	v_cmp_ngt_f32_e64 s[36:37], s36, v69
	s_mov_b32 s41, 0x7f800000
	v_ldexp_f32 v70, v70, v71
	v_cndmask_b32_e64 v70, 0, v70, s[36:37]
	s_mov_b32 s36, 0x42b17218
	v_mov_b32_e32 v71, 0x7f800000
	v_cmp_nlt_f32_e64 s[36:37], s36, v69
	v_cndmask_b32_e64 v99, v71, v70, s[36:37]
	v_add_f32_e32 v69, 1.0, v99
	v_add_f32_e32 v70, -1.0, v69
	v_sub_f32_e32 v71, v70, v69
	v_add_f32_e32 v71, 1.0, v71
	v_sub_f32_e32 v70, v99, v70
	v_add_f32_e32 v80, v70, v71
	v_frexp_mant_f32_e32 v81, v69
	s_mov_b32 s36, 0x3f2aaaab
	v_cvt_f64_f32_e32 v[70:71], v69
	v_frexp_exp_i32_f64_e32 v70, v[70:71]
	v_cmp_gt_f32_e64 s[36:37], s36, v81
	v_subbrev_co_u32_e64 v86, s[36:37], 0, v70, s[36:37]
	v_sub_u32_e32 v70, 0, v86
	v_ldexp_f32 v69, v69, v70
	v_ldexp_f32 v70, v80, v70
	v_add_f32_e32 v80, -1.0, v69
	v_add_f32_e32 v71, 1.0, v80
	v_sub_f32_e32 v71, v69, v71
	v_add_f32_e32 v81, v70, v71
	v_add_f32_e32 v71, 1.0, v69
	v_add_f32_e32 v82, -1.0, v71
	v_sub_f32_e32 v69, v69, v82
	v_add_f32_e32 v69, v70, v69
	v_add_f32_e32 v87, v71, v69
	v_rcp_f32_e32 v100, v87
	v_sub_f32_e32 v70, v71, v87
	v_add_f32_e32 v71, v80, v81
	v_add_f32_e32 v69, v69, v70
	v_mul_f32_e32 v102, v71, v100
	v_sub_f32_e32 v70, v80, v71
	v_mul_f32_e32 v80, v87, v102
	v_fma_f32 v82, v102, v87, -v80
	v_fmac_f32_e32 v82, v102, v69
	v_add_f32_e32 v101, v81, v70
	v_add_f32_e32 v70, v80, v82
	v_sub_f32_e32 v81, v71, v70
	v_pk_add_f32 v[84:85], v[70:71], v[80:81] neg_lo:[0,1] neg_hi:[0,1]
	v_mov_b32_e32 v83, v70
	v_pk_add_f32 v[70:71], v[84:85], v[82:83] neg_lo:[0,1] neg_hi:[0,1]
	v_add_f32_e32 v71, v101, v71
	v_add_f32_e32 v70, v70, v71
	;; [unrolled: 1-line block ×3, first 2 shown]
	v_mul_f32_e32 v101, v100, v71
	v_mul_f32_e32 v80, v87, v101
	v_fma_f32 v82, v101, v87, -v80
	v_fmac_f32_e32 v82, v101, v69
	v_sub_f32_e32 v69, v81, v71
	v_add_f32_e32 v69, v70, v69
	v_add_f32_e32 v70, v80, v82
	v_sub_f32_e32 v81, v71, v70
	v_pk_add_f32 v[84:85], v[70:71], v[80:81] neg_lo:[0,1] neg_hi:[0,1]
	v_mov_b32_e32 v83, v70
	v_pk_add_f32 v[70:71], v[84:85], v[82:83] neg_lo:[0,1] neg_hi:[0,1]
	v_add_f32_e32 v69, v69, v71
	v_add_f32_e32 v69, v70, v69
	;; [unrolled: 1-line block ×4, first 2 shown]
	v_sub_f32_e32 v71, v70, v102
	v_mul_f32_e32 v69, v100, v69
	v_sub_f32_e32 v71, v101, v71
	v_add_f32_e32 v69, v71, v69
	v_add_f32_e32 v81, v70, v69
	v_mul_f32_e32 v82, v81, v81
	v_mov_b32_e32 v80, 0x3ecc95a3
	v_fmac_f32_e32 v80, 0x3e9b6dac, v82
	v_mov_b32_e32 v71, 0x3f2aaada
	v_fmac_f32_e32 v71, v82, v80
	v_cvt_f32_i32_e32 v80, v86
	v_sub_f32_e32 v70, v81, v70
	v_sub_f32_e32 v69, v69, v70
	v_ldexp_f32 v83, v81, 1
	v_mul_f32_e32 v81, v81, v82
	v_mov_b32_e32 v70, 0x3f317218
	s_mov_b32 s36, 0x3f317218
	v_pk_mul_f32 v[70:71], v[80:81], v[70:71]
	v_fma_f32 v82, v80, s36, -v70
	v_fmac_f32_e32 v82, 0xb102e308, v80
	v_pk_add_f32 v[80:81], v[70:71], v[82:83]
	v_sub_f32_e32 v83, v81, v83
	v_ldexp_f32 v69, v69, 1
	v_sub_f32_e32 v83, v71, v83
	v_add_f32_e32 v85, v69, v83
	v_mov_b32_e32 v84, v70
	v_pk_add_f32 v[70:71], v[80:81], v[70:71] neg_lo:[0,1] neg_hi:[0,1]
	v_pk_add_f32 v[86:87], v[80:81], v[84:85]
	v_mov_b32_e32 v71, v87
	v_mov_b32_e32 v83, v80
	v_pk_add_f32 v[100:101], v[82:83], v[70:71] neg_lo:[0,1] neg_hi:[0,1]
	v_pk_add_f32 v[70:71], v[82:83], v[70:71]
	v_mov_b32_e32 v82, v71
	v_pk_add_f32 v[102:103], v[82:83], v[80:81] neg_lo:[0,1] neg_hi:[0,1]
	v_mov_b32_e32 v69, v102
	v_pk_add_f32 v[112:113], v[86:87], v[68:69] neg_lo:[0,1] neg_hi:[0,1]
	v_mov_b32_e32 v70, v87
	v_mov_b32_e32 v86, v81
	;; [unrolled: 1-line block ×4, first 2 shown]
	v_pk_add_f32 v[70:71], v[70:71], v[86:87] neg_lo:[0,1] neg_hi:[0,1]
	v_mov_b32_e32 v84, v85
	v_mov_b32_e32 v85, v80
	v_pk_add_f32 v[70:71], v[84:85], v[70:71] neg_lo:[0,1] neg_hi:[0,1]
	v_mov_b32_e32 v112, v100
	v_pk_add_f32 v[80:81], v[112:113], v[70:71]
	v_mov_b32_e32 v84, v81
	v_pk_add_f32 v[84:85], v[80:81], v[84:85]
	v_pk_add_f32 v[82:83], v[82:83], v[84:85]
	v_mov_b32_e32 v81, v82
	v_pk_add_f32 v[86:87], v[80:81], v[100:101] neg_lo:[0,1] neg_hi:[0,1]
	v_mov_b32_e32 v71, v84
	v_sub_f32_e32 v69, v80, v86
	v_pk_add_f32 v[70:71], v[70:71], v[86:87] neg_lo:[0,1] neg_hi:[0,1]
	v_sub_f32_e32 v69, v100, v69
	v_add_f32_e32 v69, v70, v69
	v_cmp_eq_f32_e64 s[36:37], s41, v99
	s_mov_b32 s41, 0x33800000
	v_add_f32_e32 v69, v69, v71
	v_cmp_lt_f32_e64 s[42:43], |v99|, s41
	v_add_f32_e32 v69, v82, v69
	s_or_b64 s[36:37], s[36:37], s[42:43]
	v_cndmask_b32_e64 v69, v69, v99, s[36:37]
	v_add_f32_e32 v69, v68, v69
.LBB444_282:
	s_or_b64 exec, exec, s[38:39]
	v_bfe_u32 v68, v69, 16, 1
	v_add3_u32 v68, v69, v68, s40
	v_and_b32_e32 v68, 0xffff0000, v68
	v_cmp_o_f32_e64 s[36:37], v69, v69
	v_cndmask_b32_e64 v70, v66, v68, s[36:37]
	v_mov_b32_e32 v66, 16
	v_lshlrev_b32_sdwa v19, v66, v19 dst_sel:DWORD dst_unused:UNUSED_PAD src0_sel:DWORD src1_sel:WORD_1
	v_max_f32_e32 v69, v70, v70
	v_max_f32_e32 v68, v19, v19
	v_min_f32_e32 v71, v69, v68
	v_cmp_u_f32_e64 s[38:39], v70, v70
	v_max_f32_e32 v69, v69, v68
	v_cndmask_b32_e64 v71, v71, v70, s[38:39]
	v_cmp_u_f32_e64 s[36:37], v19, v19
	v_cndmask_b32_e64 v69, v69, v70, s[38:39]
	v_cndmask_b32_e64 v71, v71, v19, s[36:37]
	;; [unrolled: 1-line block ×3, first 2 shown]
	s_movk_i32 s42, 0x1f8
	v_cmp_neq_f32_e64 s[38:39], v71, v69
	v_cmp_class_f32_e64 s[40:41], v71, s42
	s_or_b64 s[38:39], s[38:39], s[40:41]
	s_and_saveexec_b64 s[40:41], s[38:39]
	s_cbranch_execz .LBB444_284
; %bb.283:
	v_sub_f32_e32 v70, v71, v69
	s_mov_b32 s38, 0x3fb8aa3b
	v_mul_f32_e32 v71, 0x3fb8aa3b, v70
	v_fma_f32 v80, v70, s38, -v71
	v_rndne_f32_e32 v81, v71
	v_fmac_f32_e32 v80, 0x32a5705f, v70
	v_sub_f32_e32 v71, v71, v81
	v_add_f32_e32 v71, v71, v80
	v_exp_f32_e32 v71, v71
	v_cvt_i32_f32_e32 v80, v81
	s_mov_b32 s38, 0xc2ce8ed0
	v_cmp_ngt_f32_e64 s[38:39], s38, v70
	s_mov_b32 s43, 0x7f800000
	v_ldexp_f32 v71, v71, v80
	v_cndmask_b32_e64 v71, 0, v71, s[38:39]
	s_mov_b32 s38, 0x42b17218
	v_mov_b32_e32 v80, 0x7f800000
	v_cmp_nlt_f32_e64 s[38:39], s38, v70
	v_cndmask_b32_e64 v99, v80, v71, s[38:39]
	v_add_f32_e32 v80, 1.0, v99
	v_add_f32_e32 v70, -1.0, v80
	v_sub_f32_e32 v71, v70, v80
	v_add_f32_e32 v71, 1.0, v71
	v_sub_f32_e32 v70, v99, v70
	v_add_f32_e32 v81, v70, v71
	v_frexp_mant_f32_e32 v82, v80
	s_mov_b32 s38, 0x3f2aaaab
	v_cvt_f64_f32_e32 v[70:71], v80
	v_frexp_exp_i32_f64_e32 v70, v[70:71]
	v_cmp_gt_f32_e64 s[38:39], s38, v82
	v_subbrev_co_u32_e64 v86, s[38:39], 0, v70, s[38:39]
	v_sub_u32_e32 v70, 0, v86
	v_ldexp_f32 v71, v80, v70
	v_add_f32_e32 v80, -1.0, v71
	v_add_f32_e32 v82, 1.0, v71
	v_ldexp_f32 v70, v81, v70
	v_add_f32_e32 v81, 1.0, v80
	v_add_f32_e32 v83, -1.0, v82
	v_sub_f32_e32 v81, v71, v81
	v_sub_f32_e32 v71, v71, v83
	v_add_f32_e32 v81, v70, v81
	v_add_f32_e32 v70, v70, v71
	;; [unrolled: 1-line block ×3, first 2 shown]
	v_rcp_f32_e32 v101, v87
	v_sub_f32_e32 v71, v82, v87
	v_add_f32_e32 v100, v70, v71
	v_add_f32_e32 v71, v80, v81
	v_mul_f32_e32 v103, v71, v101
	v_sub_f32_e32 v70, v80, v71
	v_mul_f32_e32 v80, v87, v103
	v_fma_f32 v82, v103, v87, -v80
	v_fmac_f32_e32 v82, v103, v100
	v_add_f32_e32 v102, v81, v70
	v_add_f32_e32 v70, v80, v82
	v_sub_f32_e32 v81, v71, v70
	v_pk_add_f32 v[84:85], v[70:71], v[80:81] neg_lo:[0,1] neg_hi:[0,1]
	v_mov_b32_e32 v83, v70
	v_pk_add_f32 v[70:71], v[84:85], v[82:83] neg_lo:[0,1] neg_hi:[0,1]
	v_add_f32_e32 v71, v102, v71
	v_add_f32_e32 v70, v70, v71
	;; [unrolled: 1-line block ×3, first 2 shown]
	v_mul_f32_e32 v102, v101, v71
	v_mul_f32_e32 v80, v87, v102
	v_fma_f32 v82, v102, v87, -v80
	v_fmac_f32_e32 v82, v102, v100
	v_sub_f32_e32 v81, v81, v71
	v_add_f32_e32 v87, v70, v81
	v_add_f32_e32 v70, v80, v82
	v_sub_f32_e32 v81, v71, v70
	v_pk_add_f32 v[84:85], v[70:71], v[80:81] neg_lo:[0,1] neg_hi:[0,1]
	v_mov_b32_e32 v83, v70
	v_pk_add_f32 v[70:71], v[84:85], v[82:83] neg_lo:[0,1] neg_hi:[0,1]
	v_add_f32_e32 v71, v87, v71
	v_add_f32_e32 v70, v70, v71
	;; [unrolled: 1-line block ×4, first 2 shown]
	v_sub_f32_e32 v71, v81, v103
	v_mul_f32_e32 v70, v101, v70
	v_sub_f32_e32 v71, v102, v71
	v_add_f32_e32 v70, v71, v70
	v_add_f32_e32 v82, v81, v70
	v_mul_f32_e32 v84, v82, v82
	v_mov_b32_e32 v80, 0x3ecc95a3
	v_fmac_f32_e32 v80, 0x3e9b6dac, v84
	v_mov_b32_e32 v71, 0x3f2aaada
	v_fmac_f32_e32 v71, v84, v80
	v_cvt_f32_i32_e32 v80, v86
	v_sub_f32_e32 v81, v82, v81
	v_sub_f32_e32 v70, v70, v81
	v_ldexp_f32 v85, v70, 1
	v_mul_f32_e32 v81, v82, v84
	v_mov_b32_e32 v70, 0x3f317218
	s_mov_b32 s38, 0x3f317218
	v_pk_mul_f32 v[70:71], v[80:81], v[70:71]
	v_ldexp_f32 v83, v82, 1
	v_fma_f32 v82, v80, s38, -v70
	v_fmac_f32_e32 v82, 0xb102e308, v80
	v_pk_add_f32 v[80:81], v[70:71], v[82:83]
	v_sub_f32_e32 v83, v81, v83
	v_sub_f32_e32 v83, v71, v83
	v_add_f32_e32 v85, v85, v83
	v_mov_b32_e32 v84, v70
	v_pk_add_f32 v[70:71], v[80:81], v[70:71] neg_lo:[0,1] neg_hi:[0,1]
	v_pk_add_f32 v[86:87], v[80:81], v[84:85]
	v_mov_b32_e32 v71, v87
	v_mov_b32_e32 v83, v80
	v_pk_add_f32 v[100:101], v[82:83], v[70:71] neg_lo:[0,1] neg_hi:[0,1]
	v_pk_add_f32 v[70:71], v[82:83], v[70:71]
	v_mov_b32_e32 v82, v71
	v_pk_add_f32 v[102:103], v[82:83], v[80:81] neg_lo:[0,1] neg_hi:[0,1]
	v_mov_b32_e32 v83, v102
	v_pk_add_f32 v[112:113], v[86:87], v[82:83] neg_lo:[0,1] neg_hi:[0,1]
	v_mov_b32_e32 v70, v87
	v_mov_b32_e32 v86, v81
	;; [unrolled: 1-line block ×4, first 2 shown]
	v_pk_add_f32 v[70:71], v[70:71], v[86:87] neg_lo:[0,1] neg_hi:[0,1]
	v_mov_b32_e32 v84, v85
	v_mov_b32_e32 v85, v80
	v_pk_add_f32 v[70:71], v[84:85], v[70:71] neg_lo:[0,1] neg_hi:[0,1]
	v_mov_b32_e32 v112, v100
	v_pk_add_f32 v[80:81], v[112:113], v[70:71]
	v_mov_b32_e32 v84, v81
	v_pk_add_f32 v[84:85], v[80:81], v[84:85]
	v_pk_add_f32 v[82:83], v[82:83], v[84:85]
	v_mov_b32_e32 v81, v82
	v_pk_add_f32 v[86:87], v[80:81], v[100:101] neg_lo:[0,1] neg_hi:[0,1]
	v_mov_b32_e32 v71, v84
	v_sub_f32_e32 v80, v80, v86
	v_pk_add_f32 v[70:71], v[70:71], v[86:87] neg_lo:[0,1] neg_hi:[0,1]
	v_sub_f32_e32 v80, v100, v80
	v_add_f32_e32 v70, v70, v80
	v_cmp_eq_f32_e64 s[38:39], s43, v99
	s_mov_b32 s43, 0x33800000
	v_add_f32_e32 v70, v70, v71
	v_cmp_lt_f32_e64 s[44:45], |v99|, s43
	v_add_f32_e32 v70, v82, v70
	s_or_b64 s[38:39], s[38:39], s[44:45]
	v_cndmask_b32_e64 v70, v70, v99, s[38:39]
	v_add_f32_e32 v70, v69, v70
.LBB444_284:
	s_or_b64 exec, exec, s[40:41]
	v_bfe_u32 v69, v70, 16, 1
	s_movk_i32 s44, 0x7fff
	v_add3_u32 v69, v70, v69, s44
	v_and_b32_e32 v71, 0xffff0000, v69
	v_mov_b32_e32 v69, 0x7fc00000
	v_cmp_o_f32_e64 s[38:39], v70, v70
	v_cndmask_b32_e64 v80, v69, v71, s[38:39]
	v_lshlrev_b32_sdwa v66, v66, v12 dst_sel:DWORD dst_unused:UNUSED_PAD src0_sel:DWORD src1_sel:WORD_0
	v_max_f32_e32 v71, v80, v80
	v_max_f32_e32 v70, v66, v66
	v_min_f32_e32 v81, v71, v70
	v_cmp_u_f32_e64 s[40:41], v80, v80
	v_max_f32_e32 v71, v71, v70
	v_cndmask_b32_e64 v81, v81, v80, s[40:41]
	v_cmp_u_f32_e64 s[38:39], v66, v66
	v_cndmask_b32_e64 v71, v71, v80, s[40:41]
	v_cndmask_b32_e64 v81, v81, v66, s[38:39]
	v_cndmask_b32_e64 v71, v71, v66, s[38:39]
	v_cmp_neq_f32_e64 s[40:41], v81, v71
	v_cmp_class_f32_e64 s[42:43], v81, s42
	s_or_b64 s[40:41], s[40:41], s[42:43]
	s_and_saveexec_b64 s[42:43], s[40:41]
	s_cbranch_execz .LBB444_286
; %bb.285:
	v_sub_f32_e32 v80, v81, v71
	s_mov_b32 s40, 0x3fb8aa3b
	v_mul_f32_e32 v81, 0x3fb8aa3b, v80
	v_fma_f32 v82, v80, s40, -v81
	v_rndne_f32_e32 v83, v81
	v_fmac_f32_e32 v82, 0x32a5705f, v80
	v_sub_f32_e32 v81, v81, v83
	v_add_f32_e32 v81, v81, v82
	v_exp_f32_e32 v81, v81
	v_cvt_i32_f32_e32 v82, v83
	s_mov_b32 s40, 0xc2ce8ed0
	v_cmp_ngt_f32_e64 s[40:41], s40, v80
	s_mov_b32 s45, 0x7f800000
	v_ldexp_f32 v81, v81, v82
	v_cndmask_b32_e64 v81, 0, v81, s[40:41]
	s_mov_b32 s40, 0x42b17218
	v_mov_b32_e32 v82, 0x7f800000
	v_cmp_nlt_f32_e64 s[40:41], s40, v80
	v_cndmask_b32_e64 v99, v82, v81, s[40:41]
	v_add_f32_e32 v82, 1.0, v99
	v_add_f32_e32 v80, -1.0, v82
	v_sub_f32_e32 v81, v80, v82
	v_add_f32_e32 v81, 1.0, v81
	v_sub_f32_e32 v80, v99, v80
	v_add_f32_e32 v83, v80, v81
	v_frexp_mant_f32_e32 v84, v82
	s_mov_b32 s40, 0x3f2aaaab
	v_cvt_f64_f32_e32 v[80:81], v82
	v_frexp_exp_i32_f64_e32 v80, v[80:81]
	v_cmp_gt_f32_e64 s[40:41], s40, v84
	v_subbrev_co_u32_e64 v100, s[40:41], 0, v80, s[40:41]
	v_sub_u32_e32 v80, 0, v100
	v_ldexp_f32 v81, v82, v80
	v_add_f32_e32 v82, -1.0, v81
	v_add_f32_e32 v84, 1.0, v81
	v_ldexp_f32 v80, v83, v80
	v_add_f32_e32 v83, 1.0, v82
	v_add_f32_e32 v85, -1.0, v84
	v_sub_f32_e32 v83, v81, v83
	v_sub_f32_e32 v81, v81, v85
	v_add_f32_e32 v83, v80, v83
	v_add_f32_e32 v80, v80, v81
	;; [unrolled: 1-line block ×3, first 2 shown]
	v_rcp_f32_e32 v103, v101
	v_sub_f32_e32 v81, v84, v101
	v_add_f32_e32 v102, v80, v81
	v_add_f32_e32 v81, v82, v83
	v_mul_f32_e32 v113, v81, v103
	v_sub_f32_e32 v80, v82, v81
	v_mul_f32_e32 v82, v101, v113
	v_fma_f32 v84, v113, v101, -v82
	v_fmac_f32_e32 v84, v113, v102
	v_add_f32_e32 v112, v83, v80
	v_add_f32_e32 v80, v82, v84
	v_sub_f32_e32 v83, v81, v80
	v_pk_add_f32 v[86:87], v[80:81], v[82:83] neg_lo:[0,1] neg_hi:[0,1]
	v_mov_b32_e32 v85, v80
	v_pk_add_f32 v[80:81], v[86:87], v[84:85] neg_lo:[0,1] neg_hi:[0,1]
	v_add_f32_e32 v81, v112, v81
	v_add_f32_e32 v80, v80, v81
	;; [unrolled: 1-line block ×3, first 2 shown]
	v_mul_f32_e32 v112, v103, v81
	v_mul_f32_e32 v82, v101, v112
	v_fma_f32 v84, v112, v101, -v82
	v_fmac_f32_e32 v84, v112, v102
	v_sub_f32_e32 v83, v83, v81
	v_add_f32_e32 v101, v80, v83
	v_add_f32_e32 v80, v82, v84
	v_sub_f32_e32 v83, v81, v80
	v_pk_add_f32 v[86:87], v[80:81], v[82:83] neg_lo:[0,1] neg_hi:[0,1]
	v_mov_b32_e32 v85, v80
	v_pk_add_f32 v[80:81], v[86:87], v[84:85] neg_lo:[0,1] neg_hi:[0,1]
	v_add_f32_e32 v81, v101, v81
	v_add_f32_e32 v80, v80, v81
	;; [unrolled: 1-line block ×4, first 2 shown]
	v_sub_f32_e32 v81, v83, v113
	v_mul_f32_e32 v80, v103, v80
	v_sub_f32_e32 v81, v112, v81
	v_add_f32_e32 v80, v81, v80
	v_add_f32_e32 v84, v83, v80
	v_mul_f32_e32 v86, v84, v84
	v_mov_b32_e32 v82, 0x3ecc95a3
	v_fmac_f32_e32 v82, 0x3e9b6dac, v86
	v_mov_b32_e32 v81, 0x3f2aaada
	v_fmac_f32_e32 v81, v86, v82
	v_cvt_f32_i32_e32 v82, v100
	v_sub_f32_e32 v83, v84, v83
	v_sub_f32_e32 v80, v80, v83
	v_ldexp_f32 v87, v80, 1
	v_mul_f32_e32 v83, v84, v86
	v_mov_b32_e32 v80, 0x3f317218
	s_mov_b32 s40, 0x3f317218
	v_pk_mul_f32 v[80:81], v[82:83], v[80:81]
	v_ldexp_f32 v85, v84, 1
	v_fma_f32 v84, v82, s40, -v80
	v_fmac_f32_e32 v84, 0xb102e308, v82
	v_pk_add_f32 v[82:83], v[80:81], v[84:85]
	v_sub_f32_e32 v85, v83, v85
	v_sub_f32_e32 v85, v81, v85
	v_add_f32_e32 v87, v87, v85
	v_mov_b32_e32 v86, v80
	v_pk_add_f32 v[80:81], v[82:83], v[80:81] neg_lo:[0,1] neg_hi:[0,1]
	v_pk_add_f32 v[100:101], v[82:83], v[86:87]
	v_mov_b32_e32 v81, v101
	v_mov_b32_e32 v85, v82
	v_pk_add_f32 v[102:103], v[84:85], v[80:81] neg_lo:[0,1] neg_hi:[0,1]
	v_pk_add_f32 v[80:81], v[84:85], v[80:81]
	v_mov_b32_e32 v84, v81
	v_pk_add_f32 v[112:113], v[84:85], v[82:83] neg_lo:[0,1] neg_hi:[0,1]
	v_mov_b32_e32 v85, v112
	v_pk_add_f32 v[114:115], v[100:101], v[84:85] neg_lo:[0,1] neg_hi:[0,1]
	v_mov_b32_e32 v80, v101
	v_mov_b32_e32 v100, v83
	;; [unrolled: 1-line block ×4, first 2 shown]
	v_pk_add_f32 v[80:81], v[80:81], v[100:101] neg_lo:[0,1] neg_hi:[0,1]
	v_mov_b32_e32 v86, v87
	v_mov_b32_e32 v87, v82
	v_pk_add_f32 v[80:81], v[86:87], v[80:81] neg_lo:[0,1] neg_hi:[0,1]
	v_mov_b32_e32 v114, v102
	v_pk_add_f32 v[82:83], v[114:115], v[80:81]
	v_mov_b32_e32 v86, v83
	v_pk_add_f32 v[86:87], v[82:83], v[86:87]
	v_pk_add_f32 v[84:85], v[84:85], v[86:87]
	v_mov_b32_e32 v83, v84
	v_pk_add_f32 v[100:101], v[82:83], v[102:103] neg_lo:[0,1] neg_hi:[0,1]
	v_mov_b32_e32 v81, v86
	v_sub_f32_e32 v82, v82, v100
	v_pk_add_f32 v[80:81], v[80:81], v[100:101] neg_lo:[0,1] neg_hi:[0,1]
	v_sub_f32_e32 v82, v102, v82
	v_add_f32_e32 v80, v80, v82
	v_cmp_eq_f32_e64 s[40:41], s45, v99
	s_mov_b32 s45, 0x33800000
	v_add_f32_e32 v80, v80, v81
	v_cmp_lt_f32_e64 s[46:47], |v99|, s45
	v_add_f32_e32 v80, v84, v80
	s_or_b64 s[40:41], s[40:41], s[46:47]
	v_cndmask_b32_e64 v80, v80, v99, s[40:41]
	v_add_f32_e32 v80, v71, v80
.LBB444_286:
	s_or_b64 exec, exec, s[42:43]
	v_bfe_u32 v71, v80, 16, 1
	v_add3_u32 v71, v80, v71, s44
	v_and_b32_e32 v71, 0xffff0000, v71
	v_cmp_o_f32_e64 s[40:41], v80, v80
	v_cndmask_b32_e64 v81, v69, v71, s[40:41]
	v_mov_b32_e32 v69, 16
	v_lshlrev_b32_sdwa v12, v69, v12 dst_sel:DWORD dst_unused:UNUSED_PAD src0_sel:DWORD src1_sel:WORD_1
	v_max_f32_e32 v80, v81, v81
	v_max_f32_e32 v71, v12, v12
	v_min_f32_e32 v82, v80, v71
	v_cmp_u_f32_e64 s[42:43], v81, v81
	v_max_f32_e32 v80, v80, v71
	v_cndmask_b32_e64 v82, v82, v81, s[42:43]
	v_cmp_u_f32_e64 s[40:41], v12, v12
	v_cndmask_b32_e64 v80, v80, v81, s[42:43]
	v_cndmask_b32_e64 v82, v82, v12, s[40:41]
	;; [unrolled: 1-line block ×3, first 2 shown]
	s_movk_i32 s46, 0x1f8
	v_cmp_neq_f32_e64 s[42:43], v82, v80
	v_cmp_class_f32_e64 s[44:45], v82, s46
	s_or_b64 s[42:43], s[42:43], s[44:45]
	s_and_saveexec_b64 s[44:45], s[42:43]
	s_cbranch_execz .LBB444_288
; %bb.287:
	v_sub_f32_e32 v81, v82, v80
	s_mov_b32 s42, 0x3fb8aa3b
	v_mul_f32_e32 v82, 0x3fb8aa3b, v81
	v_fma_f32 v83, v81, s42, -v82
	v_rndne_f32_e32 v84, v82
	v_fmac_f32_e32 v83, 0x32a5705f, v81
	v_sub_f32_e32 v82, v82, v84
	v_add_f32_e32 v82, v82, v83
	v_exp_f32_e32 v82, v82
	v_cvt_i32_f32_e32 v83, v84
	s_mov_b32 s42, 0xc2ce8ed0
	v_cmp_ngt_f32_e64 s[42:43], s42, v81
	s_mov_b32 s47, 0x7f800000
	v_ldexp_f32 v82, v82, v83
	v_cndmask_b32_e64 v82, 0, v82, s[42:43]
	s_mov_b32 s42, 0x42b17218
	v_mov_b32_e32 v83, 0x7f800000
	v_cmp_nlt_f32_e64 s[42:43], s42, v81
	v_cndmask_b32_e64 v99, v83, v82, s[42:43]
	v_add_f32_e32 v81, 1.0, v99
	v_add_f32_e32 v82, -1.0, v81
	v_sub_f32_e32 v83, v82, v81
	v_add_f32_e32 v83, 1.0, v83
	v_sub_f32_e32 v82, v99, v82
	v_add_f32_e32 v84, v82, v83
	v_frexp_mant_f32_e32 v85, v81
	s_mov_b32 s42, 0x3f2aaaab
	v_cvt_f64_f32_e32 v[82:83], v81
	v_frexp_exp_i32_f64_e32 v82, v[82:83]
	v_cmp_gt_f32_e64 s[42:43], s42, v85
	v_subbrev_co_u32_e64 v102, s[42:43], 0, v82, s[42:43]
	v_sub_u32_e32 v82, 0, v102
	v_ldexp_f32 v81, v81, v82
	v_ldexp_f32 v82, v84, v82
	v_add_f32_e32 v84, -1.0, v81
	v_add_f32_e32 v83, 1.0, v84
	v_sub_f32_e32 v83, v81, v83
	v_add_f32_e32 v85, v82, v83
	v_add_f32_e32 v83, 1.0, v81
	v_add_f32_e32 v86, -1.0, v83
	v_sub_f32_e32 v81, v81, v86
	v_add_f32_e32 v81, v82, v81
	v_add_f32_e32 v103, v83, v81
	v_rcp_f32_e32 v112, v103
	v_sub_f32_e32 v82, v83, v103
	v_add_f32_e32 v83, v84, v85
	v_add_f32_e32 v81, v81, v82
	v_mul_f32_e32 v114, v83, v112
	v_sub_f32_e32 v82, v84, v83
	v_mul_f32_e32 v84, v103, v114
	v_fma_f32 v86, v114, v103, -v84
	v_fmac_f32_e32 v86, v114, v81
	v_add_f32_e32 v113, v85, v82
	v_add_f32_e32 v82, v84, v86
	v_sub_f32_e32 v85, v83, v82
	v_pk_add_f32 v[100:101], v[82:83], v[84:85] neg_lo:[0,1] neg_hi:[0,1]
	v_mov_b32_e32 v87, v82
	v_pk_add_f32 v[82:83], v[100:101], v[86:87] neg_lo:[0,1] neg_hi:[0,1]
	v_add_f32_e32 v83, v113, v83
	v_add_f32_e32 v82, v82, v83
	;; [unrolled: 1-line block ×3, first 2 shown]
	v_mul_f32_e32 v113, v112, v83
	v_mul_f32_e32 v84, v103, v113
	v_fma_f32 v86, v113, v103, -v84
	v_fmac_f32_e32 v86, v113, v81
	v_sub_f32_e32 v81, v85, v83
	v_add_f32_e32 v81, v82, v81
	v_add_f32_e32 v82, v84, v86
	v_sub_f32_e32 v85, v83, v82
	v_pk_add_f32 v[100:101], v[82:83], v[84:85] neg_lo:[0,1] neg_hi:[0,1]
	v_mov_b32_e32 v87, v82
	v_pk_add_f32 v[82:83], v[100:101], v[86:87] neg_lo:[0,1] neg_hi:[0,1]
	v_add_f32_e32 v81, v81, v83
	v_add_f32_e32 v81, v82, v81
	;; [unrolled: 1-line block ×4, first 2 shown]
	v_sub_f32_e32 v83, v82, v114
	v_mul_f32_e32 v81, v112, v81
	v_sub_f32_e32 v83, v113, v83
	v_add_f32_e32 v81, v83, v81
	v_add_f32_e32 v85, v82, v81
	v_mul_f32_e32 v86, v85, v85
	v_mov_b32_e32 v84, 0x3ecc95a3
	v_fmac_f32_e32 v84, 0x3e9b6dac, v86
	v_mov_b32_e32 v83, 0x3f2aaada
	v_fmac_f32_e32 v83, v86, v84
	v_cvt_f32_i32_e32 v84, v102
	v_sub_f32_e32 v82, v85, v82
	v_sub_f32_e32 v81, v81, v82
	v_ldexp_f32 v87, v85, 1
	v_mul_f32_e32 v85, v85, v86
	v_mov_b32_e32 v82, 0x3f317218
	s_mov_b32 s42, 0x3f317218
	v_pk_mul_f32 v[82:83], v[84:85], v[82:83]
	v_fma_f32 v86, v84, s42, -v82
	v_fmac_f32_e32 v86, 0xb102e308, v84
	v_pk_add_f32 v[84:85], v[82:83], v[86:87]
	v_sub_f32_e32 v87, v85, v87
	v_ldexp_f32 v81, v81, 1
	v_sub_f32_e32 v87, v83, v87
	v_add_f32_e32 v101, v81, v87
	v_mov_b32_e32 v100, v82
	v_pk_add_f32 v[82:83], v[84:85], v[82:83] neg_lo:[0,1] neg_hi:[0,1]
	v_pk_add_f32 v[102:103], v[84:85], v[100:101]
	v_mov_b32_e32 v83, v103
	v_mov_b32_e32 v87, v84
	v_pk_add_f32 v[112:113], v[86:87], v[82:83] neg_lo:[0,1] neg_hi:[0,1]
	v_pk_add_f32 v[82:83], v[86:87], v[82:83]
	v_mov_b32_e32 v86, v83
	v_pk_add_f32 v[114:115], v[86:87], v[84:85] neg_lo:[0,1] neg_hi:[0,1]
	v_mov_b32_e32 v81, v114
	v_pk_add_f32 v[116:117], v[102:103], v[80:81] neg_lo:[0,1] neg_hi:[0,1]
	v_mov_b32_e32 v82, v103
	v_mov_b32_e32 v102, v85
	;; [unrolled: 1-line block ×4, first 2 shown]
	v_pk_add_f32 v[82:83], v[82:83], v[102:103] neg_lo:[0,1] neg_hi:[0,1]
	v_mov_b32_e32 v100, v101
	v_mov_b32_e32 v101, v84
	v_pk_add_f32 v[82:83], v[100:101], v[82:83] neg_lo:[0,1] neg_hi:[0,1]
	v_mov_b32_e32 v116, v112
	v_pk_add_f32 v[84:85], v[116:117], v[82:83]
	v_mov_b32_e32 v100, v85
	v_pk_add_f32 v[100:101], v[84:85], v[100:101]
	v_pk_add_f32 v[86:87], v[86:87], v[100:101]
	v_mov_b32_e32 v85, v86
	v_pk_add_f32 v[102:103], v[84:85], v[112:113] neg_lo:[0,1] neg_hi:[0,1]
	v_mov_b32_e32 v83, v100
	v_sub_f32_e32 v81, v84, v102
	v_pk_add_f32 v[82:83], v[82:83], v[102:103] neg_lo:[0,1] neg_hi:[0,1]
	v_sub_f32_e32 v81, v112, v81
	v_add_f32_e32 v81, v82, v81
	v_cmp_eq_f32_e64 s[42:43], s47, v99
	s_mov_b32 s47, 0x33800000
	v_add_f32_e32 v81, v81, v83
	v_cmp_lt_f32_e64 s[48:49], |v99|, s47
	v_add_f32_e32 v81, v86, v81
	s_or_b64 s[42:43], s[42:43], s[48:49]
	v_cndmask_b32_e64 v81, v81, v99, s[42:43]
	v_add_f32_e32 v81, v80, v81
.LBB444_288:
	s_or_b64 exec, exec, s[44:45]
	v_bfe_u32 v80, v81, 16, 1
	s_movk_i32 s48, 0x7fff
	v_add3_u32 v80, v81, v80, s48
	v_and_b32_e32 v82, 0xffff0000, v80
	v_mov_b32_e32 v80, 0x7fc00000
	v_cmp_o_f32_e64 s[42:43], v81, v81
	v_cndmask_b32_e64 v83, v80, v82, s[42:43]
	v_lshlrev_b32_sdwa v69, v69, v13 dst_sel:DWORD dst_unused:UNUSED_PAD src0_sel:DWORD src1_sel:WORD_0
	v_max_f32_e32 v82, v83, v83
	v_max_f32_e32 v81, v69, v69
	v_min_f32_e32 v84, v82, v81
	v_cmp_u_f32_e64 s[44:45], v83, v83
	v_max_f32_e32 v82, v82, v81
	v_cndmask_b32_e64 v84, v84, v83, s[44:45]
	v_cmp_u_f32_e64 s[42:43], v69, v69
	v_cndmask_b32_e64 v82, v82, v83, s[44:45]
	v_cndmask_b32_e64 v84, v84, v69, s[42:43]
	;; [unrolled: 1-line block ×3, first 2 shown]
	v_cmp_neq_f32_e64 s[44:45], v84, v82
	v_cmp_class_f32_e64 s[46:47], v84, s46
	s_or_b64 s[44:45], s[44:45], s[46:47]
	s_and_saveexec_b64 s[46:47], s[44:45]
	s_cbranch_execz .LBB444_290
; %bb.289:
	v_sub_f32_e32 v83, v84, v82
	s_mov_b32 s44, 0x3fb8aa3b
	v_mul_f32_e32 v84, 0x3fb8aa3b, v83
	v_fma_f32 v85, v83, s44, -v84
	v_rndne_f32_e32 v86, v84
	v_fmac_f32_e32 v85, 0x32a5705f, v83
	v_sub_f32_e32 v84, v84, v86
	v_add_f32_e32 v84, v84, v85
	v_exp_f32_e32 v84, v84
	v_cvt_i32_f32_e32 v85, v86
	s_mov_b32 s44, 0xc2ce8ed0
	v_cmp_ngt_f32_e64 s[44:45], s44, v83
	s_mov_b32 s49, 0x7f800000
	v_ldexp_f32 v84, v84, v85
	v_cndmask_b32_e64 v84, 0, v84, s[44:45]
	s_mov_b32 s44, 0x42b17218
	v_mov_b32_e32 v85, 0x7f800000
	v_cmp_nlt_f32_e64 s[44:45], s44, v83
	v_cndmask_b32_e64 v99, v85, v84, s[44:45]
	v_add_f32_e32 v83, 1.0, v99
	v_add_f32_e32 v84, -1.0, v83
	v_sub_f32_e32 v85, v84, v83
	v_add_f32_e32 v85, 1.0, v85
	v_sub_f32_e32 v84, v99, v84
	v_add_f32_e32 v86, v84, v85
	v_frexp_mant_f32_e32 v87, v83
	s_mov_b32 s44, 0x3f2aaaab
	v_cvt_f64_f32_e32 v[84:85], v83
	v_frexp_exp_i32_f64_e32 v84, v[84:85]
	v_cmp_gt_f32_e64 s[44:45], s44, v87
	v_subbrev_co_u32_e64 v112, s[44:45], 0, v84, s[44:45]
	v_sub_u32_e32 v84, 0, v112
	v_ldexp_f32 v83, v83, v84
	v_ldexp_f32 v84, v86, v84
	v_add_f32_e32 v86, -1.0, v83
	v_add_f32_e32 v85, 1.0, v86
	v_sub_f32_e32 v85, v83, v85
	v_add_f32_e32 v87, v84, v85
	v_add_f32_e32 v85, 1.0, v83
	v_add_f32_e32 v100, -1.0, v85
	v_sub_f32_e32 v83, v83, v100
	v_add_f32_e32 v83, v84, v83
	v_add_f32_e32 v113, v85, v83
	v_rcp_f32_e32 v114, v113
	v_sub_f32_e32 v84, v85, v113
	v_add_f32_e32 v85, v86, v87
	v_add_f32_e32 v83, v83, v84
	v_mul_f32_e32 v116, v85, v114
	v_sub_f32_e32 v84, v86, v85
	v_mul_f32_e32 v86, v113, v116
	v_fma_f32 v100, v116, v113, -v86
	v_fmac_f32_e32 v100, v116, v83
	v_add_f32_e32 v115, v87, v84
	v_add_f32_e32 v84, v86, v100
	v_sub_f32_e32 v87, v85, v84
	v_pk_add_f32 v[102:103], v[84:85], v[86:87] neg_lo:[0,1] neg_hi:[0,1]
	v_mov_b32_e32 v101, v84
	v_pk_add_f32 v[84:85], v[102:103], v[100:101] neg_lo:[0,1] neg_hi:[0,1]
	v_add_f32_e32 v85, v115, v85
	v_add_f32_e32 v84, v84, v85
	;; [unrolled: 1-line block ×3, first 2 shown]
	v_mul_f32_e32 v115, v114, v85
	v_mul_f32_e32 v86, v113, v115
	v_fma_f32 v100, v115, v113, -v86
	v_fmac_f32_e32 v100, v115, v83
	v_sub_f32_e32 v83, v87, v85
	v_add_f32_e32 v83, v84, v83
	v_add_f32_e32 v84, v86, v100
	v_sub_f32_e32 v87, v85, v84
	v_pk_add_f32 v[102:103], v[84:85], v[86:87] neg_lo:[0,1] neg_hi:[0,1]
	v_mov_b32_e32 v101, v84
	v_pk_add_f32 v[84:85], v[102:103], v[100:101] neg_lo:[0,1] neg_hi:[0,1]
	v_add_f32_e32 v83, v83, v85
	v_add_f32_e32 v83, v84, v83
	;; [unrolled: 1-line block ×4, first 2 shown]
	v_sub_f32_e32 v85, v84, v116
	v_mul_f32_e32 v83, v114, v83
	v_sub_f32_e32 v85, v115, v85
	v_add_f32_e32 v83, v85, v83
	v_add_f32_e32 v87, v84, v83
	v_mul_f32_e32 v100, v87, v87
	v_mov_b32_e32 v86, 0x3ecc95a3
	v_fmac_f32_e32 v86, 0x3e9b6dac, v100
	v_mov_b32_e32 v85, 0x3f2aaada
	v_fmac_f32_e32 v85, v100, v86
	v_cvt_f32_i32_e32 v86, v112
	v_sub_f32_e32 v84, v87, v84
	v_sub_f32_e32 v83, v83, v84
	v_ldexp_f32 v101, v87, 1
	v_mul_f32_e32 v87, v87, v100
	v_mov_b32_e32 v84, 0x3f317218
	s_mov_b32 s44, 0x3f317218
	v_pk_mul_f32 v[84:85], v[86:87], v[84:85]
	v_fma_f32 v100, v86, s44, -v84
	v_fmac_f32_e32 v100, 0xb102e308, v86
	v_pk_add_f32 v[86:87], v[84:85], v[100:101]
	v_sub_f32_e32 v101, v87, v101
	v_ldexp_f32 v83, v83, 1
	v_sub_f32_e32 v101, v85, v101
	v_add_f32_e32 v103, v83, v101
	v_mov_b32_e32 v102, v84
	v_pk_add_f32 v[84:85], v[86:87], v[84:85] neg_lo:[0,1] neg_hi:[0,1]
	v_pk_add_f32 v[112:113], v[86:87], v[102:103]
	v_mov_b32_e32 v85, v113
	v_mov_b32_e32 v101, v86
	v_pk_add_f32 v[114:115], v[100:101], v[84:85] neg_lo:[0,1] neg_hi:[0,1]
	v_pk_add_f32 v[84:85], v[100:101], v[84:85]
	v_mov_b32_e32 v100, v85
	v_pk_add_f32 v[116:117], v[100:101], v[86:87] neg_lo:[0,1] neg_hi:[0,1]
	v_mov_b32_e32 v83, v116
	v_pk_add_f32 v[118:119], v[112:113], v[82:83] neg_lo:[0,1] neg_hi:[0,1]
	v_mov_b32_e32 v84, v113
	v_mov_b32_e32 v112, v87
	;; [unrolled: 1-line block ×4, first 2 shown]
	v_pk_add_f32 v[84:85], v[84:85], v[112:113] neg_lo:[0,1] neg_hi:[0,1]
	v_mov_b32_e32 v102, v103
	v_mov_b32_e32 v103, v86
	v_pk_add_f32 v[84:85], v[102:103], v[84:85] neg_lo:[0,1] neg_hi:[0,1]
	v_mov_b32_e32 v118, v114
	v_pk_add_f32 v[86:87], v[118:119], v[84:85]
	v_mov_b32_e32 v102, v87
	v_pk_add_f32 v[102:103], v[86:87], v[102:103]
	v_pk_add_f32 v[100:101], v[100:101], v[102:103]
	v_mov_b32_e32 v87, v100
	v_pk_add_f32 v[112:113], v[86:87], v[114:115] neg_lo:[0,1] neg_hi:[0,1]
	v_mov_b32_e32 v85, v102
	v_sub_f32_e32 v83, v86, v112
	v_pk_add_f32 v[84:85], v[84:85], v[112:113] neg_lo:[0,1] neg_hi:[0,1]
	v_sub_f32_e32 v83, v114, v83
	v_add_f32_e32 v83, v84, v83
	v_cmp_eq_f32_e64 s[44:45], s49, v99
	s_mov_b32 s49, 0x33800000
	v_add_f32_e32 v83, v83, v85
	v_cmp_lt_f32_e64 s[50:51], |v99|, s49
	v_add_f32_e32 v83, v100, v83
	s_or_b64 s[44:45], s[44:45], s[50:51]
	v_cndmask_b32_e64 v83, v83, v99, s[44:45]
	v_add_f32_e32 v83, v82, v83
.LBB444_290:
	s_or_b64 exec, exec, s[46:47]
	v_bfe_u32 v82, v83, 16, 1
	v_add3_u32 v82, v83, v82, s48
	v_and_b32_e32 v82, 0xffff0000, v82
	v_cmp_o_f32_e64 s[44:45], v83, v83
	v_cndmask_b32_e64 v84, v80, v82, s[44:45]
	v_mov_b32_e32 v80, 16
	v_lshlrev_b32_sdwa v13, v80, v13 dst_sel:DWORD dst_unused:UNUSED_PAD src0_sel:DWORD src1_sel:WORD_1
	v_max_f32_e32 v83, v84, v84
	v_max_f32_e32 v82, v13, v13
	v_min_f32_e32 v85, v83, v82
	v_cmp_u_f32_e64 s[46:47], v84, v84
	v_max_f32_e32 v83, v83, v82
	v_cndmask_b32_e64 v85, v85, v84, s[46:47]
	v_cmp_u_f32_e64 s[44:45], v13, v13
	v_cndmask_b32_e64 v83, v83, v84, s[46:47]
	v_cndmask_b32_e64 v85, v85, v13, s[44:45]
	;; [unrolled: 1-line block ×3, first 2 shown]
	s_movk_i32 s50, 0x1f8
	v_cmp_neq_f32_e64 s[46:47], v85, v83
	v_cmp_class_f32_e64 s[48:49], v85, s50
	s_or_b64 s[46:47], s[46:47], s[48:49]
	s_and_saveexec_b64 s[48:49], s[46:47]
	s_cbranch_execz .LBB444_292
; %bb.291:
	v_sub_f32_e32 v84, v85, v83
	s_mov_b32 s46, 0x3fb8aa3b
	v_mul_f32_e32 v85, 0x3fb8aa3b, v84
	v_fma_f32 v86, v84, s46, -v85
	v_rndne_f32_e32 v87, v85
	v_fmac_f32_e32 v86, 0x32a5705f, v84
	v_sub_f32_e32 v85, v85, v87
	v_add_f32_e32 v85, v85, v86
	v_exp_f32_e32 v85, v85
	v_cvt_i32_f32_e32 v86, v87
	s_mov_b32 s46, 0xc2ce8ed0
	v_cmp_ngt_f32_e64 s[46:47], s46, v84
	s_mov_b32 s51, 0x7f800000
	v_ldexp_f32 v85, v85, v86
	v_cndmask_b32_e64 v85, 0, v85, s[46:47]
	s_mov_b32 s46, 0x42b17218
	v_mov_b32_e32 v86, 0x7f800000
	v_cmp_nlt_f32_e64 s[46:47], s46, v84
	v_cndmask_b32_e64 v128, v86, v85, s[46:47]
	v_add_f32_e32 v86, 1.0, v128
	v_add_f32_e32 v84, -1.0, v86
	v_sub_f32_e32 v85, v84, v86
	v_add_f32_e32 v85, 1.0, v85
	v_sub_f32_e32 v84, v128, v84
	v_add_f32_e32 v87, v84, v85
	v_frexp_mant_f32_e32 v99, v86
	s_mov_b32 s46, 0x3f2aaaab
	v_cvt_f64_f32_e32 v[84:85], v86
	v_frexp_exp_i32_f64_e32 v84, v[84:85]
	v_cmp_gt_f32_e64 s[46:47], s46, v99
	v_subbrev_co_u32_e64 v99, s[46:47], 0, v84, s[46:47]
	v_sub_u32_e32 v84, 0, v99
	v_ldexp_f32 v85, v86, v84
	v_add_f32_e32 v86, -1.0, v85
	v_add_f32_e32 v100, 1.0, v85
	v_ldexp_f32 v84, v87, v84
	v_add_f32_e32 v87, 1.0, v86
	v_add_f32_e32 v101, -1.0, v100
	v_sub_f32_e32 v87, v85, v87
	v_sub_f32_e32 v85, v85, v101
	v_add_f32_e32 v87, v84, v87
	v_add_f32_e32 v84, v84, v85
	;; [unrolled: 1-line block ×3, first 2 shown]
	v_rcp_f32_e32 v114, v112
	v_sub_f32_e32 v85, v100, v112
	v_add_f32_e32 v113, v84, v85
	v_add_f32_e32 v85, v86, v87
	v_mul_f32_e32 v116, v85, v114
	v_sub_f32_e32 v84, v86, v85
	v_mul_f32_e32 v86, v112, v116
	v_fma_f32 v100, v116, v112, -v86
	v_fmac_f32_e32 v100, v116, v113
	v_add_f32_e32 v115, v87, v84
	v_add_f32_e32 v84, v86, v100
	v_sub_f32_e32 v87, v85, v84
	v_pk_add_f32 v[102:103], v[84:85], v[86:87] neg_lo:[0,1] neg_hi:[0,1]
	v_mov_b32_e32 v101, v84
	v_pk_add_f32 v[84:85], v[102:103], v[100:101] neg_lo:[0,1] neg_hi:[0,1]
	v_add_f32_e32 v85, v115, v85
	v_add_f32_e32 v84, v84, v85
	;; [unrolled: 1-line block ×3, first 2 shown]
	v_mul_f32_e32 v115, v114, v85
	v_mul_f32_e32 v86, v112, v115
	v_fma_f32 v100, v115, v112, -v86
	v_fmac_f32_e32 v100, v115, v113
	v_sub_f32_e32 v87, v87, v85
	v_add_f32_e32 v112, v84, v87
	v_add_f32_e32 v84, v86, v100
	v_sub_f32_e32 v87, v85, v84
	v_pk_add_f32 v[102:103], v[84:85], v[86:87] neg_lo:[0,1] neg_hi:[0,1]
	v_mov_b32_e32 v101, v84
	v_pk_add_f32 v[84:85], v[102:103], v[100:101] neg_lo:[0,1] neg_hi:[0,1]
	v_add_f32_e32 v85, v112, v85
	v_add_f32_e32 v84, v84, v85
	;; [unrolled: 1-line block ×4, first 2 shown]
	v_sub_f32_e32 v85, v87, v116
	v_mul_f32_e32 v84, v114, v84
	v_sub_f32_e32 v85, v115, v85
	v_add_f32_e32 v84, v85, v84
	v_add_f32_e32 v100, v87, v84
	v_mul_f32_e32 v102, v100, v100
	v_mov_b32_e32 v86, 0x3ecc95a3
	v_fmac_f32_e32 v86, 0x3e9b6dac, v102
	v_mov_b32_e32 v85, 0x3f2aaada
	v_fmac_f32_e32 v85, v102, v86
	v_cvt_f32_i32_e32 v86, v99
	v_sub_f32_e32 v87, v100, v87
	v_sub_f32_e32 v84, v84, v87
	v_ldexp_f32 v99, v84, 1
	v_mul_f32_e32 v87, v100, v102
	v_mov_b32_e32 v84, 0x3f317218
	s_mov_b32 s46, 0x3f317218
	v_pk_mul_f32 v[84:85], v[86:87], v[84:85]
	v_ldexp_f32 v101, v100, 1
	v_fma_f32 v100, v86, s46, -v84
	v_fmac_f32_e32 v100, 0xb102e308, v86
	v_pk_add_f32 v[86:87], v[84:85], v[100:101]
	v_sub_f32_e32 v101, v87, v101
	v_sub_f32_e32 v101, v85, v101
	v_add_f32_e32 v103, v99, v101
	v_mov_b32_e32 v102, v84
	v_pk_add_f32 v[84:85], v[86:87], v[84:85] neg_lo:[0,1] neg_hi:[0,1]
	v_pk_add_f32 v[112:113], v[86:87], v[102:103]
	v_mov_b32_e32 v85, v113
	v_mov_b32_e32 v101, v86
	v_pk_add_f32 v[114:115], v[100:101], v[84:85] neg_lo:[0,1] neg_hi:[0,1]
	v_pk_add_f32 v[84:85], v[100:101], v[84:85]
	v_mov_b32_e32 v100, v85
	v_pk_add_f32 v[116:117], v[100:101], v[86:87] neg_lo:[0,1] neg_hi:[0,1]
	v_mov_b32_e32 v99, v116
	v_pk_add_f32 v[118:119], v[112:113], v[98:99] neg_lo:[0,1] neg_hi:[0,1]
	v_mov_b32_e32 v84, v113
	v_mov_b32_e32 v112, v87
	;; [unrolled: 1-line block ×4, first 2 shown]
	v_pk_add_f32 v[84:85], v[84:85], v[112:113] neg_lo:[0,1] neg_hi:[0,1]
	v_mov_b32_e32 v102, v103
	v_mov_b32_e32 v103, v86
	v_pk_add_f32 v[84:85], v[102:103], v[84:85] neg_lo:[0,1] neg_hi:[0,1]
	v_mov_b32_e32 v118, v114
	v_pk_add_f32 v[86:87], v[118:119], v[84:85]
	v_mov_b32_e32 v102, v87
	v_pk_add_f32 v[102:103], v[86:87], v[102:103]
	v_pk_add_f32 v[100:101], v[100:101], v[102:103]
	v_mov_b32_e32 v87, v100
	v_pk_add_f32 v[112:113], v[86:87], v[114:115] neg_lo:[0,1] neg_hi:[0,1]
	v_mov_b32_e32 v85, v102
	v_sub_f32_e32 v86, v86, v112
	v_pk_add_f32 v[84:85], v[84:85], v[112:113] neg_lo:[0,1] neg_hi:[0,1]
	v_sub_f32_e32 v86, v114, v86
	v_add_f32_e32 v84, v84, v86
	v_cmp_eq_f32_e64 s[46:47], s51, v128
	s_mov_b32 s51, 0x33800000
	v_add_f32_e32 v84, v84, v85
	v_cmp_lt_f32_e64 s[52:53], |v128|, s51
	v_add_f32_e32 v84, v100, v84
	s_or_b64 s[46:47], s[46:47], s[52:53]
	v_cndmask_b32_e64 v84, v84, v128, s[46:47]
	v_add_f32_e32 v84, v83, v84
.LBB444_292:
	s_or_b64 exec, exec, s[48:49]
	v_bfe_u32 v83, v84, 16, 1
	s_movk_i32 s52, 0x7fff
	v_add3_u32 v83, v84, v83, s52
	v_and_b32_e32 v85, 0xffff0000, v83
	v_mov_b32_e32 v83, 0x7fc00000
	v_cmp_o_f32_e64 s[46:47], v84, v84
	v_cndmask_b32_e64 v86, v83, v85, s[46:47]
	v_lshlrev_b32_sdwa v80, v80, v14 dst_sel:DWORD dst_unused:UNUSED_PAD src0_sel:DWORD src1_sel:WORD_0
	v_max_f32_e32 v85, v86, v86
	v_max_f32_e32 v84, v80, v80
	v_min_f32_e32 v87, v85, v84
	v_cmp_u_f32_e64 s[48:49], v86, v86
	v_max_f32_e32 v85, v85, v84
	v_cndmask_b32_e64 v87, v87, v86, s[48:49]
	v_cmp_u_f32_e64 s[46:47], v80, v80
	v_cndmask_b32_e64 v85, v85, v86, s[48:49]
	v_cndmask_b32_e64 v87, v87, v80, s[46:47]
	;; [unrolled: 1-line block ×3, first 2 shown]
	v_cmp_neq_f32_e64 s[48:49], v87, v85
	v_cmp_class_f32_e64 s[50:51], v87, s50
	s_or_b64 s[48:49], s[48:49], s[50:51]
	s_and_saveexec_b64 s[50:51], s[48:49]
	s_cbranch_execz .LBB444_294
; %bb.293:
	v_sub_f32_e32 v86, v87, v85
	s_mov_b32 s48, 0x3fb8aa3b
	v_mul_f32_e32 v87, 0x3fb8aa3b, v86
	v_fma_f32 v99, v86, s48, -v87
	v_rndne_f32_e32 v100, v87
	v_fmac_f32_e32 v99, 0x32a5705f, v86
	v_sub_f32_e32 v87, v87, v100
	v_add_f32_e32 v87, v87, v99
	v_exp_f32_e32 v87, v87
	v_cvt_i32_f32_e32 v99, v100
	s_mov_b32 s48, 0xc2ce8ed0
	v_cmp_ngt_f32_e64 s[48:49], s48, v86
	s_mov_b32 s53, 0x7f800000
	v_ldexp_f32 v87, v87, v99
	v_cndmask_b32_e64 v87, 0, v87, s[48:49]
	s_mov_b32 s48, 0x42b17218
	v_mov_b32_e32 v99, 0x7f800000
	v_cmp_nlt_f32_e64 s[48:49], s48, v86
	v_cndmask_b32_e64 v130, v99, v87, s[48:49]
	v_add_f32_e32 v99, 1.0, v130
	v_add_f32_e32 v86, -1.0, v99
	v_sub_f32_e32 v87, v86, v99
	v_add_f32_e32 v87, 1.0, v87
	v_sub_f32_e32 v86, v130, v86
	v_add_f32_e32 v100, v86, v87
	v_frexp_mant_f32_e32 v101, v99
	s_mov_b32 s48, 0x3f2aaaab
	v_cvt_f64_f32_e32 v[86:87], v99
	v_frexp_exp_i32_f64_e32 v86, v[86:87]
	v_cmp_gt_f32_e64 s[48:49], s48, v101
	v_subbrev_co_u32_e64 v114, s[48:49], 0, v86, s[48:49]
	v_sub_u32_e32 v86, 0, v114
	v_ldexp_f32 v87, v99, v86
	v_add_f32_e32 v99, -1.0, v87
	v_add_f32_e32 v101, 1.0, v87
	v_ldexp_f32 v86, v100, v86
	v_add_f32_e32 v100, 1.0, v99
	v_add_f32_e32 v102, -1.0, v101
	v_sub_f32_e32 v100, v87, v100
	v_sub_f32_e32 v87, v87, v102
	v_add_f32_e32 v100, v86, v100
	v_add_f32_e32 v86, v86, v87
	;; [unrolled: 1-line block ×3, first 2 shown]
	v_rcp_f32_e32 v117, v115
	v_sub_f32_e32 v87, v101, v115
	v_add_f32_e32 v116, v86, v87
	v_add_f32_e32 v87, v99, v100
	v_sub_f32_e32 v86, v99, v87
	v_mul_f32_e32 v118, v87, v117
	v_add_f32_e32 v99, v100, v86
	v_mul_f32_e32 v100, v115, v118
	v_fma_f32 v102, v118, v115, -v100
	v_fmac_f32_e32 v102, v118, v116
	v_add_f32_e32 v86, v100, v102
	v_sub_f32_e32 v101, v87, v86
	v_pk_add_f32 v[112:113], v[86:87], v[100:101] neg_lo:[0,1] neg_hi:[0,1]
	v_mov_b32_e32 v103, v86
	v_pk_add_f32 v[86:87], v[112:113], v[102:103] neg_lo:[0,1] neg_hi:[0,1]
	v_add_f32_e32 v87, v99, v87
	v_add_f32_e32 v86, v86, v87
	;; [unrolled: 1-line block ×3, first 2 shown]
	v_mul_f32_e32 v99, v117, v87
	v_mul_f32_e32 v100, v115, v99
	v_fma_f32 v102, v99, v115, -v100
	v_fmac_f32_e32 v102, v99, v116
	v_sub_f32_e32 v101, v101, v87
	v_add_f32_e32 v115, v86, v101
	v_add_f32_e32 v86, v100, v102
	v_sub_f32_e32 v101, v87, v86
	v_pk_add_f32 v[112:113], v[86:87], v[100:101] neg_lo:[0,1] neg_hi:[0,1]
	v_mov_b32_e32 v103, v86
	v_pk_add_f32 v[86:87], v[112:113], v[102:103] neg_lo:[0,1] neg_hi:[0,1]
	v_add_f32_e32 v87, v115, v87
	v_add_f32_e32 v86, v86, v87
	;; [unrolled: 1-line block ×4, first 2 shown]
	v_sub_f32_e32 v87, v101, v118
	v_mul_f32_e32 v86, v117, v86
	v_sub_f32_e32 v87, v99, v87
	v_add_f32_e32 v86, v87, v86
	v_add_f32_e32 v99, v101, v86
	v_mul_f32_e32 v102, v99, v99
	v_mov_b32_e32 v100, 0x3ecc95a3
	v_fmac_f32_e32 v100, 0x3e9b6dac, v102
	v_mov_b32_e32 v87, 0x3f2aaada
	v_fmac_f32_e32 v87, v102, v100
	v_cvt_f32_i32_e32 v100, v114
	v_sub_f32_e32 v101, v99, v101
	v_sub_f32_e32 v86, v86, v101
	v_ldexp_f32 v112, v86, 1
	v_mul_f32_e32 v101, v99, v102
	v_mov_b32_e32 v86, 0x3f317218
	s_mov_b32 s48, 0x3f317218
	v_pk_mul_f32 v[86:87], v[100:101], v[86:87]
	v_fma_f32 v102, v100, s48, -v86
	v_ldexp_f32 v103, v99, 1
	v_fmac_f32_e32 v102, 0xb102e308, v100
	v_pk_add_f32 v[100:101], v[86:87], v[102:103]
	v_sub_f32_e32 v99, v101, v103
	v_sub_f32_e32 v99, v87, v99
	v_add_f32_e32 v113, v112, v99
	v_mov_b32_e32 v112, v86
	v_pk_add_f32 v[86:87], v[100:101], v[86:87] neg_lo:[0,1] neg_hi:[0,1]
	v_pk_add_f32 v[114:115], v[100:101], v[112:113]
	v_mov_b32_e32 v87, v115
	v_mov_b32_e32 v103, v100
	v_pk_add_f32 v[116:117], v[102:103], v[86:87] neg_lo:[0,1] neg_hi:[0,1]
	v_pk_add_f32 v[86:87], v[102:103], v[86:87]
	v_mov_b32_e32 v102, v87
	v_pk_add_f32 v[118:119], v[102:103], v[100:101] neg_lo:[0,1] neg_hi:[0,1]
	v_mov_b32_e32 v99, v118
	v_pk_add_f32 v[128:129], v[114:115], v[98:99] neg_lo:[0,1] neg_hi:[0,1]
	v_mov_b32_e32 v86, v115
	v_mov_b32_e32 v114, v101
	;; [unrolled: 1-line block ×4, first 2 shown]
	v_pk_add_f32 v[86:87], v[86:87], v[114:115] neg_lo:[0,1] neg_hi:[0,1]
	v_mov_b32_e32 v112, v113
	v_mov_b32_e32 v113, v100
	v_pk_add_f32 v[86:87], v[112:113], v[86:87] neg_lo:[0,1] neg_hi:[0,1]
	v_mov_b32_e32 v128, v116
	v_pk_add_f32 v[100:101], v[128:129], v[86:87]
	v_mov_b32_e32 v112, v101
	v_pk_add_f32 v[112:113], v[100:101], v[112:113]
	v_pk_add_f32 v[102:103], v[102:103], v[112:113]
	v_mov_b32_e32 v101, v102
	v_pk_add_f32 v[114:115], v[100:101], v[116:117] neg_lo:[0,1] neg_hi:[0,1]
	v_mov_b32_e32 v87, v112
	v_sub_f32_e32 v99, v100, v114
	v_pk_add_f32 v[86:87], v[86:87], v[114:115] neg_lo:[0,1] neg_hi:[0,1]
	v_sub_f32_e32 v99, v116, v99
	v_add_f32_e32 v86, v86, v99
	v_cmp_eq_f32_e64 s[48:49], s53, v130
	s_mov_b32 s53, 0x33800000
	v_add_f32_e32 v86, v86, v87
	v_cmp_lt_f32_e64 s[56:57], |v130|, s53
	v_add_f32_e32 v86, v102, v86
	s_or_b64 s[48:49], s[48:49], s[56:57]
	v_cndmask_b32_e64 v86, v86, v130, s[48:49]
	v_add_f32_e32 v86, v85, v86
.LBB444_294:
	s_or_b64 exec, exec, s[50:51]
	v_bfe_u32 v85, v86, 16, 1
	v_add3_u32 v85, v86, v85, s52
	v_and_b32_e32 v85, 0xffff0000, v85
	v_cmp_o_f32_e64 s[48:49], v86, v86
	v_cndmask_b32_e64 v99, v83, v85, s[48:49]
	v_mov_b32_e32 v83, 16
	v_lshlrev_b32_sdwa v14, v83, v14 dst_sel:DWORD dst_unused:UNUSED_PAD src0_sel:DWORD src1_sel:WORD_1
	v_max_f32_e32 v86, v99, v99
	v_max_f32_e32 v85, v14, v14
	v_min_f32_e32 v87, v86, v85
	v_cmp_u_f32_e64 s[50:51], v99, v99
	v_max_f32_e32 v86, v86, v85
	v_cndmask_b32_e64 v87, v87, v99, s[50:51]
	v_cmp_u_f32_e64 s[48:49], v14, v14
	v_cndmask_b32_e64 v86, v86, v99, s[50:51]
	v_cndmask_b32_e64 v87, v87, v14, s[48:49]
	v_cndmask_b32_e64 v86, v86, v14, s[48:49]
	s_movk_i32 s56, 0x1f8
	v_cmp_neq_f32_e64 s[50:51], v87, v86
	v_cmp_class_f32_e64 s[52:53], v87, s56
	s_or_b64 s[50:51], s[50:51], s[52:53]
	s_and_saveexec_b64 s[52:53], s[50:51]
	s_cbranch_execz .LBB444_296
; %bb.295:
	v_sub_f32_e32 v87, v87, v86
	s_mov_b32 s50, 0x3fb8aa3b
	v_mul_f32_e32 v99, 0x3fb8aa3b, v87
	v_fma_f32 v100, v87, s50, -v99
	v_rndne_f32_e32 v101, v99
	v_fmac_f32_e32 v100, 0x32a5705f, v87
	v_sub_f32_e32 v99, v99, v101
	v_add_f32_e32 v99, v99, v100
	v_exp_f32_e32 v99, v99
	v_cvt_i32_f32_e32 v100, v101
	s_mov_b32 s50, 0xc2ce8ed0
	v_cmp_ngt_f32_e64 s[50:51], s50, v87
	s_mov_b32 s57, 0x7f800000
	v_ldexp_f32 v99, v99, v100
	v_cndmask_b32_e64 v99, 0, v99, s[50:51]
	s_mov_b32 s50, 0x42b17218
	v_mov_b32_e32 v100, 0x7f800000
	v_cmp_nlt_f32_e64 s[50:51], s50, v87
	v_cndmask_b32_e64 v99, v100, v99, s[50:51]
	v_add_f32_e32 v87, 1.0, v99
	v_add_f32_e32 v100, -1.0, v87
	v_sub_f32_e32 v101, v100, v87
	v_add_f32_e32 v101, 1.0, v101
	v_sub_f32_e32 v100, v99, v100
	v_add_f32_e32 v102, v100, v101
	v_frexp_mant_f32_e32 v103, v87
	s_mov_b32 s50, 0x3f2aaaab
	v_cvt_f64_f32_e32 v[100:101], v87
	v_frexp_exp_i32_f64_e32 v100, v[100:101]
	v_cmp_gt_f32_e64 s[50:51], s50, v103
	v_subbrev_co_u32_e64 v116, s[50:51], 0, v100, s[50:51]
	v_sub_u32_e32 v100, 0, v116
	v_ldexp_f32 v87, v87, v100
	v_ldexp_f32 v100, v102, v100
	v_add_f32_e32 v102, -1.0, v87
	v_add_f32_e32 v101, 1.0, v102
	v_sub_f32_e32 v101, v87, v101
	v_add_f32_e32 v103, v100, v101
	v_add_f32_e32 v101, 1.0, v87
	v_add_f32_e32 v112, -1.0, v101
	v_sub_f32_e32 v87, v87, v112
	v_add_f32_e32 v87, v100, v87
	v_add_f32_e32 v117, v101, v87
	v_rcp_f32_e32 v118, v117
	v_sub_f32_e32 v100, v101, v117
	v_add_f32_e32 v101, v102, v103
	v_add_f32_e32 v87, v87, v100
	v_mul_f32_e32 v128, v101, v118
	v_sub_f32_e32 v100, v102, v101
	v_mul_f32_e32 v102, v117, v128
	v_fma_f32 v112, v128, v117, -v102
	v_fmac_f32_e32 v112, v128, v87
	v_add_f32_e32 v119, v103, v100
	v_add_f32_e32 v100, v102, v112
	v_sub_f32_e32 v103, v101, v100
	v_pk_add_f32 v[114:115], v[100:101], v[102:103] neg_lo:[0,1] neg_hi:[0,1]
	v_mov_b32_e32 v113, v100
	v_pk_add_f32 v[100:101], v[114:115], v[112:113] neg_lo:[0,1] neg_hi:[0,1]
	v_add_f32_e32 v101, v119, v101
	v_add_f32_e32 v100, v100, v101
	;; [unrolled: 1-line block ×3, first 2 shown]
	v_mul_f32_e32 v119, v118, v101
	v_mul_f32_e32 v102, v117, v119
	v_fma_f32 v112, v119, v117, -v102
	v_fmac_f32_e32 v112, v119, v87
	v_sub_f32_e32 v87, v103, v101
	v_add_f32_e32 v87, v100, v87
	v_add_f32_e32 v100, v102, v112
	v_sub_f32_e32 v103, v101, v100
	v_pk_add_f32 v[114:115], v[100:101], v[102:103] neg_lo:[0,1] neg_hi:[0,1]
	v_mov_b32_e32 v113, v100
	v_pk_add_f32 v[100:101], v[114:115], v[112:113] neg_lo:[0,1] neg_hi:[0,1]
	v_add_f32_e32 v87, v87, v101
	v_add_f32_e32 v87, v100, v87
	;; [unrolled: 1-line block ×4, first 2 shown]
	v_sub_f32_e32 v101, v100, v128
	v_mul_f32_e32 v87, v118, v87
	v_sub_f32_e32 v101, v119, v101
	v_add_f32_e32 v87, v101, v87
	v_add_f32_e32 v103, v100, v87
	v_mul_f32_e32 v112, v103, v103
	v_mov_b32_e32 v102, 0x3ecc95a3
	v_fmac_f32_e32 v102, 0x3e9b6dac, v112
	v_mov_b32_e32 v101, 0x3f2aaada
	v_fmac_f32_e32 v101, v112, v102
	v_cvt_f32_i32_e32 v102, v116
	v_sub_f32_e32 v100, v103, v100
	v_sub_f32_e32 v87, v87, v100
	v_ldexp_f32 v113, v103, 1
	v_mul_f32_e32 v103, v103, v112
	v_mov_b32_e32 v100, 0x3f317218
	s_mov_b32 s50, 0x3f317218
	v_pk_mul_f32 v[100:101], v[102:103], v[100:101]
	v_fma_f32 v112, v102, s50, -v100
	v_fmac_f32_e32 v112, 0xb102e308, v102
	v_pk_add_f32 v[102:103], v[100:101], v[112:113]
	v_sub_f32_e32 v113, v103, v113
	v_ldexp_f32 v87, v87, 1
	v_sub_f32_e32 v113, v101, v113
	v_add_f32_e32 v115, v87, v113
	v_mov_b32_e32 v114, v100
	v_pk_add_f32 v[100:101], v[102:103], v[100:101] neg_lo:[0,1] neg_hi:[0,1]
	v_pk_add_f32 v[116:117], v[102:103], v[114:115]
	v_mov_b32_e32 v101, v117
	v_mov_b32_e32 v113, v102
	v_pk_add_f32 v[118:119], v[112:113], v[100:101] neg_lo:[0,1] neg_hi:[0,1]
	v_pk_add_f32 v[100:101], v[112:113], v[100:101]
	v_mov_b32_e32 v112, v101
	v_pk_add_f32 v[128:129], v[112:113], v[102:103] neg_lo:[0,1] neg_hi:[0,1]
	v_mov_b32_e32 v87, v128
	v_pk_add_f32 v[130:131], v[116:117], v[86:87] neg_lo:[0,1] neg_hi:[0,1]
	v_mov_b32_e32 v100, v117
	v_mov_b32_e32 v116, v103
	;; [unrolled: 1-line block ×4, first 2 shown]
	v_pk_add_f32 v[100:101], v[100:101], v[116:117] neg_lo:[0,1] neg_hi:[0,1]
	v_mov_b32_e32 v114, v115
	v_mov_b32_e32 v115, v102
	v_pk_add_f32 v[100:101], v[114:115], v[100:101] neg_lo:[0,1] neg_hi:[0,1]
	v_mov_b32_e32 v130, v118
	v_pk_add_f32 v[102:103], v[130:131], v[100:101]
	v_mov_b32_e32 v114, v103
	v_pk_add_f32 v[114:115], v[102:103], v[114:115]
	v_pk_add_f32 v[112:113], v[112:113], v[114:115]
	v_mov_b32_e32 v103, v112
	v_pk_add_f32 v[116:117], v[102:103], v[118:119] neg_lo:[0,1] neg_hi:[0,1]
	v_mov_b32_e32 v101, v114
	v_sub_f32_e32 v87, v102, v116
	v_pk_add_f32 v[100:101], v[100:101], v[116:117] neg_lo:[0,1] neg_hi:[0,1]
	v_sub_f32_e32 v87, v118, v87
	v_add_f32_e32 v87, v100, v87
	v_cmp_eq_f32_e64 s[50:51], s57, v99
	s_mov_b32 s57, 0x33800000
	v_add_f32_e32 v87, v87, v101
	v_cmp_lt_f32_e64 s[58:59], |v99|, s57
	v_add_f32_e32 v87, v112, v87
	s_or_b64 s[50:51], s[50:51], s[58:59]
	v_cndmask_b32_e64 v87, v87, v99, s[50:51]
	v_add_f32_e32 v99, v86, v87
.LBB444_296:
	s_or_b64 exec, exec, s[52:53]
	v_bfe_u32 v86, v99, 16, 1
	s_movk_i32 s58, 0x7fff
	v_add3_u32 v86, v99, v86, s58
	v_and_b32_e32 v86, 0xffff0000, v86
	v_mov_b32_e32 v87, 0x7fc00000
	v_cmp_o_f32_e64 s[50:51], v99, v99
	v_cndmask_b32_e64 v100, v87, v86, s[50:51]
	v_lshlrev_b32_sdwa v83, v83, v15 dst_sel:DWORD dst_unused:UNUSED_PAD src0_sel:DWORD src1_sel:WORD_0
	v_max_f32_e32 v99, v100, v100
	v_max_f32_e32 v86, v83, v83
	v_min_f32_e32 v101, v99, v86
	v_cmp_u_f32_e64 s[52:53], v100, v100
	v_max_f32_e32 v99, v99, v86
	v_cndmask_b32_e64 v101, v101, v100, s[52:53]
	v_cmp_u_f32_e64 s[50:51], v83, v83
	v_cndmask_b32_e64 v99, v99, v100, s[52:53]
	v_cndmask_b32_e64 v101, v101, v83, s[50:51]
	v_cndmask_b32_e64 v99, v99, v83, s[50:51]
	v_cmp_neq_f32_e64 s[52:53], v101, v99
	v_cmp_class_f32_e64 s[56:57], v101, s56
	s_or_b64 s[52:53], s[52:53], s[56:57]
	s_and_saveexec_b64 s[56:57], s[52:53]
	s_cbranch_execz .LBB444_298
; %bb.297:
	v_sub_f32_e32 v100, v101, v99
	s_mov_b32 s52, 0x3fb8aa3b
	v_mul_f32_e32 v101, 0x3fb8aa3b, v100
	v_fma_f32 v102, v100, s52, -v101
	v_rndne_f32_e32 v103, v101
	v_fmac_f32_e32 v102, 0x32a5705f, v100
	v_sub_f32_e32 v101, v101, v103
	v_add_f32_e32 v101, v101, v102
	v_exp_f32_e32 v101, v101
	v_cvt_i32_f32_e32 v102, v103
	s_mov_b32 s52, 0xc2ce8ed0
	v_cmp_ngt_f32_e64 s[52:53], s52, v100
	s_mov_b32 s59, 0x7f800000
	v_ldexp_f32 v101, v101, v102
	v_cndmask_b32_e64 v101, 0, v101, s[52:53]
	s_mov_b32 s52, 0x42b17218
	v_mov_b32_e32 v102, 0x7f800000
	v_cmp_nlt_f32_e64 s[52:53], s52, v100
	v_cndmask_b32_e64 v132, v102, v101, s[52:53]
	v_add_f32_e32 v102, 1.0, v132
	v_add_f32_e32 v100, -1.0, v102
	v_sub_f32_e32 v101, v100, v102
	v_add_f32_e32 v101, 1.0, v101
	v_sub_f32_e32 v100, v132, v100
	v_add_f32_e32 v103, v100, v101
	v_frexp_mant_f32_e32 v112, v102
	s_mov_b32 s52, 0x3f2aaaab
	v_cvt_f64_f32_e32 v[100:101], v102
	v_frexp_exp_i32_f64_e32 v100, v[100:101]
	v_cmp_gt_f32_e64 s[52:53], s52, v112
	v_subbrev_co_u32_e64 v116, s[52:53], 0, v100, s[52:53]
	v_sub_u32_e32 v100, 0, v116
	v_ldexp_f32 v101, v102, v100
	v_add_f32_e32 v102, -1.0, v101
	v_add_f32_e32 v112, 1.0, v101
	v_ldexp_f32 v100, v103, v100
	v_add_f32_e32 v103, 1.0, v102
	v_add_f32_e32 v113, -1.0, v112
	v_sub_f32_e32 v103, v101, v103
	v_sub_f32_e32 v101, v101, v113
	v_add_f32_e32 v103, v100, v103
	v_add_f32_e32 v100, v100, v101
	;; [unrolled: 1-line block ×3, first 2 shown]
	v_rcp_f32_e32 v119, v117
	v_sub_f32_e32 v101, v112, v117
	v_add_f32_e32 v118, v100, v101
	v_add_f32_e32 v101, v102, v103
	v_mul_f32_e32 v129, v101, v119
	v_sub_f32_e32 v100, v102, v101
	v_mul_f32_e32 v102, v117, v129
	v_fma_f32 v112, v129, v117, -v102
	v_fmac_f32_e32 v112, v129, v118
	v_add_f32_e32 v128, v103, v100
	v_add_f32_e32 v100, v102, v112
	v_sub_f32_e32 v103, v101, v100
	v_pk_add_f32 v[114:115], v[100:101], v[102:103] neg_lo:[0,1] neg_hi:[0,1]
	v_mov_b32_e32 v113, v100
	v_pk_add_f32 v[100:101], v[114:115], v[112:113] neg_lo:[0,1] neg_hi:[0,1]
	v_add_f32_e32 v101, v128, v101
	v_add_f32_e32 v100, v100, v101
	;; [unrolled: 1-line block ×3, first 2 shown]
	v_mul_f32_e32 v128, v119, v101
	v_mul_f32_e32 v102, v117, v128
	v_fma_f32 v112, v128, v117, -v102
	v_fmac_f32_e32 v112, v128, v118
	v_sub_f32_e32 v103, v103, v101
	v_add_f32_e32 v117, v100, v103
	v_add_f32_e32 v100, v102, v112
	v_sub_f32_e32 v103, v101, v100
	v_pk_add_f32 v[114:115], v[100:101], v[102:103] neg_lo:[0,1] neg_hi:[0,1]
	v_mov_b32_e32 v113, v100
	v_pk_add_f32 v[100:101], v[114:115], v[112:113] neg_lo:[0,1] neg_hi:[0,1]
	v_add_f32_e32 v101, v117, v101
	v_add_f32_e32 v100, v100, v101
	;; [unrolled: 1-line block ×4, first 2 shown]
	v_sub_f32_e32 v101, v103, v129
	v_mul_f32_e32 v100, v119, v100
	v_sub_f32_e32 v101, v128, v101
	v_add_f32_e32 v100, v101, v100
	v_add_f32_e32 v112, v103, v100
	v_mul_f32_e32 v114, v112, v112
	v_mov_b32_e32 v102, 0x3ecc95a3
	v_fmac_f32_e32 v102, 0x3e9b6dac, v114
	v_mov_b32_e32 v101, 0x3f2aaada
	v_fmac_f32_e32 v101, v114, v102
	v_cvt_f32_i32_e32 v102, v116
	v_sub_f32_e32 v103, v112, v103
	v_sub_f32_e32 v100, v100, v103
	v_ldexp_f32 v115, v100, 1
	v_mul_f32_e32 v103, v112, v114
	v_mov_b32_e32 v100, 0x3f317218
	s_mov_b32 s52, 0x3f317218
	v_pk_mul_f32 v[100:101], v[102:103], v[100:101]
	v_ldexp_f32 v113, v112, 1
	v_fma_f32 v112, v102, s52, -v100
	v_fmac_f32_e32 v112, 0xb102e308, v102
	v_pk_add_f32 v[102:103], v[100:101], v[112:113]
	v_sub_f32_e32 v113, v103, v113
	v_sub_f32_e32 v113, v101, v113
	v_add_f32_e32 v115, v115, v113
	v_mov_b32_e32 v114, v100
	v_pk_add_f32 v[100:101], v[102:103], v[100:101] neg_lo:[0,1] neg_hi:[0,1]
	v_pk_add_f32 v[116:117], v[102:103], v[114:115]
	v_mov_b32_e32 v101, v117
	v_mov_b32_e32 v113, v102
	v_pk_add_f32 v[118:119], v[112:113], v[100:101] neg_lo:[0,1] neg_hi:[0,1]
	v_pk_add_f32 v[100:101], v[112:113], v[100:101]
	v_mov_b32_e32 v112, v101
	v_pk_add_f32 v[128:129], v[112:113], v[102:103] neg_lo:[0,1] neg_hi:[0,1]
	v_mov_b32_e32 v113, v128
	v_pk_add_f32 v[130:131], v[116:117], v[112:113] neg_lo:[0,1] neg_hi:[0,1]
	v_mov_b32_e32 v100, v117
	v_mov_b32_e32 v116, v103
	v_mov_b32_e32 v117, v128
	v_mov_b32_e32 v119, v101
	v_pk_add_f32 v[100:101], v[100:101], v[116:117] neg_lo:[0,1] neg_hi:[0,1]
	v_mov_b32_e32 v114, v115
	v_mov_b32_e32 v115, v102
	v_pk_add_f32 v[100:101], v[114:115], v[100:101] neg_lo:[0,1] neg_hi:[0,1]
	v_mov_b32_e32 v130, v118
	v_pk_add_f32 v[102:103], v[130:131], v[100:101]
	v_mov_b32_e32 v114, v103
	v_pk_add_f32 v[114:115], v[102:103], v[114:115]
	v_pk_add_f32 v[112:113], v[112:113], v[114:115]
	v_mov_b32_e32 v103, v112
	v_pk_add_f32 v[116:117], v[102:103], v[118:119] neg_lo:[0,1] neg_hi:[0,1]
	v_mov_b32_e32 v101, v114
	v_sub_f32_e32 v102, v102, v116
	v_pk_add_f32 v[100:101], v[100:101], v[116:117] neg_lo:[0,1] neg_hi:[0,1]
	v_sub_f32_e32 v102, v118, v102
	v_add_f32_e32 v100, v100, v102
	v_cmp_eq_f32_e64 s[52:53], s59, v132
	s_mov_b32 s59, 0x33800000
	v_add_f32_e32 v100, v100, v101
	v_cmp_lt_f32_e64 s[60:61], |v132|, s59
	v_add_f32_e32 v100, v112, v100
	s_or_b64 s[52:53], s[52:53], s[60:61]
	v_cndmask_b32_e64 v100, v100, v132, s[52:53]
	v_add_f32_e32 v100, v99, v100
.LBB444_298:
	s_or_b64 exec, exec, s[56:57]
	v_bfe_u32 v99, v100, 16, 1
	v_add3_u32 v99, v100, v99, s58
	v_and_b32_e32 v99, 0xffff0000, v99
	v_cmp_o_f32_e64 s[52:53], v100, v100
	v_cndmask_b32_e64 v100, v87, v99, s[52:53]
	v_mov_b32_e32 v87, 16
	v_lshlrev_b32_sdwa v15, v87, v15 dst_sel:DWORD dst_unused:UNUSED_PAD src0_sel:DWORD src1_sel:WORD_1
	v_max_f32_e32 v99, v100, v100
	v_max_f32_e32 v87, v15, v15
	v_min_f32_e32 v101, v99, v87
	v_cmp_u_f32_e64 s[56:57], v100, v100
	v_max_f32_e32 v99, v99, v87
	v_cndmask_b32_e64 v101, v101, v100, s[56:57]
	v_cmp_u_f32_e64 s[52:53], v15, v15
	v_cndmask_b32_e64 v99, v99, v100, s[56:57]
	v_cndmask_b32_e64 v101, v101, v15, s[52:53]
	;; [unrolled: 1-line block ×3, first 2 shown]
	s_movk_i32 s58, 0x1f8
	v_cmp_neq_f32_e64 s[56:57], v101, v99
	v_cmp_class_f32_e64 s[58:59], v101, s58
	s_or_b64 s[56:57], s[56:57], s[58:59]
	s_and_saveexec_b64 s[58:59], s[56:57]
	s_cbranch_execz .LBB444_300
; %bb.299:
	v_sub_f32_e32 v100, v101, v99
	s_mov_b32 s56, 0x3fb8aa3b
	v_mul_f32_e32 v101, 0x3fb8aa3b, v100
	v_fma_f32 v102, v100, s56, -v101
	v_rndne_f32_e32 v103, v101
	v_fmac_f32_e32 v102, 0x32a5705f, v100
	v_sub_f32_e32 v101, v101, v103
	v_add_f32_e32 v101, v101, v102
	v_exp_f32_e32 v101, v101
	v_cvt_i32_f32_e32 v102, v103
	s_mov_b32 s56, 0xc2ce8ed0
	v_cmp_ngt_f32_e64 s[56:57], s56, v100
	s_mov_b32 s60, 0x7f800000
	v_ldexp_f32 v101, v101, v102
	v_cndmask_b32_e64 v101, 0, v101, s[56:57]
	s_mov_b32 s56, 0x42b17218
	v_mov_b32_e32 v102, 0x7f800000
	v_cmp_nlt_f32_e64 s[56:57], s56, v100
	v_cndmask_b32_e64 v132, v102, v101, s[56:57]
	v_add_f32_e32 v102, 1.0, v132
	v_add_f32_e32 v100, -1.0, v102
	v_sub_f32_e32 v101, v100, v102
	v_add_f32_e32 v101, 1.0, v101
	v_sub_f32_e32 v100, v132, v100
	v_add_f32_e32 v103, v100, v101
	v_frexp_mant_f32_e32 v112, v102
	s_mov_b32 s56, 0x3f2aaaab
	v_cvt_f64_f32_e32 v[100:101], v102
	v_frexp_exp_i32_f64_e32 v100, v[100:101]
	v_cmp_gt_f32_e64 s[56:57], s56, v112
	v_subbrev_co_u32_e64 v116, s[56:57], 0, v100, s[56:57]
	v_sub_u32_e32 v100, 0, v116
	v_ldexp_f32 v101, v102, v100
	v_add_f32_e32 v102, -1.0, v101
	v_add_f32_e32 v112, 1.0, v101
	v_ldexp_f32 v100, v103, v100
	v_add_f32_e32 v103, 1.0, v102
	v_add_f32_e32 v113, -1.0, v112
	v_sub_f32_e32 v103, v101, v103
	v_sub_f32_e32 v101, v101, v113
	v_add_f32_e32 v103, v100, v103
	v_add_f32_e32 v100, v100, v101
	;; [unrolled: 1-line block ×3, first 2 shown]
	v_rcp_f32_e32 v119, v117
	v_sub_f32_e32 v101, v112, v117
	v_add_f32_e32 v118, v100, v101
	v_add_f32_e32 v101, v102, v103
	v_mul_f32_e32 v129, v101, v119
	v_sub_f32_e32 v100, v102, v101
	v_mul_f32_e32 v102, v117, v129
	v_fma_f32 v112, v129, v117, -v102
	v_fmac_f32_e32 v112, v129, v118
	v_add_f32_e32 v128, v103, v100
	v_add_f32_e32 v100, v102, v112
	v_sub_f32_e32 v103, v101, v100
	v_pk_add_f32 v[114:115], v[100:101], v[102:103] neg_lo:[0,1] neg_hi:[0,1]
	v_mov_b32_e32 v113, v100
	v_pk_add_f32 v[100:101], v[114:115], v[112:113] neg_lo:[0,1] neg_hi:[0,1]
	v_add_f32_e32 v101, v128, v101
	v_add_f32_e32 v100, v100, v101
	;; [unrolled: 1-line block ×3, first 2 shown]
	v_mul_f32_e32 v128, v119, v101
	v_mul_f32_e32 v102, v117, v128
	v_fma_f32 v112, v128, v117, -v102
	v_fmac_f32_e32 v112, v128, v118
	v_sub_f32_e32 v103, v103, v101
	v_add_f32_e32 v117, v100, v103
	v_add_f32_e32 v100, v102, v112
	v_sub_f32_e32 v103, v101, v100
	v_pk_add_f32 v[114:115], v[100:101], v[102:103] neg_lo:[0,1] neg_hi:[0,1]
	v_mov_b32_e32 v113, v100
	v_pk_add_f32 v[100:101], v[114:115], v[112:113] neg_lo:[0,1] neg_hi:[0,1]
	v_add_f32_e32 v101, v117, v101
	v_add_f32_e32 v100, v100, v101
	;; [unrolled: 1-line block ×4, first 2 shown]
	v_sub_f32_e32 v101, v103, v129
	v_mul_f32_e32 v100, v119, v100
	v_sub_f32_e32 v101, v128, v101
	v_add_f32_e32 v100, v101, v100
	v_add_f32_e32 v112, v103, v100
	v_mul_f32_e32 v114, v112, v112
	v_mov_b32_e32 v102, 0x3ecc95a3
	v_fmac_f32_e32 v102, 0x3e9b6dac, v114
	v_mov_b32_e32 v101, 0x3f2aaada
	v_fmac_f32_e32 v101, v114, v102
	v_cvt_f32_i32_e32 v102, v116
	v_sub_f32_e32 v103, v112, v103
	v_sub_f32_e32 v100, v100, v103
	v_ldexp_f32 v115, v100, 1
	v_mul_f32_e32 v103, v112, v114
	v_mov_b32_e32 v100, 0x3f317218
	s_mov_b32 s56, 0x3f317218
	v_pk_mul_f32 v[100:101], v[102:103], v[100:101]
	v_ldexp_f32 v113, v112, 1
	v_fma_f32 v112, v102, s56, -v100
	v_fmac_f32_e32 v112, 0xb102e308, v102
	v_pk_add_f32 v[102:103], v[100:101], v[112:113]
	v_sub_f32_e32 v113, v103, v113
	v_sub_f32_e32 v113, v101, v113
	v_add_f32_e32 v115, v115, v113
	v_mov_b32_e32 v114, v100
	v_pk_add_f32 v[100:101], v[102:103], v[100:101] neg_lo:[0,1] neg_hi:[0,1]
	v_pk_add_f32 v[116:117], v[102:103], v[114:115]
	v_mov_b32_e32 v101, v117
	v_mov_b32_e32 v113, v102
	v_pk_add_f32 v[118:119], v[112:113], v[100:101] neg_lo:[0,1] neg_hi:[0,1]
	v_pk_add_f32 v[100:101], v[112:113], v[100:101]
	v_mov_b32_e32 v112, v101
	v_pk_add_f32 v[128:129], v[112:113], v[102:103] neg_lo:[0,1] neg_hi:[0,1]
	v_mov_b32_e32 v113, v128
	v_pk_add_f32 v[130:131], v[116:117], v[112:113] neg_lo:[0,1] neg_hi:[0,1]
	v_mov_b32_e32 v100, v117
	v_mov_b32_e32 v116, v103
	;; [unrolled: 1-line block ×4, first 2 shown]
	v_pk_add_f32 v[100:101], v[100:101], v[116:117] neg_lo:[0,1] neg_hi:[0,1]
	v_mov_b32_e32 v114, v115
	v_mov_b32_e32 v115, v102
	v_pk_add_f32 v[100:101], v[114:115], v[100:101] neg_lo:[0,1] neg_hi:[0,1]
	v_mov_b32_e32 v130, v118
	v_pk_add_f32 v[102:103], v[130:131], v[100:101]
	v_mov_b32_e32 v114, v103
	v_pk_add_f32 v[114:115], v[102:103], v[114:115]
	v_pk_add_f32 v[112:113], v[112:113], v[114:115]
	v_mov_b32_e32 v103, v112
	v_pk_add_f32 v[116:117], v[102:103], v[118:119] neg_lo:[0,1] neg_hi:[0,1]
	v_mov_b32_e32 v101, v114
	v_sub_f32_e32 v102, v102, v116
	v_pk_add_f32 v[100:101], v[100:101], v[116:117] neg_lo:[0,1] neg_hi:[0,1]
	v_sub_f32_e32 v102, v118, v102
	v_add_f32_e32 v100, v100, v102
	v_cmp_eq_f32_e64 s[56:57], s60, v132
	s_mov_b32 s60, 0x33800000
	v_add_f32_e32 v100, v100, v101
	v_cmp_lt_f32_e64 s[60:61], |v132|, s60
	v_add_f32_e32 v100, v112, v100
	s_or_b64 s[56:57], s[56:57], s[60:61]
	v_cndmask_b32_e64 v100, v100, v132, s[56:57]
	v_add_f32_e32 v100, v99, v100
.LBB444_300:
	s_or_b64 exec, exec, s[58:59]
	v_bfe_u32 v99, v100, 16, 1
	s_movk_i32 s56, 0x7fff
	v_add3_u32 v99, v100, v99, s56
	v_lshrrev_b32_e32 v99, 16, v99
	v_mov_b32_e32 v101, 0x7fc0
	v_cmp_o_f32_e64 s[56:57], v100, v100
	v_cndmask_b32_e64 v101, v101, v99, s[56:57]
	v_mbcnt_lo_u32_b32 v99, -1, 0
	v_mbcnt_hi_u32_b32 v99, -1, v99
	v_and_b32_e32 v100, 15, v99
	v_and_b32_e32 v102, 0xffff, v101
	v_cmp_ne_u32_e64 s[56:57], 0, v100
	s_nop 0
	v_mov_b32_dpp v103, v102 row_shr:1 row_mask:0xf bank_mask:0xf
	s_and_saveexec_b64 s[60:61], s[56:57]
	s_cbranch_execz .LBB444_304
; %bb.301:
	v_lshlrev_b32_e32 v103, 16, v103
	v_lshlrev_b32_e32 v101, 16, v102
	v_max_f32_e32 v112, v101, v101
	v_max_f32_e32 v113, v103, v103
	v_min_f32_e32 v102, v113, v112
	v_cmp_u_f32_e64 s[56:57], v103, v103
	v_max_f32_e32 v112, v113, v112
	v_cndmask_b32_e64 v102, v102, v103, s[56:57]
	v_cmp_u_f32_e64 s[58:59], v101, v101
	v_cndmask_b32_e64 v112, v112, v103, s[56:57]
	v_cndmask_b32_e64 v102, v102, v101, s[58:59]
	;; [unrolled: 1-line block ×3, first 2 shown]
	s_movk_i32 s58, 0x1f8
	v_cmp_neq_f32_e64 s[56:57], v102, v101
	v_cmp_class_f32_e64 s[58:59], v102, s58
	s_or_b64 s[56:57], s[56:57], s[58:59]
	s_and_saveexec_b64 s[58:59], s[56:57]
	s_cbranch_execz .LBB444_303
; %bb.302:
	v_sub_f32_e32 v102, v102, v101
	s_mov_b32 s56, 0x3fb8aa3b
	v_mul_f32_e32 v103, 0x3fb8aa3b, v102
	v_fma_f32 v112, v102, s56, -v103
	v_rndne_f32_e32 v113, v103
	v_fmac_f32_e32 v112, 0x32a5705f, v102
	v_sub_f32_e32 v103, v103, v113
	v_add_f32_e32 v103, v103, v112
	v_exp_f32_e32 v103, v103
	v_cvt_i32_f32_e32 v112, v113
	s_mov_b32 s56, 0xc2ce8ed0
	v_cmp_ngt_f32_e64 s[56:57], s56, v102
	s_mov_b32 s64, 0x7f800000
	v_ldexp_f32 v103, v103, v112
	v_cndmask_b32_e64 v103, 0, v103, s[56:57]
	s_mov_b32 s56, 0x42b17218
	v_mov_b32_e32 v112, 0x7f800000
	v_cmp_nlt_f32_e64 s[56:57], s56, v102
	v_cndmask_b32_e64 v134, v112, v103, s[56:57]
	v_add_f32_e32 v112, 1.0, v134
	v_add_f32_e32 v102, -1.0, v112
	v_sub_f32_e32 v103, v102, v112
	v_add_f32_e32 v103, 1.0, v103
	v_sub_f32_e32 v102, v134, v102
	v_add_f32_e32 v113, v102, v103
	v_frexp_mant_f32_e32 v114, v112
	s_mov_b32 s56, 0x3f2aaaab
	v_cvt_f64_f32_e32 v[102:103], v112
	v_frexp_exp_i32_f64_e32 v102, v[102:103]
	v_cmp_gt_f32_e64 s[56:57], s56, v114
	v_subbrev_co_u32_e64 v118, s[56:57], 0, v102, s[56:57]
	v_sub_u32_e32 v102, 0, v118
	v_ldexp_f32 v103, v112, v102
	v_add_f32_e32 v112, -1.0, v103
	v_add_f32_e32 v114, 1.0, v103
	v_ldexp_f32 v102, v113, v102
	v_add_f32_e32 v113, 1.0, v112
	v_add_f32_e32 v115, -1.0, v114
	v_sub_f32_e32 v113, v103, v113
	v_sub_f32_e32 v103, v103, v115
	v_add_f32_e32 v113, v102, v113
	v_add_f32_e32 v102, v102, v103
	;; [unrolled: 1-line block ×3, first 2 shown]
	v_rcp_f32_e32 v129, v119
	v_sub_f32_e32 v103, v114, v119
	v_add_f32_e32 v128, v102, v103
	v_add_f32_e32 v103, v112, v113
	v_mul_f32_e32 v131, v103, v129
	v_sub_f32_e32 v102, v112, v103
	v_mul_f32_e32 v112, v119, v131
	v_fma_f32 v114, v131, v119, -v112
	v_fmac_f32_e32 v114, v131, v128
	v_add_f32_e32 v130, v113, v102
	v_add_f32_e32 v102, v112, v114
	v_sub_f32_e32 v113, v103, v102
	v_pk_add_f32 v[116:117], v[102:103], v[112:113] neg_lo:[0,1] neg_hi:[0,1]
	v_mov_b32_e32 v115, v102
	v_pk_add_f32 v[102:103], v[116:117], v[114:115] neg_lo:[0,1] neg_hi:[0,1]
	v_add_f32_e32 v103, v130, v103
	v_add_f32_e32 v102, v102, v103
	;; [unrolled: 1-line block ×3, first 2 shown]
	v_mul_f32_e32 v130, v129, v103
	v_mul_f32_e32 v112, v119, v130
	v_fma_f32 v114, v130, v119, -v112
	v_fmac_f32_e32 v114, v130, v128
	v_sub_f32_e32 v113, v113, v103
	v_add_f32_e32 v119, v102, v113
	v_add_f32_e32 v102, v112, v114
	v_sub_f32_e32 v113, v103, v102
	v_pk_add_f32 v[116:117], v[102:103], v[112:113] neg_lo:[0,1] neg_hi:[0,1]
	v_mov_b32_e32 v115, v102
	v_pk_add_f32 v[102:103], v[116:117], v[114:115] neg_lo:[0,1] neg_hi:[0,1]
	v_add_f32_e32 v103, v119, v103
	v_add_f32_e32 v102, v102, v103
	;; [unrolled: 1-line block ×4, first 2 shown]
	v_sub_f32_e32 v103, v113, v131
	v_mul_f32_e32 v102, v129, v102
	v_sub_f32_e32 v103, v130, v103
	v_add_f32_e32 v102, v103, v102
	v_add_f32_e32 v114, v113, v102
	v_mul_f32_e32 v116, v114, v114
	v_mov_b32_e32 v112, 0x3ecc95a3
	v_fmac_f32_e32 v112, 0x3e9b6dac, v116
	v_mov_b32_e32 v103, 0x3f2aaada
	v_fmac_f32_e32 v103, v116, v112
	v_cvt_f32_i32_e32 v112, v118
	v_sub_f32_e32 v113, v114, v113
	v_sub_f32_e32 v102, v102, v113
	v_ldexp_f32 v117, v102, 1
	v_mul_f32_e32 v113, v114, v116
	v_mov_b32_e32 v102, 0x3f317218
	s_mov_b32 s56, 0x3f317218
	v_pk_mul_f32 v[102:103], v[112:113], v[102:103]
	v_ldexp_f32 v115, v114, 1
	v_fma_f32 v114, v112, s56, -v102
	v_fmac_f32_e32 v114, 0xb102e308, v112
	v_pk_add_f32 v[112:113], v[102:103], v[114:115]
	v_sub_f32_e32 v115, v113, v115
	v_sub_f32_e32 v115, v103, v115
	v_add_f32_e32 v117, v117, v115
	v_mov_b32_e32 v116, v102
	v_pk_add_f32 v[102:103], v[112:113], v[102:103] neg_lo:[0,1] neg_hi:[0,1]
	v_pk_add_f32 v[118:119], v[112:113], v[116:117]
	v_mov_b32_e32 v103, v119
	v_mov_b32_e32 v115, v112
	v_pk_add_f32 v[128:129], v[114:115], v[102:103] neg_lo:[0,1] neg_hi:[0,1]
	v_pk_add_f32 v[102:103], v[114:115], v[102:103]
	v_mov_b32_e32 v114, v103
	v_pk_add_f32 v[130:131], v[114:115], v[112:113] neg_lo:[0,1] neg_hi:[0,1]
	v_mov_b32_e32 v115, v130
	v_pk_add_f32 v[132:133], v[118:119], v[114:115] neg_lo:[0,1] neg_hi:[0,1]
	v_mov_b32_e32 v102, v119
	v_mov_b32_e32 v118, v113
	;; [unrolled: 1-line block ×4, first 2 shown]
	v_pk_add_f32 v[102:103], v[102:103], v[118:119] neg_lo:[0,1] neg_hi:[0,1]
	v_mov_b32_e32 v116, v117
	v_mov_b32_e32 v117, v112
	v_pk_add_f32 v[102:103], v[116:117], v[102:103] neg_lo:[0,1] neg_hi:[0,1]
	v_mov_b32_e32 v132, v128
	v_pk_add_f32 v[112:113], v[132:133], v[102:103]
	v_mov_b32_e32 v116, v113
	v_pk_add_f32 v[116:117], v[112:113], v[116:117]
	v_pk_add_f32 v[114:115], v[114:115], v[116:117]
	v_mov_b32_e32 v113, v114
	v_pk_add_f32 v[118:119], v[112:113], v[128:129] neg_lo:[0,1] neg_hi:[0,1]
	v_mov_b32_e32 v103, v116
	v_sub_f32_e32 v112, v112, v118
	v_pk_add_f32 v[102:103], v[102:103], v[118:119] neg_lo:[0,1] neg_hi:[0,1]
	v_sub_f32_e32 v112, v128, v112
	v_add_f32_e32 v102, v102, v112
	v_cmp_eq_f32_e64 s[56:57], s64, v134
	s_mov_b32 s64, 0x33800000
	v_add_f32_e32 v102, v102, v103
	v_cmp_lt_f32_e64 s[64:65], |v134|, s64
	v_add_f32_e32 v102, v114, v102
	s_or_b64 s[56:57], s[56:57], s[64:65]
	v_cndmask_b32_e64 v102, v102, v134, s[56:57]
	v_add_f32_e32 v103, v101, v102
.LBB444_303:
	s_or_b64 exec, exec, s[58:59]
	v_bfe_u32 v101, v103, 16, 1
	s_movk_i32 s56, 0x7fff
	v_add3_u32 v101, v103, v101, s56
	v_lshrrev_b32_e32 v101, 16, v101
	v_mov_b32_e32 v102, 0x7fc0
	v_cmp_o_f32_e64 s[56:57], v103, v103
	v_cndmask_b32_e64 v101, v102, v101, s[56:57]
	v_and_b32_e32 v102, 0xffff, v101
.LBB444_304:
	s_or_b64 exec, exec, s[60:61]
	s_nop 0
	v_mov_b32_dpp v103, v102 row_shr:2 row_mask:0xf bank_mask:0xf
	v_cmp_lt_u32_e64 s[56:57], 1, v100
	s_and_saveexec_b64 s[60:61], s[56:57]
	s_cbranch_execz .LBB444_308
; %bb.305:
	v_lshlrev_b32_e32 v103, 16, v103
	v_lshlrev_b32_e32 v101, 16, v102
	v_max_f32_e32 v112, v101, v101
	v_max_f32_e32 v113, v103, v103
	v_min_f32_e32 v102, v113, v112
	v_cmp_u_f32_e64 s[56:57], v103, v103
	v_max_f32_e32 v112, v113, v112
	v_cndmask_b32_e64 v102, v102, v103, s[56:57]
	v_cmp_u_f32_e64 s[58:59], v101, v101
	v_cndmask_b32_e64 v112, v112, v103, s[56:57]
	v_cndmask_b32_e64 v102, v102, v101, s[58:59]
	;; [unrolled: 1-line block ×3, first 2 shown]
	s_movk_i32 s58, 0x1f8
	v_cmp_neq_f32_e64 s[56:57], v102, v101
	v_cmp_class_f32_e64 s[58:59], v102, s58
	s_or_b64 s[56:57], s[56:57], s[58:59]
	s_and_saveexec_b64 s[58:59], s[56:57]
	s_cbranch_execz .LBB444_307
; %bb.306:
	v_sub_f32_e32 v102, v102, v101
	s_mov_b32 s56, 0x3fb8aa3b
	v_mul_f32_e32 v103, 0x3fb8aa3b, v102
	v_fma_f32 v112, v102, s56, -v103
	v_rndne_f32_e32 v113, v103
	v_fmac_f32_e32 v112, 0x32a5705f, v102
	v_sub_f32_e32 v103, v103, v113
	v_add_f32_e32 v103, v103, v112
	v_exp_f32_e32 v103, v103
	v_cvt_i32_f32_e32 v112, v113
	s_mov_b32 s56, 0xc2ce8ed0
	v_cmp_ngt_f32_e64 s[56:57], s56, v102
	s_mov_b32 s64, 0x7f800000
	v_ldexp_f32 v103, v103, v112
	v_cndmask_b32_e64 v103, 0, v103, s[56:57]
	s_mov_b32 s56, 0x42b17218
	v_mov_b32_e32 v112, 0x7f800000
	v_cmp_nlt_f32_e64 s[56:57], s56, v102
	v_cndmask_b32_e64 v134, v112, v103, s[56:57]
	v_add_f32_e32 v112, 1.0, v134
	v_add_f32_e32 v102, -1.0, v112
	v_sub_f32_e32 v103, v102, v112
	v_add_f32_e32 v103, 1.0, v103
	v_sub_f32_e32 v102, v134, v102
	v_add_f32_e32 v113, v102, v103
	v_frexp_mant_f32_e32 v114, v112
	s_mov_b32 s56, 0x3f2aaaab
	v_cvt_f64_f32_e32 v[102:103], v112
	v_frexp_exp_i32_f64_e32 v102, v[102:103]
	v_cmp_gt_f32_e64 s[56:57], s56, v114
	v_subbrev_co_u32_e64 v118, s[56:57], 0, v102, s[56:57]
	v_sub_u32_e32 v102, 0, v118
	v_ldexp_f32 v103, v112, v102
	v_add_f32_e32 v112, -1.0, v103
	v_add_f32_e32 v114, 1.0, v103
	v_ldexp_f32 v102, v113, v102
	v_add_f32_e32 v113, 1.0, v112
	v_add_f32_e32 v115, -1.0, v114
	v_sub_f32_e32 v113, v103, v113
	v_sub_f32_e32 v103, v103, v115
	v_add_f32_e32 v113, v102, v113
	v_add_f32_e32 v102, v102, v103
	;; [unrolled: 1-line block ×3, first 2 shown]
	v_rcp_f32_e32 v129, v119
	v_sub_f32_e32 v103, v114, v119
	v_add_f32_e32 v128, v102, v103
	v_add_f32_e32 v103, v112, v113
	v_mul_f32_e32 v131, v103, v129
	v_sub_f32_e32 v102, v112, v103
	v_mul_f32_e32 v112, v119, v131
	v_fma_f32 v114, v131, v119, -v112
	v_fmac_f32_e32 v114, v131, v128
	v_add_f32_e32 v130, v113, v102
	v_add_f32_e32 v102, v112, v114
	v_sub_f32_e32 v113, v103, v102
	v_pk_add_f32 v[116:117], v[102:103], v[112:113] neg_lo:[0,1] neg_hi:[0,1]
	v_mov_b32_e32 v115, v102
	v_pk_add_f32 v[102:103], v[116:117], v[114:115] neg_lo:[0,1] neg_hi:[0,1]
	v_add_f32_e32 v103, v130, v103
	v_add_f32_e32 v102, v102, v103
	;; [unrolled: 1-line block ×3, first 2 shown]
	v_mul_f32_e32 v130, v129, v103
	v_mul_f32_e32 v112, v119, v130
	v_fma_f32 v114, v130, v119, -v112
	v_fmac_f32_e32 v114, v130, v128
	v_sub_f32_e32 v113, v113, v103
	v_add_f32_e32 v119, v102, v113
	v_add_f32_e32 v102, v112, v114
	v_sub_f32_e32 v113, v103, v102
	v_pk_add_f32 v[116:117], v[102:103], v[112:113] neg_lo:[0,1] neg_hi:[0,1]
	v_mov_b32_e32 v115, v102
	v_pk_add_f32 v[102:103], v[116:117], v[114:115] neg_lo:[0,1] neg_hi:[0,1]
	v_add_f32_e32 v103, v119, v103
	v_add_f32_e32 v102, v102, v103
	;; [unrolled: 1-line block ×4, first 2 shown]
	v_sub_f32_e32 v103, v113, v131
	v_mul_f32_e32 v102, v129, v102
	v_sub_f32_e32 v103, v130, v103
	v_add_f32_e32 v102, v103, v102
	v_add_f32_e32 v114, v113, v102
	v_mul_f32_e32 v116, v114, v114
	v_mov_b32_e32 v112, 0x3ecc95a3
	v_fmac_f32_e32 v112, 0x3e9b6dac, v116
	v_mov_b32_e32 v103, 0x3f2aaada
	v_fmac_f32_e32 v103, v116, v112
	v_cvt_f32_i32_e32 v112, v118
	v_sub_f32_e32 v113, v114, v113
	v_sub_f32_e32 v102, v102, v113
	v_ldexp_f32 v117, v102, 1
	v_mul_f32_e32 v113, v114, v116
	v_mov_b32_e32 v102, 0x3f317218
	s_mov_b32 s56, 0x3f317218
	v_pk_mul_f32 v[102:103], v[112:113], v[102:103]
	v_ldexp_f32 v115, v114, 1
	v_fma_f32 v114, v112, s56, -v102
	v_fmac_f32_e32 v114, 0xb102e308, v112
	v_pk_add_f32 v[112:113], v[102:103], v[114:115]
	v_sub_f32_e32 v115, v113, v115
	v_sub_f32_e32 v115, v103, v115
	v_add_f32_e32 v117, v117, v115
	v_mov_b32_e32 v116, v102
	v_pk_add_f32 v[102:103], v[112:113], v[102:103] neg_lo:[0,1] neg_hi:[0,1]
	v_pk_add_f32 v[118:119], v[112:113], v[116:117]
	v_mov_b32_e32 v103, v119
	v_mov_b32_e32 v115, v112
	v_pk_add_f32 v[128:129], v[114:115], v[102:103] neg_lo:[0,1] neg_hi:[0,1]
	v_pk_add_f32 v[102:103], v[114:115], v[102:103]
	v_mov_b32_e32 v114, v103
	v_pk_add_f32 v[130:131], v[114:115], v[112:113] neg_lo:[0,1] neg_hi:[0,1]
	v_mov_b32_e32 v115, v130
	v_pk_add_f32 v[132:133], v[118:119], v[114:115] neg_lo:[0,1] neg_hi:[0,1]
	v_mov_b32_e32 v102, v119
	v_mov_b32_e32 v118, v113
	;; [unrolled: 1-line block ×4, first 2 shown]
	v_pk_add_f32 v[102:103], v[102:103], v[118:119] neg_lo:[0,1] neg_hi:[0,1]
	v_mov_b32_e32 v116, v117
	v_mov_b32_e32 v117, v112
	v_pk_add_f32 v[102:103], v[116:117], v[102:103] neg_lo:[0,1] neg_hi:[0,1]
	v_mov_b32_e32 v132, v128
	v_pk_add_f32 v[112:113], v[132:133], v[102:103]
	v_mov_b32_e32 v116, v113
	v_pk_add_f32 v[116:117], v[112:113], v[116:117]
	v_pk_add_f32 v[114:115], v[114:115], v[116:117]
	v_mov_b32_e32 v113, v114
	v_pk_add_f32 v[118:119], v[112:113], v[128:129] neg_lo:[0,1] neg_hi:[0,1]
	v_mov_b32_e32 v103, v116
	v_sub_f32_e32 v112, v112, v118
	v_pk_add_f32 v[102:103], v[102:103], v[118:119] neg_lo:[0,1] neg_hi:[0,1]
	v_sub_f32_e32 v112, v128, v112
	v_add_f32_e32 v102, v102, v112
	v_cmp_eq_f32_e64 s[56:57], s64, v134
	s_mov_b32 s64, 0x33800000
	v_add_f32_e32 v102, v102, v103
	v_cmp_lt_f32_e64 s[64:65], |v134|, s64
	v_add_f32_e32 v102, v114, v102
	s_or_b64 s[56:57], s[56:57], s[64:65]
	v_cndmask_b32_e64 v102, v102, v134, s[56:57]
	v_add_f32_e32 v103, v101, v102
.LBB444_307:
	s_or_b64 exec, exec, s[58:59]
	v_bfe_u32 v101, v103, 16, 1
	s_movk_i32 s56, 0x7fff
	v_add3_u32 v101, v103, v101, s56
	v_lshrrev_b32_e32 v101, 16, v101
	v_mov_b32_e32 v102, 0x7fc0
	v_cmp_o_f32_e64 s[56:57], v103, v103
	v_cndmask_b32_e64 v101, v102, v101, s[56:57]
	v_and_b32_e32 v102, 0xffff, v101
.LBB444_308:
	s_or_b64 exec, exec, s[60:61]
	s_nop 0
	v_mov_b32_dpp v103, v102 row_shr:4 row_mask:0xf bank_mask:0xf
	v_cmp_lt_u32_e64 s[56:57], 3, v100
	s_and_saveexec_b64 s[60:61], s[56:57]
	s_cbranch_execz .LBB444_312
; %bb.309:
	v_lshlrev_b32_e32 v103, 16, v103
	v_lshlrev_b32_e32 v101, 16, v102
	v_max_f32_e32 v112, v101, v101
	v_max_f32_e32 v113, v103, v103
	v_min_f32_e32 v102, v113, v112
	v_cmp_u_f32_e64 s[56:57], v103, v103
	v_max_f32_e32 v112, v113, v112
	v_cndmask_b32_e64 v102, v102, v103, s[56:57]
	v_cmp_u_f32_e64 s[58:59], v101, v101
	v_cndmask_b32_e64 v112, v112, v103, s[56:57]
	v_cndmask_b32_e64 v102, v102, v101, s[58:59]
	;; [unrolled: 1-line block ×3, first 2 shown]
	s_movk_i32 s58, 0x1f8
	v_cmp_neq_f32_e64 s[56:57], v102, v101
	v_cmp_class_f32_e64 s[58:59], v102, s58
	s_or_b64 s[56:57], s[56:57], s[58:59]
	s_and_saveexec_b64 s[58:59], s[56:57]
	s_cbranch_execz .LBB444_311
; %bb.310:
	v_sub_f32_e32 v102, v102, v101
	s_mov_b32 s56, 0x3fb8aa3b
	v_mul_f32_e32 v103, 0x3fb8aa3b, v102
	v_fma_f32 v112, v102, s56, -v103
	v_rndne_f32_e32 v113, v103
	v_fmac_f32_e32 v112, 0x32a5705f, v102
	v_sub_f32_e32 v103, v103, v113
	v_add_f32_e32 v103, v103, v112
	v_exp_f32_e32 v103, v103
	v_cvt_i32_f32_e32 v112, v113
	s_mov_b32 s56, 0xc2ce8ed0
	v_cmp_ngt_f32_e64 s[56:57], s56, v102
	s_mov_b32 s64, 0x7f800000
	v_ldexp_f32 v103, v103, v112
	v_cndmask_b32_e64 v103, 0, v103, s[56:57]
	s_mov_b32 s56, 0x42b17218
	v_mov_b32_e32 v112, 0x7f800000
	v_cmp_nlt_f32_e64 s[56:57], s56, v102
	v_cndmask_b32_e64 v134, v112, v103, s[56:57]
	v_add_f32_e32 v112, 1.0, v134
	v_add_f32_e32 v102, -1.0, v112
	v_sub_f32_e32 v103, v102, v112
	v_add_f32_e32 v103, 1.0, v103
	v_sub_f32_e32 v102, v134, v102
	v_add_f32_e32 v113, v102, v103
	v_frexp_mant_f32_e32 v114, v112
	s_mov_b32 s56, 0x3f2aaaab
	v_cvt_f64_f32_e32 v[102:103], v112
	v_frexp_exp_i32_f64_e32 v102, v[102:103]
	v_cmp_gt_f32_e64 s[56:57], s56, v114
	v_subbrev_co_u32_e64 v118, s[56:57], 0, v102, s[56:57]
	v_sub_u32_e32 v102, 0, v118
	v_ldexp_f32 v103, v112, v102
	v_add_f32_e32 v112, -1.0, v103
	v_add_f32_e32 v114, 1.0, v103
	v_ldexp_f32 v102, v113, v102
	v_add_f32_e32 v113, 1.0, v112
	v_add_f32_e32 v115, -1.0, v114
	v_sub_f32_e32 v113, v103, v113
	v_sub_f32_e32 v103, v103, v115
	v_add_f32_e32 v113, v102, v113
	v_add_f32_e32 v102, v102, v103
	v_add_f32_e32 v119, v114, v102
	v_rcp_f32_e32 v129, v119
	v_sub_f32_e32 v103, v114, v119
	v_add_f32_e32 v128, v102, v103
	v_add_f32_e32 v103, v112, v113
	v_mul_f32_e32 v131, v103, v129
	v_sub_f32_e32 v102, v112, v103
	v_mul_f32_e32 v112, v119, v131
	v_fma_f32 v114, v131, v119, -v112
	v_fmac_f32_e32 v114, v131, v128
	v_add_f32_e32 v130, v113, v102
	v_add_f32_e32 v102, v112, v114
	v_sub_f32_e32 v113, v103, v102
	v_pk_add_f32 v[116:117], v[102:103], v[112:113] neg_lo:[0,1] neg_hi:[0,1]
	v_mov_b32_e32 v115, v102
	v_pk_add_f32 v[102:103], v[116:117], v[114:115] neg_lo:[0,1] neg_hi:[0,1]
	v_add_f32_e32 v103, v130, v103
	v_add_f32_e32 v102, v102, v103
	;; [unrolled: 1-line block ×3, first 2 shown]
	v_mul_f32_e32 v130, v129, v103
	v_mul_f32_e32 v112, v119, v130
	v_fma_f32 v114, v130, v119, -v112
	v_fmac_f32_e32 v114, v130, v128
	v_sub_f32_e32 v113, v113, v103
	v_add_f32_e32 v119, v102, v113
	v_add_f32_e32 v102, v112, v114
	v_sub_f32_e32 v113, v103, v102
	v_pk_add_f32 v[116:117], v[102:103], v[112:113] neg_lo:[0,1] neg_hi:[0,1]
	v_mov_b32_e32 v115, v102
	v_pk_add_f32 v[102:103], v[116:117], v[114:115] neg_lo:[0,1] neg_hi:[0,1]
	v_add_f32_e32 v103, v119, v103
	v_add_f32_e32 v102, v102, v103
	;; [unrolled: 1-line block ×4, first 2 shown]
	v_sub_f32_e32 v103, v113, v131
	v_mul_f32_e32 v102, v129, v102
	v_sub_f32_e32 v103, v130, v103
	v_add_f32_e32 v102, v103, v102
	v_add_f32_e32 v114, v113, v102
	v_mul_f32_e32 v116, v114, v114
	v_mov_b32_e32 v112, 0x3ecc95a3
	v_fmac_f32_e32 v112, 0x3e9b6dac, v116
	v_mov_b32_e32 v103, 0x3f2aaada
	v_fmac_f32_e32 v103, v116, v112
	v_cvt_f32_i32_e32 v112, v118
	v_sub_f32_e32 v113, v114, v113
	v_sub_f32_e32 v102, v102, v113
	v_ldexp_f32 v117, v102, 1
	v_mul_f32_e32 v113, v114, v116
	v_mov_b32_e32 v102, 0x3f317218
	s_mov_b32 s56, 0x3f317218
	v_pk_mul_f32 v[102:103], v[112:113], v[102:103]
	v_ldexp_f32 v115, v114, 1
	v_fma_f32 v114, v112, s56, -v102
	v_fmac_f32_e32 v114, 0xb102e308, v112
	v_pk_add_f32 v[112:113], v[102:103], v[114:115]
	v_sub_f32_e32 v115, v113, v115
	v_sub_f32_e32 v115, v103, v115
	v_add_f32_e32 v117, v117, v115
	v_mov_b32_e32 v116, v102
	v_pk_add_f32 v[102:103], v[112:113], v[102:103] neg_lo:[0,1] neg_hi:[0,1]
	v_pk_add_f32 v[118:119], v[112:113], v[116:117]
	v_mov_b32_e32 v103, v119
	v_mov_b32_e32 v115, v112
	v_pk_add_f32 v[128:129], v[114:115], v[102:103] neg_lo:[0,1] neg_hi:[0,1]
	v_pk_add_f32 v[102:103], v[114:115], v[102:103]
	v_mov_b32_e32 v114, v103
	v_pk_add_f32 v[130:131], v[114:115], v[112:113] neg_lo:[0,1] neg_hi:[0,1]
	v_mov_b32_e32 v115, v130
	v_pk_add_f32 v[132:133], v[118:119], v[114:115] neg_lo:[0,1] neg_hi:[0,1]
	v_mov_b32_e32 v102, v119
	v_mov_b32_e32 v118, v113
	;; [unrolled: 1-line block ×4, first 2 shown]
	v_pk_add_f32 v[102:103], v[102:103], v[118:119] neg_lo:[0,1] neg_hi:[0,1]
	v_mov_b32_e32 v116, v117
	v_mov_b32_e32 v117, v112
	v_pk_add_f32 v[102:103], v[116:117], v[102:103] neg_lo:[0,1] neg_hi:[0,1]
	v_mov_b32_e32 v132, v128
	v_pk_add_f32 v[112:113], v[132:133], v[102:103]
	v_mov_b32_e32 v116, v113
	v_pk_add_f32 v[116:117], v[112:113], v[116:117]
	v_pk_add_f32 v[114:115], v[114:115], v[116:117]
	v_mov_b32_e32 v113, v114
	v_pk_add_f32 v[118:119], v[112:113], v[128:129] neg_lo:[0,1] neg_hi:[0,1]
	v_mov_b32_e32 v103, v116
	v_sub_f32_e32 v112, v112, v118
	v_pk_add_f32 v[102:103], v[102:103], v[118:119] neg_lo:[0,1] neg_hi:[0,1]
	v_sub_f32_e32 v112, v128, v112
	v_add_f32_e32 v102, v102, v112
	v_cmp_eq_f32_e64 s[56:57], s64, v134
	s_mov_b32 s64, 0x33800000
	v_add_f32_e32 v102, v102, v103
	v_cmp_lt_f32_e64 s[64:65], |v134|, s64
	v_add_f32_e32 v102, v114, v102
	s_or_b64 s[56:57], s[56:57], s[64:65]
	v_cndmask_b32_e64 v102, v102, v134, s[56:57]
	v_add_f32_e32 v103, v101, v102
.LBB444_311:
	s_or_b64 exec, exec, s[58:59]
	v_bfe_u32 v101, v103, 16, 1
	s_movk_i32 s56, 0x7fff
	v_add3_u32 v101, v103, v101, s56
	v_lshrrev_b32_e32 v101, 16, v101
	v_mov_b32_e32 v102, 0x7fc0
	v_cmp_o_f32_e64 s[56:57], v103, v103
	v_cndmask_b32_e64 v101, v102, v101, s[56:57]
	v_and_b32_e32 v102, 0xffff, v101
.LBB444_312:
	s_or_b64 exec, exec, s[60:61]
	s_nop 0
	v_mov_b32_dpp v103, v102 row_shr:8 row_mask:0xf bank_mask:0xf
	v_cmp_lt_u32_e64 s[56:57], 7, v100
	s_and_saveexec_b64 s[60:61], s[56:57]
	s_cbranch_execz .LBB444_316
; %bb.313:
	v_lshlrev_b32_e32 v101, 16, v103
	v_lshlrev_b32_e32 v100, 16, v102
	v_max_f32_e32 v103, v100, v100
	v_max_f32_e32 v112, v101, v101
	v_min_f32_e32 v102, v112, v103
	v_cmp_u_f32_e64 s[56:57], v101, v101
	v_max_f32_e32 v103, v112, v103
	v_cndmask_b32_e64 v102, v102, v101, s[56:57]
	v_cmp_u_f32_e64 s[58:59], v100, v100
	v_cndmask_b32_e64 v103, v103, v101, s[56:57]
	v_cndmask_b32_e64 v102, v102, v100, s[58:59]
	;; [unrolled: 1-line block ×3, first 2 shown]
	s_movk_i32 s58, 0x1f8
	v_cmp_neq_f32_e64 s[56:57], v102, v100
	v_cmp_class_f32_e64 s[58:59], v102, s58
	s_or_b64 s[56:57], s[56:57], s[58:59]
	s_and_saveexec_b64 s[58:59], s[56:57]
	s_cbranch_execz .LBB444_315
; %bb.314:
	v_sub_f32_e32 v101, v102, v100
	s_mov_b32 s56, 0x3fb8aa3b
	v_mul_f32_e32 v102, 0x3fb8aa3b, v101
	v_fma_f32 v103, v101, s56, -v102
	v_rndne_f32_e32 v112, v102
	v_fmac_f32_e32 v103, 0x32a5705f, v101
	v_sub_f32_e32 v102, v102, v112
	v_add_f32_e32 v102, v102, v103
	v_exp_f32_e32 v102, v102
	v_cvt_i32_f32_e32 v103, v112
	s_mov_b32 s56, 0xc2ce8ed0
	v_cmp_ngt_f32_e64 s[56:57], s56, v101
	s_mov_b32 s64, 0x7f800000
	v_ldexp_f32 v102, v102, v103
	v_cndmask_b32_e64 v102, 0, v102, s[56:57]
	s_mov_b32 s56, 0x42b17218
	v_mov_b32_e32 v103, 0x7f800000
	v_cmp_nlt_f32_e64 s[56:57], s56, v101
	v_cndmask_b32_e64 v134, v103, v102, s[56:57]
	v_add_f32_e32 v101, 1.0, v134
	v_add_f32_e32 v102, -1.0, v101
	v_sub_f32_e32 v103, v102, v101
	v_add_f32_e32 v103, 1.0, v103
	v_sub_f32_e32 v102, v134, v102
	v_add_f32_e32 v112, v102, v103
	v_frexp_mant_f32_e32 v113, v101
	s_mov_b32 s56, 0x3f2aaaab
	v_cvt_f64_f32_e32 v[102:103], v101
	v_frexp_exp_i32_f64_e32 v102, v[102:103]
	v_cmp_gt_f32_e64 s[56:57], s56, v113
	v_subbrev_co_u32_e64 v118, s[56:57], 0, v102, s[56:57]
	v_sub_u32_e32 v102, 0, v118
	v_ldexp_f32 v101, v101, v102
	v_ldexp_f32 v102, v112, v102
	v_add_f32_e32 v112, -1.0, v101
	v_add_f32_e32 v103, 1.0, v112
	v_sub_f32_e32 v103, v101, v103
	v_add_f32_e32 v113, v102, v103
	v_add_f32_e32 v103, 1.0, v101
	v_add_f32_e32 v114, -1.0, v103
	v_sub_f32_e32 v101, v101, v114
	v_add_f32_e32 v101, v102, v101
	v_add_f32_e32 v119, v103, v101
	v_rcp_f32_e32 v128, v119
	v_sub_f32_e32 v102, v103, v119
	v_add_f32_e32 v103, v112, v113
	v_add_f32_e32 v101, v101, v102
	v_mul_f32_e32 v130, v103, v128
	v_sub_f32_e32 v102, v112, v103
	v_mul_f32_e32 v112, v119, v130
	v_fma_f32 v114, v130, v119, -v112
	v_fmac_f32_e32 v114, v130, v101
	v_add_f32_e32 v129, v113, v102
	v_add_f32_e32 v102, v112, v114
	v_sub_f32_e32 v113, v103, v102
	v_pk_add_f32 v[116:117], v[102:103], v[112:113] neg_lo:[0,1] neg_hi:[0,1]
	v_mov_b32_e32 v115, v102
	v_pk_add_f32 v[102:103], v[116:117], v[114:115] neg_lo:[0,1] neg_hi:[0,1]
	v_add_f32_e32 v103, v129, v103
	v_add_f32_e32 v102, v102, v103
	;; [unrolled: 1-line block ×3, first 2 shown]
	v_mul_f32_e32 v129, v128, v103
	v_mul_f32_e32 v112, v119, v129
	v_fma_f32 v114, v129, v119, -v112
	v_fmac_f32_e32 v114, v129, v101
	v_sub_f32_e32 v101, v113, v103
	v_add_f32_e32 v101, v102, v101
	v_add_f32_e32 v102, v112, v114
	v_sub_f32_e32 v113, v103, v102
	v_pk_add_f32 v[116:117], v[102:103], v[112:113] neg_lo:[0,1] neg_hi:[0,1]
	v_mov_b32_e32 v115, v102
	v_pk_add_f32 v[102:103], v[116:117], v[114:115] neg_lo:[0,1] neg_hi:[0,1]
	v_add_f32_e32 v101, v101, v103
	v_add_f32_e32 v101, v102, v101
	;; [unrolled: 1-line block ×4, first 2 shown]
	v_sub_f32_e32 v103, v102, v130
	v_mul_f32_e32 v101, v128, v101
	v_sub_f32_e32 v103, v129, v103
	v_add_f32_e32 v101, v103, v101
	v_add_f32_e32 v113, v102, v101
	v_mul_f32_e32 v114, v113, v113
	v_mov_b32_e32 v112, 0x3ecc95a3
	v_fmac_f32_e32 v112, 0x3e9b6dac, v114
	v_mov_b32_e32 v103, 0x3f2aaada
	v_fmac_f32_e32 v103, v114, v112
	v_cvt_f32_i32_e32 v112, v118
	v_sub_f32_e32 v102, v113, v102
	v_sub_f32_e32 v101, v101, v102
	v_ldexp_f32 v115, v113, 1
	v_mul_f32_e32 v113, v113, v114
	v_mov_b32_e32 v102, 0x3f317218
	s_mov_b32 s56, 0x3f317218
	v_pk_mul_f32 v[102:103], v[112:113], v[102:103]
	v_fma_f32 v114, v112, s56, -v102
	v_fmac_f32_e32 v114, 0xb102e308, v112
	v_pk_add_f32 v[112:113], v[102:103], v[114:115]
	v_sub_f32_e32 v115, v113, v115
	v_ldexp_f32 v101, v101, 1
	v_sub_f32_e32 v115, v103, v115
	v_add_f32_e32 v117, v101, v115
	v_mov_b32_e32 v116, v102
	v_pk_add_f32 v[102:103], v[112:113], v[102:103] neg_lo:[0,1] neg_hi:[0,1]
	v_pk_add_f32 v[118:119], v[112:113], v[116:117]
	v_mov_b32_e32 v103, v119
	v_mov_b32_e32 v115, v112
	v_pk_add_f32 v[128:129], v[114:115], v[102:103] neg_lo:[0,1] neg_hi:[0,1]
	v_pk_add_f32 v[102:103], v[114:115], v[102:103]
	v_mov_b32_e32 v114, v103
	v_pk_add_f32 v[130:131], v[114:115], v[112:113] neg_lo:[0,1] neg_hi:[0,1]
	v_mov_b32_e32 v101, v130
	v_pk_add_f32 v[132:133], v[118:119], v[100:101] neg_lo:[0,1] neg_hi:[0,1]
	v_mov_b32_e32 v102, v119
	v_mov_b32_e32 v118, v113
	;; [unrolled: 1-line block ×4, first 2 shown]
	v_pk_add_f32 v[102:103], v[102:103], v[118:119] neg_lo:[0,1] neg_hi:[0,1]
	v_mov_b32_e32 v116, v117
	v_mov_b32_e32 v117, v112
	v_pk_add_f32 v[102:103], v[116:117], v[102:103] neg_lo:[0,1] neg_hi:[0,1]
	v_mov_b32_e32 v132, v128
	v_pk_add_f32 v[112:113], v[132:133], v[102:103]
	v_mov_b32_e32 v116, v113
	v_pk_add_f32 v[116:117], v[112:113], v[116:117]
	v_pk_add_f32 v[114:115], v[114:115], v[116:117]
	v_mov_b32_e32 v113, v114
	v_pk_add_f32 v[118:119], v[112:113], v[128:129] neg_lo:[0,1] neg_hi:[0,1]
	v_mov_b32_e32 v103, v116
	v_sub_f32_e32 v101, v112, v118
	v_pk_add_f32 v[102:103], v[102:103], v[118:119] neg_lo:[0,1] neg_hi:[0,1]
	v_sub_f32_e32 v101, v128, v101
	v_add_f32_e32 v101, v102, v101
	v_cmp_eq_f32_e64 s[56:57], s64, v134
	s_mov_b32 s64, 0x33800000
	v_add_f32_e32 v101, v101, v103
	v_cmp_lt_f32_e64 s[64:65], |v134|, s64
	v_add_f32_e32 v101, v114, v101
	s_or_b64 s[56:57], s[56:57], s[64:65]
	v_cndmask_b32_e64 v101, v101, v134, s[56:57]
	v_add_f32_e32 v101, v100, v101
.LBB444_315:
	s_or_b64 exec, exec, s[58:59]
	v_bfe_u32 v100, v101, 16, 1
	s_movk_i32 s56, 0x7fff
	v_add3_u32 v100, v101, v100, s56
	v_lshrrev_b32_e32 v100, 16, v100
	v_mov_b32_e32 v102, 0x7fc0
	v_cmp_o_f32_e64 s[56:57], v101, v101
	v_cndmask_b32_e64 v101, v102, v100, s[56:57]
	v_and_b32_e32 v102, 0xffff, v101
.LBB444_316:
	s_or_b64 exec, exec, s[60:61]
	v_and_b32_e32 v103, 16, v99
	v_mov_b32_dpp v100, v102 row_bcast:15 row_mask:0xf bank_mask:0xf
	v_cmp_ne_u32_e64 s[56:57], 0, v103
	s_and_saveexec_b64 s[60:61], s[56:57]
	s_cbranch_execz .LBB444_320
; %bb.317:
	v_lshlrev_b32_e32 v101, 16, v100
	v_lshlrev_b32_e32 v100, 16, v102
	v_max_f32_e32 v103, v100, v100
	v_max_f32_e32 v112, v101, v101
	v_min_f32_e32 v102, v112, v103
	v_cmp_u_f32_e64 s[56:57], v101, v101
	v_max_f32_e32 v103, v112, v103
	v_cndmask_b32_e64 v102, v102, v101, s[56:57]
	v_cmp_u_f32_e64 s[58:59], v100, v100
	v_cndmask_b32_e64 v103, v103, v101, s[56:57]
	v_cndmask_b32_e64 v102, v102, v100, s[58:59]
	;; [unrolled: 1-line block ×3, first 2 shown]
	s_movk_i32 s58, 0x1f8
	v_cmp_neq_f32_e64 s[56:57], v102, v100
	v_cmp_class_f32_e64 s[58:59], v102, s58
	s_or_b64 s[56:57], s[56:57], s[58:59]
	s_and_saveexec_b64 s[58:59], s[56:57]
	s_cbranch_execz .LBB444_319
; %bb.318:
	v_sub_f32_e32 v101, v102, v100
	s_mov_b32 s56, 0x3fb8aa3b
	v_mul_f32_e32 v102, 0x3fb8aa3b, v101
	v_fma_f32 v103, v101, s56, -v102
	v_rndne_f32_e32 v112, v102
	v_fmac_f32_e32 v103, 0x32a5705f, v101
	v_sub_f32_e32 v102, v102, v112
	v_add_f32_e32 v102, v102, v103
	v_exp_f32_e32 v102, v102
	v_cvt_i32_f32_e32 v103, v112
	s_mov_b32 s56, 0xc2ce8ed0
	v_cmp_ngt_f32_e64 s[56:57], s56, v101
	s_mov_b32 s64, 0x7f800000
	v_ldexp_f32 v102, v102, v103
	v_cndmask_b32_e64 v102, 0, v102, s[56:57]
	s_mov_b32 s56, 0x42b17218
	v_mov_b32_e32 v103, 0x7f800000
	v_cmp_nlt_f32_e64 s[56:57], s56, v101
	v_cndmask_b32_e64 v134, v103, v102, s[56:57]
	v_add_f32_e32 v101, 1.0, v134
	v_add_f32_e32 v102, -1.0, v101
	v_sub_f32_e32 v103, v102, v101
	v_add_f32_e32 v103, 1.0, v103
	v_sub_f32_e32 v102, v134, v102
	v_add_f32_e32 v112, v102, v103
	v_frexp_mant_f32_e32 v113, v101
	s_mov_b32 s56, 0x3f2aaaab
	v_cvt_f64_f32_e32 v[102:103], v101
	v_frexp_exp_i32_f64_e32 v102, v[102:103]
	v_cmp_gt_f32_e64 s[56:57], s56, v113
	v_subbrev_co_u32_e64 v118, s[56:57], 0, v102, s[56:57]
	v_sub_u32_e32 v102, 0, v118
	v_ldexp_f32 v101, v101, v102
	v_ldexp_f32 v102, v112, v102
	v_add_f32_e32 v112, -1.0, v101
	v_add_f32_e32 v103, 1.0, v112
	v_sub_f32_e32 v103, v101, v103
	v_add_f32_e32 v113, v102, v103
	v_add_f32_e32 v103, 1.0, v101
	v_add_f32_e32 v114, -1.0, v103
	v_sub_f32_e32 v101, v101, v114
	v_add_f32_e32 v101, v102, v101
	v_add_f32_e32 v119, v103, v101
	v_rcp_f32_e32 v128, v119
	v_sub_f32_e32 v102, v103, v119
	v_add_f32_e32 v103, v112, v113
	v_add_f32_e32 v101, v101, v102
	v_mul_f32_e32 v130, v103, v128
	v_sub_f32_e32 v102, v112, v103
	v_mul_f32_e32 v112, v119, v130
	v_fma_f32 v114, v130, v119, -v112
	v_fmac_f32_e32 v114, v130, v101
	v_add_f32_e32 v129, v113, v102
	v_add_f32_e32 v102, v112, v114
	v_sub_f32_e32 v113, v103, v102
	v_pk_add_f32 v[116:117], v[102:103], v[112:113] neg_lo:[0,1] neg_hi:[0,1]
	v_mov_b32_e32 v115, v102
	v_pk_add_f32 v[102:103], v[116:117], v[114:115] neg_lo:[0,1] neg_hi:[0,1]
	v_add_f32_e32 v103, v129, v103
	v_add_f32_e32 v102, v102, v103
	;; [unrolled: 1-line block ×3, first 2 shown]
	v_mul_f32_e32 v129, v128, v103
	v_mul_f32_e32 v112, v119, v129
	v_fma_f32 v114, v129, v119, -v112
	v_fmac_f32_e32 v114, v129, v101
	v_sub_f32_e32 v101, v113, v103
	v_add_f32_e32 v101, v102, v101
	v_add_f32_e32 v102, v112, v114
	v_sub_f32_e32 v113, v103, v102
	v_pk_add_f32 v[116:117], v[102:103], v[112:113] neg_lo:[0,1] neg_hi:[0,1]
	v_mov_b32_e32 v115, v102
	v_pk_add_f32 v[102:103], v[116:117], v[114:115] neg_lo:[0,1] neg_hi:[0,1]
	v_add_f32_e32 v101, v101, v103
	v_add_f32_e32 v101, v102, v101
	;; [unrolled: 1-line block ×4, first 2 shown]
	v_sub_f32_e32 v103, v102, v130
	v_mul_f32_e32 v101, v128, v101
	v_sub_f32_e32 v103, v129, v103
	v_add_f32_e32 v101, v103, v101
	v_add_f32_e32 v113, v102, v101
	v_mul_f32_e32 v114, v113, v113
	v_mov_b32_e32 v112, 0x3ecc95a3
	v_fmac_f32_e32 v112, 0x3e9b6dac, v114
	v_mov_b32_e32 v103, 0x3f2aaada
	v_fmac_f32_e32 v103, v114, v112
	v_cvt_f32_i32_e32 v112, v118
	v_sub_f32_e32 v102, v113, v102
	v_sub_f32_e32 v101, v101, v102
	v_ldexp_f32 v115, v113, 1
	v_mul_f32_e32 v113, v113, v114
	v_mov_b32_e32 v102, 0x3f317218
	s_mov_b32 s56, 0x3f317218
	v_pk_mul_f32 v[102:103], v[112:113], v[102:103]
	v_fma_f32 v114, v112, s56, -v102
	v_fmac_f32_e32 v114, 0xb102e308, v112
	v_pk_add_f32 v[112:113], v[102:103], v[114:115]
	v_sub_f32_e32 v115, v113, v115
	v_ldexp_f32 v101, v101, 1
	v_sub_f32_e32 v115, v103, v115
	v_add_f32_e32 v117, v101, v115
	v_mov_b32_e32 v116, v102
	v_pk_add_f32 v[102:103], v[112:113], v[102:103] neg_lo:[0,1] neg_hi:[0,1]
	v_pk_add_f32 v[118:119], v[112:113], v[116:117]
	v_mov_b32_e32 v103, v119
	v_mov_b32_e32 v115, v112
	v_pk_add_f32 v[128:129], v[114:115], v[102:103] neg_lo:[0,1] neg_hi:[0,1]
	v_pk_add_f32 v[102:103], v[114:115], v[102:103]
	v_mov_b32_e32 v114, v103
	v_pk_add_f32 v[130:131], v[114:115], v[112:113] neg_lo:[0,1] neg_hi:[0,1]
	v_mov_b32_e32 v101, v130
	v_pk_add_f32 v[132:133], v[118:119], v[100:101] neg_lo:[0,1] neg_hi:[0,1]
	v_mov_b32_e32 v102, v119
	v_mov_b32_e32 v118, v113
	v_mov_b32_e32 v119, v130
	v_mov_b32_e32 v129, v103
	v_pk_add_f32 v[102:103], v[102:103], v[118:119] neg_lo:[0,1] neg_hi:[0,1]
	v_mov_b32_e32 v116, v117
	v_mov_b32_e32 v117, v112
	v_pk_add_f32 v[102:103], v[116:117], v[102:103] neg_lo:[0,1] neg_hi:[0,1]
	v_mov_b32_e32 v132, v128
	v_pk_add_f32 v[112:113], v[132:133], v[102:103]
	v_mov_b32_e32 v116, v113
	v_pk_add_f32 v[116:117], v[112:113], v[116:117]
	v_pk_add_f32 v[114:115], v[114:115], v[116:117]
	v_mov_b32_e32 v113, v114
	v_pk_add_f32 v[118:119], v[112:113], v[128:129] neg_lo:[0,1] neg_hi:[0,1]
	v_mov_b32_e32 v103, v116
	v_sub_f32_e32 v101, v112, v118
	v_pk_add_f32 v[102:103], v[102:103], v[118:119] neg_lo:[0,1] neg_hi:[0,1]
	v_sub_f32_e32 v101, v128, v101
	v_add_f32_e32 v101, v102, v101
	v_cmp_eq_f32_e64 s[56:57], s64, v134
	s_mov_b32 s64, 0x33800000
	v_add_f32_e32 v101, v101, v103
	v_cmp_lt_f32_e64 s[64:65], |v134|, s64
	v_add_f32_e32 v101, v114, v101
	s_or_b64 s[56:57], s[56:57], s[64:65]
	v_cndmask_b32_e64 v101, v101, v134, s[56:57]
	v_add_f32_e32 v101, v100, v101
.LBB444_319:
	s_or_b64 exec, exec, s[58:59]
	v_bfe_u32 v100, v101, 16, 1
	s_movk_i32 s56, 0x7fff
	v_add3_u32 v100, v101, v100, s56
	v_lshrrev_b32_e32 v100, 16, v100
	v_mov_b32_e32 v102, 0x7fc0
	v_cmp_o_f32_e64 s[56:57], v101, v101
	v_cndmask_b32_e64 v101, v102, v100, s[56:57]
	v_and_b32_e32 v102, 0xffff, v101
.LBB444_320:
	s_or_b64 exec, exec, s[60:61]
	s_nop 0
	v_mov_b32_dpp v100, v102 row_bcast:31 row_mask:0xf bank_mask:0xf
	v_cmp_lt_u32_e64 s[56:57], 31, v99
	s_and_saveexec_b64 s[60:61], s[56:57]
	s_cbranch_execz .LBB444_324
; %bb.321:
	v_lshlrev_b32_e32 v101, 16, v100
	v_lshlrev_b32_e32 v100, 16, v102
	v_max_f32_e32 v103, v100, v100
	v_max_f32_e32 v112, v101, v101
	v_min_f32_e32 v102, v112, v103
	v_cmp_u_f32_e64 s[56:57], v101, v101
	v_max_f32_e32 v103, v112, v103
	v_cndmask_b32_e64 v102, v102, v101, s[56:57]
	v_cmp_u_f32_e64 s[58:59], v100, v100
	v_cndmask_b32_e64 v103, v103, v101, s[56:57]
	v_cndmask_b32_e64 v102, v102, v100, s[58:59]
	v_cndmask_b32_e64 v100, v103, v100, s[58:59]
	s_movk_i32 s58, 0x1f8
	v_cmp_neq_f32_e64 s[56:57], v102, v100
	v_cmp_class_f32_e64 s[58:59], v102, s58
	s_or_b64 s[56:57], s[56:57], s[58:59]
	s_and_saveexec_b64 s[58:59], s[56:57]
	s_cbranch_execz .LBB444_323
; %bb.322:
	v_sub_f32_e32 v101, v102, v100
	s_mov_b32 s56, 0x3fb8aa3b
	v_mul_f32_e32 v102, 0x3fb8aa3b, v101
	v_fma_f32 v103, v101, s56, -v102
	v_rndne_f32_e32 v112, v102
	v_fmac_f32_e32 v103, 0x32a5705f, v101
	v_sub_f32_e32 v102, v102, v112
	v_add_f32_e32 v102, v102, v103
	v_exp_f32_e32 v102, v102
	v_cvt_i32_f32_e32 v103, v112
	s_mov_b32 s56, 0xc2ce8ed0
	v_cmp_ngt_f32_e64 s[56:57], s56, v101
	s_mov_b32 s64, 0x7f800000
	v_ldexp_f32 v102, v102, v103
	v_cndmask_b32_e64 v102, 0, v102, s[56:57]
	s_mov_b32 s56, 0x42b17218
	v_mov_b32_e32 v103, 0x7f800000
	v_cmp_nlt_f32_e64 s[56:57], s56, v101
	v_cndmask_b32_e64 v134, v103, v102, s[56:57]
	v_add_f32_e32 v101, 1.0, v134
	v_add_f32_e32 v102, -1.0, v101
	v_sub_f32_e32 v103, v102, v101
	v_add_f32_e32 v103, 1.0, v103
	v_sub_f32_e32 v102, v134, v102
	v_add_f32_e32 v112, v102, v103
	v_frexp_mant_f32_e32 v113, v101
	s_mov_b32 s56, 0x3f2aaaab
	v_cvt_f64_f32_e32 v[102:103], v101
	v_frexp_exp_i32_f64_e32 v102, v[102:103]
	v_cmp_gt_f32_e64 s[56:57], s56, v113
	v_subbrev_co_u32_e64 v118, s[56:57], 0, v102, s[56:57]
	v_sub_u32_e32 v102, 0, v118
	v_ldexp_f32 v101, v101, v102
	v_ldexp_f32 v102, v112, v102
	v_add_f32_e32 v112, -1.0, v101
	v_add_f32_e32 v103, 1.0, v112
	v_sub_f32_e32 v103, v101, v103
	v_add_f32_e32 v113, v102, v103
	v_add_f32_e32 v103, 1.0, v101
	v_add_f32_e32 v114, -1.0, v103
	v_sub_f32_e32 v101, v101, v114
	v_add_f32_e32 v101, v102, v101
	v_add_f32_e32 v119, v103, v101
	v_rcp_f32_e32 v128, v119
	v_sub_f32_e32 v102, v103, v119
	v_add_f32_e32 v103, v112, v113
	v_add_f32_e32 v101, v101, v102
	v_mul_f32_e32 v130, v103, v128
	v_sub_f32_e32 v102, v112, v103
	v_mul_f32_e32 v112, v119, v130
	v_fma_f32 v114, v130, v119, -v112
	v_fmac_f32_e32 v114, v130, v101
	v_add_f32_e32 v129, v113, v102
	v_add_f32_e32 v102, v112, v114
	v_sub_f32_e32 v113, v103, v102
	v_pk_add_f32 v[116:117], v[102:103], v[112:113] neg_lo:[0,1] neg_hi:[0,1]
	v_mov_b32_e32 v115, v102
	v_pk_add_f32 v[102:103], v[116:117], v[114:115] neg_lo:[0,1] neg_hi:[0,1]
	v_add_f32_e32 v103, v129, v103
	v_add_f32_e32 v102, v102, v103
	;; [unrolled: 1-line block ×3, first 2 shown]
	v_mul_f32_e32 v129, v128, v103
	v_mul_f32_e32 v112, v119, v129
	v_fma_f32 v114, v129, v119, -v112
	v_fmac_f32_e32 v114, v129, v101
	v_sub_f32_e32 v101, v113, v103
	v_add_f32_e32 v101, v102, v101
	v_add_f32_e32 v102, v112, v114
	v_sub_f32_e32 v113, v103, v102
	v_pk_add_f32 v[116:117], v[102:103], v[112:113] neg_lo:[0,1] neg_hi:[0,1]
	v_mov_b32_e32 v115, v102
	v_pk_add_f32 v[102:103], v[116:117], v[114:115] neg_lo:[0,1] neg_hi:[0,1]
	v_add_f32_e32 v101, v101, v103
	v_add_f32_e32 v101, v102, v101
	;; [unrolled: 1-line block ×4, first 2 shown]
	v_sub_f32_e32 v103, v102, v130
	v_mul_f32_e32 v101, v128, v101
	v_sub_f32_e32 v103, v129, v103
	v_add_f32_e32 v101, v103, v101
	v_add_f32_e32 v113, v102, v101
	v_mul_f32_e32 v114, v113, v113
	v_mov_b32_e32 v112, 0x3ecc95a3
	v_fmac_f32_e32 v112, 0x3e9b6dac, v114
	v_mov_b32_e32 v103, 0x3f2aaada
	v_fmac_f32_e32 v103, v114, v112
	v_cvt_f32_i32_e32 v112, v118
	v_sub_f32_e32 v102, v113, v102
	v_sub_f32_e32 v101, v101, v102
	v_ldexp_f32 v115, v113, 1
	v_mul_f32_e32 v113, v113, v114
	v_mov_b32_e32 v102, 0x3f317218
	s_mov_b32 s56, 0x3f317218
	v_pk_mul_f32 v[102:103], v[112:113], v[102:103]
	v_fma_f32 v114, v112, s56, -v102
	v_fmac_f32_e32 v114, 0xb102e308, v112
	v_pk_add_f32 v[112:113], v[102:103], v[114:115]
	v_sub_f32_e32 v115, v113, v115
	v_ldexp_f32 v101, v101, 1
	v_sub_f32_e32 v115, v103, v115
	v_add_f32_e32 v117, v101, v115
	v_mov_b32_e32 v116, v102
	v_pk_add_f32 v[102:103], v[112:113], v[102:103] neg_lo:[0,1] neg_hi:[0,1]
	v_pk_add_f32 v[118:119], v[112:113], v[116:117]
	v_mov_b32_e32 v103, v119
	v_mov_b32_e32 v115, v112
	v_pk_add_f32 v[128:129], v[114:115], v[102:103] neg_lo:[0,1] neg_hi:[0,1]
	v_pk_add_f32 v[102:103], v[114:115], v[102:103]
	v_mov_b32_e32 v114, v103
	v_pk_add_f32 v[130:131], v[114:115], v[112:113] neg_lo:[0,1] neg_hi:[0,1]
	v_mov_b32_e32 v101, v130
	v_pk_add_f32 v[132:133], v[118:119], v[100:101] neg_lo:[0,1] neg_hi:[0,1]
	v_mov_b32_e32 v102, v119
	v_mov_b32_e32 v118, v113
	;; [unrolled: 1-line block ×4, first 2 shown]
	v_pk_add_f32 v[102:103], v[102:103], v[118:119] neg_lo:[0,1] neg_hi:[0,1]
	v_mov_b32_e32 v116, v117
	v_mov_b32_e32 v117, v112
	v_pk_add_f32 v[102:103], v[116:117], v[102:103] neg_lo:[0,1] neg_hi:[0,1]
	v_mov_b32_e32 v132, v128
	v_pk_add_f32 v[112:113], v[132:133], v[102:103]
	v_mov_b32_e32 v116, v113
	v_pk_add_f32 v[116:117], v[112:113], v[116:117]
	v_pk_add_f32 v[114:115], v[114:115], v[116:117]
	v_mov_b32_e32 v113, v114
	v_pk_add_f32 v[118:119], v[112:113], v[128:129] neg_lo:[0,1] neg_hi:[0,1]
	v_mov_b32_e32 v103, v116
	v_sub_f32_e32 v101, v112, v118
	v_pk_add_f32 v[102:103], v[102:103], v[118:119] neg_lo:[0,1] neg_hi:[0,1]
	v_sub_f32_e32 v101, v128, v101
	v_add_f32_e32 v101, v102, v101
	v_cmp_eq_f32_e64 s[56:57], s64, v134
	s_mov_b32 s64, 0x33800000
	v_add_f32_e32 v101, v101, v103
	v_cmp_lt_f32_e64 s[64:65], |v134|, s64
	v_add_f32_e32 v101, v114, v101
	s_or_b64 s[56:57], s[56:57], s[64:65]
	v_cndmask_b32_e64 v101, v101, v134, s[56:57]
	v_add_f32_e32 v101, v100, v101
.LBB444_323:
	s_or_b64 exec, exec, s[58:59]
	v_bfe_u32 v100, v101, 16, 1
	s_movk_i32 s56, 0x7fff
	v_add3_u32 v100, v101, v100, s56
	v_lshrrev_b32_e32 v100, 16, v100
	v_mov_b32_e32 v102, 0x7fc0
	v_cmp_o_f32_e64 s[56:57], v101, v101
	v_cndmask_b32_e64 v101, v102, v100, s[56:57]
.LBB444_324:
	s_or_b64 exec, exec, s[60:61]
	v_cmp_eq_u32_e64 s[56:57], 63, v0
	s_and_saveexec_b64 s[58:59], s[56:57]
	s_cbranch_execz .LBB444_326
; %bb.325:
	v_mov_b32_e32 v100, 0
	ds_write_b16 v100, v101
.LBB444_326:
	s_or_b64 exec, exec, s[58:59]
	v_and_b32_e32 v100, 0xffff, v101
	v_add_u32_e32 v101, -1, v99
	v_and_b32_e32 v102, 64, v99
	v_cmp_lt_i32_e64 s[58:59], v101, v102
	v_cndmask_b32_e64 v99, v101, v99, s[58:59]
	v_lshlrev_b32_e32 v99, 2, v99
	ds_bpermute_b32 v99, v99, v100
	s_waitcnt lgkmcnt(0)
	; wave barrier
	s_waitcnt lgkmcnt(0)
	s_and_saveexec_b64 s[58:59], vcc
	s_cbranch_execz .LBB444_330
; %bb.327:
	v_lshlrev_b32_e32 v96, 16, v99
	v_max_f32_e32 v26, v96, v96
	v_min_f32_e32 v97, v26, v98
	v_cmp_u_f32_e32 vcc, v96, v96
	v_max_f32_e32 v26, v26, v98
	v_cndmask_b32_e32 v97, v97, v96, vcc
	v_cndmask_b32_e32 v26, v26, v96, vcc
	v_cndmask_b32_e64 v97, v97, v30, s[54:55]
	v_cndmask_b32_e64 v26, v26, v30, s[54:55]
	s_movk_i32 s54, 0x1f8
	v_cmp_neq_f32_e32 vcc, v97, v26
	v_cmp_class_f32_e64 s[54:55], v97, s54
	s_or_b64 vcc, vcc, s[54:55]
	s_and_saveexec_b64 s[54:55], vcc
	s_cbranch_execz .LBB444_329
; %bb.328:
	v_sub_f32_e32 v30, v97, v26
	s_mov_b32 s60, 0x3fb8aa3b
	v_mul_f32_e32 v96, 0x3fb8aa3b, v30
	v_fma_f32 v97, v30, s60, -v96
	v_rndne_f32_e32 v98, v96
	v_fmac_f32_e32 v97, 0x32a5705f, v30
	v_sub_f32_e32 v96, v96, v98
	v_add_f32_e32 v96, v96, v97
	v_exp_f32_e32 v96, v96
	v_cvt_i32_f32_e32 v97, v98
	s_mov_b32 s60, 0xc2ce8ed0
	v_cmp_ngt_f32_e32 vcc, s60, v30
	s_mov_b32 s60, 0x42b17218
	v_ldexp_f32 v96, v96, v97
	v_cndmask_b32_e32 v96, 0, v96, vcc
	v_mov_b32_e32 v97, 0x7f800000
	v_cmp_nlt_f32_e32 vcc, s60, v30
	v_cndmask_b32_e32 v118, v97, v96, vcc
	v_add_f32_e32 v30, 1.0, v118
	v_add_f32_e32 v96, -1.0, v30
	v_sub_f32_e32 v97, v96, v30
	v_add_f32_e32 v97, 1.0, v97
	v_sub_f32_e32 v96, v118, v96
	v_add_f32_e32 v98, v96, v97
	v_frexp_mant_f32_e32 v99, v30
	s_mov_b32 s60, 0x3f2aaaab
	v_cvt_f64_f32_e32 v[96:97], v30
	v_frexp_exp_i32_f64_e32 v96, v[96:97]
	v_cmp_gt_f32_e32 vcc, s60, v99
	v_subbrev_co_u32_e32 v112, vcc, 0, v96, vcc
	v_sub_u32_e32 v96, 0, v112
	v_ldexp_f32 v30, v30, v96
	v_ldexp_f32 v96, v98, v96
	v_add_f32_e32 v98, -1.0, v30
	v_add_f32_e32 v97, 1.0, v98
	v_sub_f32_e32 v97, v30, v97
	v_add_f32_e32 v99, v96, v97
	v_add_f32_e32 v97, 1.0, v30
	v_add_f32_e32 v100, -1.0, v97
	v_sub_f32_e32 v30, v30, v100
	v_add_f32_e32 v30, v96, v30
	v_add_f32_e32 v113, v97, v30
	v_rcp_f32_e32 v114, v113
	v_sub_f32_e32 v96, v97, v113
	v_add_f32_e32 v97, v98, v99
	v_add_f32_e32 v30, v30, v96
	v_mul_f32_e32 v116, v97, v114
	v_sub_f32_e32 v96, v98, v97
	v_mul_f32_e32 v98, v113, v116
	v_fma_f32 v100, v116, v113, -v98
	v_fmac_f32_e32 v100, v116, v30
	v_add_f32_e32 v115, v99, v96
	v_add_f32_e32 v96, v98, v100
	v_sub_f32_e32 v99, v97, v96
	v_pk_add_f32 v[102:103], v[96:97], v[98:99] neg_lo:[0,1] neg_hi:[0,1]
	v_mov_b32_e32 v101, v96
	v_pk_add_f32 v[96:97], v[102:103], v[100:101] neg_lo:[0,1] neg_hi:[0,1]
	v_add_f32_e32 v97, v115, v97
	v_add_f32_e32 v96, v96, v97
	;; [unrolled: 1-line block ×3, first 2 shown]
	v_mul_f32_e32 v115, v114, v97
	v_mul_f32_e32 v98, v113, v115
	v_fma_f32 v100, v115, v113, -v98
	v_fmac_f32_e32 v100, v115, v30
	v_sub_f32_e32 v30, v99, v97
	v_add_f32_e32 v30, v96, v30
	v_add_f32_e32 v96, v98, v100
	v_sub_f32_e32 v99, v97, v96
	v_pk_add_f32 v[102:103], v[96:97], v[98:99] neg_lo:[0,1] neg_hi:[0,1]
	v_mov_b32_e32 v101, v96
	v_pk_add_f32 v[96:97], v[102:103], v[100:101] neg_lo:[0,1] neg_hi:[0,1]
	v_add_f32_e32 v30, v30, v97
	v_add_f32_e32 v30, v96, v30
	v_add_f32_e32 v96, v116, v115
	v_add_f32_e32 v30, v99, v30
	v_sub_f32_e32 v97, v96, v116
	v_mul_f32_e32 v30, v114, v30
	v_sub_f32_e32 v97, v115, v97
	v_add_f32_e32 v30, v97, v30
	v_add_f32_e32 v99, v96, v30
	v_mul_f32_e32 v100, v99, v99
	v_mov_b32_e32 v98, 0x3ecc95a3
	v_fmac_f32_e32 v98, 0x3e9b6dac, v100
	v_mov_b32_e32 v97, 0x3f2aaada
	v_fmac_f32_e32 v97, v100, v98
	v_cvt_f32_i32_e32 v98, v112
	v_sub_f32_e32 v96, v99, v96
	v_sub_f32_e32 v30, v30, v96
	v_ldexp_f32 v101, v99, 1
	v_mul_f32_e32 v99, v99, v100
	v_mov_b32_e32 v96, 0x3f317218
	s_mov_b32 s60, 0x3f317218
	v_pk_mul_f32 v[96:97], v[98:99], v[96:97]
	v_fma_f32 v100, v98, s60, -v96
	v_fmac_f32_e32 v100, 0xb102e308, v98
	v_pk_add_f32 v[98:99], v[96:97], v[100:101]
	v_sub_f32_e32 v101, v99, v101
	v_ldexp_f32 v30, v30, 1
	v_sub_f32_e32 v101, v97, v101
	v_add_f32_e32 v103, v30, v101
	v_mov_b32_e32 v102, v96
	v_pk_add_f32 v[96:97], v[98:99], v[96:97] neg_lo:[0,1] neg_hi:[0,1]
	v_pk_add_f32 v[112:113], v[98:99], v[102:103]
	v_mov_b32_e32 v97, v113
	v_mov_b32_e32 v101, v98
	v_pk_add_f32 v[114:115], v[100:101], v[96:97] neg_lo:[0,1] neg_hi:[0,1]
	v_pk_add_f32 v[96:97], v[100:101], v[96:97]
	v_mov_b32_e32 v30, v97
	v_pk_add_f32 v[100:101], v[30:31], v[98:99] neg_lo:[0,1] neg_hi:[0,1]
	v_mov_b32_e32 v101, v100
	v_pk_add_f32 v[116:117], v[112:113], v[100:101] neg_lo:[0,1] neg_hi:[0,1]
	v_mov_b32_e32 v96, v113
	v_mov_b32_e32 v112, v99
	;; [unrolled: 1-line block ×4, first 2 shown]
	v_pk_add_f32 v[96:97], v[96:97], v[112:113] neg_lo:[0,1] neg_hi:[0,1]
	v_mov_b32_e32 v100, v103
	v_mov_b32_e32 v101, v98
	v_pk_add_f32 v[96:97], v[100:101], v[96:97] neg_lo:[0,1] neg_hi:[0,1]
	v_mov_b32_e32 v116, v114
	v_pk_add_f32 v[98:99], v[116:117], v[96:97]
	v_mov_b32_e32 v100, v99
	v_pk_add_f32 v[100:101], v[98:99], v[100:101]
	v_pk_add_f32 v[102:103], v[30:31], v[100:101]
	v_mov_b32_e32 v99, v102
	v_pk_add_f32 v[112:113], v[98:99], v[114:115] neg_lo:[0,1] neg_hi:[0,1]
	v_mov_b32_e32 v97, v100
	v_sub_f32_e32 v30, v98, v112
	v_pk_add_f32 v[96:97], v[96:97], v[112:113] neg_lo:[0,1] neg_hi:[0,1]
	v_sub_f32_e32 v30, v114, v30
	s_mov_b32 s61, 0x7f800000
	v_add_f32_e32 v30, v96, v30
	s_mov_b32 s60, 0x33800000
	v_add_f32_e32 v30, v30, v97
	v_cmp_eq_f32_e32 vcc, s61, v118
	v_cmp_lt_f32_e64 s[60:61], |v118|, s60
	v_add_f32_e32 v30, v102, v30
	s_or_b64 vcc, vcc, s[60:61]
	v_cndmask_b32_e32 v30, v30, v118, vcc
	v_add_f32_e32 v96, v26, v30
.LBB444_329:
	s_or_b64 exec, exec, s[54:55]
	v_bfe_u32 v26, v96, 16, 1
	s_movk_i32 vcc_lo, 0x7fff
	v_add3_u32 v26, v96, v26, vcc_lo
	v_lshrrev_b32_e32 v26, 16, v26
	v_mov_b32_e32 v30, 0x7fc0
	v_cmp_o_f32_e32 vcc, v96, v96
	v_cndmask_b32_e32 v26, v30, v26, vcc
	v_lshlrev_b32_e32 v30, 16, v26
	v_max_f32_e32 v97, v30, v30
	v_min_f32_e32 v96, v97, v27
	v_max_f32_e32 v97, v97, v27
	;;#ASMSTART
	;;#ASMEND
.LBB444_330:
	s_or_b64 exec, exec, s[58:59]
	v_cmp_u_f32_e32 vcc, v30, v30
	v_cndmask_b32_e32 v27, v96, v30, vcc
	v_cndmask_b32_e32 v96, v97, v30, vcc
	v_cndmask_b32_e64 v27, v27, v2, s[6:7]
	v_cndmask_b32_e64 v2, v96, v2, s[6:7]
	s_movk_i32 s54, 0x1f8
	v_cmp_neq_f32_e32 vcc, v27, v2
	v_cmp_class_f32_e64 s[6:7], v27, s54
	s_or_b64 vcc, vcc, s[6:7]
	s_and_saveexec_b64 s[6:7], vcc
	s_cbranch_execz .LBB444_332
; %bb.331:
	v_sub_f32_e32 v27, v27, v2
	s_mov_b32 s55, 0x3fb8aa3b
	v_mul_f32_e32 v30, 0x3fb8aa3b, v27
	v_fma_f32 v96, v27, s55, -v30
	v_rndne_f32_e32 v97, v30
	v_fmac_f32_e32 v96, 0x32a5705f, v27
	v_sub_f32_e32 v30, v30, v97
	v_add_f32_e32 v30, v30, v96
	v_exp_f32_e32 v30, v30
	v_cvt_i32_f32_e32 v96, v97
	s_mov_b32 s55, 0xc2ce8ed0
	v_cmp_ngt_f32_e32 vcc, s55, v27
	s_mov_b32 s55, 0x42b17218
	v_ldexp_f32 v30, v30, v96
	v_cndmask_b32_e32 v30, 0, v30, vcc
	v_mov_b32_e32 v96, 0x7f800000
	v_cmp_nlt_f32_e32 vcc, s55, v27
	v_cndmask_b32_e32 v118, v96, v30, vcc
	v_add_f32_e32 v27, 1.0, v118
	v_add_f32_e32 v30, -1.0, v27
	v_sub_f32_e32 v96, v30, v27
	v_add_f32_e32 v96, 1.0, v96
	v_sub_f32_e32 v30, v118, v30
	v_add_f32_e32 v30, v30, v96
	v_frexp_mant_f32_e32 v98, v27
	s_mov_b32 s55, 0x3f2aaaab
	v_cvt_f64_f32_e32 v[96:97], v27
	v_frexp_exp_i32_f64_e32 v96, v[96:97]
	v_cmp_gt_f32_e32 vcc, s55, v98
	v_subbrev_co_u32_e32 v112, vcc, 0, v96, vcc
	v_sub_u32_e32 v96, 0, v112
	v_ldexp_f32 v27, v27, v96
	v_ldexp_f32 v30, v30, v96
	v_add_f32_e32 v96, -1.0, v27
	v_add_f32_e32 v97, 1.0, v96
	v_sub_f32_e32 v97, v27, v97
	v_add_f32_e32 v98, v30, v97
	v_add_f32_e32 v97, 1.0, v27
	v_add_f32_e32 v99, -1.0, v97
	v_sub_f32_e32 v27, v27, v99
	v_add_f32_e32 v27, v30, v27
	v_add_f32_e32 v30, v97, v27
	v_rcp_f32_e32 v113, v30
	v_sub_f32_e32 v97, v97, v30
	v_add_f32_e32 v27, v27, v97
	v_add_f32_e32 v97, v96, v98
	v_sub_f32_e32 v96, v96, v97
	v_mul_f32_e32 v115, v97, v113
	v_add_f32_e32 v114, v98, v96
	v_mul_f32_e32 v98, v30, v115
	v_fma_f32 v100, v115, v30, -v98
	v_fmac_f32_e32 v100, v115, v27
	v_add_f32_e32 v96, v98, v100
	v_sub_f32_e32 v99, v97, v96
	v_pk_add_f32 v[102:103], v[96:97], v[98:99] neg_lo:[0,1] neg_hi:[0,1]
	v_mov_b32_e32 v101, v96
	v_pk_add_f32 v[96:97], v[102:103], v[100:101] neg_lo:[0,1] neg_hi:[0,1]
	v_add_f32_e32 v97, v114, v97
	v_add_f32_e32 v96, v96, v97
	;; [unrolled: 1-line block ×3, first 2 shown]
	v_mul_f32_e32 v114, v113, v97
	v_mul_f32_e32 v98, v30, v114
	v_fma_f32 v100, v114, v30, -v98
	v_fmac_f32_e32 v100, v114, v27
	v_sub_f32_e32 v27, v99, v97
	v_add_f32_e32 v27, v96, v27
	v_add_f32_e32 v96, v98, v100
	v_sub_f32_e32 v99, v97, v96
	v_pk_add_f32 v[102:103], v[96:97], v[98:99] neg_lo:[0,1] neg_hi:[0,1]
	v_mov_b32_e32 v101, v96
	v_pk_add_f32 v[96:97], v[102:103], v[100:101] neg_lo:[0,1] neg_hi:[0,1]
	v_add_f32_e32 v27, v27, v97
	v_add_f32_e32 v27, v96, v27
	;; [unrolled: 1-line block ×4, first 2 shown]
	v_sub_f32_e32 v96, v30, v115
	v_mul_f32_e32 v27, v113, v27
	v_sub_f32_e32 v96, v114, v96
	v_add_f32_e32 v27, v96, v27
	v_add_f32_e32 v96, v30, v27
	v_mul_f32_e32 v99, v96, v96
	v_mov_b32_e32 v98, 0x3ecc95a3
	v_fmac_f32_e32 v98, 0x3e9b6dac, v99
	v_mov_b32_e32 v97, 0x3f2aaada
	v_fmac_f32_e32 v97, v99, v98
	v_cvt_f32_i32_e32 v98, v112
	v_sub_f32_e32 v30, v96, v30
	v_ldexp_f32 v101, v96, 1
	v_mul_f32_e32 v99, v96, v99
	v_mov_b32_e32 v96, 0x3f317218
	s_mov_b32 s55, 0x3f317218
	v_pk_mul_f32 v[96:97], v[98:99], v[96:97]
	v_fma_f32 v100, v98, s55, -v96
	v_fmac_f32_e32 v100, 0xb102e308, v98
	v_pk_add_f32 v[98:99], v[96:97], v[100:101]
	v_sub_f32_e32 v27, v27, v30
	v_sub_f32_e32 v30, v99, v101
	v_ldexp_f32 v27, v27, 1
	v_sub_f32_e32 v30, v97, v30
	v_add_f32_e32 v103, v27, v30
	v_mov_b32_e32 v102, v96
	v_pk_add_f32 v[96:97], v[98:99], v[96:97] neg_lo:[0,1] neg_hi:[0,1]
	v_pk_add_f32 v[112:113], v[98:99], v[102:103]
	v_mov_b32_e32 v97, v113
	v_mov_b32_e32 v101, v98
	v_pk_add_f32 v[114:115], v[100:101], v[96:97] neg_lo:[0,1] neg_hi:[0,1]
	v_pk_add_f32 v[96:97], v[100:101], v[96:97]
	v_mov_b32_e32 v30, v97
	v_pk_add_f32 v[100:101], v[30:31], v[98:99] neg_lo:[0,1] neg_hi:[0,1]
	v_mov_b32_e32 v27, v100
	v_pk_add_f32 v[116:117], v[112:113], v[26:27] neg_lo:[0,1] neg_hi:[0,1]
	v_mov_b32_e32 v96, v113
	v_mov_b32_e32 v112, v99
	;; [unrolled: 1-line block ×4, first 2 shown]
	v_pk_add_f32 v[96:97], v[96:97], v[112:113] neg_lo:[0,1] neg_hi:[0,1]
	v_mov_b32_e32 v100, v103
	v_mov_b32_e32 v101, v98
	v_pk_add_f32 v[96:97], v[100:101], v[96:97] neg_lo:[0,1] neg_hi:[0,1]
	v_mov_b32_e32 v116, v114
	v_pk_add_f32 v[98:99], v[116:117], v[96:97]
	v_mov_b32_e32 v100, v99
	v_pk_add_f32 v[100:101], v[98:99], v[100:101]
	v_pk_add_f32 v[102:103], v[30:31], v[100:101]
	v_mov_b32_e32 v99, v102
	v_pk_add_f32 v[112:113], v[98:99], v[114:115] neg_lo:[0,1] neg_hi:[0,1]
	v_mov_b32_e32 v97, v100
	v_sub_f32_e32 v27, v98, v112
	v_pk_add_f32 v[96:97], v[96:97], v[112:113] neg_lo:[0,1] neg_hi:[0,1]
	v_sub_f32_e32 v27, v114, v27
	s_mov_b32 s58, 0x7f800000
	v_add_f32_e32 v27, v96, v27
	s_mov_b32 s55, 0x33800000
	v_add_f32_e32 v27, v27, v97
	v_cmp_eq_f32_e32 vcc, s58, v118
	v_cmp_lt_f32_e64 s[58:59], |v118|, s55
	v_add_f32_e32 v27, v102, v27
	s_or_b64 vcc, vcc, s[58:59]
	v_cndmask_b32_e32 v27, v27, v118, vcc
	v_add_f32_e32 v30, v2, v27
.LBB444_332:
	s_or_b64 exec, exec, s[6:7]
	v_bfe_u32 v2, v30, 16, 1
	s_movk_i32 s55, 0x7fff
	v_add3_u32 v2, v30, v2, s55
	v_lshrrev_b32_e32 v27, 16, v2
	v_mov_b32_e32 v2, 0x7fc0
	v_cmp_o_f32_e32 vcc, v30, v30
	v_cndmask_b32_e32 v27, v2, v27, vcc
	v_lshlrev_b32_e32 v30, 16, v27
	v_max_f32_e32 v97, v30, v30
	v_min_f32_e32 v96, v97, v20
	v_cmp_u_f32_e32 vcc, v30, v30
	v_max_f32_e32 v20, v97, v20
	v_cndmask_b32_e32 v96, v96, v30, vcc
	v_cndmask_b32_e32 v20, v20, v30, vcc
	v_cndmask_b32_e64 v96, v96, v3, s[8:9]
	v_cndmask_b32_e64 v3, v20, v3, s[8:9]
	v_cmp_neq_f32_e32 vcc, v96, v3
	v_cmp_class_f32_e64 s[6:7], v96, s54
	s_or_b64 s[8:9], vcc, s[6:7]
	s_and_saveexec_b64 s[6:7], s[8:9]
	s_cbranch_execz .LBB444_334
; %bb.333:
	v_sub_f32_e32 v20, v96, v3
	s_mov_b32 s8, 0x3fb8aa3b
	v_mul_f32_e32 v30, 0x3fb8aa3b, v20
	v_fma_f32 v96, v20, s8, -v30
	v_rndne_f32_e32 v97, v30
	v_fmac_f32_e32 v96, 0x32a5705f, v20
	v_sub_f32_e32 v30, v30, v97
	v_add_f32_e32 v30, v30, v96
	v_exp_f32_e32 v30, v30
	v_cvt_i32_f32_e32 v96, v97
	s_mov_b32 s8, 0xc2ce8ed0
	v_cmp_ngt_f32_e32 vcc, s8, v20
	s_mov_b32 s8, 0x42b17218
	v_ldexp_f32 v30, v30, v96
	v_cndmask_b32_e32 v30, 0, v30, vcc
	v_mov_b32_e32 v96, 0x7f800000
	v_cmp_nlt_f32_e32 vcc, s8, v20
	v_cndmask_b32_e32 v118, v96, v30, vcc
	v_add_f32_e32 v20, 1.0, v118
	v_add_f32_e32 v30, -1.0, v20
	v_sub_f32_e32 v96, v30, v20
	v_add_f32_e32 v96, 1.0, v96
	v_sub_f32_e32 v30, v118, v30
	v_add_f32_e32 v30, v30, v96
	v_frexp_mant_f32_e32 v98, v20
	s_mov_b32 s8, 0x3f2aaaab
	v_cvt_f64_f32_e32 v[96:97], v20
	v_frexp_exp_i32_f64_e32 v96, v[96:97]
	v_cmp_gt_f32_e32 vcc, s8, v98
	v_subbrev_co_u32_e32 v112, vcc, 0, v96, vcc
	v_sub_u32_e32 v96, 0, v112
	v_ldexp_f32 v20, v20, v96
	v_ldexp_f32 v30, v30, v96
	v_add_f32_e32 v96, -1.0, v20
	v_add_f32_e32 v97, 1.0, v96
	v_sub_f32_e32 v97, v20, v97
	v_add_f32_e32 v98, v30, v97
	v_add_f32_e32 v97, 1.0, v20
	v_add_f32_e32 v99, -1.0, v97
	v_sub_f32_e32 v20, v20, v99
	v_add_f32_e32 v20, v30, v20
	v_add_f32_e32 v30, v97, v20
	v_rcp_f32_e32 v113, v30
	v_sub_f32_e32 v97, v97, v30
	v_add_f32_e32 v20, v20, v97
	v_add_f32_e32 v97, v96, v98
	v_sub_f32_e32 v96, v96, v97
	v_mul_f32_e32 v115, v97, v113
	v_add_f32_e32 v114, v98, v96
	v_mul_f32_e32 v98, v30, v115
	v_fma_f32 v100, v115, v30, -v98
	v_fmac_f32_e32 v100, v115, v20
	v_add_f32_e32 v96, v98, v100
	v_sub_f32_e32 v99, v97, v96
	v_pk_add_f32 v[102:103], v[96:97], v[98:99] neg_lo:[0,1] neg_hi:[0,1]
	v_mov_b32_e32 v101, v96
	v_pk_add_f32 v[96:97], v[102:103], v[100:101] neg_lo:[0,1] neg_hi:[0,1]
	v_add_f32_e32 v97, v114, v97
	v_add_f32_e32 v96, v96, v97
	;; [unrolled: 1-line block ×3, first 2 shown]
	v_mul_f32_e32 v114, v113, v97
	v_mul_f32_e32 v98, v30, v114
	v_fma_f32 v100, v114, v30, -v98
	v_fmac_f32_e32 v100, v114, v20
	v_sub_f32_e32 v20, v99, v97
	v_add_f32_e32 v20, v96, v20
	v_add_f32_e32 v96, v98, v100
	v_sub_f32_e32 v99, v97, v96
	v_pk_add_f32 v[102:103], v[96:97], v[98:99] neg_lo:[0,1] neg_hi:[0,1]
	v_mov_b32_e32 v101, v96
	v_pk_add_f32 v[96:97], v[102:103], v[100:101] neg_lo:[0,1] neg_hi:[0,1]
	v_add_f32_e32 v20, v20, v97
	v_add_f32_e32 v20, v96, v20
	;; [unrolled: 1-line block ×4, first 2 shown]
	v_sub_f32_e32 v96, v30, v115
	v_mul_f32_e32 v20, v113, v20
	v_sub_f32_e32 v96, v114, v96
	v_add_f32_e32 v20, v96, v20
	v_add_f32_e32 v96, v30, v20
	v_mul_f32_e32 v99, v96, v96
	v_mov_b32_e32 v98, 0x3ecc95a3
	v_fmac_f32_e32 v98, 0x3e9b6dac, v99
	v_mov_b32_e32 v97, 0x3f2aaada
	v_fmac_f32_e32 v97, v99, v98
	v_cvt_f32_i32_e32 v98, v112
	v_sub_f32_e32 v30, v96, v30
	v_ldexp_f32 v101, v96, 1
	v_mul_f32_e32 v99, v96, v99
	v_mov_b32_e32 v96, 0x3f317218
	s_mov_b32 s8, 0x3f317218
	v_pk_mul_f32 v[96:97], v[98:99], v[96:97]
	v_fma_f32 v100, v98, s8, -v96
	v_fmac_f32_e32 v100, 0xb102e308, v98
	v_pk_add_f32 v[98:99], v[96:97], v[100:101]
	v_sub_f32_e32 v20, v20, v30
	v_sub_f32_e32 v30, v99, v101
	v_ldexp_f32 v20, v20, 1
	v_sub_f32_e32 v30, v97, v30
	v_add_f32_e32 v103, v20, v30
	v_mov_b32_e32 v102, v96
	v_pk_add_f32 v[96:97], v[98:99], v[96:97] neg_lo:[0,1] neg_hi:[0,1]
	v_pk_add_f32 v[112:113], v[98:99], v[102:103]
	v_mov_b32_e32 v97, v113
	v_mov_b32_e32 v101, v98
	v_pk_add_f32 v[114:115], v[100:101], v[96:97] neg_lo:[0,1] neg_hi:[0,1]
	v_pk_add_f32 v[96:97], v[100:101], v[96:97]
	v_mov_b32_e32 v20, v97
	v_pk_add_f32 v[100:101], v[20:21], v[98:99] neg_lo:[0,1] neg_hi:[0,1]
	v_mov_b32_e32 v101, v100
	v_pk_add_f32 v[116:117], v[112:113], v[100:101] neg_lo:[0,1] neg_hi:[0,1]
	v_mov_b32_e32 v96, v113
	v_mov_b32_e32 v112, v99
	;; [unrolled: 1-line block ×4, first 2 shown]
	v_pk_add_f32 v[96:97], v[96:97], v[112:113] neg_lo:[0,1] neg_hi:[0,1]
	v_mov_b32_e32 v100, v103
	v_mov_b32_e32 v101, v98
	v_pk_add_f32 v[96:97], v[100:101], v[96:97] neg_lo:[0,1] neg_hi:[0,1]
	v_mov_b32_e32 v116, v114
	v_pk_add_f32 v[98:99], v[116:117], v[96:97]
	v_mov_b32_e32 v30, v99
	v_pk_add_f32 v[100:101], v[98:99], v[30:31]
	v_pk_add_f32 v[102:103], v[20:21], v[100:101]
	v_mov_b32_e32 v99, v102
	v_pk_add_f32 v[112:113], v[98:99], v[114:115] neg_lo:[0,1] neg_hi:[0,1]
	v_mov_b32_e32 v97, v100
	v_sub_f32_e32 v20, v98, v112
	v_pk_add_f32 v[96:97], v[96:97], v[112:113] neg_lo:[0,1] neg_hi:[0,1]
	v_sub_f32_e32 v20, v114, v20
	s_mov_b32 s9, 0x7f800000
	v_add_f32_e32 v20, v96, v20
	s_mov_b32 s8, 0x33800000
	v_add_f32_e32 v20, v20, v97
	v_cmp_eq_f32_e32 vcc, s9, v118
	v_cmp_lt_f32_e64 s[8:9], |v118|, s8
	v_add_f32_e32 v20, v102, v20
	s_or_b64 vcc, vcc, s[8:9]
	v_cndmask_b32_e32 v20, v20, v118, vcc
	v_add_f32_e32 v30, v3, v20
.LBB444_334:
	s_or_b64 exec, exec, s[6:7]
	v_bfe_u32 v3, v30, 16, 1
	v_add3_u32 v3, v30, v3, s55
	v_lshrrev_b32_e32 v3, 16, v3
	v_cmp_o_f32_e32 vcc, v30, v30
	v_cndmask_b32_e32 v30, v2, v3, vcc
	v_lshlrev_b32_e32 v3, 16, v30
	v_max_f32_e32 v2, v3, v3
	v_min_f32_e32 v20, v2, v31
	v_cmp_u_f32_e32 vcc, v3, v3
	v_max_f32_e32 v2, v2, v31
	v_cndmask_b32_e32 v20, v20, v3, vcc
	v_cndmask_b32_e32 v2, v2, v3, vcc
	v_cndmask_b32_e64 v20, v20, v6, s[10:11]
	v_cndmask_b32_e64 v2, v2, v6, s[10:11]
	s_movk_i32 s8, 0x1f8
	v_cmp_neq_f32_e32 vcc, v20, v2
	v_cmp_class_f32_e64 s[6:7], v20, s8
	s_or_b64 s[10:11], vcc, s[6:7]
	s_and_saveexec_b64 s[6:7], s[10:11]
	s_cbranch_execz .LBB444_336
; %bb.335:
	v_sub_f32_e32 v3, v20, v2
	s_mov_b32 s9, 0x3fb8aa3b
	v_mul_f32_e32 v6, 0x3fb8aa3b, v3
	v_fma_f32 v20, v3, s9, -v6
	v_rndne_f32_e32 v31, v6
	v_fmac_f32_e32 v20, 0x32a5705f, v3
	v_sub_f32_e32 v6, v6, v31
	v_add_f32_e32 v6, v6, v20
	v_exp_f32_e32 v6, v6
	v_cvt_i32_f32_e32 v20, v31
	s_mov_b32 s9, 0xc2ce8ed0
	v_cmp_ngt_f32_e32 vcc, s9, v3
	s_mov_b32 s9, 0x42b17218
	v_ldexp_f32 v6, v6, v20
	v_cndmask_b32_e32 v6, 0, v6, vcc
	v_mov_b32_e32 v20, 0x7f800000
	v_cmp_nlt_f32_e32 vcc, s9, v3
	v_cndmask_b32_e32 v31, v20, v6, vcc
	v_add_f32_e32 v3, 1.0, v31
	v_add_f32_e32 v6, -1.0, v3
	v_sub_f32_e32 v20, v6, v3
	v_add_f32_e32 v20, 1.0, v20
	v_sub_f32_e32 v6, v31, v6
	v_add_f32_e32 v6, v6, v20
	v_frexp_mant_f32_e32 v20, v3
	s_mov_b32 s9, 0x3f2aaaab
	v_cvt_f64_f32_e32 v[96:97], v3
	v_frexp_exp_i32_f64_e32 v96, v[96:97]
	v_cmp_gt_f32_e32 vcc, s9, v20
	v_subbrev_co_u32_e32 v20, vcc, 0, v96, vcc
	v_sub_u32_e32 v96, 0, v20
	v_ldexp_f32 v3, v3, v96
	v_ldexp_f32 v6, v6, v96
	v_add_f32_e32 v96, -1.0, v3
	v_add_f32_e32 v97, 1.0, v96
	v_sub_f32_e32 v97, v3, v97
	v_add_f32_e32 v98, v6, v97
	v_add_f32_e32 v97, 1.0, v3
	v_add_f32_e32 v99, -1.0, v97
	v_sub_f32_e32 v3, v3, v99
	v_add_f32_e32 v3, v6, v3
	v_add_f32_e32 v6, v97, v3
	v_rcp_f32_e32 v112, v6
	v_sub_f32_e32 v97, v97, v6
	v_add_f32_e32 v3, v3, v97
	v_add_f32_e32 v97, v96, v98
	v_sub_f32_e32 v96, v96, v97
	v_mul_f32_e32 v114, v97, v112
	v_add_f32_e32 v113, v98, v96
	v_mul_f32_e32 v98, v6, v114
	v_fma_f32 v100, v114, v6, -v98
	v_fmac_f32_e32 v100, v114, v3
	v_add_f32_e32 v96, v98, v100
	v_sub_f32_e32 v99, v97, v96
	v_pk_add_f32 v[102:103], v[96:97], v[98:99] neg_lo:[0,1] neg_hi:[0,1]
	v_mov_b32_e32 v101, v96
	v_pk_add_f32 v[96:97], v[102:103], v[100:101] neg_lo:[0,1] neg_hi:[0,1]
	v_add_f32_e32 v97, v113, v97
	v_add_f32_e32 v96, v96, v97
	;; [unrolled: 1-line block ×3, first 2 shown]
	v_mul_f32_e32 v113, v112, v97
	v_mul_f32_e32 v98, v6, v113
	v_fma_f32 v100, v113, v6, -v98
	v_fmac_f32_e32 v100, v113, v3
	v_sub_f32_e32 v3, v99, v97
	v_add_f32_e32 v3, v96, v3
	v_add_f32_e32 v96, v98, v100
	v_sub_f32_e32 v99, v97, v96
	v_pk_add_f32 v[102:103], v[96:97], v[98:99] neg_lo:[0,1] neg_hi:[0,1]
	v_mov_b32_e32 v101, v96
	v_pk_add_f32 v[96:97], v[102:103], v[100:101] neg_lo:[0,1] neg_hi:[0,1]
	v_add_f32_e32 v3, v3, v97
	v_add_f32_e32 v3, v96, v3
	;; [unrolled: 1-line block ×4, first 2 shown]
	v_sub_f32_e32 v96, v6, v114
	v_mul_f32_e32 v3, v112, v3
	v_sub_f32_e32 v96, v113, v96
	v_add_f32_e32 v3, v96, v3
	v_add_f32_e32 v96, v6, v3
	v_mul_f32_e32 v99, v96, v96
	v_mov_b32_e32 v98, 0x3ecc95a3
	v_fmac_f32_e32 v98, 0x3e9b6dac, v99
	v_mov_b32_e32 v97, 0x3f2aaada
	v_fmac_f32_e32 v97, v99, v98
	v_cvt_f32_i32_e32 v98, v20
	v_sub_f32_e32 v6, v96, v6
	v_ldexp_f32 v101, v96, 1
	v_mul_f32_e32 v99, v96, v99
	v_mov_b32_e32 v96, 0x3f317218
	s_mov_b32 s9, 0x3f317218
	v_pk_mul_f32 v[96:97], v[98:99], v[96:97]
	v_fma_f32 v100, v98, s9, -v96
	v_fmac_f32_e32 v100, 0xb102e308, v98
	v_pk_add_f32 v[98:99], v[96:97], v[100:101]
	v_sub_f32_e32 v3, v3, v6
	v_sub_f32_e32 v6, v99, v101
	v_ldexp_f32 v3, v3, 1
	v_sub_f32_e32 v6, v97, v6
	v_add_f32_e32 v103, v3, v6
	v_mov_b32_e32 v102, v96
	v_pk_add_f32 v[96:97], v[98:99], v[96:97] neg_lo:[0,1] neg_hi:[0,1]
	v_pk_add_f32 v[112:113], v[98:99], v[102:103]
	v_mov_b32_e32 v97, v113
	v_mov_b32_e32 v101, v98
	v_pk_add_f32 v[114:115], v[100:101], v[96:97] neg_lo:[0,1] neg_hi:[0,1]
	v_pk_add_f32 v[96:97], v[100:101], v[96:97]
	v_mov_b32_e32 v6, v97
	v_pk_add_f32 v[100:101], v[6:7], v[98:99] neg_lo:[0,1] neg_hi:[0,1]
	v_mov_b32_e32 v3, v100
	v_pk_add_f32 v[116:117], v[112:113], v[2:3] neg_lo:[0,1] neg_hi:[0,1]
	v_mov_b32_e32 v96, v113
	v_mov_b32_e32 v112, v99
	;; [unrolled: 1-line block ×4, first 2 shown]
	v_pk_add_f32 v[96:97], v[96:97], v[112:113] neg_lo:[0,1] neg_hi:[0,1]
	v_mov_b32_e32 v100, v103
	v_mov_b32_e32 v101, v98
	v_pk_add_f32 v[96:97], v[100:101], v[96:97] neg_lo:[0,1] neg_hi:[0,1]
	v_mov_b32_e32 v116, v114
	v_pk_add_f32 v[98:99], v[116:117], v[96:97]
	v_mov_b32_e32 v20, v99
	v_pk_add_f32 v[100:101], v[98:99], v[20:21]
	v_pk_add_f32 v[102:103], v[6:7], v[100:101]
	v_mov_b32_e32 v99, v102
	v_pk_add_f32 v[112:113], v[98:99], v[114:115] neg_lo:[0,1] neg_hi:[0,1]
	v_mov_b32_e32 v97, v100
	v_sub_f32_e32 v3, v98, v112
	v_pk_add_f32 v[96:97], v[96:97], v[112:113] neg_lo:[0,1] neg_hi:[0,1]
	v_sub_f32_e32 v3, v114, v3
	s_mov_b32 s10, 0x7f800000
	v_add_f32_e32 v3, v96, v3
	s_mov_b32 s9, 0x33800000
	v_add_f32_e32 v3, v3, v97
	v_cmp_eq_f32_e32 vcc, s10, v31
	v_cmp_lt_f32_e64 s[10:11], |v31|, s9
	v_add_f32_e32 v3, v102, v3
	s_or_b64 vcc, vcc, s[10:11]
	v_cndmask_b32_e32 v3, v3, v31, vcc
	v_add_f32_e32 v3, v2, v3
.LBB444_336:
	s_or_b64 exec, exec, s[6:7]
	v_bfe_u32 v2, v3, 16, 1
	s_movk_i32 s9, 0x7fff
	v_add3_u32 v2, v3, v2, s9
	v_lshrrev_b32_e32 v6, 16, v2
	v_mov_b32_e32 v2, 0x7fc0
	v_cmp_o_f32_e32 vcc, v3, v3
	v_cndmask_b32_e32 v31, v2, v6, vcc
	v_lshlrev_b32_e32 v6, 16, v31
	v_max_f32_e32 v3, v6, v6
	v_min_f32_e32 v20, v3, v32
	v_cmp_u_f32_e32 vcc, v6, v6
	v_max_f32_e32 v3, v3, v32
	v_cndmask_b32_e32 v20, v20, v6, vcc
	v_cndmask_b32_e32 v3, v3, v6, vcc
	v_cndmask_b32_e64 v20, v20, v7, s[12:13]
	v_cndmask_b32_e64 v3, v3, v7, s[12:13]
	v_cmp_neq_f32_e32 vcc, v20, v3
	v_cmp_class_f32_e64 s[6:7], v20, s8
	s_or_b64 s[10:11], vcc, s[6:7]
	s_and_saveexec_b64 s[6:7], s[10:11]
	s_cbranch_execz .LBB444_338
; %bb.337:
	v_sub_f32_e32 v6, v20, v3
	s_mov_b32 s8, 0x3fb8aa3b
	v_mul_f32_e32 v7, 0x3fb8aa3b, v6
	v_fma_f32 v20, v6, s8, -v7
	v_rndne_f32_e32 v32, v7
	v_fmac_f32_e32 v20, 0x32a5705f, v6
	v_sub_f32_e32 v7, v7, v32
	v_add_f32_e32 v7, v7, v20
	v_exp_f32_e32 v7, v7
	v_cvt_i32_f32_e32 v20, v32
	s_mov_b32 s8, 0xc2ce8ed0
	v_cmp_ngt_f32_e32 vcc, s8, v6
	s_mov_b32 s8, 0x42b17218
	v_ldexp_f32 v7, v7, v20
	v_cndmask_b32_e32 v7, 0, v7, vcc
	v_mov_b32_e32 v20, 0x7f800000
	v_cmp_nlt_f32_e32 vcc, s8, v6
	v_cndmask_b32_e32 v116, v20, v7, vcc
	v_add_f32_e32 v20, 1.0, v116
	v_add_f32_e32 v6, -1.0, v20
	v_sub_f32_e32 v7, v6, v20
	v_add_f32_e32 v7, 1.0, v7
	v_sub_f32_e32 v6, v116, v6
	v_add_f32_e32 v32, v6, v7
	v_frexp_mant_f32_e32 v96, v20
	s_mov_b32 s8, 0x3f2aaaab
	v_cvt_f64_f32_e32 v[6:7], v20
	v_frexp_exp_i32_f64_e32 v6, v[6:7]
	v_cmp_gt_f32_e32 vcc, s8, v96
	v_subbrev_co_u32_e32 v102, vcc, 0, v6, vcc
	v_sub_u32_e32 v6, 0, v102
	v_ldexp_f32 v7, v20, v6
	v_add_f32_e32 v20, -1.0, v7
	v_add_f32_e32 v96, 1.0, v7
	v_ldexp_f32 v6, v32, v6
	v_add_f32_e32 v32, 1.0, v20
	v_add_f32_e32 v97, -1.0, v96
	v_sub_f32_e32 v32, v7, v32
	v_sub_f32_e32 v7, v7, v97
	v_add_f32_e32 v32, v6, v32
	v_add_f32_e32 v6, v6, v7
	;; [unrolled: 1-line block ×3, first 2 shown]
	v_rcp_f32_e32 v113, v103
	v_sub_f32_e32 v7, v96, v103
	v_add_f32_e32 v112, v6, v7
	v_add_f32_e32 v7, v20, v32
	v_sub_f32_e32 v6, v20, v7
	v_add_f32_e32 v20, v32, v6
	v_mul_f32_e32 v32, v7, v113
	v_mul_f32_e32 v96, v103, v32
	v_fma_f32 v98, v32, v103, -v96
	v_fmac_f32_e32 v98, v32, v112
	v_add_f32_e32 v6, v96, v98
	v_sub_f32_e32 v97, v7, v6
	v_pk_add_f32 v[100:101], v[6:7], v[96:97] neg_lo:[0,1] neg_hi:[0,1]
	v_mov_b32_e32 v99, v6
	v_pk_add_f32 v[6:7], v[100:101], v[98:99] neg_lo:[0,1] neg_hi:[0,1]
	v_add_f32_e32 v7, v20, v7
	v_add_f32_e32 v6, v6, v7
	;; [unrolled: 1-line block ×3, first 2 shown]
	v_mul_f32_e32 v20, v113, v7
	v_mul_f32_e32 v96, v103, v20
	v_fma_f32 v98, v20, v103, -v96
	v_fmac_f32_e32 v98, v20, v112
	v_sub_f32_e32 v97, v97, v7
	v_add_f32_e32 v103, v6, v97
	v_add_f32_e32 v6, v96, v98
	v_sub_f32_e32 v97, v7, v6
	v_pk_add_f32 v[100:101], v[6:7], v[96:97] neg_lo:[0,1] neg_hi:[0,1]
	v_mov_b32_e32 v99, v6
	v_pk_add_f32 v[6:7], v[100:101], v[98:99] neg_lo:[0,1] neg_hi:[0,1]
	v_add_f32_e32 v7, v103, v7
	v_add_f32_e32 v6, v6, v7
	;; [unrolled: 1-line block ×4, first 2 shown]
	v_sub_f32_e32 v7, v97, v32
	v_mul_f32_e32 v6, v113, v6
	v_sub_f32_e32 v7, v20, v7
	v_add_f32_e32 v6, v7, v6
	v_add_f32_e32 v20, v97, v6
	v_mul_f32_e32 v32, v20, v20
	v_mov_b32_e32 v96, 0x3ecc95a3
	v_fmac_f32_e32 v96, 0x3e9b6dac, v32
	v_mov_b32_e32 v7, 0x3f2aaada
	v_fmac_f32_e32 v7, v32, v96
	v_cvt_f32_i32_e32 v96, v102
	v_sub_f32_e32 v97, v20, v97
	v_sub_f32_e32 v6, v6, v97
	v_ldexp_f32 v100, v6, 1
	v_mul_f32_e32 v97, v20, v32
	v_mov_b32_e32 v6, 0x3f317218
	s_mov_b32 s8, 0x3f317218
	v_pk_mul_f32 v[6:7], v[96:97], v[6:7]
	v_fma_f32 v98, v96, s8, -v6
	v_ldexp_f32 v99, v20, 1
	v_fmac_f32_e32 v98, 0xb102e308, v96
	v_pk_add_f32 v[96:97], v[6:7], v[98:99]
	v_sub_f32_e32 v20, v97, v99
	v_sub_f32_e32 v20, v7, v20
	v_add_f32_e32 v101, v100, v20
	v_mov_b32_e32 v100, v6
	v_pk_add_f32 v[6:7], v[96:97], v[6:7] neg_lo:[0,1] neg_hi:[0,1]
	v_pk_add_f32 v[102:103], v[96:97], v[100:101]
	v_mov_b32_e32 v7, v103
	v_mov_b32_e32 v99, v96
	v_pk_add_f32 v[112:113], v[98:99], v[6:7] neg_lo:[0,1] neg_hi:[0,1]
	v_pk_add_f32 v[6:7], v[98:99], v[6:7]
	v_mov_b32_e32 v20, v7
	v_pk_add_f32 v[98:99], v[20:21], v[96:97] neg_lo:[0,1] neg_hi:[0,1]
	v_mov_b32_e32 v99, v98
	v_pk_add_f32 v[114:115], v[102:103], v[98:99] neg_lo:[0,1] neg_hi:[0,1]
	v_mov_b32_e32 v6, v103
	v_mov_b32_e32 v102, v97
	;; [unrolled: 1-line block ×4, first 2 shown]
	v_pk_add_f32 v[6:7], v[6:7], v[102:103] neg_lo:[0,1] neg_hi:[0,1]
	v_mov_b32_e32 v98, v101
	v_mov_b32_e32 v99, v96
	v_pk_add_f32 v[6:7], v[98:99], v[6:7] neg_lo:[0,1] neg_hi:[0,1]
	v_mov_b32_e32 v114, v112
	v_pk_add_f32 v[96:97], v[114:115], v[6:7]
	v_mov_b32_e32 v32, v97
	v_pk_add_f32 v[98:99], v[96:97], v[32:33]
	v_pk_add_f32 v[100:101], v[20:21], v[98:99]
	v_mov_b32_e32 v97, v100
	v_pk_add_f32 v[102:103], v[96:97], v[112:113] neg_lo:[0,1] neg_hi:[0,1]
	v_mov_b32_e32 v7, v98
	v_sub_f32_e32 v20, v96, v102
	v_pk_add_f32 v[6:7], v[6:7], v[102:103] neg_lo:[0,1] neg_hi:[0,1]
	v_sub_f32_e32 v20, v112, v20
	s_mov_b32 s10, 0x7f800000
	v_add_f32_e32 v6, v6, v20
	s_mov_b32 s8, 0x33800000
	v_add_f32_e32 v6, v6, v7
	v_cmp_eq_f32_e32 vcc, s10, v116
	v_cmp_lt_f32_e64 s[10:11], |v116|, s8
	v_add_f32_e32 v6, v100, v6
	s_or_b64 vcc, vcc, s[10:11]
	v_cndmask_b32_e32 v6, v6, v116, vcc
	v_add_f32_e32 v6, v3, v6
.LBB444_338:
	s_or_b64 exec, exec, s[6:7]
	v_bfe_u32 v3, v6, 16, 1
	v_add3_u32 v3, v6, v3, s9
	v_lshrrev_b32_e32 v3, 16, v3
	v_cmp_o_f32_e32 vcc, v6, v6
	v_cndmask_b32_e32 v32, v2, v3, vcc
	v_lshlrev_b32_e32 v3, 16, v32
	v_max_f32_e32 v2, v3, v3
	v_min_f32_e32 v6, v2, v33
	v_cmp_u_f32_e32 vcc, v3, v3
	v_max_f32_e32 v2, v2, v33
	v_cndmask_b32_e32 v6, v6, v3, vcc
	v_cndmask_b32_e32 v2, v2, v3, vcc
	v_cndmask_b32_e64 v6, v6, v21, s[14:15]
	v_cndmask_b32_e64 v2, v2, v21, s[14:15]
	s_movk_i32 s8, 0x1f8
	v_cmp_neq_f32_e32 vcc, v6, v2
	v_cmp_class_f32_e64 s[6:7], v6, s8
	s_or_b64 s[10:11], vcc, s[6:7]
	s_and_saveexec_b64 s[6:7], s[10:11]
	s_cbranch_execz .LBB444_340
; %bb.339:
	v_sub_f32_e32 v3, v6, v2
	s_mov_b32 s9, 0x3fb8aa3b
	v_mul_f32_e32 v6, 0x3fb8aa3b, v3
	v_fma_f32 v7, v3, s9, -v6
	v_rndne_f32_e32 v20, v6
	v_fmac_f32_e32 v7, 0x32a5705f, v3
	v_sub_f32_e32 v6, v6, v20
	v_add_f32_e32 v6, v6, v7
	v_exp_f32_e32 v6, v6
	v_cvt_i32_f32_e32 v7, v20
	s_mov_b32 s9, 0xc2ce8ed0
	v_cmp_ngt_f32_e32 vcc, s9, v3
	s_mov_b32 s9, 0x42b17218
	v_ldexp_f32 v6, v6, v7
	v_cndmask_b32_e32 v6, 0, v6, vcc
	v_mov_b32_e32 v7, 0x7f800000
	v_cmp_nlt_f32_e32 vcc, s9, v3
	v_cndmask_b32_e32 v33, v7, v6, vcc
	v_add_f32_e32 v3, 1.0, v33
	v_add_f32_e32 v6, -1.0, v3
	v_sub_f32_e32 v7, v6, v3
	v_add_f32_e32 v7, 1.0, v7
	v_sub_f32_e32 v6, v33, v6
	v_add_f32_e32 v20, v6, v7
	v_frexp_mant_f32_e32 v21, v3
	s_mov_b32 s9, 0x3f2aaaab
	v_cvt_f64_f32_e32 v[6:7], v3
	v_frexp_exp_i32_f64_e32 v6, v[6:7]
	v_cmp_gt_f32_e32 vcc, s9, v21
	v_subbrev_co_u32_e32 v100, vcc, 0, v6, vcc
	v_sub_u32_e32 v6, 0, v100
	v_ldexp_f32 v3, v3, v6
	v_ldexp_f32 v6, v20, v6
	v_add_f32_e32 v20, -1.0, v3
	v_add_f32_e32 v7, 1.0, v20
	v_sub_f32_e32 v7, v3, v7
	v_add_f32_e32 v21, v6, v7
	v_add_f32_e32 v7, 1.0, v3
	v_add_f32_e32 v96, -1.0, v7
	v_sub_f32_e32 v3, v3, v96
	v_add_f32_e32 v3, v6, v3
	v_add_f32_e32 v101, v7, v3
	v_rcp_f32_e32 v102, v101
	v_sub_f32_e32 v6, v7, v101
	v_add_f32_e32 v7, v20, v21
	v_add_f32_e32 v3, v3, v6
	v_mul_f32_e32 v112, v7, v102
	v_sub_f32_e32 v6, v20, v7
	v_mul_f32_e32 v20, v101, v112
	v_fma_f32 v96, v112, v101, -v20
	v_fmac_f32_e32 v96, v112, v3
	v_add_f32_e32 v103, v21, v6
	v_add_f32_e32 v6, v20, v96
	v_sub_f32_e32 v21, v7, v6
	v_pk_add_f32 v[98:99], v[6:7], v[20:21] neg_lo:[0,1] neg_hi:[0,1]
	v_mov_b32_e32 v97, v6
	v_pk_add_f32 v[6:7], v[98:99], v[96:97] neg_lo:[0,1] neg_hi:[0,1]
	v_add_f32_e32 v7, v103, v7
	v_add_f32_e32 v6, v6, v7
	;; [unrolled: 1-line block ×3, first 2 shown]
	v_mul_f32_e32 v103, v102, v7
	v_mul_f32_e32 v20, v101, v103
	v_fma_f32 v96, v103, v101, -v20
	v_fmac_f32_e32 v96, v103, v3
	v_sub_f32_e32 v3, v21, v7
	v_add_f32_e32 v3, v6, v3
	v_add_f32_e32 v6, v20, v96
	v_sub_f32_e32 v21, v7, v6
	v_pk_add_f32 v[98:99], v[6:7], v[20:21] neg_lo:[0,1] neg_hi:[0,1]
	v_mov_b32_e32 v97, v6
	v_pk_add_f32 v[6:7], v[98:99], v[96:97] neg_lo:[0,1] neg_hi:[0,1]
	v_add_f32_e32 v3, v3, v7
	v_add_f32_e32 v3, v6, v3
	;; [unrolled: 1-line block ×4, first 2 shown]
	v_sub_f32_e32 v7, v6, v112
	v_mul_f32_e32 v3, v102, v3
	v_sub_f32_e32 v7, v103, v7
	v_add_f32_e32 v3, v7, v3
	v_add_f32_e32 v21, v6, v3
	v_mul_f32_e32 v96, v21, v21
	v_mov_b32_e32 v20, 0x3ecc95a3
	v_fmac_f32_e32 v20, 0x3e9b6dac, v96
	v_mov_b32_e32 v7, 0x3f2aaada
	v_fmac_f32_e32 v7, v96, v20
	v_cvt_f32_i32_e32 v20, v100
	v_sub_f32_e32 v6, v21, v6
	v_sub_f32_e32 v3, v3, v6
	v_ldexp_f32 v97, v21, 1
	v_mul_f32_e32 v21, v21, v96
	v_mov_b32_e32 v6, 0x3f317218
	s_mov_b32 s9, 0x3f317218
	v_pk_mul_f32 v[6:7], v[20:21], v[6:7]
	v_fma_f32 v96, v20, s9, -v6
	v_fmac_f32_e32 v96, 0xb102e308, v20
	v_pk_add_f32 v[20:21], v[6:7], v[96:97]
	v_sub_f32_e32 v97, v21, v97
	v_ldexp_f32 v3, v3, 1
	v_sub_f32_e32 v97, v7, v97
	v_add_f32_e32 v99, v3, v97
	v_mov_b32_e32 v98, v6
	v_pk_add_f32 v[6:7], v[20:21], v[6:7] neg_lo:[0,1] neg_hi:[0,1]
	v_pk_add_f32 v[100:101], v[20:21], v[98:99]
	v_mov_b32_e32 v7, v101
	v_mov_b32_e32 v97, v20
	v_pk_add_f32 v[102:103], v[96:97], v[6:7] neg_lo:[0,1] neg_hi:[0,1]
	v_pk_add_f32 v[6:7], v[96:97], v[6:7]
	v_mov_b32_e32 v96, v7
	v_pk_add_f32 v[112:113], v[96:97], v[20:21] neg_lo:[0,1] neg_hi:[0,1]
	v_mov_b32_e32 v3, v112
	v_pk_add_f32 v[114:115], v[100:101], v[2:3] neg_lo:[0,1] neg_hi:[0,1]
	v_mov_b32_e32 v6, v101
	v_mov_b32_e32 v100, v21
	;; [unrolled: 1-line block ×4, first 2 shown]
	v_pk_add_f32 v[6:7], v[6:7], v[100:101] neg_lo:[0,1] neg_hi:[0,1]
	v_mov_b32_e32 v98, v99
	v_mov_b32_e32 v99, v20
	v_pk_add_f32 v[6:7], v[98:99], v[6:7] neg_lo:[0,1] neg_hi:[0,1]
	v_mov_b32_e32 v114, v102
	v_pk_add_f32 v[20:21], v[114:115], v[6:7]
	v_mov_b32_e32 v98, v21
	v_pk_add_f32 v[98:99], v[20:21], v[98:99]
	v_pk_add_f32 v[96:97], v[96:97], v[98:99]
	v_mov_b32_e32 v21, v96
	v_pk_add_f32 v[100:101], v[20:21], v[102:103] neg_lo:[0,1] neg_hi:[0,1]
	v_mov_b32_e32 v7, v98
	v_sub_f32_e32 v3, v20, v100
	v_pk_add_f32 v[6:7], v[6:7], v[100:101] neg_lo:[0,1] neg_hi:[0,1]
	v_sub_f32_e32 v3, v102, v3
	s_mov_b32 s10, 0x7f800000
	v_add_f32_e32 v3, v6, v3
	s_mov_b32 s9, 0x33800000
	v_add_f32_e32 v3, v3, v7
	v_cmp_eq_f32_e32 vcc, s10, v33
	v_cmp_lt_f32_e64 s[10:11], |v33|, s9
	v_add_f32_e32 v3, v96, v3
	s_or_b64 vcc, vcc, s[10:11]
	v_cndmask_b32_e32 v3, v3, v33, vcc
	v_add_f32_e32 v3, v2, v3
.LBB444_340:
	s_or_b64 exec, exec, s[6:7]
	v_bfe_u32 v2, v3, 16, 1
	s_movk_i32 s9, 0x7fff
	v_add3_u32 v2, v3, v2, s9
	v_lshrrev_b32_e32 v6, 16, v2
	v_mov_b32_e32 v2, 0x7fc0
	v_cmp_o_f32_e32 vcc, v3, v3
	v_cndmask_b32_e32 v33, v2, v6, vcc
	v_lshlrev_b32_e32 v6, 16, v33
	v_max_f32_e32 v3, v6, v6
	v_min_f32_e32 v7, v3, v34
	v_cmp_u_f32_e32 vcc, v6, v6
	v_max_f32_e32 v3, v3, v34
	v_cndmask_b32_e32 v7, v7, v6, vcc
	v_cndmask_b32_e32 v3, v3, v6, vcc
	v_cndmask_b32_e64 v7, v7, v22, s[16:17]
	v_cndmask_b32_e64 v3, v3, v22, s[16:17]
	v_cmp_neq_f32_e32 vcc, v7, v3
	v_cmp_class_f32_e64 s[6:7], v7, s8
	s_or_b64 s[10:11], vcc, s[6:7]
	s_and_saveexec_b64 s[6:7], s[10:11]
	s_cbranch_execz .LBB444_342
; %bb.341:
	v_sub_f32_e32 v6, v7, v3
	s_mov_b32 s8, 0x3fb8aa3b
	v_mul_f32_e32 v7, 0x3fb8aa3b, v6
	v_fma_f32 v20, v6, s8, -v7
	v_rndne_f32_e32 v21, v7
	v_fmac_f32_e32 v20, 0x32a5705f, v6
	v_sub_f32_e32 v7, v7, v21
	v_add_f32_e32 v7, v7, v20
	v_exp_f32_e32 v7, v7
	v_cvt_i32_f32_e32 v20, v21
	s_mov_b32 s8, 0xc2ce8ed0
	v_cmp_ngt_f32_e32 vcc, s8, v6
	s_mov_b32 s8, 0x42b17218
	v_ldexp_f32 v7, v7, v20
	v_cndmask_b32_e32 v7, 0, v7, vcc
	v_mov_b32_e32 v20, 0x7f800000
	v_cmp_nlt_f32_e32 vcc, s8, v6
	v_cndmask_b32_e32 v114, v20, v7, vcc
	v_add_f32_e32 v20, 1.0, v114
	v_add_f32_e32 v6, -1.0, v20
	v_sub_f32_e32 v7, v6, v20
	v_add_f32_e32 v7, 1.0, v7
	v_sub_f32_e32 v6, v114, v6
	v_add_f32_e32 v21, v6, v7
	v_frexp_mant_f32_e32 v22, v20
	s_mov_b32 s8, 0x3f2aaaab
	v_cvt_f64_f32_e32 v[6:7], v20
	v_frexp_exp_i32_f64_e32 v6, v[6:7]
	v_cmp_gt_f32_e32 vcc, s8, v22
	v_subbrev_co_u32_e32 v22, vcc, 0, v6, vcc
	v_sub_u32_e32 v6, 0, v22
	v_ldexp_f32 v7, v20, v6
	v_add_f32_e32 v20, -1.0, v7
	v_add_f32_e32 v34, 1.0, v7
	v_ldexp_f32 v6, v21, v6
	v_add_f32_e32 v21, 1.0, v20
	v_add_f32_e32 v96, -1.0, v34
	v_sub_f32_e32 v21, v7, v21
	v_sub_f32_e32 v7, v7, v96
	v_add_f32_e32 v21, v6, v21
	v_add_f32_e32 v6, v6, v7
	;; [unrolled: 1-line block ×3, first 2 shown]
	v_rcp_f32_e32 v101, v100
	v_sub_f32_e32 v7, v34, v100
	v_add_f32_e32 v34, v6, v7
	v_add_f32_e32 v7, v20, v21
	v_mul_f32_e32 v103, v7, v101
	v_sub_f32_e32 v6, v20, v7
	v_mul_f32_e32 v20, v100, v103
	v_fma_f32 v96, v103, v100, -v20
	v_fmac_f32_e32 v96, v103, v34
	v_add_f32_e32 v102, v21, v6
	v_add_f32_e32 v6, v20, v96
	v_sub_f32_e32 v21, v7, v6
	v_pk_add_f32 v[98:99], v[6:7], v[20:21] neg_lo:[0,1] neg_hi:[0,1]
	v_mov_b32_e32 v97, v6
	v_pk_add_f32 v[6:7], v[98:99], v[96:97] neg_lo:[0,1] neg_hi:[0,1]
	v_add_f32_e32 v7, v102, v7
	v_add_f32_e32 v6, v6, v7
	;; [unrolled: 1-line block ×3, first 2 shown]
	v_mul_f32_e32 v102, v101, v7
	v_mul_f32_e32 v20, v100, v102
	v_fma_f32 v96, v102, v100, -v20
	v_fmac_f32_e32 v96, v102, v34
	v_sub_f32_e32 v21, v21, v7
	v_add_f32_e32 v34, v6, v21
	v_add_f32_e32 v6, v20, v96
	v_sub_f32_e32 v21, v7, v6
	v_pk_add_f32 v[98:99], v[6:7], v[20:21] neg_lo:[0,1] neg_hi:[0,1]
	v_mov_b32_e32 v97, v6
	v_pk_add_f32 v[6:7], v[98:99], v[96:97] neg_lo:[0,1] neg_hi:[0,1]
	v_add_f32_e32 v7, v34, v7
	v_add_f32_e32 v6, v6, v7
	;; [unrolled: 1-line block ×4, first 2 shown]
	v_sub_f32_e32 v7, v21, v103
	v_mul_f32_e32 v6, v101, v6
	v_sub_f32_e32 v7, v102, v7
	v_add_f32_e32 v6, v7, v6
	v_add_f32_e32 v34, v21, v6
	v_mul_f32_e32 v96, v34, v34
	v_mov_b32_e32 v20, 0x3ecc95a3
	v_fmac_f32_e32 v20, 0x3e9b6dac, v96
	v_mov_b32_e32 v7, 0x3f2aaada
	v_fmac_f32_e32 v7, v96, v20
	v_cvt_f32_i32_e32 v20, v22
	v_sub_f32_e32 v21, v34, v21
	v_sub_f32_e32 v6, v6, v21
	v_ldexp_f32 v22, v6, 1
	v_mul_f32_e32 v21, v34, v96
	v_mov_b32_e32 v6, 0x3f317218
	s_mov_b32 s8, 0x3f317218
	v_pk_mul_f32 v[6:7], v[20:21], v[6:7]
	v_fma_f32 v96, v20, s8, -v6
	v_ldexp_f32 v97, v34, 1
	v_fmac_f32_e32 v96, 0xb102e308, v20
	v_pk_add_f32 v[20:21], v[6:7], v[96:97]
	v_sub_f32_e32 v34, v21, v97
	v_sub_f32_e32 v34, v7, v34
	v_add_f32_e32 v99, v22, v34
	v_mov_b32_e32 v98, v6
	v_pk_add_f32 v[6:7], v[20:21], v[6:7] neg_lo:[0,1] neg_hi:[0,1]
	v_pk_add_f32 v[100:101], v[20:21], v[98:99]
	v_mov_b32_e32 v7, v101
	v_mov_b32_e32 v97, v20
	v_pk_add_f32 v[102:103], v[96:97], v[6:7] neg_lo:[0,1] neg_hi:[0,1]
	v_pk_add_f32 v[6:7], v[96:97], v[6:7]
	v_mov_b32_e32 v22, v7
	v_pk_add_f32 v[96:97], v[22:23], v[20:21] neg_lo:[0,1] neg_hi:[0,1]
	v_mov_b32_e32 v97, v96
	v_pk_add_f32 v[112:113], v[100:101], v[96:97] neg_lo:[0,1] neg_hi:[0,1]
	v_mov_b32_e32 v6, v101
	v_mov_b32_e32 v100, v21
	;; [unrolled: 1-line block ×4, first 2 shown]
	v_pk_add_f32 v[6:7], v[6:7], v[100:101] neg_lo:[0,1] neg_hi:[0,1]
	v_mov_b32_e32 v96, v99
	v_mov_b32_e32 v97, v20
	v_pk_add_f32 v[6:7], v[96:97], v[6:7] neg_lo:[0,1] neg_hi:[0,1]
	v_mov_b32_e32 v112, v102
	v_pk_add_f32 v[20:21], v[112:113], v[6:7]
	v_mov_b32_e32 v34, v21
	v_pk_add_f32 v[96:97], v[20:21], v[34:35]
	v_pk_add_f32 v[98:99], v[22:23], v[96:97]
	v_mov_b32_e32 v21, v98
	v_pk_add_f32 v[100:101], v[20:21], v[102:103] neg_lo:[0,1] neg_hi:[0,1]
	v_mov_b32_e32 v7, v96
	v_sub_f32_e32 v20, v20, v100
	v_pk_add_f32 v[6:7], v[6:7], v[100:101] neg_lo:[0,1] neg_hi:[0,1]
	v_sub_f32_e32 v20, v102, v20
	s_mov_b32 s10, 0x7f800000
	v_add_f32_e32 v6, v6, v20
	s_mov_b32 s8, 0x33800000
	v_add_f32_e32 v6, v6, v7
	v_cmp_eq_f32_e32 vcc, s10, v114
	v_cmp_lt_f32_e64 s[10:11], |v114|, s8
	v_add_f32_e32 v6, v98, v6
	s_or_b64 vcc, vcc, s[10:11]
	v_cndmask_b32_e32 v6, v6, v114, vcc
	v_add_f32_e32 v6, v3, v6
.LBB444_342:
	s_or_b64 exec, exec, s[6:7]
	v_bfe_u32 v3, v6, 16, 1
	v_add3_u32 v3, v6, v3, s9
	v_lshrrev_b32_e32 v3, 16, v3
	v_cmp_o_f32_e32 vcc, v6, v6
	v_cndmask_b32_e32 v34, v2, v3, vcc
	v_lshlrev_b32_e32 v3, 16, v34
	v_max_f32_e32 v2, v3, v3
	v_min_f32_e32 v6, v2, v35
	v_cmp_u_f32_e32 vcc, v3, v3
	v_max_f32_e32 v2, v2, v35
	v_cndmask_b32_e32 v6, v6, v3, vcc
	v_cndmask_b32_e32 v2, v2, v3, vcc
	v_cndmask_b32_e64 v6, v6, v23, s[18:19]
	v_cndmask_b32_e64 v2, v2, v23, s[18:19]
	s_movk_i32 s8, 0x1f8
	v_cmp_neq_f32_e32 vcc, v6, v2
	v_cmp_class_f32_e64 s[6:7], v6, s8
	s_or_b64 s[10:11], vcc, s[6:7]
	s_and_saveexec_b64 s[6:7], s[10:11]
	s_cbranch_execz .LBB444_344
; %bb.343:
	v_sub_f32_e32 v3, v6, v2
	s_mov_b32 s9, 0x3fb8aa3b
	v_mul_f32_e32 v6, 0x3fb8aa3b, v3
	v_fma_f32 v7, v3, s9, -v6
	v_rndne_f32_e32 v20, v6
	v_fmac_f32_e32 v7, 0x32a5705f, v3
	v_sub_f32_e32 v6, v6, v20
	v_add_f32_e32 v6, v6, v7
	v_exp_f32_e32 v6, v6
	v_cvt_i32_f32_e32 v7, v20
	s_mov_b32 s9, 0xc2ce8ed0
	v_cmp_ngt_f32_e32 vcc, s9, v3
	s_mov_b32 s9, 0x42b17218
	v_ldexp_f32 v6, v6, v7
	v_cndmask_b32_e32 v6, 0, v6, vcc
	v_mov_b32_e32 v7, 0x7f800000
	v_cmp_nlt_f32_e32 vcc, s9, v3
	v_cndmask_b32_e32 v35, v7, v6, vcc
	v_add_f32_e32 v3, 1.0, v35
	v_add_f32_e32 v6, -1.0, v3
	v_sub_f32_e32 v7, v6, v3
	v_add_f32_e32 v7, 1.0, v7
	v_sub_f32_e32 v6, v35, v6
	v_add_f32_e32 v20, v6, v7
	v_frexp_mant_f32_e32 v21, v3
	s_mov_b32 s9, 0x3f2aaaab
	v_cvt_f64_f32_e32 v[6:7], v3
	v_frexp_exp_i32_f64_e32 v6, v[6:7]
	v_cmp_gt_f32_e32 vcc, s9, v21
	v_subbrev_co_u32_e32 v98, vcc, 0, v6, vcc
	v_sub_u32_e32 v6, 0, v98
	v_ldexp_f32 v3, v3, v6
	v_ldexp_f32 v6, v20, v6
	v_add_f32_e32 v20, -1.0, v3
	v_add_f32_e32 v7, 1.0, v20
	v_sub_f32_e32 v7, v3, v7
	v_add_f32_e32 v21, v6, v7
	v_add_f32_e32 v7, 1.0, v3
	v_add_f32_e32 v22, -1.0, v7
	v_sub_f32_e32 v3, v3, v22
	v_add_f32_e32 v3, v6, v3
	v_add_f32_e32 v99, v7, v3
	v_rcp_f32_e32 v100, v99
	v_sub_f32_e32 v6, v7, v99
	v_add_f32_e32 v7, v20, v21
	v_add_f32_e32 v3, v3, v6
	v_mul_f32_e32 v102, v7, v100
	v_sub_f32_e32 v6, v20, v7
	v_mul_f32_e32 v20, v99, v102
	v_fma_f32 v22, v102, v99, -v20
	v_fmac_f32_e32 v22, v102, v3
	v_add_f32_e32 v101, v21, v6
	v_add_f32_e32 v6, v20, v22
	v_sub_f32_e32 v21, v7, v6
	v_pk_add_f32 v[96:97], v[6:7], v[20:21] neg_lo:[0,1] neg_hi:[0,1]
	v_mov_b32_e32 v23, v6
	v_pk_add_f32 v[6:7], v[96:97], v[22:23] neg_lo:[0,1] neg_hi:[0,1]
	v_add_f32_e32 v7, v101, v7
	v_add_f32_e32 v6, v6, v7
	;; [unrolled: 1-line block ×3, first 2 shown]
	v_mul_f32_e32 v101, v100, v7
	v_mul_f32_e32 v20, v99, v101
	v_fma_f32 v22, v101, v99, -v20
	v_fmac_f32_e32 v22, v101, v3
	v_sub_f32_e32 v3, v21, v7
	v_add_f32_e32 v3, v6, v3
	v_add_f32_e32 v6, v20, v22
	v_sub_f32_e32 v21, v7, v6
	v_pk_add_f32 v[96:97], v[6:7], v[20:21] neg_lo:[0,1] neg_hi:[0,1]
	v_mov_b32_e32 v23, v6
	v_pk_add_f32 v[6:7], v[96:97], v[22:23] neg_lo:[0,1] neg_hi:[0,1]
	v_add_f32_e32 v3, v3, v7
	v_add_f32_e32 v3, v6, v3
	;; [unrolled: 1-line block ×4, first 2 shown]
	v_sub_f32_e32 v7, v6, v102
	v_mul_f32_e32 v3, v100, v3
	v_sub_f32_e32 v7, v101, v7
	v_add_f32_e32 v3, v7, v3
	v_add_f32_e32 v21, v6, v3
	v_mul_f32_e32 v22, v21, v21
	v_mov_b32_e32 v20, 0x3ecc95a3
	v_fmac_f32_e32 v20, 0x3e9b6dac, v22
	v_mov_b32_e32 v7, 0x3f2aaada
	v_fmac_f32_e32 v7, v22, v20
	v_cvt_f32_i32_e32 v20, v98
	v_sub_f32_e32 v6, v21, v6
	v_sub_f32_e32 v3, v3, v6
	v_ldexp_f32 v23, v21, 1
	v_mul_f32_e32 v21, v21, v22
	v_mov_b32_e32 v6, 0x3f317218
	s_mov_b32 s9, 0x3f317218
	v_pk_mul_f32 v[6:7], v[20:21], v[6:7]
	v_fma_f32 v22, v20, s9, -v6
	v_fmac_f32_e32 v22, 0xb102e308, v20
	v_pk_add_f32 v[20:21], v[6:7], v[22:23]
	v_sub_f32_e32 v23, v21, v23
	v_ldexp_f32 v3, v3, 1
	v_sub_f32_e32 v23, v7, v23
	v_add_f32_e32 v97, v3, v23
	v_mov_b32_e32 v96, v6
	v_pk_add_f32 v[6:7], v[20:21], v[6:7] neg_lo:[0,1] neg_hi:[0,1]
	v_pk_add_f32 v[98:99], v[20:21], v[96:97]
	v_mov_b32_e32 v7, v99
	v_mov_b32_e32 v23, v20
	v_pk_add_f32 v[100:101], v[22:23], v[6:7] neg_lo:[0,1] neg_hi:[0,1]
	v_pk_add_f32 v[6:7], v[22:23], v[6:7]
	v_mov_b32_e32 v22, v7
	v_pk_add_f32 v[102:103], v[22:23], v[20:21] neg_lo:[0,1] neg_hi:[0,1]
	v_mov_b32_e32 v3, v102
	v_pk_add_f32 v[112:113], v[98:99], v[2:3] neg_lo:[0,1] neg_hi:[0,1]
	v_mov_b32_e32 v6, v99
	v_mov_b32_e32 v98, v21
	;; [unrolled: 1-line block ×4, first 2 shown]
	v_pk_add_f32 v[6:7], v[6:7], v[98:99] neg_lo:[0,1] neg_hi:[0,1]
	v_mov_b32_e32 v96, v97
	v_mov_b32_e32 v97, v20
	v_pk_add_f32 v[6:7], v[96:97], v[6:7] neg_lo:[0,1] neg_hi:[0,1]
	v_mov_b32_e32 v112, v100
	v_pk_add_f32 v[20:21], v[112:113], v[6:7]
	v_mov_b32_e32 v96, v21
	v_pk_add_f32 v[96:97], v[20:21], v[96:97]
	v_pk_add_f32 v[22:23], v[22:23], v[96:97]
	v_mov_b32_e32 v21, v22
	v_pk_add_f32 v[98:99], v[20:21], v[100:101] neg_lo:[0,1] neg_hi:[0,1]
	v_mov_b32_e32 v7, v96
	v_sub_f32_e32 v3, v20, v98
	v_pk_add_f32 v[6:7], v[6:7], v[98:99] neg_lo:[0,1] neg_hi:[0,1]
	v_sub_f32_e32 v3, v100, v3
	s_mov_b32 s10, 0x7f800000
	v_add_f32_e32 v3, v6, v3
	s_mov_b32 s9, 0x33800000
	v_add_f32_e32 v3, v3, v7
	v_cmp_eq_f32_e32 vcc, s10, v35
	v_cmp_lt_f32_e64 s[10:11], |v35|, s9
	v_add_f32_e32 v3, v22, v3
	s_or_b64 vcc, vcc, s[10:11]
	v_cndmask_b32_e32 v3, v3, v35, vcc
	v_add_f32_e32 v3, v2, v3
.LBB444_344:
	s_or_b64 exec, exec, s[6:7]
	v_bfe_u32 v2, v3, 16, 1
	s_movk_i32 s9, 0x7fff
	v_add3_u32 v2, v3, v2, s9
	v_lshrrev_b32_e32 v6, 16, v2
	v_mov_b32_e32 v2, 0x7fc0
	v_cmp_o_f32_e32 vcc, v3, v3
	v_cndmask_b32_e32 v35, v2, v6, vcc
	v_lshlrev_b32_e32 v6, 16, v35
	v_max_f32_e32 v3, v6, v6
	v_min_f32_e32 v7, v3, v50
	v_cmp_u_f32_e32 vcc, v6, v6
	v_max_f32_e32 v3, v3, v50
	v_cndmask_b32_e32 v7, v7, v6, vcc
	v_cndmask_b32_e32 v3, v3, v6, vcc
	v_cndmask_b32_e64 v7, v7, v48, s[20:21]
	v_cndmask_b32_e64 v3, v3, v48, s[20:21]
	v_cmp_neq_f32_e32 vcc, v7, v3
	v_cmp_class_f32_e64 s[6:7], v7, s8
	s_or_b64 s[10:11], vcc, s[6:7]
	s_and_saveexec_b64 s[6:7], s[10:11]
	s_cbranch_execz .LBB444_346
; %bb.345:
	v_sub_f32_e32 v6, v7, v3
	s_mov_b32 s8, 0x3fb8aa3b
	v_mul_f32_e32 v7, 0x3fb8aa3b, v6
	v_fma_f32 v20, v6, s8, -v7
	v_rndne_f32_e32 v21, v7
	v_fmac_f32_e32 v20, 0x32a5705f, v6
	v_sub_f32_e32 v7, v7, v21
	v_add_f32_e32 v7, v7, v20
	v_exp_f32_e32 v7, v7
	v_cvt_i32_f32_e32 v20, v21
	s_mov_b32 s8, 0xc2ce8ed0
	v_cmp_ngt_f32_e32 vcc, s8, v6
	s_mov_b32 s8, 0x42b17218
	v_ldexp_f32 v7, v7, v20
	v_cndmask_b32_e32 v7, 0, v7, vcc
	v_mov_b32_e32 v20, 0x7f800000
	v_cmp_nlt_f32_e32 vcc, s8, v6
	v_cndmask_b32_e32 v50, v20, v7, vcc
	v_add_f32_e32 v20, 1.0, v50
	v_add_f32_e32 v6, -1.0, v20
	v_sub_f32_e32 v7, v6, v20
	v_add_f32_e32 v7, 1.0, v7
	v_sub_f32_e32 v6, v50, v6
	v_add_f32_e32 v21, v6, v7
	v_frexp_mant_f32_e32 v22, v20
	s_mov_b32 s8, 0x3f2aaaab
	v_cvt_f64_f32_e32 v[6:7], v20
	v_frexp_exp_i32_f64_e32 v6, v[6:7]
	v_cmp_gt_f32_e32 vcc, s8, v22
	v_subbrev_co_u32_e32 v48, vcc, 0, v6, vcc
	v_sub_u32_e32 v6, 0, v48
	v_ldexp_f32 v7, v20, v6
	v_add_f32_e32 v20, -1.0, v7
	v_add_f32_e32 v22, 1.0, v7
	v_ldexp_f32 v6, v21, v6
	v_add_f32_e32 v21, 1.0, v20
	v_add_f32_e32 v23, -1.0, v22
	v_sub_f32_e32 v21, v7, v21
	v_sub_f32_e32 v7, v7, v23
	v_add_f32_e32 v21, v6, v21
	v_add_f32_e32 v6, v6, v7
	;; [unrolled: 1-line block ×3, first 2 shown]
	v_rcp_f32_e32 v100, v98
	v_sub_f32_e32 v7, v22, v98
	v_add_f32_e32 v99, v6, v7
	v_add_f32_e32 v7, v20, v21
	v_mul_f32_e32 v102, v7, v100
	v_sub_f32_e32 v6, v20, v7
	v_mul_f32_e32 v20, v98, v102
	v_fma_f32 v22, v102, v98, -v20
	v_fmac_f32_e32 v22, v102, v99
	v_add_f32_e32 v101, v21, v6
	v_add_f32_e32 v6, v20, v22
	v_sub_f32_e32 v21, v7, v6
	v_pk_add_f32 v[96:97], v[6:7], v[20:21] neg_lo:[0,1] neg_hi:[0,1]
	v_mov_b32_e32 v23, v6
	v_pk_add_f32 v[6:7], v[96:97], v[22:23] neg_lo:[0,1] neg_hi:[0,1]
	v_add_f32_e32 v7, v101, v7
	v_add_f32_e32 v6, v6, v7
	;; [unrolled: 1-line block ×3, first 2 shown]
	v_mul_f32_e32 v101, v100, v7
	v_mul_f32_e32 v20, v98, v101
	v_fma_f32 v22, v101, v98, -v20
	v_fmac_f32_e32 v22, v101, v99
	v_sub_f32_e32 v21, v21, v7
	v_add_f32_e32 v98, v6, v21
	v_add_f32_e32 v6, v20, v22
	v_sub_f32_e32 v21, v7, v6
	v_pk_add_f32 v[96:97], v[6:7], v[20:21] neg_lo:[0,1] neg_hi:[0,1]
	v_mov_b32_e32 v23, v6
	v_pk_add_f32 v[6:7], v[96:97], v[22:23] neg_lo:[0,1] neg_hi:[0,1]
	v_add_f32_e32 v7, v98, v7
	v_add_f32_e32 v6, v6, v7
	;; [unrolled: 1-line block ×4, first 2 shown]
	v_sub_f32_e32 v7, v21, v102
	v_mul_f32_e32 v6, v100, v6
	v_sub_f32_e32 v7, v101, v7
	v_add_f32_e32 v6, v7, v6
	v_add_f32_e32 v22, v21, v6
	v_mul_f32_e32 v96, v22, v22
	v_mov_b32_e32 v20, 0x3ecc95a3
	v_fmac_f32_e32 v20, 0x3e9b6dac, v96
	v_mov_b32_e32 v7, 0x3f2aaada
	v_fmac_f32_e32 v7, v96, v20
	v_cvt_f32_i32_e32 v20, v48
	v_sub_f32_e32 v21, v22, v21
	v_sub_f32_e32 v6, v6, v21
	v_ldexp_f32 v48, v6, 1
	v_mul_f32_e32 v21, v22, v96
	v_mov_b32_e32 v6, 0x3f317218
	s_mov_b32 s8, 0x3f317218
	v_pk_mul_f32 v[6:7], v[20:21], v[6:7]
	v_ldexp_f32 v23, v22, 1
	v_fma_f32 v22, v20, s8, -v6
	v_fmac_f32_e32 v22, 0xb102e308, v20
	v_pk_add_f32 v[20:21], v[6:7], v[22:23]
	v_sub_f32_e32 v23, v21, v23
	v_sub_f32_e32 v23, v7, v23
	v_add_f32_e32 v97, v48, v23
	v_mov_b32_e32 v96, v6
	v_pk_add_f32 v[6:7], v[20:21], v[6:7] neg_lo:[0,1] neg_hi:[0,1]
	v_pk_add_f32 v[98:99], v[20:21], v[96:97]
	v_mov_b32_e32 v7, v99
	v_mov_b32_e32 v23, v20
	v_pk_add_f32 v[100:101], v[22:23], v[6:7] neg_lo:[0,1] neg_hi:[0,1]
	v_pk_add_f32 v[6:7], v[22:23], v[6:7]
	v_mov_b32_e32 v22, v7
	v_pk_add_f32 v[102:103], v[22:23], v[20:21] neg_lo:[0,1] neg_hi:[0,1]
	v_mov_b32_e32 v23, v102
	v_pk_add_f32 v[112:113], v[98:99], v[22:23] neg_lo:[0,1] neg_hi:[0,1]
	v_mov_b32_e32 v6, v99
	v_mov_b32_e32 v98, v21
	;; [unrolled: 1-line block ×4, first 2 shown]
	v_pk_add_f32 v[6:7], v[6:7], v[98:99] neg_lo:[0,1] neg_hi:[0,1]
	v_mov_b32_e32 v96, v97
	v_mov_b32_e32 v97, v20
	v_pk_add_f32 v[6:7], v[96:97], v[6:7] neg_lo:[0,1] neg_hi:[0,1]
	v_mov_b32_e32 v112, v100
	v_pk_add_f32 v[20:21], v[112:113], v[6:7]
	v_mov_b32_e32 v48, v21
	v_pk_add_f32 v[96:97], v[20:21], v[48:49]
	v_pk_add_f32 v[22:23], v[22:23], v[96:97]
	v_mov_b32_e32 v21, v22
	v_pk_add_f32 v[98:99], v[20:21], v[100:101] neg_lo:[0,1] neg_hi:[0,1]
	v_mov_b32_e32 v7, v96
	v_sub_f32_e32 v20, v20, v98
	v_pk_add_f32 v[6:7], v[6:7], v[98:99] neg_lo:[0,1] neg_hi:[0,1]
	v_sub_f32_e32 v20, v100, v20
	s_mov_b32 s10, 0x7f800000
	v_add_f32_e32 v6, v6, v20
	s_mov_b32 s8, 0x33800000
	v_add_f32_e32 v6, v6, v7
	v_cmp_eq_f32_e32 vcc, s10, v50
	v_cmp_lt_f32_e64 s[10:11], |v50|, s8
	v_add_f32_e32 v6, v22, v6
	s_or_b64 vcc, vcc, s[10:11]
	v_cndmask_b32_e32 v6, v6, v50, vcc
	v_add_f32_e32 v6, v3, v6
.LBB444_346:
	s_or_b64 exec, exec, s[6:7]
	v_bfe_u32 v3, v6, 16, 1
	v_add3_u32 v3, v6, v3, s9
	v_lshrrev_b32_e32 v3, 16, v3
	v_cmp_o_f32_e32 vcc, v6, v6
	v_cndmask_b32_e32 v48, v2, v3, vcc
	v_lshlrev_b32_e32 v3, 16, v48
	v_max_f32_e32 v2, v3, v3
	v_min_f32_e32 v6, v2, v51
	v_cmp_u_f32_e32 vcc, v3, v3
	v_max_f32_e32 v2, v2, v51
	v_cndmask_b32_e32 v6, v6, v3, vcc
	v_cndmask_b32_e32 v2, v2, v3, vcc
	v_cndmask_b32_e64 v6, v6, v16, s[22:23]
	v_cndmask_b32_e64 v2, v2, v16, s[22:23]
	s_movk_i32 s8, 0x1f8
	v_cmp_neq_f32_e32 vcc, v6, v2
	v_cmp_class_f32_e64 s[6:7], v6, s8
	s_or_b64 s[10:11], vcc, s[6:7]
	s_and_saveexec_b64 s[6:7], s[10:11]
	s_cbranch_execz .LBB444_348
; %bb.347:
	v_sub_f32_e32 v3, v6, v2
	s_mov_b32 s9, 0x3fb8aa3b
	v_mul_f32_e32 v6, 0x3fb8aa3b, v3
	v_fma_f32 v7, v3, s9, -v6
	v_rndne_f32_e32 v16, v6
	v_fmac_f32_e32 v7, 0x32a5705f, v3
	v_sub_f32_e32 v6, v6, v16
	v_add_f32_e32 v6, v6, v7
	v_exp_f32_e32 v6, v6
	v_cvt_i32_f32_e32 v7, v16
	s_mov_b32 s9, 0xc2ce8ed0
	v_cmp_ngt_f32_e32 vcc, s9, v3
	s_mov_b32 s9, 0x42b17218
	v_ldexp_f32 v6, v6, v7
	v_cndmask_b32_e32 v6, 0, v6, vcc
	v_mov_b32_e32 v7, 0x7f800000
	v_cmp_nlt_f32_e32 vcc, s9, v3
	v_cndmask_b32_e32 v102, v7, v6, vcc
	v_add_f32_e32 v3, 1.0, v102
	v_add_f32_e32 v6, -1.0, v3
	v_sub_f32_e32 v7, v6, v3
	v_add_f32_e32 v7, 1.0, v7
	v_sub_f32_e32 v6, v102, v6
	v_add_f32_e32 v16, v6, v7
	v_frexp_mant_f32_e32 v20, v3
	s_mov_b32 s9, 0x3f2aaaab
	v_cvt_f64_f32_e32 v[6:7], v3
	v_frexp_exp_i32_f64_e32 v6, v[6:7]
	v_cmp_gt_f32_e32 vcc, s9, v20
	v_subbrev_co_u32_e32 v96, vcc, 0, v6, vcc
	v_sub_u32_e32 v6, 0, v96
	v_ldexp_f32 v3, v3, v6
	v_ldexp_f32 v6, v16, v6
	v_add_f32_e32 v16, -1.0, v3
	v_add_f32_e32 v7, 1.0, v16
	v_sub_f32_e32 v7, v3, v7
	v_add_f32_e32 v20, v6, v7
	v_add_f32_e32 v7, 1.0, v3
	v_add_f32_e32 v21, -1.0, v7
	v_sub_f32_e32 v3, v3, v21
	v_add_f32_e32 v3, v6, v3
	v_add_f32_e32 v97, v7, v3
	v_rcp_f32_e32 v98, v97
	v_sub_f32_e32 v6, v7, v97
	v_add_f32_e32 v7, v16, v20
	v_add_f32_e32 v3, v3, v6
	v_sub_f32_e32 v6, v16, v7
	v_mul_f32_e32 v99, v7, v98
	v_add_f32_e32 v16, v20, v6
	v_mul_f32_e32 v20, v97, v99
	v_fma_f32 v22, v99, v97, -v20
	v_fmac_f32_e32 v22, v99, v3
	v_add_f32_e32 v6, v20, v22
	v_sub_f32_e32 v21, v7, v6
	v_pk_add_f32 v[50:51], v[6:7], v[20:21] neg_lo:[0,1] neg_hi:[0,1]
	v_mov_b32_e32 v23, v6
	v_pk_add_f32 v[6:7], v[50:51], v[22:23] neg_lo:[0,1] neg_hi:[0,1]
	v_add_f32_e32 v7, v16, v7
	v_add_f32_e32 v6, v6, v7
	;; [unrolled: 1-line block ×3, first 2 shown]
	v_mul_f32_e32 v16, v98, v7
	v_mul_f32_e32 v20, v97, v16
	v_fma_f32 v22, v16, v97, -v20
	v_fmac_f32_e32 v22, v16, v3
	v_sub_f32_e32 v3, v21, v7
	v_add_f32_e32 v3, v6, v3
	v_add_f32_e32 v6, v20, v22
	v_sub_f32_e32 v21, v7, v6
	v_pk_add_f32 v[50:51], v[6:7], v[20:21] neg_lo:[0,1] neg_hi:[0,1]
	v_mov_b32_e32 v23, v6
	v_pk_add_f32 v[6:7], v[50:51], v[22:23] neg_lo:[0,1] neg_hi:[0,1]
	v_add_f32_e32 v3, v3, v7
	v_add_f32_e32 v3, v6, v3
	;; [unrolled: 1-line block ×4, first 2 shown]
	v_sub_f32_e32 v7, v6, v99
	v_mul_f32_e32 v3, v98, v3
	v_sub_f32_e32 v7, v16, v7
	v_add_f32_e32 v3, v7, v3
	v_add_f32_e32 v16, v6, v3
	v_mul_f32_e32 v21, v16, v16
	v_mov_b32_e32 v20, 0x3ecc95a3
	v_fmac_f32_e32 v20, 0x3e9b6dac, v21
	v_mov_b32_e32 v7, 0x3f2aaada
	v_fmac_f32_e32 v7, v21, v20
	v_cvt_f32_i32_e32 v20, v96
	v_sub_f32_e32 v6, v16, v6
	v_sub_f32_e32 v3, v3, v6
	v_mul_f32_e32 v21, v16, v21
	v_mov_b32_e32 v6, 0x3f317218
	s_mov_b32 s9, 0x3f317218
	v_pk_mul_f32 v[6:7], v[20:21], v[6:7]
	v_fma_f32 v22, v20, s9, -v6
	v_ldexp_f32 v23, v16, 1
	v_fmac_f32_e32 v22, 0xb102e308, v20
	v_pk_add_f32 v[20:21], v[6:7], v[22:23]
	v_sub_f32_e32 v16, v21, v23
	v_ldexp_f32 v3, v3, 1
	v_sub_f32_e32 v16, v7, v16
	v_add_f32_e32 v51, v3, v16
	v_mov_b32_e32 v50, v6
	v_pk_add_f32 v[6:7], v[20:21], v[6:7] neg_lo:[0,1] neg_hi:[0,1]
	v_pk_add_f32 v[96:97], v[20:21], v[50:51]
	v_mov_b32_e32 v7, v97
	v_mov_b32_e32 v23, v20
	v_pk_add_f32 v[98:99], v[22:23], v[6:7] neg_lo:[0,1] neg_hi:[0,1]
	v_pk_add_f32 v[6:7], v[22:23], v[6:7]
	v_mov_b32_e32 v16, v7
	v_pk_add_f32 v[22:23], v[16:17], v[20:21] neg_lo:[0,1] neg_hi:[0,1]
	v_mov_b32_e32 v3, v22
	v_pk_add_f32 v[100:101], v[96:97], v[2:3] neg_lo:[0,1] neg_hi:[0,1]
	v_mov_b32_e32 v6, v97
	v_mov_b32_e32 v96, v21
	;; [unrolled: 1-line block ×4, first 2 shown]
	v_pk_add_f32 v[6:7], v[6:7], v[96:97] neg_lo:[0,1] neg_hi:[0,1]
	v_mov_b32_e32 v22, v51
	v_mov_b32_e32 v23, v20
	v_pk_add_f32 v[6:7], v[22:23], v[6:7] neg_lo:[0,1] neg_hi:[0,1]
	v_mov_b32_e32 v100, v98
	v_pk_add_f32 v[20:21], v[100:101], v[6:7]
	v_mov_b32_e32 v22, v21
	v_pk_add_f32 v[22:23], v[20:21], v[22:23]
	v_pk_add_f32 v[50:51], v[16:17], v[22:23]
	v_mov_b32_e32 v21, v50
	v_pk_add_f32 v[96:97], v[20:21], v[98:99] neg_lo:[0,1] neg_hi:[0,1]
	v_mov_b32_e32 v7, v22
	v_sub_f32_e32 v3, v20, v96
	v_pk_add_f32 v[6:7], v[6:7], v[96:97] neg_lo:[0,1] neg_hi:[0,1]
	v_sub_f32_e32 v3, v98, v3
	s_mov_b32 s10, 0x7f800000
	v_add_f32_e32 v3, v6, v3
	s_mov_b32 s9, 0x33800000
	v_add_f32_e32 v3, v3, v7
	v_cmp_eq_f32_e32 vcc, s10, v102
	v_cmp_lt_f32_e64 s[10:11], |v102|, s9
	v_add_f32_e32 v3, v50, v3
	s_or_b64 vcc, vcc, s[10:11]
	v_cndmask_b32_e32 v3, v3, v102, vcc
	v_add_f32_e32 v3, v2, v3
.LBB444_348:
	s_or_b64 exec, exec, s[6:7]
	v_bfe_u32 v2, v3, 16, 1
	s_movk_i32 s9, 0x7fff
	v_add3_u32 v2, v3, v2, s9
	v_lshrrev_b32_e32 v6, 16, v2
	v_mov_b32_e32 v2, 0x7fc0
	v_cmp_o_f32_e32 vcc, v3, v3
	v_cndmask_b32_e32 v50, v2, v6, vcc
	v_lshlrev_b32_e32 v6, 16, v50
	v_max_f32_e32 v3, v6, v6
	v_min_f32_e32 v7, v3, v53
	v_cmp_u_f32_e32 vcc, v6, v6
	v_max_f32_e32 v3, v3, v53
	v_cndmask_b32_e32 v7, v7, v6, vcc
	v_cndmask_b32_e32 v3, v3, v6, vcc
	v_cndmask_b32_e64 v7, v7, v49, s[24:25]
	v_cndmask_b32_e64 v3, v3, v49, s[24:25]
	v_cmp_neq_f32_e32 vcc, v7, v3
	v_cmp_class_f32_e64 s[6:7], v7, s8
	s_or_b64 s[10:11], vcc, s[6:7]
	s_and_saveexec_b64 s[6:7], s[10:11]
	s_cbranch_execz .LBB444_350
; %bb.349:
	v_sub_f32_e32 v6, v7, v3
	s_mov_b32 s8, 0x3fb8aa3b
	v_mul_f32_e32 v7, 0x3fb8aa3b, v6
	v_fma_f32 v16, v6, s8, -v7
	v_rndne_f32_e32 v20, v7
	v_fmac_f32_e32 v16, 0x32a5705f, v6
	v_sub_f32_e32 v7, v7, v20
	v_add_f32_e32 v7, v7, v16
	v_exp_f32_e32 v7, v7
	v_cvt_i32_f32_e32 v16, v20
	s_mov_b32 s8, 0xc2ce8ed0
	v_cmp_ngt_f32_e32 vcc, s8, v6
	s_mov_b32 s8, 0x42b17218
	v_ldexp_f32 v7, v7, v16
	v_cndmask_b32_e32 v7, 0, v7, vcc
	v_mov_b32_e32 v16, 0x7f800000
	v_cmp_nlt_f32_e32 vcc, s8, v6
	v_cndmask_b32_e32 v49, v16, v7, vcc
	v_add_f32_e32 v16, 1.0, v49
	v_add_f32_e32 v6, -1.0, v16
	v_sub_f32_e32 v7, v6, v16
	v_add_f32_e32 v7, 1.0, v7
	v_sub_f32_e32 v6, v49, v6
	v_add_f32_e32 v20, v6, v7
	v_frexp_mant_f32_e32 v21, v16
	s_mov_b32 s8, 0x3f2aaaab
	v_cvt_f64_f32_e32 v[6:7], v16
	v_frexp_exp_i32_f64_e32 v6, v[6:7]
	v_cmp_gt_f32_e32 vcc, s8, v21
	v_subbrev_co_u32_e32 v51, vcc, 0, v6, vcc
	v_sub_u32_e32 v6, 0, v51
	v_ldexp_f32 v7, v16, v6
	v_add_f32_e32 v16, -1.0, v7
	v_add_f32_e32 v21, 1.0, v7
	v_ldexp_f32 v6, v20, v6
	v_add_f32_e32 v20, 1.0, v16
	v_add_f32_e32 v22, -1.0, v21
	v_sub_f32_e32 v20, v7, v20
	v_sub_f32_e32 v7, v7, v22
	v_add_f32_e32 v20, v6, v20
	v_add_f32_e32 v6, v6, v7
	;; [unrolled: 1-line block ×3, first 2 shown]
	v_rcp_f32_e32 v99, v53
	v_sub_f32_e32 v7, v21, v53
	v_add_f32_e32 v98, v6, v7
	v_add_f32_e32 v7, v16, v20
	v_sub_f32_e32 v6, v16, v7
	v_mul_f32_e32 v100, v7, v99
	v_add_f32_e32 v16, v20, v6
	v_mul_f32_e32 v20, v53, v100
	v_fma_f32 v22, v100, v53, -v20
	v_fmac_f32_e32 v22, v100, v98
	v_add_f32_e32 v6, v20, v22
	v_sub_f32_e32 v21, v7, v6
	v_pk_add_f32 v[96:97], v[6:7], v[20:21] neg_lo:[0,1] neg_hi:[0,1]
	v_mov_b32_e32 v23, v6
	v_pk_add_f32 v[6:7], v[96:97], v[22:23] neg_lo:[0,1] neg_hi:[0,1]
	v_add_f32_e32 v7, v16, v7
	v_add_f32_e32 v6, v6, v7
	;; [unrolled: 1-line block ×3, first 2 shown]
	v_mul_f32_e32 v16, v99, v7
	v_mul_f32_e32 v20, v53, v16
	v_fma_f32 v22, v16, v53, -v20
	v_fmac_f32_e32 v22, v16, v98
	v_sub_f32_e32 v21, v21, v7
	v_add_f32_e32 v53, v6, v21
	v_add_f32_e32 v6, v20, v22
	v_sub_f32_e32 v21, v7, v6
	v_pk_add_f32 v[96:97], v[6:7], v[20:21] neg_lo:[0,1] neg_hi:[0,1]
	v_mov_b32_e32 v23, v6
	v_pk_add_f32 v[6:7], v[96:97], v[22:23] neg_lo:[0,1] neg_hi:[0,1]
	v_add_f32_e32 v7, v53, v7
	v_add_f32_e32 v6, v6, v7
	;; [unrolled: 1-line block ×4, first 2 shown]
	v_sub_f32_e32 v7, v21, v100
	v_mul_f32_e32 v6, v99, v6
	v_sub_f32_e32 v7, v16, v7
	v_add_f32_e32 v6, v7, v6
	v_add_f32_e32 v16, v21, v6
	v_mul_f32_e32 v22, v16, v16
	v_mov_b32_e32 v20, 0x3ecc95a3
	v_fmac_f32_e32 v20, 0x3e9b6dac, v22
	v_mov_b32_e32 v7, 0x3f2aaada
	v_fmac_f32_e32 v7, v22, v20
	v_cvt_f32_i32_e32 v20, v51
	v_sub_f32_e32 v21, v16, v21
	v_sub_f32_e32 v6, v6, v21
	v_ldexp_f32 v51, v6, 1
	v_mul_f32_e32 v21, v16, v22
	v_mov_b32_e32 v6, 0x3f317218
	s_mov_b32 s8, 0x3f317218
	v_pk_mul_f32 v[6:7], v[20:21], v[6:7]
	v_fma_f32 v22, v20, s8, -v6
	v_ldexp_f32 v23, v16, 1
	v_fmac_f32_e32 v22, 0xb102e308, v20
	v_pk_add_f32 v[20:21], v[6:7], v[22:23]
	v_sub_f32_e32 v16, v21, v23
	v_sub_f32_e32 v16, v7, v16
	v_add_f32_e32 v97, v51, v16
	v_mov_b32_e32 v96, v6
	v_pk_add_f32 v[6:7], v[20:21], v[6:7] neg_lo:[0,1] neg_hi:[0,1]
	v_pk_add_f32 v[98:99], v[20:21], v[96:97]
	v_mov_b32_e32 v7, v99
	v_mov_b32_e32 v23, v20
	v_pk_add_f32 v[100:101], v[22:23], v[6:7] neg_lo:[0,1] neg_hi:[0,1]
	v_pk_add_f32 v[6:7], v[22:23], v[6:7]
	v_mov_b32_e32 v16, v7
	v_pk_add_f32 v[22:23], v[16:17], v[20:21] neg_lo:[0,1] neg_hi:[0,1]
	v_mov_b32_e32 v23, v22
	v_pk_add_f32 v[102:103], v[98:99], v[22:23] neg_lo:[0,1] neg_hi:[0,1]
	v_mov_b32_e32 v6, v99
	v_mov_b32_e32 v98, v21
	;; [unrolled: 1-line block ×4, first 2 shown]
	v_pk_add_f32 v[6:7], v[6:7], v[98:99] neg_lo:[0,1] neg_hi:[0,1]
	v_mov_b32_e32 v22, v97
	v_mov_b32_e32 v23, v20
	v_pk_add_f32 v[6:7], v[22:23], v[6:7] neg_lo:[0,1] neg_hi:[0,1]
	v_mov_b32_e32 v102, v100
	v_pk_add_f32 v[20:21], v[102:103], v[6:7]
	v_mov_b32_e32 v22, v21
	v_pk_add_f32 v[22:23], v[20:21], v[22:23]
	v_pk_add_f32 v[96:97], v[16:17], v[22:23]
	v_mov_b32_e32 v21, v96
	v_pk_add_f32 v[98:99], v[20:21], v[100:101] neg_lo:[0,1] neg_hi:[0,1]
	v_mov_b32_e32 v7, v22
	v_sub_f32_e32 v16, v20, v98
	v_pk_add_f32 v[6:7], v[6:7], v[98:99] neg_lo:[0,1] neg_hi:[0,1]
	v_sub_f32_e32 v16, v100, v16
	s_mov_b32 s10, 0x7f800000
	v_add_f32_e32 v6, v6, v16
	s_mov_b32 s8, 0x33800000
	v_add_f32_e32 v6, v6, v7
	v_cmp_eq_f32_e32 vcc, s10, v49
	v_cmp_lt_f32_e64 s[10:11], |v49|, s8
	v_add_f32_e32 v6, v96, v6
	s_or_b64 vcc, vcc, s[10:11]
	v_cndmask_b32_e32 v6, v6, v49, vcc
	v_add_f32_e32 v6, v3, v6
.LBB444_350:
	s_or_b64 exec, exec, s[6:7]
	v_bfe_u32 v3, v6, 16, 1
	v_add3_u32 v3, v6, v3, s9
	v_lshrrev_b32_e32 v3, 16, v3
	v_cmp_o_f32_e32 vcc, v6, v6
	v_cndmask_b32_e32 v49, v2, v3, vcc
	v_lshlrev_b32_e32 v3, 16, v49
	v_max_f32_e32 v2, v3, v3
	v_min_f32_e32 v6, v2, v54
	v_cmp_u_f32_e32 vcc, v3, v3
	v_max_f32_e32 v2, v2, v54
	v_cndmask_b32_e32 v6, v6, v3, vcc
	v_cndmask_b32_e32 v2, v2, v3, vcc
	v_cndmask_b32_e64 v6, v6, v17, s[26:27]
	v_cndmask_b32_e64 v2, v2, v17, s[26:27]
	s_movk_i32 s8, 0x1f8
	v_cmp_neq_f32_e32 vcc, v6, v2
	v_cmp_class_f32_e64 s[6:7], v6, s8
	s_or_b64 s[10:11], vcc, s[6:7]
	s_and_saveexec_b64 s[6:7], s[10:11]
	s_cbranch_execz .LBB444_352
; %bb.351:
	v_sub_f32_e32 v3, v6, v2
	s_mov_b32 s9, 0x3fb8aa3b
	v_mul_f32_e32 v6, 0x3fb8aa3b, v3
	v_fma_f32 v7, v3, s9, -v6
	v_rndne_f32_e32 v16, v6
	v_fmac_f32_e32 v7, 0x32a5705f, v3
	v_sub_f32_e32 v6, v6, v16
	v_add_f32_e32 v6, v6, v7
	v_exp_f32_e32 v6, v6
	v_cvt_i32_f32_e32 v7, v16
	s_mov_b32 s9, 0xc2ce8ed0
	v_cmp_ngt_f32_e32 vcc, s9, v3
	s_mov_b32 s9, 0x42b17218
	v_ldexp_f32 v6, v6, v7
	v_cndmask_b32_e32 v6, 0, v6, vcc
	v_mov_b32_e32 v7, 0x7f800000
	v_cmp_nlt_f32_e32 vcc, s9, v3
	v_cndmask_b32_e32 v51, v7, v6, vcc
	v_add_f32_e32 v3, 1.0, v51
	v_add_f32_e32 v6, -1.0, v3
	v_sub_f32_e32 v7, v6, v3
	v_add_f32_e32 v7, 1.0, v7
	v_sub_f32_e32 v6, v51, v6
	v_add_f32_e32 v16, v6, v7
	v_frexp_mant_f32_e32 v17, v3
	s_mov_b32 s9, 0x3f2aaaab
	v_cvt_f64_f32_e32 v[6:7], v3
	v_frexp_exp_i32_f64_e32 v6, v[6:7]
	v_cmp_gt_f32_e32 vcc, s9, v17
	v_subbrev_co_u32_e32 v53, vcc, 0, v6, vcc
	v_sub_u32_e32 v6, 0, v53
	v_ldexp_f32 v3, v3, v6
	v_ldexp_f32 v6, v16, v6
	v_add_f32_e32 v16, -1.0, v3
	v_add_f32_e32 v7, 1.0, v16
	v_sub_f32_e32 v7, v3, v7
	v_add_f32_e32 v17, v6, v7
	v_add_f32_e32 v7, 1.0, v3
	v_add_f32_e32 v20, -1.0, v7
	v_sub_f32_e32 v3, v3, v20
	v_add_f32_e32 v3, v6, v3
	v_add_f32_e32 v54, v7, v3
	v_rcp_f32_e32 v96, v54
	v_sub_f32_e32 v6, v7, v54
	v_add_f32_e32 v7, v16, v17
	v_add_f32_e32 v3, v3, v6
	v_mul_f32_e32 v98, v7, v96
	v_sub_f32_e32 v6, v16, v7
	v_mul_f32_e32 v16, v54, v98
	v_fma_f32 v20, v98, v54, -v16
	v_fmac_f32_e32 v20, v98, v3
	v_add_f32_e32 v97, v17, v6
	v_add_f32_e32 v6, v16, v20
	v_sub_f32_e32 v17, v7, v6
	v_pk_add_f32 v[22:23], v[6:7], v[16:17] neg_lo:[0,1] neg_hi:[0,1]
	v_mov_b32_e32 v21, v6
	v_pk_add_f32 v[6:7], v[22:23], v[20:21] neg_lo:[0,1] neg_hi:[0,1]
	v_add_f32_e32 v7, v97, v7
	v_add_f32_e32 v6, v6, v7
	;; [unrolled: 1-line block ×3, first 2 shown]
	v_mul_f32_e32 v97, v96, v7
	v_mul_f32_e32 v16, v54, v97
	v_fma_f32 v20, v97, v54, -v16
	v_fmac_f32_e32 v20, v97, v3
	v_sub_f32_e32 v3, v17, v7
	v_add_f32_e32 v3, v6, v3
	v_add_f32_e32 v6, v16, v20
	v_sub_f32_e32 v17, v7, v6
	v_pk_add_f32 v[22:23], v[6:7], v[16:17] neg_lo:[0,1] neg_hi:[0,1]
	v_mov_b32_e32 v21, v6
	v_pk_add_f32 v[6:7], v[22:23], v[20:21] neg_lo:[0,1] neg_hi:[0,1]
	v_add_f32_e32 v3, v3, v7
	v_add_f32_e32 v3, v6, v3
	;; [unrolled: 1-line block ×4, first 2 shown]
	v_sub_f32_e32 v7, v6, v98
	v_mul_f32_e32 v3, v96, v3
	v_sub_f32_e32 v7, v97, v7
	v_add_f32_e32 v3, v7, v3
	v_add_f32_e32 v17, v6, v3
	v_mul_f32_e32 v20, v17, v17
	v_mov_b32_e32 v16, 0x3ecc95a3
	v_fmac_f32_e32 v16, 0x3e9b6dac, v20
	v_mov_b32_e32 v7, 0x3f2aaada
	v_fmac_f32_e32 v7, v20, v16
	v_cvt_f32_i32_e32 v16, v53
	v_sub_f32_e32 v6, v17, v6
	v_sub_f32_e32 v3, v3, v6
	v_ldexp_f32 v21, v17, 1
	v_mul_f32_e32 v17, v17, v20
	v_mov_b32_e32 v6, 0x3f317218
	s_mov_b32 s9, 0x3f317218
	v_pk_mul_f32 v[6:7], v[16:17], v[6:7]
	v_fma_f32 v20, v16, s9, -v6
	v_fmac_f32_e32 v20, 0xb102e308, v16
	v_pk_add_f32 v[16:17], v[6:7], v[20:21]
	v_sub_f32_e32 v21, v17, v21
	v_ldexp_f32 v3, v3, 1
	v_sub_f32_e32 v21, v7, v21
	v_add_f32_e32 v23, v3, v21
	v_mov_b32_e32 v22, v6
	v_pk_add_f32 v[6:7], v[16:17], v[6:7] neg_lo:[0,1] neg_hi:[0,1]
	v_pk_add_f32 v[96:97], v[16:17], v[22:23]
	v_mov_b32_e32 v7, v97
	v_mov_b32_e32 v21, v16
	v_pk_add_f32 v[98:99], v[20:21], v[6:7] neg_lo:[0,1] neg_hi:[0,1]
	v_pk_add_f32 v[6:7], v[20:21], v[6:7]
	v_mov_b32_e32 v20, v7
	v_pk_add_f32 v[100:101], v[20:21], v[16:17] neg_lo:[0,1] neg_hi:[0,1]
	v_mov_b32_e32 v3, v100
	v_pk_add_f32 v[102:103], v[96:97], v[2:3] neg_lo:[0,1] neg_hi:[0,1]
	v_mov_b32_e32 v6, v97
	v_mov_b32_e32 v96, v17
	;; [unrolled: 1-line block ×4, first 2 shown]
	v_pk_add_f32 v[6:7], v[6:7], v[96:97] neg_lo:[0,1] neg_hi:[0,1]
	v_mov_b32_e32 v22, v23
	v_mov_b32_e32 v23, v16
	v_pk_add_f32 v[6:7], v[22:23], v[6:7] neg_lo:[0,1] neg_hi:[0,1]
	v_mov_b32_e32 v102, v98
	v_pk_add_f32 v[16:17], v[102:103], v[6:7]
	v_mov_b32_e32 v22, v17
	v_pk_add_f32 v[22:23], v[16:17], v[22:23]
	v_pk_add_f32 v[20:21], v[20:21], v[22:23]
	v_mov_b32_e32 v17, v20
	v_pk_add_f32 v[96:97], v[16:17], v[98:99] neg_lo:[0,1] neg_hi:[0,1]
	v_mov_b32_e32 v7, v22
	v_sub_f32_e32 v3, v16, v96
	v_pk_add_f32 v[6:7], v[6:7], v[96:97] neg_lo:[0,1] neg_hi:[0,1]
	v_sub_f32_e32 v3, v98, v3
	s_mov_b32 s10, 0x7f800000
	v_add_f32_e32 v3, v6, v3
	s_mov_b32 s9, 0x33800000
	v_add_f32_e32 v3, v3, v7
	v_cmp_eq_f32_e32 vcc, s10, v51
	v_cmp_lt_f32_e64 s[10:11], |v51|, s9
	v_add_f32_e32 v3, v20, v3
	s_or_b64 vcc, vcc, s[10:11]
	v_cndmask_b32_e32 v3, v3, v51, vcc
	v_add_f32_e32 v3, v2, v3
.LBB444_352:
	s_or_b64 exec, exec, s[6:7]
	v_bfe_u32 v2, v3, 16, 1
	s_movk_i32 s9, 0x7fff
	v_add3_u32 v2, v3, v2, s9
	v_lshrrev_b32_e32 v6, 16, v2
	v_mov_b32_e32 v2, 0x7fc0
	v_cmp_o_f32_e32 vcc, v3, v3
	v_cndmask_b32_e32 v51, v2, v6, vcc
	v_lshlrev_b32_e32 v6, 16, v51
	v_max_f32_e32 v3, v6, v6
	v_min_f32_e32 v7, v3, v64
	v_cmp_u_f32_e32 vcc, v6, v6
	v_max_f32_e32 v3, v3, v64
	v_cndmask_b32_e32 v7, v7, v6, vcc
	v_cndmask_b32_e32 v3, v3, v6, vcc
	v_cndmask_b32_e64 v7, v7, v52, s[28:29]
	v_cndmask_b32_e64 v3, v3, v52, s[28:29]
	v_cmp_neq_f32_e32 vcc, v7, v3
	v_cmp_class_f32_e64 s[6:7], v7, s8
	s_or_b64 s[10:11], vcc, s[6:7]
	s_and_saveexec_b64 s[6:7], s[10:11]
	s_cbranch_execz .LBB444_354
; %bb.353:
	v_sub_f32_e32 v6, v7, v3
	s_mov_b32 s8, 0x3fb8aa3b
	v_mul_f32_e32 v7, 0x3fb8aa3b, v6
	v_fma_f32 v16, v6, s8, -v7
	v_rndne_f32_e32 v17, v7
	v_fmac_f32_e32 v16, 0x32a5705f, v6
	v_sub_f32_e32 v7, v7, v17
	v_add_f32_e32 v7, v7, v16
	v_exp_f32_e32 v7, v7
	v_cvt_i32_f32_e32 v16, v17
	s_mov_b32 s8, 0xc2ce8ed0
	v_cmp_ngt_f32_e32 vcc, s8, v6
	s_mov_b32 s8, 0x42b17218
	v_ldexp_f32 v7, v7, v16
	v_cndmask_b32_e32 v7, 0, v7, vcc
	v_mov_b32_e32 v16, 0x7f800000
	v_cmp_nlt_f32_e32 vcc, s8, v6
	v_cndmask_b32_e32 v54, v16, v7, vcc
	v_add_f32_e32 v16, 1.0, v54
	v_add_f32_e32 v6, -1.0, v16
	v_sub_f32_e32 v7, v6, v16
	v_add_f32_e32 v7, 1.0, v7
	v_sub_f32_e32 v6, v54, v6
	v_add_f32_e32 v17, v6, v7
	v_frexp_mant_f32_e32 v20, v16
	s_mov_b32 s8, 0x3f2aaaab
	v_cvt_f64_f32_e32 v[6:7], v16
	v_frexp_exp_i32_f64_e32 v6, v[6:7]
	v_cmp_gt_f32_e32 vcc, s8, v20
	v_subbrev_co_u32_e32 v52, vcc, 0, v6, vcc
	v_sub_u32_e32 v6, 0, v52
	v_ldexp_f32 v7, v16, v6
	v_add_f32_e32 v16, -1.0, v7
	v_add_f32_e32 v20, 1.0, v7
	v_ldexp_f32 v6, v17, v6
	v_add_f32_e32 v17, 1.0, v16
	v_add_f32_e32 v21, -1.0, v20
	v_sub_f32_e32 v17, v7, v17
	v_sub_f32_e32 v7, v7, v21
	v_add_f32_e32 v17, v6, v17
	v_add_f32_e32 v6, v6, v7
	;; [unrolled: 1-line block ×3, first 2 shown]
	v_rcp_f32_e32 v96, v53
	v_sub_f32_e32 v7, v20, v53
	v_add_f32_e32 v64, v6, v7
	v_add_f32_e32 v7, v16, v17
	v_mul_f32_e32 v98, v7, v96
	v_sub_f32_e32 v6, v16, v7
	v_mul_f32_e32 v16, v53, v98
	v_fma_f32 v20, v98, v53, -v16
	v_fmac_f32_e32 v20, v98, v64
	v_add_f32_e32 v97, v17, v6
	v_add_f32_e32 v6, v16, v20
	v_sub_f32_e32 v17, v7, v6
	v_pk_add_f32 v[22:23], v[6:7], v[16:17] neg_lo:[0,1] neg_hi:[0,1]
	v_mov_b32_e32 v21, v6
	v_pk_add_f32 v[6:7], v[22:23], v[20:21] neg_lo:[0,1] neg_hi:[0,1]
	v_add_f32_e32 v7, v97, v7
	v_add_f32_e32 v6, v6, v7
	;; [unrolled: 1-line block ×3, first 2 shown]
	v_mul_f32_e32 v97, v96, v7
	v_mul_f32_e32 v16, v53, v97
	v_fma_f32 v20, v97, v53, -v16
	v_fmac_f32_e32 v20, v97, v64
	v_sub_f32_e32 v17, v17, v7
	v_add_f32_e32 v53, v6, v17
	v_add_f32_e32 v6, v16, v20
	v_sub_f32_e32 v17, v7, v6
	v_pk_add_f32 v[22:23], v[6:7], v[16:17] neg_lo:[0,1] neg_hi:[0,1]
	v_mov_b32_e32 v21, v6
	v_pk_add_f32 v[6:7], v[22:23], v[20:21] neg_lo:[0,1] neg_hi:[0,1]
	v_add_f32_e32 v7, v53, v7
	v_add_f32_e32 v6, v6, v7
	;; [unrolled: 1-line block ×4, first 2 shown]
	v_sub_f32_e32 v7, v17, v98
	v_mul_f32_e32 v6, v96, v6
	v_sub_f32_e32 v7, v97, v7
	v_add_f32_e32 v6, v7, v6
	v_add_f32_e32 v20, v17, v6
	v_mul_f32_e32 v22, v20, v20
	v_mov_b32_e32 v16, 0x3ecc95a3
	v_fmac_f32_e32 v16, 0x3e9b6dac, v22
	v_mov_b32_e32 v7, 0x3f2aaada
	v_fmac_f32_e32 v7, v22, v16
	v_cvt_f32_i32_e32 v16, v52
	v_sub_f32_e32 v17, v20, v17
	v_sub_f32_e32 v6, v6, v17
	v_ldexp_f32 v23, v6, 1
	v_mul_f32_e32 v17, v20, v22
	v_mov_b32_e32 v6, 0x3f317218
	s_mov_b32 s8, 0x3f317218
	v_pk_mul_f32 v[6:7], v[16:17], v[6:7]
	v_ldexp_f32 v21, v20, 1
	v_fma_f32 v20, v16, s8, -v6
	v_fmac_f32_e32 v20, 0xb102e308, v16
	v_pk_add_f32 v[16:17], v[6:7], v[20:21]
	v_sub_f32_e32 v21, v17, v21
	v_sub_f32_e32 v21, v7, v21
	v_add_f32_e32 v23, v23, v21
	v_mov_b32_e32 v22, v6
	v_pk_add_f32 v[6:7], v[16:17], v[6:7] neg_lo:[0,1] neg_hi:[0,1]
	v_pk_add_f32 v[52:53], v[16:17], v[22:23]
	v_mov_b32_e32 v7, v53
	v_mov_b32_e32 v21, v16
	v_pk_add_f32 v[96:97], v[20:21], v[6:7] neg_lo:[0,1] neg_hi:[0,1]
	v_pk_add_f32 v[6:7], v[20:21], v[6:7]
	v_mov_b32_e32 v20, v7
	v_pk_add_f32 v[98:99], v[20:21], v[16:17] neg_lo:[0,1] neg_hi:[0,1]
	v_mov_b32_e32 v21, v98
	v_pk_add_f32 v[100:101], v[52:53], v[20:21] neg_lo:[0,1] neg_hi:[0,1]
	v_mov_b32_e32 v6, v53
	v_mov_b32_e32 v52, v17
	;; [unrolled: 1-line block ×4, first 2 shown]
	v_pk_add_f32 v[6:7], v[6:7], v[52:53] neg_lo:[0,1] neg_hi:[0,1]
	v_mov_b32_e32 v22, v23
	v_mov_b32_e32 v23, v16
	v_pk_add_f32 v[6:7], v[22:23], v[6:7] neg_lo:[0,1] neg_hi:[0,1]
	v_mov_b32_e32 v100, v96
	v_pk_add_f32 v[16:17], v[100:101], v[6:7]
	v_mov_b32_e32 v22, v17
	v_pk_add_f32 v[22:23], v[16:17], v[22:23]
	v_pk_add_f32 v[20:21], v[20:21], v[22:23]
	v_mov_b32_e32 v17, v20
	v_pk_add_f32 v[52:53], v[16:17], v[96:97] neg_lo:[0,1] neg_hi:[0,1]
	v_mov_b32_e32 v7, v22
	v_sub_f32_e32 v16, v16, v52
	v_pk_add_f32 v[6:7], v[6:7], v[52:53] neg_lo:[0,1] neg_hi:[0,1]
	v_sub_f32_e32 v16, v96, v16
	s_mov_b32 s10, 0x7f800000
	v_add_f32_e32 v6, v6, v16
	s_mov_b32 s8, 0x33800000
	v_add_f32_e32 v6, v6, v7
	v_cmp_eq_f32_e32 vcc, s10, v54
	v_cmp_lt_f32_e64 s[10:11], |v54|, s8
	v_add_f32_e32 v6, v20, v6
	s_or_b64 vcc, vcc, s[10:11]
	v_cndmask_b32_e32 v6, v6, v54, vcc
	v_add_f32_e32 v6, v3, v6
.LBB444_354:
	s_or_b64 exec, exec, s[6:7]
	v_bfe_u32 v3, v6, 16, 1
	v_add3_u32 v3, v6, v3, s9
	v_lshrrev_b32_e32 v3, 16, v3
	v_cmp_o_f32_e32 vcc, v6, v6
	v_cndmask_b32_e32 v52, v2, v3, vcc
	v_lshlrev_b32_e32 v3, 16, v52
	v_max_f32_e32 v2, v3, v3
	v_min_f32_e32 v6, v2, v65
	v_cmp_u_f32_e32 vcc, v3, v3
	v_max_f32_e32 v2, v2, v65
	v_cndmask_b32_e32 v6, v6, v3, vcc
	v_cndmask_b32_e32 v2, v2, v3, vcc
	v_cndmask_b32_e64 v6, v6, v18, s[30:31]
	v_cndmask_b32_e64 v2, v2, v18, s[30:31]
	s_movk_i32 s8, 0x1f8
	v_cmp_neq_f32_e32 vcc, v6, v2
	v_cmp_class_f32_e64 s[6:7], v6, s8
	s_or_b64 s[10:11], vcc, s[6:7]
	s_and_saveexec_b64 s[6:7], s[10:11]
	s_cbranch_execz .LBB444_356
; %bb.355:
	v_sub_f32_e32 v3, v6, v2
	s_mov_b32 s9, 0x3fb8aa3b
	v_mul_f32_e32 v6, 0x3fb8aa3b, v3
	v_fma_f32 v7, v3, s9, -v6
	v_rndne_f32_e32 v16, v6
	v_fmac_f32_e32 v7, 0x32a5705f, v3
	v_sub_f32_e32 v6, v6, v16
	v_add_f32_e32 v6, v6, v7
	v_exp_f32_e32 v6, v6
	v_cvt_i32_f32_e32 v7, v16
	s_mov_b32 s9, 0xc2ce8ed0
	v_cmp_ngt_f32_e32 vcc, s9, v3
	s_mov_b32 s9, 0x42b17218
	v_ldexp_f32 v6, v6, v7
	v_cndmask_b32_e32 v6, 0, v6, vcc
	v_mov_b32_e32 v7, 0x7f800000
	v_cmp_nlt_f32_e32 vcc, s9, v3
	v_cndmask_b32_e32 v53, v7, v6, vcc
	v_add_f32_e32 v3, 1.0, v53
	v_add_f32_e32 v6, -1.0, v3
	v_sub_f32_e32 v7, v6, v3
	v_add_f32_e32 v7, 1.0, v7
	v_sub_f32_e32 v6, v53, v6
	v_add_f32_e32 v16, v6, v7
	v_frexp_mant_f32_e32 v17, v3
	s_mov_b32 s9, 0x3f2aaaab
	v_cvt_f64_f32_e32 v[6:7], v3
	v_frexp_exp_i32_f64_e32 v6, v[6:7]
	v_cmp_gt_f32_e32 vcc, s9, v17
	v_subbrev_co_u32_e32 v18, vcc, 0, v6, vcc
	v_sub_u32_e32 v6, 0, v18
	v_ldexp_f32 v3, v3, v6
	v_ldexp_f32 v6, v16, v6
	v_add_f32_e32 v16, -1.0, v3
	v_add_f32_e32 v7, 1.0, v16
	v_sub_f32_e32 v7, v3, v7
	v_add_f32_e32 v17, v6, v7
	v_add_f32_e32 v7, 1.0, v3
	v_add_f32_e32 v20, -1.0, v7
	v_sub_f32_e32 v3, v3, v20
	v_add_f32_e32 v3, v6, v3
	v_add_f32_e32 v54, v7, v3
	v_rcp_f32_e32 v64, v54
	v_sub_f32_e32 v6, v7, v54
	v_add_f32_e32 v7, v16, v17
	v_add_f32_e32 v3, v3, v6
	v_mul_f32_e32 v96, v7, v64
	v_sub_f32_e32 v6, v16, v7
	v_mul_f32_e32 v16, v54, v96
	v_fma_f32 v20, v96, v54, -v16
	v_fmac_f32_e32 v20, v96, v3
	v_add_f32_e32 v65, v17, v6
	v_add_f32_e32 v6, v16, v20
	v_sub_f32_e32 v17, v7, v6
	v_pk_add_f32 v[22:23], v[6:7], v[16:17] neg_lo:[0,1] neg_hi:[0,1]
	v_mov_b32_e32 v21, v6
	v_pk_add_f32 v[6:7], v[22:23], v[20:21] neg_lo:[0,1] neg_hi:[0,1]
	v_add_f32_e32 v7, v65, v7
	v_add_f32_e32 v6, v6, v7
	v_add_f32_e32 v7, v17, v6
	v_mul_f32_e32 v65, v64, v7
	v_mul_f32_e32 v16, v54, v65
	v_fma_f32 v20, v65, v54, -v16
	v_fmac_f32_e32 v20, v65, v3
	v_sub_f32_e32 v3, v17, v7
	v_add_f32_e32 v3, v6, v3
	v_add_f32_e32 v6, v16, v20
	v_sub_f32_e32 v17, v7, v6
	v_pk_add_f32 v[22:23], v[6:7], v[16:17] neg_lo:[0,1] neg_hi:[0,1]
	v_mov_b32_e32 v21, v6
	v_pk_add_f32 v[6:7], v[22:23], v[20:21] neg_lo:[0,1] neg_hi:[0,1]
	v_add_f32_e32 v3, v3, v7
	v_add_f32_e32 v3, v6, v3
	;; [unrolled: 1-line block ×4, first 2 shown]
	v_sub_f32_e32 v7, v6, v96
	v_mul_f32_e32 v3, v64, v3
	v_sub_f32_e32 v7, v65, v7
	v_add_f32_e32 v3, v7, v3
	v_add_f32_e32 v17, v6, v3
	v_mul_f32_e32 v20, v17, v17
	v_mov_b32_e32 v16, 0x3ecc95a3
	v_fmac_f32_e32 v16, 0x3e9b6dac, v20
	v_mov_b32_e32 v7, 0x3f2aaada
	v_fmac_f32_e32 v7, v20, v16
	v_cvt_f32_i32_e32 v16, v18
	v_sub_f32_e32 v6, v17, v6
	v_sub_f32_e32 v3, v3, v6
	v_ldexp_f32 v21, v17, 1
	v_mul_f32_e32 v17, v17, v20
	v_mov_b32_e32 v6, 0x3f317218
	s_mov_b32 s9, 0x3f317218
	v_pk_mul_f32 v[6:7], v[16:17], v[6:7]
	v_fma_f32 v20, v16, s9, -v6
	v_fmac_f32_e32 v20, 0xb102e308, v16
	v_pk_add_f32 v[16:17], v[6:7], v[20:21]
	v_sub_f32_e32 v18, v17, v21
	v_ldexp_f32 v3, v3, 1
	v_sub_f32_e32 v18, v7, v18
	v_add_f32_e32 v23, v3, v18
	v_mov_b32_e32 v22, v6
	v_pk_add_f32 v[6:7], v[16:17], v[6:7] neg_lo:[0,1] neg_hi:[0,1]
	v_pk_add_f32 v[64:65], v[16:17], v[22:23]
	v_mov_b32_e32 v7, v65
	v_mov_b32_e32 v21, v16
	v_pk_add_f32 v[96:97], v[20:21], v[6:7] neg_lo:[0,1] neg_hi:[0,1]
	v_pk_add_f32 v[6:7], v[20:21], v[6:7]
	v_mov_b32_e32 v18, v7
	v_pk_add_f32 v[20:21], v[18:19], v[16:17] neg_lo:[0,1] neg_hi:[0,1]
	v_mov_b32_e32 v3, v20
	v_pk_add_f32 v[98:99], v[64:65], v[2:3] neg_lo:[0,1] neg_hi:[0,1]
	v_mov_b32_e32 v6, v65
	v_mov_b32_e32 v64, v17
	;; [unrolled: 1-line block ×4, first 2 shown]
	v_pk_add_f32 v[6:7], v[6:7], v[64:65] neg_lo:[0,1] neg_hi:[0,1]
	v_mov_b32_e32 v20, v23
	v_mov_b32_e32 v21, v16
	v_pk_add_f32 v[6:7], v[20:21], v[6:7] neg_lo:[0,1] neg_hi:[0,1]
	v_mov_b32_e32 v98, v96
	v_pk_add_f32 v[16:17], v[98:99], v[6:7]
	v_mov_b32_e32 v20, v17
	v_pk_add_f32 v[20:21], v[16:17], v[20:21]
	v_pk_add_f32 v[22:23], v[18:19], v[20:21]
	v_mov_b32_e32 v17, v22
	v_pk_add_f32 v[64:65], v[16:17], v[96:97] neg_lo:[0,1] neg_hi:[0,1]
	v_mov_b32_e32 v7, v20
	v_sub_f32_e32 v3, v16, v64
	v_pk_add_f32 v[6:7], v[6:7], v[64:65] neg_lo:[0,1] neg_hi:[0,1]
	v_sub_f32_e32 v3, v96, v3
	s_mov_b32 s10, 0x7f800000
	v_add_f32_e32 v3, v6, v3
	s_mov_b32 s9, 0x33800000
	v_add_f32_e32 v3, v3, v7
	v_cmp_eq_f32_e32 vcc, s10, v53
	v_cmp_lt_f32_e64 s[10:11], |v53|, s9
	v_add_f32_e32 v3, v22, v3
	s_or_b64 vcc, vcc, s[10:11]
	v_cndmask_b32_e32 v3, v3, v53, vcc
	v_add_f32_e32 v3, v2, v3
.LBB444_356:
	s_or_b64 exec, exec, s[6:7]
	v_bfe_u32 v2, v3, 16, 1
	s_movk_i32 s9, 0x7fff
	v_add3_u32 v2, v3, v2, s9
	v_lshrrev_b32_e32 v6, 16, v2
	v_mov_b32_e32 v2, 0x7fc0
	v_cmp_o_f32_e32 vcc, v3, v3
	v_cndmask_b32_e32 v53, v2, v6, vcc
	v_lshlrev_b32_e32 v6, 16, v53
	v_max_f32_e32 v3, v6, v6
	v_min_f32_e32 v7, v3, v67
	v_cmp_u_f32_e32 vcc, v6, v6
	v_max_f32_e32 v3, v3, v67
	v_cndmask_b32_e32 v7, v7, v6, vcc
	v_cndmask_b32_e32 v3, v3, v6, vcc
	v_cndmask_b32_e64 v7, v7, v55, s[34:35]
	v_cndmask_b32_e64 v3, v3, v55, s[34:35]
	v_cmp_neq_f32_e32 vcc, v7, v3
	v_cmp_class_f32_e64 s[6:7], v7, s8
	s_or_b64 s[10:11], vcc, s[6:7]
	s_and_saveexec_b64 s[6:7], s[10:11]
	s_cbranch_execz .LBB444_358
; %bb.357:
	v_sub_f32_e32 v6, v7, v3
	s_mov_b32 s8, 0x3fb8aa3b
	v_mul_f32_e32 v7, 0x3fb8aa3b, v6
	v_fma_f32 v16, v6, s8, -v7
	v_rndne_f32_e32 v17, v7
	v_fmac_f32_e32 v16, 0x32a5705f, v6
	v_sub_f32_e32 v7, v7, v17
	v_add_f32_e32 v7, v7, v16
	v_exp_f32_e32 v7, v7
	v_cvt_i32_f32_e32 v16, v17
	s_mov_b32 s8, 0xc2ce8ed0
	v_cmp_ngt_f32_e32 vcc, s8, v6
	s_mov_b32 s8, 0x42b17218
	v_ldexp_f32 v7, v7, v16
	v_cndmask_b32_e32 v7, 0, v7, vcc
	v_mov_b32_e32 v16, 0x7f800000
	v_cmp_nlt_f32_e32 vcc, s8, v6
	v_cndmask_b32_e32 v67, v16, v7, vcc
	v_add_f32_e32 v16, 1.0, v67
	v_add_f32_e32 v6, -1.0, v16
	v_sub_f32_e32 v7, v6, v16
	v_add_f32_e32 v7, 1.0, v7
	v_sub_f32_e32 v6, v67, v6
	v_add_f32_e32 v17, v6, v7
	v_frexp_mant_f32_e32 v18, v16
	s_mov_b32 s8, 0x3f2aaaab
	v_cvt_f64_f32_e32 v[6:7], v16
	v_frexp_exp_i32_f64_e32 v6, v[6:7]
	v_cmp_gt_f32_e32 vcc, s8, v18
	v_subbrev_co_u32_e32 v18, vcc, 0, v6, vcc
	v_sub_u32_e32 v6, 0, v18
	v_ldexp_f32 v7, v16, v6
	v_add_f32_e32 v16, -1.0, v7
	v_add_f32_e32 v20, 1.0, v7
	v_ldexp_f32 v6, v17, v6
	v_add_f32_e32 v17, 1.0, v16
	v_add_f32_e32 v21, -1.0, v20
	v_sub_f32_e32 v17, v7, v17
	v_sub_f32_e32 v7, v7, v21
	v_add_f32_e32 v17, v6, v17
	v_add_f32_e32 v6, v6, v7
	;; [unrolled: 1-line block ×3, first 2 shown]
	v_rcp_f32_e32 v64, v54
	v_sub_f32_e32 v7, v20, v54
	v_add_f32_e32 v55, v6, v7
	v_add_f32_e32 v7, v16, v17
	v_mul_f32_e32 v96, v7, v64
	v_sub_f32_e32 v6, v16, v7
	v_mul_f32_e32 v16, v54, v96
	v_fma_f32 v20, v96, v54, -v16
	v_fmac_f32_e32 v20, v96, v55
	v_add_f32_e32 v65, v17, v6
	v_add_f32_e32 v6, v16, v20
	v_sub_f32_e32 v17, v7, v6
	v_pk_add_f32 v[22:23], v[6:7], v[16:17] neg_lo:[0,1] neg_hi:[0,1]
	v_mov_b32_e32 v21, v6
	v_pk_add_f32 v[6:7], v[22:23], v[20:21] neg_lo:[0,1] neg_hi:[0,1]
	v_add_f32_e32 v7, v65, v7
	v_add_f32_e32 v6, v6, v7
	v_add_f32_e32 v7, v17, v6
	v_mul_f32_e32 v65, v64, v7
	v_mul_f32_e32 v16, v54, v65
	v_fma_f32 v20, v65, v54, -v16
	v_fmac_f32_e32 v20, v65, v55
	v_sub_f32_e32 v17, v17, v7
	v_add_f32_e32 v54, v6, v17
	v_add_f32_e32 v6, v16, v20
	v_sub_f32_e32 v17, v7, v6
	v_pk_add_f32 v[22:23], v[6:7], v[16:17] neg_lo:[0,1] neg_hi:[0,1]
	v_mov_b32_e32 v21, v6
	v_pk_add_f32 v[6:7], v[22:23], v[20:21] neg_lo:[0,1] neg_hi:[0,1]
	v_add_f32_e32 v7, v54, v7
	v_add_f32_e32 v6, v6, v7
	;; [unrolled: 1-line block ×4, first 2 shown]
	v_sub_f32_e32 v7, v17, v96
	v_mul_f32_e32 v6, v64, v6
	v_sub_f32_e32 v7, v65, v7
	v_add_f32_e32 v6, v7, v6
	v_add_f32_e32 v20, v17, v6
	v_mul_f32_e32 v22, v20, v20
	v_mov_b32_e32 v16, 0x3ecc95a3
	v_fmac_f32_e32 v16, 0x3e9b6dac, v22
	v_mov_b32_e32 v7, 0x3f2aaada
	v_fmac_f32_e32 v7, v22, v16
	v_cvt_f32_i32_e32 v16, v18
	v_sub_f32_e32 v17, v20, v17
	v_sub_f32_e32 v6, v6, v17
	v_ldexp_f32 v18, v6, 1
	v_mul_f32_e32 v17, v20, v22
	v_mov_b32_e32 v6, 0x3f317218
	s_mov_b32 s8, 0x3f317218
	v_pk_mul_f32 v[6:7], v[16:17], v[6:7]
	v_ldexp_f32 v21, v20, 1
	v_fma_f32 v20, v16, s8, -v6
	v_fmac_f32_e32 v20, 0xb102e308, v16
	v_pk_add_f32 v[16:17], v[6:7], v[20:21]
	v_sub_f32_e32 v21, v17, v21
	v_sub_f32_e32 v21, v7, v21
	v_add_f32_e32 v23, v18, v21
	v_mov_b32_e32 v22, v6
	v_pk_add_f32 v[6:7], v[16:17], v[6:7] neg_lo:[0,1] neg_hi:[0,1]
	v_pk_add_f32 v[54:55], v[16:17], v[22:23]
	v_mov_b32_e32 v7, v55
	v_mov_b32_e32 v21, v16
	v_pk_add_f32 v[64:65], v[20:21], v[6:7] neg_lo:[0,1] neg_hi:[0,1]
	v_pk_add_f32 v[6:7], v[20:21], v[6:7]
	v_mov_b32_e32 v18, v7
	v_pk_add_f32 v[20:21], v[18:19], v[16:17] neg_lo:[0,1] neg_hi:[0,1]
	v_mov_b32_e32 v21, v20
	v_pk_add_f32 v[96:97], v[54:55], v[20:21] neg_lo:[0,1] neg_hi:[0,1]
	v_mov_b32_e32 v6, v55
	v_mov_b32_e32 v54, v17
	;; [unrolled: 1-line block ×4, first 2 shown]
	v_pk_add_f32 v[6:7], v[6:7], v[54:55] neg_lo:[0,1] neg_hi:[0,1]
	v_mov_b32_e32 v20, v23
	v_mov_b32_e32 v21, v16
	v_pk_add_f32 v[6:7], v[20:21], v[6:7] neg_lo:[0,1] neg_hi:[0,1]
	v_mov_b32_e32 v96, v64
	v_pk_add_f32 v[16:17], v[96:97], v[6:7]
	v_mov_b32_e32 v20, v17
	v_pk_add_f32 v[20:21], v[16:17], v[20:21]
	v_pk_add_f32 v[22:23], v[18:19], v[20:21]
	v_mov_b32_e32 v17, v22
	v_pk_add_f32 v[54:55], v[16:17], v[64:65] neg_lo:[0,1] neg_hi:[0,1]
	v_mov_b32_e32 v7, v20
	v_sub_f32_e32 v16, v16, v54
	v_pk_add_f32 v[6:7], v[6:7], v[54:55] neg_lo:[0,1] neg_hi:[0,1]
	v_sub_f32_e32 v16, v64, v16
	s_mov_b32 s10, 0x7f800000
	v_add_f32_e32 v6, v6, v16
	s_mov_b32 s8, 0x33800000
	v_add_f32_e32 v6, v6, v7
	v_cmp_eq_f32_e32 vcc, s10, v67
	v_cmp_lt_f32_e64 s[10:11], |v67|, s8
	v_add_f32_e32 v6, v22, v6
	s_or_b64 vcc, vcc, s[10:11]
	v_cndmask_b32_e32 v6, v6, v67, vcc
	v_add_f32_e32 v6, v3, v6
.LBB444_358:
	s_or_b64 exec, exec, s[6:7]
	v_bfe_u32 v3, v6, 16, 1
	v_add3_u32 v3, v6, v3, s9
	v_lshrrev_b32_e32 v3, 16, v3
	v_cmp_o_f32_e32 vcc, v6, v6
	v_cndmask_b32_e32 v54, v2, v3, vcc
	v_lshlrev_b32_e32 v3, 16, v54
	v_max_f32_e32 v2, v3, v3
	v_min_f32_e32 v6, v2, v68
	v_cmp_u_f32_e32 vcc, v3, v3
	v_max_f32_e32 v2, v2, v68
	v_cndmask_b32_e32 v6, v6, v3, vcc
	v_cndmask_b32_e32 v2, v2, v3, vcc
	v_cndmask_b32_e64 v6, v6, v19, s[36:37]
	v_cndmask_b32_e64 v2, v2, v19, s[36:37]
	s_movk_i32 s8, 0x1f8
	v_cmp_neq_f32_e32 vcc, v6, v2
	v_cmp_class_f32_e64 s[6:7], v6, s8
	s_or_b64 s[10:11], vcc, s[6:7]
	s_and_saveexec_b64 s[6:7], s[10:11]
	s_cbranch_execz .LBB444_360
; %bb.359:
	v_sub_f32_e32 v3, v6, v2
	s_mov_b32 s9, 0x3fb8aa3b
	v_mul_f32_e32 v6, 0x3fb8aa3b, v3
	v_fma_f32 v7, v3, s9, -v6
	v_rndne_f32_e32 v16, v6
	v_fmac_f32_e32 v7, 0x32a5705f, v3
	v_sub_f32_e32 v6, v6, v16
	v_add_f32_e32 v6, v6, v7
	v_exp_f32_e32 v6, v6
	v_cvt_i32_f32_e32 v7, v16
	s_mov_b32 s9, 0xc2ce8ed0
	v_cmp_ngt_f32_e32 vcc, s9, v3
	s_mov_b32 s9, 0x42b17218
	v_ldexp_f32 v6, v6, v7
	v_cndmask_b32_e32 v6, 0, v6, vcc
	v_mov_b32_e32 v7, 0x7f800000
	v_cmp_nlt_f32_e32 vcc, s9, v3
	v_cndmask_b32_e32 v55, v7, v6, vcc
	v_add_f32_e32 v3, 1.0, v55
	v_add_f32_e32 v6, -1.0, v3
	v_sub_f32_e32 v7, v6, v3
	v_add_f32_e32 v7, 1.0, v7
	v_sub_f32_e32 v6, v55, v6
	v_add_f32_e32 v16, v6, v7
	v_frexp_mant_f32_e32 v17, v3
	s_mov_b32 s9, 0x3f2aaaab
	v_cvt_f64_f32_e32 v[6:7], v3
	v_frexp_exp_i32_f64_e32 v6, v[6:7]
	v_cmp_gt_f32_e32 vcc, s9, v17
	v_subbrev_co_u32_e32 v22, vcc, 0, v6, vcc
	v_sub_u32_e32 v6, 0, v22
	v_ldexp_f32 v3, v3, v6
	v_ldexp_f32 v6, v16, v6
	v_add_f32_e32 v16, -1.0, v3
	v_add_f32_e32 v7, 1.0, v16
	v_sub_f32_e32 v7, v3, v7
	v_add_f32_e32 v17, v6, v7
	v_add_f32_e32 v7, 1.0, v3
	v_add_f32_e32 v18, -1.0, v7
	v_sub_f32_e32 v3, v3, v18
	v_add_f32_e32 v3, v6, v3
	v_add_f32_e32 v23, v7, v3
	v_rcp_f32_e32 v64, v23
	v_sub_f32_e32 v6, v7, v23
	v_add_f32_e32 v7, v16, v17
	v_add_f32_e32 v3, v3, v6
	v_mul_f32_e32 v67, v7, v64
	v_sub_f32_e32 v6, v16, v7
	v_mul_f32_e32 v16, v23, v67
	v_fma_f32 v18, v67, v23, -v16
	v_fmac_f32_e32 v18, v67, v3
	v_add_f32_e32 v65, v17, v6
	v_add_f32_e32 v6, v16, v18
	v_sub_f32_e32 v17, v7, v6
	v_pk_add_f32 v[20:21], v[6:7], v[16:17] neg_lo:[0,1] neg_hi:[0,1]
	v_mov_b32_e32 v19, v6
	v_pk_add_f32 v[6:7], v[20:21], v[18:19] neg_lo:[0,1] neg_hi:[0,1]
	v_add_f32_e32 v7, v65, v7
	v_add_f32_e32 v6, v6, v7
	;; [unrolled: 1-line block ×3, first 2 shown]
	v_mul_f32_e32 v65, v64, v7
	v_mul_f32_e32 v16, v23, v65
	v_fma_f32 v18, v65, v23, -v16
	v_fmac_f32_e32 v18, v65, v3
	v_sub_f32_e32 v3, v17, v7
	v_add_f32_e32 v3, v6, v3
	v_add_f32_e32 v6, v16, v18
	v_sub_f32_e32 v17, v7, v6
	v_pk_add_f32 v[20:21], v[6:7], v[16:17] neg_lo:[0,1] neg_hi:[0,1]
	v_mov_b32_e32 v19, v6
	v_pk_add_f32 v[6:7], v[20:21], v[18:19] neg_lo:[0,1] neg_hi:[0,1]
	v_add_f32_e32 v3, v3, v7
	v_add_f32_e32 v3, v6, v3
	v_add_f32_e32 v6, v67, v65
	v_add_f32_e32 v3, v17, v3
	v_sub_f32_e32 v7, v6, v67
	v_mul_f32_e32 v3, v64, v3
	v_sub_f32_e32 v7, v65, v7
	v_add_f32_e32 v3, v7, v3
	v_add_f32_e32 v17, v6, v3
	v_mul_f32_e32 v18, v17, v17
	v_mov_b32_e32 v16, 0x3ecc95a3
	v_fmac_f32_e32 v16, 0x3e9b6dac, v18
	v_mov_b32_e32 v7, 0x3f2aaada
	v_fmac_f32_e32 v7, v18, v16
	v_cvt_f32_i32_e32 v16, v22
	v_sub_f32_e32 v6, v17, v6
	v_sub_f32_e32 v3, v3, v6
	v_ldexp_f32 v19, v17, 1
	v_mul_f32_e32 v17, v17, v18
	v_mov_b32_e32 v6, 0x3f317218
	s_mov_b32 s9, 0x3f317218
	v_pk_mul_f32 v[6:7], v[16:17], v[6:7]
	v_fma_f32 v18, v16, s9, -v6
	v_fmac_f32_e32 v18, 0xb102e308, v16
	v_pk_add_f32 v[16:17], v[6:7], v[18:19]
	v_sub_f32_e32 v19, v17, v19
	v_ldexp_f32 v3, v3, 1
	v_sub_f32_e32 v19, v7, v19
	v_add_f32_e32 v21, v3, v19
	v_mov_b32_e32 v20, v6
	v_pk_add_f32 v[6:7], v[16:17], v[6:7] neg_lo:[0,1] neg_hi:[0,1]
	v_pk_add_f32 v[22:23], v[16:17], v[20:21]
	v_mov_b32_e32 v7, v23
	v_mov_b32_e32 v19, v16
	v_pk_add_f32 v[64:65], v[18:19], v[6:7] neg_lo:[0,1] neg_hi:[0,1]
	v_pk_add_f32 v[6:7], v[18:19], v[6:7]
	v_mov_b32_e32 v18, v7
	v_pk_add_f32 v[96:97], v[18:19], v[16:17] neg_lo:[0,1] neg_hi:[0,1]
	v_mov_b32_e32 v3, v96
	v_pk_add_f32 v[98:99], v[22:23], v[2:3] neg_lo:[0,1] neg_hi:[0,1]
	v_mov_b32_e32 v6, v23
	v_mov_b32_e32 v22, v17
	;; [unrolled: 1-line block ×4, first 2 shown]
	v_pk_add_f32 v[6:7], v[6:7], v[22:23] neg_lo:[0,1] neg_hi:[0,1]
	v_mov_b32_e32 v20, v21
	v_mov_b32_e32 v21, v16
	v_pk_add_f32 v[6:7], v[20:21], v[6:7] neg_lo:[0,1] neg_hi:[0,1]
	v_mov_b32_e32 v98, v64
	v_pk_add_f32 v[16:17], v[98:99], v[6:7]
	v_mov_b32_e32 v20, v17
	v_pk_add_f32 v[20:21], v[16:17], v[20:21]
	v_pk_add_f32 v[18:19], v[18:19], v[20:21]
	v_mov_b32_e32 v17, v18
	v_pk_add_f32 v[22:23], v[16:17], v[64:65] neg_lo:[0,1] neg_hi:[0,1]
	v_mov_b32_e32 v7, v20
	v_sub_f32_e32 v3, v16, v22
	v_pk_add_f32 v[6:7], v[6:7], v[22:23] neg_lo:[0,1] neg_hi:[0,1]
	v_sub_f32_e32 v3, v64, v3
	s_mov_b32 s10, 0x7f800000
	v_add_f32_e32 v3, v6, v3
	s_mov_b32 s9, 0x33800000
	v_add_f32_e32 v3, v3, v7
	v_cmp_eq_f32_e32 vcc, s10, v55
	v_cmp_lt_f32_e64 s[10:11], |v55|, s9
	v_add_f32_e32 v3, v18, v3
	s_or_b64 vcc, vcc, s[10:11]
	v_cndmask_b32_e32 v3, v3, v55, vcc
	v_add_f32_e32 v3, v2, v3
.LBB444_360:
	s_or_b64 exec, exec, s[6:7]
	v_bfe_u32 v2, v3, 16, 1
	s_movk_i32 s9, 0x7fff
	v_add3_u32 v2, v3, v2, s9
	v_lshrrev_b32_e32 v6, 16, v2
	v_mov_b32_e32 v2, 0x7fc0
	v_cmp_o_f32_e32 vcc, v3, v3
	v_cndmask_b32_e32 v55, v2, v6, vcc
	v_lshlrev_b32_e32 v6, 16, v55
	v_max_f32_e32 v3, v6, v6
	v_min_f32_e32 v7, v3, v70
	v_cmp_u_f32_e32 vcc, v6, v6
	v_max_f32_e32 v3, v3, v70
	v_cndmask_b32_e32 v7, v7, v6, vcc
	v_cndmask_b32_e32 v3, v3, v6, vcc
	v_cndmask_b32_e64 v7, v7, v66, s[38:39]
	v_cndmask_b32_e64 v3, v3, v66, s[38:39]
	v_cmp_neq_f32_e32 vcc, v7, v3
	v_cmp_class_f32_e64 s[6:7], v7, s8
	s_or_b64 s[10:11], vcc, s[6:7]
	s_and_saveexec_b64 s[6:7], s[10:11]
	s_cbranch_execz .LBB444_362
; %bb.361:
	v_sub_f32_e32 v6, v7, v3
	s_mov_b32 s8, 0x3fb8aa3b
	v_mul_f32_e32 v7, 0x3fb8aa3b, v6
	v_fma_f32 v16, v6, s8, -v7
	v_rndne_f32_e32 v17, v7
	v_fmac_f32_e32 v16, 0x32a5705f, v6
	v_sub_f32_e32 v7, v7, v17
	v_add_f32_e32 v7, v7, v16
	v_exp_f32_e32 v7, v7
	v_cvt_i32_f32_e32 v16, v17
	s_mov_b32 s8, 0xc2ce8ed0
	v_cmp_ngt_f32_e32 vcc, s8, v6
	s_mov_b32 s8, 0x42b17218
	v_ldexp_f32 v7, v7, v16
	v_cndmask_b32_e32 v7, 0, v7, vcc
	v_mov_b32_e32 v16, 0x7f800000
	v_cmp_nlt_f32_e32 vcc, s8, v6
	v_cndmask_b32_e32 v68, v16, v7, vcc
	v_add_f32_e32 v16, 1.0, v68
	v_add_f32_e32 v6, -1.0, v16
	v_sub_f32_e32 v7, v6, v16
	v_add_f32_e32 v7, 1.0, v7
	v_sub_f32_e32 v6, v68, v6
	v_add_f32_e32 v17, v6, v7
	v_frexp_mant_f32_e32 v18, v16
	s_mov_b32 s8, 0x3f2aaaab
	v_cvt_f64_f32_e32 v[6:7], v16
	v_frexp_exp_i32_f64_e32 v6, v[6:7]
	v_cmp_gt_f32_e32 vcc, s8, v18
	v_subbrev_co_u32_e32 v22, vcc, 0, v6, vcc
	v_sub_u32_e32 v6, 0, v22
	v_ldexp_f32 v7, v16, v6
	v_add_f32_e32 v16, -1.0, v7
	v_add_f32_e32 v18, 1.0, v7
	v_ldexp_f32 v6, v17, v6
	v_add_f32_e32 v17, 1.0, v16
	v_add_f32_e32 v19, -1.0, v18
	v_sub_f32_e32 v17, v7, v17
	v_sub_f32_e32 v7, v7, v19
	v_add_f32_e32 v17, v6, v17
	v_add_f32_e32 v6, v6, v7
	;; [unrolled: 1-line block ×3, first 2 shown]
	v_rcp_f32_e32 v65, v23
	v_sub_f32_e32 v7, v18, v23
	v_add_f32_e32 v64, v6, v7
	v_add_f32_e32 v7, v16, v17
	v_mul_f32_e32 v67, v7, v65
	v_sub_f32_e32 v6, v16, v7
	v_mul_f32_e32 v16, v23, v67
	v_fma_f32 v18, v67, v23, -v16
	v_fmac_f32_e32 v18, v67, v64
	v_add_f32_e32 v66, v17, v6
	v_add_f32_e32 v6, v16, v18
	v_sub_f32_e32 v17, v7, v6
	v_pk_add_f32 v[20:21], v[6:7], v[16:17] neg_lo:[0,1] neg_hi:[0,1]
	v_mov_b32_e32 v19, v6
	v_pk_add_f32 v[6:7], v[20:21], v[18:19] neg_lo:[0,1] neg_hi:[0,1]
	v_add_f32_e32 v7, v66, v7
	v_add_f32_e32 v6, v6, v7
	;; [unrolled: 1-line block ×3, first 2 shown]
	v_mul_f32_e32 v66, v65, v7
	v_mul_f32_e32 v16, v23, v66
	v_fma_f32 v18, v66, v23, -v16
	v_fmac_f32_e32 v18, v66, v64
	v_sub_f32_e32 v17, v17, v7
	v_add_f32_e32 v23, v6, v17
	v_add_f32_e32 v6, v16, v18
	v_sub_f32_e32 v17, v7, v6
	v_pk_add_f32 v[20:21], v[6:7], v[16:17] neg_lo:[0,1] neg_hi:[0,1]
	v_mov_b32_e32 v19, v6
	v_pk_add_f32 v[6:7], v[20:21], v[18:19] neg_lo:[0,1] neg_hi:[0,1]
	v_add_f32_e32 v7, v23, v7
	v_add_f32_e32 v6, v6, v7
	v_add_f32_e32 v6, v17, v6
	v_add_f32_e32 v17, v67, v66
	v_sub_f32_e32 v7, v17, v67
	v_mul_f32_e32 v6, v65, v6
	v_sub_f32_e32 v7, v66, v7
	v_add_f32_e32 v6, v7, v6
	v_add_f32_e32 v18, v17, v6
	v_mul_f32_e32 v20, v18, v18
	v_mov_b32_e32 v16, 0x3ecc95a3
	v_fmac_f32_e32 v16, 0x3e9b6dac, v20
	v_mov_b32_e32 v7, 0x3f2aaada
	v_fmac_f32_e32 v7, v20, v16
	v_cvt_f32_i32_e32 v16, v22
	v_sub_f32_e32 v17, v18, v17
	v_sub_f32_e32 v6, v6, v17
	v_ldexp_f32 v21, v6, 1
	v_mul_f32_e32 v17, v18, v20
	v_mov_b32_e32 v6, 0x3f317218
	s_mov_b32 s8, 0x3f317218
	v_pk_mul_f32 v[6:7], v[16:17], v[6:7]
	v_ldexp_f32 v19, v18, 1
	v_fma_f32 v18, v16, s8, -v6
	v_fmac_f32_e32 v18, 0xb102e308, v16
	v_pk_add_f32 v[16:17], v[6:7], v[18:19]
	v_sub_f32_e32 v19, v17, v19
	v_sub_f32_e32 v19, v7, v19
	v_add_f32_e32 v21, v21, v19
	v_mov_b32_e32 v20, v6
	v_pk_add_f32 v[6:7], v[16:17], v[6:7] neg_lo:[0,1] neg_hi:[0,1]
	v_pk_add_f32 v[22:23], v[16:17], v[20:21]
	v_mov_b32_e32 v7, v23
	v_mov_b32_e32 v19, v16
	v_pk_add_f32 v[64:65], v[18:19], v[6:7] neg_lo:[0,1] neg_hi:[0,1]
	v_pk_add_f32 v[6:7], v[18:19], v[6:7]
	v_mov_b32_e32 v18, v7
	v_pk_add_f32 v[66:67], v[18:19], v[16:17] neg_lo:[0,1] neg_hi:[0,1]
	v_mov_b32_e32 v19, v66
	v_pk_add_f32 v[96:97], v[22:23], v[18:19] neg_lo:[0,1] neg_hi:[0,1]
	v_mov_b32_e32 v6, v23
	v_mov_b32_e32 v22, v17
	;; [unrolled: 1-line block ×4, first 2 shown]
	v_pk_add_f32 v[6:7], v[6:7], v[22:23] neg_lo:[0,1] neg_hi:[0,1]
	v_mov_b32_e32 v20, v21
	v_mov_b32_e32 v21, v16
	v_pk_add_f32 v[6:7], v[20:21], v[6:7] neg_lo:[0,1] neg_hi:[0,1]
	v_mov_b32_e32 v96, v64
	v_pk_add_f32 v[16:17], v[96:97], v[6:7]
	v_mov_b32_e32 v20, v17
	v_pk_add_f32 v[20:21], v[16:17], v[20:21]
	v_pk_add_f32 v[18:19], v[18:19], v[20:21]
	v_mov_b32_e32 v17, v18
	v_pk_add_f32 v[22:23], v[16:17], v[64:65] neg_lo:[0,1] neg_hi:[0,1]
	v_mov_b32_e32 v7, v20
	v_sub_f32_e32 v16, v16, v22
	v_pk_add_f32 v[6:7], v[6:7], v[22:23] neg_lo:[0,1] neg_hi:[0,1]
	v_sub_f32_e32 v16, v64, v16
	s_mov_b32 s10, 0x7f800000
	v_add_f32_e32 v6, v6, v16
	s_mov_b32 s8, 0x33800000
	v_add_f32_e32 v6, v6, v7
	v_cmp_eq_f32_e32 vcc, s10, v68
	v_cmp_lt_f32_e64 s[10:11], |v68|, s8
	v_add_f32_e32 v6, v18, v6
	s_or_b64 vcc, vcc, s[10:11]
	v_cndmask_b32_e32 v6, v6, v68, vcc
	v_add_f32_e32 v6, v3, v6
.LBB444_362:
	s_or_b64 exec, exec, s[6:7]
	v_bfe_u32 v3, v6, 16, 1
	v_add3_u32 v3, v6, v3, s9
	v_lshrrev_b32_e32 v3, 16, v3
	v_cmp_o_f32_e32 vcc, v6, v6
	v_cndmask_b32_e32 v64, v2, v3, vcc
	v_lshlrev_b32_e32 v3, 16, v64
	v_max_f32_e32 v2, v3, v3
	v_min_f32_e32 v6, v2, v71
	v_cmp_u_f32_e32 vcc, v3, v3
	v_max_f32_e32 v2, v2, v71
	v_cndmask_b32_e32 v6, v6, v3, vcc
	v_cndmask_b32_e32 v2, v2, v3, vcc
	v_cndmask_b32_e64 v6, v6, v12, s[40:41]
	v_cndmask_b32_e64 v2, v2, v12, s[40:41]
	s_movk_i32 s8, 0x1f8
	v_cmp_neq_f32_e32 vcc, v6, v2
	v_cmp_class_f32_e64 s[6:7], v6, s8
	s_or_b64 s[10:11], vcc, s[6:7]
	s_and_saveexec_b64 s[6:7], s[10:11]
	s_cbranch_execz .LBB444_364
; %bb.363:
	v_sub_f32_e32 v3, v6, v2
	s_mov_b32 s9, 0x3fb8aa3b
	v_mul_f32_e32 v6, 0x3fb8aa3b, v3
	v_fma_f32 v7, v3, s9, -v6
	v_rndne_f32_e32 v12, v6
	v_fmac_f32_e32 v7, 0x32a5705f, v3
	v_sub_f32_e32 v6, v6, v12
	v_add_f32_e32 v6, v6, v7
	v_exp_f32_e32 v6, v6
	v_cvt_i32_f32_e32 v7, v12
	s_mov_b32 s9, 0xc2ce8ed0
	v_cmp_ngt_f32_e32 vcc, s9, v3
	s_mov_b32 s9, 0x42b17218
	v_ldexp_f32 v6, v6, v7
	v_cndmask_b32_e32 v6, 0, v6, vcc
	v_mov_b32_e32 v7, 0x7f800000
	v_cmp_nlt_f32_e32 vcc, s9, v3
	v_cndmask_b32_e32 v65, v7, v6, vcc
	v_add_f32_e32 v3, 1.0, v65
	v_add_f32_e32 v6, -1.0, v3
	v_sub_f32_e32 v7, v6, v3
	v_add_f32_e32 v7, 1.0, v7
	v_sub_f32_e32 v6, v65, v6
	v_add_f32_e32 v12, v6, v7
	v_frexp_mant_f32_e32 v16, v3
	s_mov_b32 s9, 0x3f2aaaab
	v_cvt_f64_f32_e32 v[6:7], v3
	v_frexp_exp_i32_f64_e32 v6, v[6:7]
	v_cmp_gt_f32_e32 vcc, s9, v16
	v_subbrev_co_u32_e32 v22, vcc, 0, v6, vcc
	v_sub_u32_e32 v6, 0, v22
	v_ldexp_f32 v3, v3, v6
	v_ldexp_f32 v6, v12, v6
	v_add_f32_e32 v12, -1.0, v3
	v_add_f32_e32 v7, 1.0, v12
	v_sub_f32_e32 v7, v3, v7
	v_add_f32_e32 v16, v6, v7
	v_add_f32_e32 v7, 1.0, v3
	v_add_f32_e32 v17, -1.0, v7
	v_sub_f32_e32 v3, v3, v17
	v_add_f32_e32 v3, v6, v3
	v_add_f32_e32 v23, v7, v3
	v_rcp_f32_e32 v66, v23
	v_sub_f32_e32 v6, v7, v23
	v_add_f32_e32 v7, v12, v16
	v_add_f32_e32 v3, v3, v6
	v_sub_f32_e32 v6, v12, v7
	v_mul_f32_e32 v67, v7, v66
	v_add_f32_e32 v12, v16, v6
	v_mul_f32_e32 v16, v23, v67
	v_fma_f32 v18, v67, v23, -v16
	v_fmac_f32_e32 v18, v67, v3
	v_add_f32_e32 v6, v16, v18
	v_sub_f32_e32 v17, v7, v6
	v_pk_add_f32 v[20:21], v[6:7], v[16:17] neg_lo:[0,1] neg_hi:[0,1]
	v_mov_b32_e32 v19, v6
	v_pk_add_f32 v[6:7], v[20:21], v[18:19] neg_lo:[0,1] neg_hi:[0,1]
	v_add_f32_e32 v7, v12, v7
	v_add_f32_e32 v6, v6, v7
	;; [unrolled: 1-line block ×3, first 2 shown]
	v_mul_f32_e32 v12, v66, v7
	v_mul_f32_e32 v16, v23, v12
	v_fma_f32 v18, v12, v23, -v16
	v_fmac_f32_e32 v18, v12, v3
	v_sub_f32_e32 v3, v17, v7
	v_add_f32_e32 v3, v6, v3
	v_add_f32_e32 v6, v16, v18
	v_sub_f32_e32 v17, v7, v6
	v_pk_add_f32 v[20:21], v[6:7], v[16:17] neg_lo:[0,1] neg_hi:[0,1]
	v_mov_b32_e32 v19, v6
	v_pk_add_f32 v[6:7], v[20:21], v[18:19] neg_lo:[0,1] neg_hi:[0,1]
	v_add_f32_e32 v3, v3, v7
	v_add_f32_e32 v3, v6, v3
	;; [unrolled: 1-line block ×4, first 2 shown]
	v_sub_f32_e32 v7, v6, v67
	v_mul_f32_e32 v3, v66, v3
	v_sub_f32_e32 v7, v12, v7
	v_add_f32_e32 v3, v7, v3
	v_add_f32_e32 v12, v6, v3
	v_mul_f32_e32 v17, v12, v12
	v_mov_b32_e32 v16, 0x3ecc95a3
	v_fmac_f32_e32 v16, 0x3e9b6dac, v17
	v_mov_b32_e32 v7, 0x3f2aaada
	v_fmac_f32_e32 v7, v17, v16
	v_cvt_f32_i32_e32 v16, v22
	v_sub_f32_e32 v6, v12, v6
	v_sub_f32_e32 v3, v3, v6
	v_mul_f32_e32 v17, v12, v17
	v_mov_b32_e32 v6, 0x3f317218
	s_mov_b32 s9, 0x3f317218
	v_pk_mul_f32 v[6:7], v[16:17], v[6:7]
	v_fma_f32 v18, v16, s9, -v6
	v_ldexp_f32 v19, v12, 1
	v_fmac_f32_e32 v18, 0xb102e308, v16
	v_pk_add_f32 v[16:17], v[6:7], v[18:19]
	v_sub_f32_e32 v12, v17, v19
	v_ldexp_f32 v3, v3, 1
	v_sub_f32_e32 v12, v7, v12
	v_add_f32_e32 v21, v3, v12
	v_mov_b32_e32 v20, v6
	v_pk_add_f32 v[6:7], v[16:17], v[6:7] neg_lo:[0,1] neg_hi:[0,1]
	v_pk_add_f32 v[22:23], v[16:17], v[20:21]
	v_mov_b32_e32 v7, v23
	v_mov_b32_e32 v19, v16
	v_pk_add_f32 v[66:67], v[18:19], v[6:7] neg_lo:[0,1] neg_hi:[0,1]
	v_pk_add_f32 v[6:7], v[18:19], v[6:7]
	v_mov_b32_e32 v12, v7
	v_pk_add_f32 v[18:19], v[12:13], v[16:17] neg_lo:[0,1] neg_hi:[0,1]
	v_mov_b32_e32 v3, v18
	v_pk_add_f32 v[70:71], v[22:23], v[2:3] neg_lo:[0,1] neg_hi:[0,1]
	v_mov_b32_e32 v6, v23
	v_mov_b32_e32 v22, v17
	;; [unrolled: 1-line block ×4, first 2 shown]
	v_pk_add_f32 v[6:7], v[6:7], v[22:23] neg_lo:[0,1] neg_hi:[0,1]
	v_mov_b32_e32 v18, v21
	v_mov_b32_e32 v19, v16
	v_pk_add_f32 v[6:7], v[18:19], v[6:7] neg_lo:[0,1] neg_hi:[0,1]
	v_mov_b32_e32 v70, v66
	v_pk_add_f32 v[16:17], v[70:71], v[6:7]
	v_mov_b32_e32 v18, v17
	v_pk_add_f32 v[18:19], v[16:17], v[18:19]
	v_pk_add_f32 v[20:21], v[12:13], v[18:19]
	v_mov_b32_e32 v17, v20
	v_pk_add_f32 v[22:23], v[16:17], v[66:67] neg_lo:[0,1] neg_hi:[0,1]
	v_mov_b32_e32 v7, v18
	v_sub_f32_e32 v3, v16, v22
	v_pk_add_f32 v[6:7], v[6:7], v[22:23] neg_lo:[0,1] neg_hi:[0,1]
	v_sub_f32_e32 v3, v66, v3
	s_mov_b32 s10, 0x7f800000
	v_add_f32_e32 v3, v6, v3
	s_mov_b32 s9, 0x33800000
	v_add_f32_e32 v3, v3, v7
	v_cmp_eq_f32_e32 vcc, s10, v65
	v_cmp_lt_f32_e64 s[10:11], |v65|, s9
	v_add_f32_e32 v3, v20, v3
	s_or_b64 vcc, vcc, s[10:11]
	v_cndmask_b32_e32 v3, v3, v65, vcc
	v_add_f32_e32 v3, v2, v3
.LBB444_364:
	s_or_b64 exec, exec, s[6:7]
	v_bfe_u32 v2, v3, 16, 1
	s_movk_i32 s9, 0x7fff
	v_add3_u32 v2, v3, v2, s9
	v_lshrrev_b32_e32 v6, 16, v2
	v_mov_b32_e32 v2, 0x7fc0
	v_cmp_o_f32_e32 vcc, v3, v3
	v_cndmask_b32_e32 v65, v2, v6, vcc
	v_lshlrev_b32_e32 v6, 16, v65
	v_max_f32_e32 v3, v6, v6
	v_min_f32_e32 v7, v3, v81
	v_cmp_u_f32_e32 vcc, v6, v6
	v_max_f32_e32 v3, v3, v81
	v_cndmask_b32_e32 v7, v7, v6, vcc
	v_cndmask_b32_e32 v3, v3, v6, vcc
	v_cndmask_b32_e64 v7, v7, v69, s[42:43]
	v_cndmask_b32_e64 v3, v3, v69, s[42:43]
	v_cmp_neq_f32_e32 vcc, v7, v3
	v_cmp_class_f32_e64 s[6:7], v7, s8
	s_or_b64 s[10:11], vcc, s[6:7]
	s_and_saveexec_b64 s[6:7], s[10:11]
	s_cbranch_execz .LBB444_366
; %bb.365:
	v_sub_f32_e32 v6, v7, v3
	s_mov_b32 s8, 0x3fb8aa3b
	v_mul_f32_e32 v7, 0x3fb8aa3b, v6
	v_fma_f32 v12, v6, s8, -v7
	v_rndne_f32_e32 v16, v7
	v_fmac_f32_e32 v12, 0x32a5705f, v6
	v_sub_f32_e32 v7, v7, v16
	v_add_f32_e32 v7, v7, v12
	v_exp_f32_e32 v7, v7
	v_cvt_i32_f32_e32 v12, v16
	s_mov_b32 s8, 0xc2ce8ed0
	v_cmp_ngt_f32_e32 vcc, s8, v6
	s_mov_b32 s8, 0x42b17218
	v_ldexp_f32 v7, v7, v12
	v_cndmask_b32_e32 v7, 0, v7, vcc
	v_mov_b32_e32 v12, 0x7f800000
	v_cmp_nlt_f32_e32 vcc, s8, v6
	v_cndmask_b32_e32 v70, v12, v7, vcc
	v_add_f32_e32 v12, 1.0, v70
	v_add_f32_e32 v6, -1.0, v12
	v_sub_f32_e32 v7, v6, v12
	v_add_f32_e32 v7, 1.0, v7
	v_sub_f32_e32 v6, v70, v6
	v_add_f32_e32 v16, v6, v7
	v_frexp_mant_f32_e32 v17, v12
	s_mov_b32 s8, 0x3f2aaaab
	v_cvt_f64_f32_e32 v[6:7], v12
	v_frexp_exp_i32_f64_e32 v6, v[6:7]
	v_cmp_gt_f32_e32 vcc, s8, v17
	v_subbrev_co_u32_e32 v22, vcc, 0, v6, vcc
	v_sub_u32_e32 v6, 0, v22
	v_ldexp_f32 v7, v12, v6
	v_add_f32_e32 v12, -1.0, v7
	v_add_f32_e32 v17, 1.0, v7
	v_ldexp_f32 v6, v16, v6
	v_add_f32_e32 v16, 1.0, v12
	v_add_f32_e32 v18, -1.0, v17
	v_sub_f32_e32 v16, v7, v16
	v_sub_f32_e32 v7, v7, v18
	v_add_f32_e32 v16, v6, v16
	v_add_f32_e32 v6, v6, v7
	;; [unrolled: 1-line block ×3, first 2 shown]
	v_rcp_f32_e32 v67, v23
	v_sub_f32_e32 v7, v17, v23
	v_add_f32_e32 v66, v6, v7
	v_add_f32_e32 v7, v12, v16
	v_sub_f32_e32 v6, v12, v7
	v_mul_f32_e32 v68, v7, v67
	v_add_f32_e32 v12, v16, v6
	v_mul_f32_e32 v16, v23, v68
	v_fma_f32 v18, v68, v23, -v16
	v_fmac_f32_e32 v18, v68, v66
	v_add_f32_e32 v6, v16, v18
	v_sub_f32_e32 v17, v7, v6
	v_pk_add_f32 v[20:21], v[6:7], v[16:17] neg_lo:[0,1] neg_hi:[0,1]
	v_mov_b32_e32 v19, v6
	v_pk_add_f32 v[6:7], v[20:21], v[18:19] neg_lo:[0,1] neg_hi:[0,1]
	v_add_f32_e32 v7, v12, v7
	v_add_f32_e32 v6, v6, v7
	;; [unrolled: 1-line block ×3, first 2 shown]
	v_mul_f32_e32 v12, v67, v7
	v_mul_f32_e32 v16, v23, v12
	v_fma_f32 v18, v12, v23, -v16
	v_fmac_f32_e32 v18, v12, v66
	v_sub_f32_e32 v17, v17, v7
	v_add_f32_e32 v23, v6, v17
	v_add_f32_e32 v6, v16, v18
	v_sub_f32_e32 v17, v7, v6
	v_pk_add_f32 v[20:21], v[6:7], v[16:17] neg_lo:[0,1] neg_hi:[0,1]
	v_mov_b32_e32 v19, v6
	v_pk_add_f32 v[6:7], v[20:21], v[18:19] neg_lo:[0,1] neg_hi:[0,1]
	v_add_f32_e32 v7, v23, v7
	v_add_f32_e32 v6, v6, v7
	;; [unrolled: 1-line block ×4, first 2 shown]
	v_sub_f32_e32 v7, v17, v68
	v_mul_f32_e32 v6, v67, v6
	v_sub_f32_e32 v7, v12, v7
	v_add_f32_e32 v6, v7, v6
	v_add_f32_e32 v12, v17, v6
	v_mul_f32_e32 v18, v12, v12
	v_mov_b32_e32 v16, 0x3ecc95a3
	v_fmac_f32_e32 v16, 0x3e9b6dac, v18
	v_mov_b32_e32 v7, 0x3f2aaada
	v_fmac_f32_e32 v7, v18, v16
	v_cvt_f32_i32_e32 v16, v22
	v_sub_f32_e32 v17, v12, v17
	v_sub_f32_e32 v6, v6, v17
	v_ldexp_f32 v20, v6, 1
	v_mul_f32_e32 v17, v12, v18
	v_mov_b32_e32 v6, 0x3f317218
	s_mov_b32 s8, 0x3f317218
	v_pk_mul_f32 v[6:7], v[16:17], v[6:7]
	v_fma_f32 v18, v16, s8, -v6
	v_ldexp_f32 v19, v12, 1
	v_fmac_f32_e32 v18, 0xb102e308, v16
	v_pk_add_f32 v[16:17], v[6:7], v[18:19]
	v_sub_f32_e32 v12, v17, v19
	v_sub_f32_e32 v12, v7, v12
	v_add_f32_e32 v21, v20, v12
	v_mov_b32_e32 v20, v6
	v_pk_add_f32 v[6:7], v[16:17], v[6:7] neg_lo:[0,1] neg_hi:[0,1]
	v_pk_add_f32 v[22:23], v[16:17], v[20:21]
	v_mov_b32_e32 v7, v23
	v_mov_b32_e32 v19, v16
	v_pk_add_f32 v[66:67], v[18:19], v[6:7] neg_lo:[0,1] neg_hi:[0,1]
	v_pk_add_f32 v[6:7], v[18:19], v[6:7]
	v_mov_b32_e32 v12, v7
	v_pk_add_f32 v[18:19], v[12:13], v[16:17] neg_lo:[0,1] neg_hi:[0,1]
	v_mov_b32_e32 v19, v18
	v_pk_add_f32 v[68:69], v[22:23], v[18:19] neg_lo:[0,1] neg_hi:[0,1]
	v_mov_b32_e32 v6, v23
	v_mov_b32_e32 v22, v17
	;; [unrolled: 1-line block ×4, first 2 shown]
	v_pk_add_f32 v[6:7], v[6:7], v[22:23] neg_lo:[0,1] neg_hi:[0,1]
	v_mov_b32_e32 v18, v21
	v_mov_b32_e32 v19, v16
	v_pk_add_f32 v[6:7], v[18:19], v[6:7] neg_lo:[0,1] neg_hi:[0,1]
	v_mov_b32_e32 v68, v66
	v_pk_add_f32 v[16:17], v[68:69], v[6:7]
	v_mov_b32_e32 v18, v17
	v_pk_add_f32 v[18:19], v[16:17], v[18:19]
	v_pk_add_f32 v[20:21], v[12:13], v[18:19]
	v_mov_b32_e32 v17, v20
	v_pk_add_f32 v[22:23], v[16:17], v[66:67] neg_lo:[0,1] neg_hi:[0,1]
	v_mov_b32_e32 v7, v18
	v_sub_f32_e32 v12, v16, v22
	v_pk_add_f32 v[6:7], v[6:7], v[22:23] neg_lo:[0,1] neg_hi:[0,1]
	v_sub_f32_e32 v12, v66, v12
	s_mov_b32 s10, 0x7f800000
	v_add_f32_e32 v6, v6, v12
	s_mov_b32 s8, 0x33800000
	v_add_f32_e32 v6, v6, v7
	v_cmp_eq_f32_e32 vcc, s10, v70
	v_cmp_lt_f32_e64 s[10:11], |v70|, s8
	v_add_f32_e32 v6, v20, v6
	s_or_b64 vcc, vcc, s[10:11]
	v_cndmask_b32_e32 v6, v6, v70, vcc
	v_add_f32_e32 v6, v3, v6
.LBB444_366:
	s_or_b64 exec, exec, s[6:7]
	v_bfe_u32 v3, v6, 16, 1
	v_add3_u32 v3, v6, v3, s9
	v_lshrrev_b32_e32 v3, 16, v3
	v_cmp_o_f32_e32 vcc, v6, v6
	v_cndmask_b32_e32 v66, v2, v3, vcc
	v_lshlrev_b32_e32 v3, 16, v66
	v_max_f32_e32 v2, v3, v3
	v_min_f32_e32 v6, v2, v82
	v_cmp_u_f32_e32 vcc, v3, v3
	v_max_f32_e32 v2, v2, v82
	v_cndmask_b32_e32 v6, v6, v3, vcc
	v_cndmask_b32_e32 v2, v2, v3, vcc
	v_cndmask_b32_e64 v6, v6, v13, s[44:45]
	v_cndmask_b32_e64 v2, v2, v13, s[44:45]
	s_movk_i32 s8, 0x1f8
	v_cmp_neq_f32_e32 vcc, v6, v2
	v_cmp_class_f32_e64 s[6:7], v6, s8
	s_or_b64 s[10:11], vcc, s[6:7]
	s_and_saveexec_b64 s[6:7], s[10:11]
	s_cbranch_execz .LBB444_368
; %bb.367:
	v_sub_f32_e32 v3, v6, v2
	s_mov_b32 s9, 0x3fb8aa3b
	v_mul_f32_e32 v6, 0x3fb8aa3b, v3
	v_fma_f32 v7, v3, s9, -v6
	v_rndne_f32_e32 v12, v6
	v_fmac_f32_e32 v7, 0x32a5705f, v3
	v_sub_f32_e32 v6, v6, v12
	v_add_f32_e32 v6, v6, v7
	v_exp_f32_e32 v6, v6
	v_cvt_i32_f32_e32 v7, v12
	s_mov_b32 s9, 0xc2ce8ed0
	v_cmp_ngt_f32_e32 vcc, s9, v3
	s_mov_b32 s9, 0x42b17218
	v_ldexp_f32 v6, v6, v7
	v_cndmask_b32_e32 v6, 0, v6, vcc
	v_mov_b32_e32 v7, 0x7f800000
	v_cmp_nlt_f32_e32 vcc, s9, v3
	v_cndmask_b32_e32 v67, v7, v6, vcc
	v_add_f32_e32 v3, 1.0, v67
	v_add_f32_e32 v6, -1.0, v3
	v_sub_f32_e32 v7, v6, v3
	v_add_f32_e32 v7, 1.0, v7
	v_sub_f32_e32 v6, v67, v6
	v_add_f32_e32 v12, v6, v7
	v_frexp_mant_f32_e32 v13, v3
	s_mov_b32 s9, 0x3f2aaaab
	v_cvt_f64_f32_e32 v[6:7], v3
	v_frexp_exp_i32_f64_e32 v6, v[6:7]
	v_cmp_gt_f32_e32 vcc, s9, v13
	v_subbrev_co_u32_e32 v20, vcc, 0, v6, vcc
	v_sub_u32_e32 v6, 0, v20
	v_ldexp_f32 v3, v3, v6
	v_ldexp_f32 v6, v12, v6
	v_add_f32_e32 v12, -1.0, v3
	v_add_f32_e32 v7, 1.0, v12
	v_sub_f32_e32 v7, v3, v7
	v_add_f32_e32 v13, v6, v7
	v_add_f32_e32 v7, 1.0, v3
	v_add_f32_e32 v16, -1.0, v7
	v_sub_f32_e32 v3, v3, v16
	v_add_f32_e32 v3, v6, v3
	v_add_f32_e32 v21, v7, v3
	v_rcp_f32_e32 v22, v21
	v_sub_f32_e32 v6, v7, v21
	v_add_f32_e32 v7, v12, v13
	v_add_f32_e32 v3, v3, v6
	v_mul_f32_e32 v68, v7, v22
	v_sub_f32_e32 v6, v12, v7
	v_mul_f32_e32 v12, v21, v68
	v_fma_f32 v16, v68, v21, -v12
	v_fmac_f32_e32 v16, v68, v3
	v_add_f32_e32 v23, v13, v6
	v_add_f32_e32 v6, v12, v16
	v_sub_f32_e32 v13, v7, v6
	v_pk_add_f32 v[18:19], v[6:7], v[12:13] neg_lo:[0,1] neg_hi:[0,1]
	v_mov_b32_e32 v17, v6
	v_pk_add_f32 v[6:7], v[18:19], v[16:17] neg_lo:[0,1] neg_hi:[0,1]
	v_add_f32_e32 v7, v23, v7
	v_add_f32_e32 v6, v6, v7
	;; [unrolled: 1-line block ×3, first 2 shown]
	v_mul_f32_e32 v23, v22, v7
	v_mul_f32_e32 v12, v21, v23
	v_fma_f32 v16, v23, v21, -v12
	v_fmac_f32_e32 v16, v23, v3
	v_sub_f32_e32 v3, v13, v7
	v_add_f32_e32 v3, v6, v3
	v_add_f32_e32 v6, v12, v16
	v_sub_f32_e32 v13, v7, v6
	v_pk_add_f32 v[18:19], v[6:7], v[12:13] neg_lo:[0,1] neg_hi:[0,1]
	v_mov_b32_e32 v17, v6
	v_pk_add_f32 v[6:7], v[18:19], v[16:17] neg_lo:[0,1] neg_hi:[0,1]
	v_add_f32_e32 v3, v3, v7
	v_add_f32_e32 v3, v6, v3
	;; [unrolled: 1-line block ×4, first 2 shown]
	v_sub_f32_e32 v7, v6, v68
	v_mul_f32_e32 v3, v22, v3
	v_sub_f32_e32 v7, v23, v7
	v_add_f32_e32 v3, v7, v3
	v_add_f32_e32 v13, v6, v3
	v_mul_f32_e32 v16, v13, v13
	v_mov_b32_e32 v12, 0x3ecc95a3
	v_fmac_f32_e32 v12, 0x3e9b6dac, v16
	v_mov_b32_e32 v7, 0x3f2aaada
	v_fmac_f32_e32 v7, v16, v12
	v_cvt_f32_i32_e32 v12, v20
	v_sub_f32_e32 v6, v13, v6
	v_sub_f32_e32 v3, v3, v6
	v_ldexp_f32 v17, v13, 1
	v_mul_f32_e32 v13, v13, v16
	v_mov_b32_e32 v6, 0x3f317218
	s_mov_b32 s9, 0x3f317218
	v_pk_mul_f32 v[6:7], v[12:13], v[6:7]
	v_fma_f32 v16, v12, s9, -v6
	v_fmac_f32_e32 v16, 0xb102e308, v12
	v_pk_add_f32 v[12:13], v[6:7], v[16:17]
	v_sub_f32_e32 v17, v13, v17
	v_ldexp_f32 v3, v3, 1
	v_sub_f32_e32 v17, v7, v17
	v_add_f32_e32 v19, v3, v17
	v_mov_b32_e32 v18, v6
	v_pk_add_f32 v[6:7], v[12:13], v[6:7] neg_lo:[0,1] neg_hi:[0,1]
	v_pk_add_f32 v[20:21], v[12:13], v[18:19]
	v_mov_b32_e32 v7, v21
	v_mov_b32_e32 v17, v12
	v_pk_add_f32 v[22:23], v[16:17], v[6:7] neg_lo:[0,1] neg_hi:[0,1]
	v_pk_add_f32 v[6:7], v[16:17], v[6:7]
	v_mov_b32_e32 v16, v7
	v_pk_add_f32 v[68:69], v[16:17], v[12:13] neg_lo:[0,1] neg_hi:[0,1]
	v_mov_b32_e32 v3, v68
	v_pk_add_f32 v[70:71], v[20:21], v[2:3] neg_lo:[0,1] neg_hi:[0,1]
	v_mov_b32_e32 v6, v21
	v_mov_b32_e32 v20, v13
	;; [unrolled: 1-line block ×4, first 2 shown]
	v_pk_add_f32 v[6:7], v[6:7], v[20:21] neg_lo:[0,1] neg_hi:[0,1]
	v_mov_b32_e32 v18, v19
	v_mov_b32_e32 v19, v12
	v_pk_add_f32 v[6:7], v[18:19], v[6:7] neg_lo:[0,1] neg_hi:[0,1]
	v_mov_b32_e32 v70, v22
	v_pk_add_f32 v[12:13], v[70:71], v[6:7]
	v_mov_b32_e32 v18, v13
	v_pk_add_f32 v[18:19], v[12:13], v[18:19]
	v_pk_add_f32 v[16:17], v[16:17], v[18:19]
	v_mov_b32_e32 v13, v16
	v_pk_add_f32 v[20:21], v[12:13], v[22:23] neg_lo:[0,1] neg_hi:[0,1]
	v_mov_b32_e32 v7, v18
	v_sub_f32_e32 v3, v12, v20
	v_pk_add_f32 v[6:7], v[6:7], v[20:21] neg_lo:[0,1] neg_hi:[0,1]
	v_sub_f32_e32 v3, v22, v3
	s_mov_b32 s10, 0x7f800000
	v_add_f32_e32 v3, v6, v3
	s_mov_b32 s9, 0x33800000
	v_add_f32_e32 v3, v3, v7
	v_cmp_eq_f32_e32 vcc, s10, v67
	v_cmp_lt_f32_e64 s[10:11], |v67|, s9
	v_add_f32_e32 v3, v16, v3
	s_or_b64 vcc, vcc, s[10:11]
	v_cndmask_b32_e32 v3, v3, v67, vcc
	v_add_f32_e32 v3, v2, v3
.LBB444_368:
	s_or_b64 exec, exec, s[6:7]
	v_bfe_u32 v2, v3, 16, 1
	s_movk_i32 s9, 0x7fff
	v_add3_u32 v2, v3, v2, s9
	v_lshrrev_b32_e32 v6, 16, v2
	v_mov_b32_e32 v2, 0x7fc0
	v_cmp_o_f32_e32 vcc, v3, v3
	v_cndmask_b32_e32 v67, v2, v6, vcc
	v_lshlrev_b32_e32 v6, 16, v67
	v_max_f32_e32 v3, v6, v6
	v_min_f32_e32 v7, v3, v84
	v_cmp_u_f32_e32 vcc, v6, v6
	v_max_f32_e32 v3, v3, v84
	v_cndmask_b32_e32 v7, v7, v6, vcc
	v_cndmask_b32_e32 v3, v3, v6, vcc
	v_cndmask_b32_e64 v7, v7, v80, s[46:47]
	v_cndmask_b32_e64 v3, v3, v80, s[46:47]
	v_cmp_neq_f32_e32 vcc, v7, v3
	v_cmp_class_f32_e64 s[6:7], v7, s8
	s_or_b64 s[10:11], vcc, s[6:7]
	s_and_saveexec_b64 s[6:7], s[10:11]
	s_cbranch_execz .LBB444_370
; %bb.369:
	v_sub_f32_e32 v6, v7, v3
	s_mov_b32 s8, 0x3fb8aa3b
	v_mul_f32_e32 v7, 0x3fb8aa3b, v6
	v_fma_f32 v12, v6, s8, -v7
	v_rndne_f32_e32 v13, v7
	v_fmac_f32_e32 v12, 0x32a5705f, v6
	v_sub_f32_e32 v7, v7, v13
	v_add_f32_e32 v7, v7, v12
	v_exp_f32_e32 v7, v7
	v_cvt_i32_f32_e32 v12, v13
	s_mov_b32 s8, 0xc2ce8ed0
	v_cmp_ngt_f32_e32 vcc, s8, v6
	s_mov_b32 s8, 0x42b17218
	v_ldexp_f32 v7, v7, v12
	v_cndmask_b32_e32 v7, 0, v7, vcc
	v_mov_b32_e32 v12, 0x7f800000
	v_cmp_nlt_f32_e32 vcc, s8, v6
	v_cndmask_b32_e32 v80, v12, v7, vcc
	v_add_f32_e32 v12, 1.0, v80
	v_add_f32_e32 v6, -1.0, v12
	v_sub_f32_e32 v7, v6, v12
	v_add_f32_e32 v7, 1.0, v7
	v_sub_f32_e32 v6, v80, v6
	v_add_f32_e32 v13, v6, v7
	v_frexp_mant_f32_e32 v16, v12
	s_mov_b32 s8, 0x3f2aaaab
	v_cvt_f64_f32_e32 v[6:7], v12
	v_frexp_exp_i32_f64_e32 v6, v[6:7]
	v_cmp_gt_f32_e32 vcc, s8, v16
	v_subbrev_co_u32_e32 v20, vcc, 0, v6, vcc
	v_sub_u32_e32 v6, 0, v20
	v_ldexp_f32 v7, v12, v6
	v_add_f32_e32 v12, -1.0, v7
	v_add_f32_e32 v16, 1.0, v7
	v_ldexp_f32 v6, v13, v6
	v_add_f32_e32 v13, 1.0, v12
	v_add_f32_e32 v17, -1.0, v16
	v_sub_f32_e32 v13, v7, v13
	v_sub_f32_e32 v7, v7, v17
	v_add_f32_e32 v13, v6, v13
	v_add_f32_e32 v6, v6, v7
	;; [unrolled: 1-line block ×3, first 2 shown]
	v_rcp_f32_e32 v23, v21
	v_sub_f32_e32 v7, v16, v21
	v_add_f32_e32 v22, v6, v7
	v_add_f32_e32 v7, v12, v13
	v_mul_f32_e32 v69, v7, v23
	v_sub_f32_e32 v6, v12, v7
	v_mul_f32_e32 v12, v21, v69
	v_fma_f32 v16, v69, v21, -v12
	v_fmac_f32_e32 v16, v69, v22
	v_add_f32_e32 v68, v13, v6
	v_add_f32_e32 v6, v12, v16
	v_sub_f32_e32 v13, v7, v6
	v_pk_add_f32 v[18:19], v[6:7], v[12:13] neg_lo:[0,1] neg_hi:[0,1]
	v_mov_b32_e32 v17, v6
	v_pk_add_f32 v[6:7], v[18:19], v[16:17] neg_lo:[0,1] neg_hi:[0,1]
	v_add_f32_e32 v7, v68, v7
	v_add_f32_e32 v6, v6, v7
	;; [unrolled: 1-line block ×3, first 2 shown]
	v_mul_f32_e32 v68, v23, v7
	v_mul_f32_e32 v12, v21, v68
	v_fma_f32 v16, v68, v21, -v12
	v_fmac_f32_e32 v16, v68, v22
	v_sub_f32_e32 v13, v13, v7
	v_add_f32_e32 v21, v6, v13
	v_add_f32_e32 v6, v12, v16
	v_sub_f32_e32 v13, v7, v6
	v_pk_add_f32 v[18:19], v[6:7], v[12:13] neg_lo:[0,1] neg_hi:[0,1]
	v_mov_b32_e32 v17, v6
	v_pk_add_f32 v[6:7], v[18:19], v[16:17] neg_lo:[0,1] neg_hi:[0,1]
	v_add_f32_e32 v7, v21, v7
	v_add_f32_e32 v6, v6, v7
	;; [unrolled: 1-line block ×4, first 2 shown]
	v_sub_f32_e32 v7, v13, v69
	v_mul_f32_e32 v6, v23, v6
	v_sub_f32_e32 v7, v68, v7
	v_add_f32_e32 v6, v7, v6
	v_add_f32_e32 v16, v13, v6
	v_mul_f32_e32 v18, v16, v16
	v_mov_b32_e32 v12, 0x3ecc95a3
	v_fmac_f32_e32 v12, 0x3e9b6dac, v18
	v_mov_b32_e32 v7, 0x3f2aaada
	v_fmac_f32_e32 v7, v18, v12
	v_cvt_f32_i32_e32 v12, v20
	v_sub_f32_e32 v13, v16, v13
	v_sub_f32_e32 v6, v6, v13
	v_ldexp_f32 v19, v6, 1
	v_mul_f32_e32 v13, v16, v18
	v_mov_b32_e32 v6, 0x3f317218
	s_mov_b32 s8, 0x3f317218
	v_pk_mul_f32 v[6:7], v[12:13], v[6:7]
	v_ldexp_f32 v17, v16, 1
	v_fma_f32 v16, v12, s8, -v6
	v_fmac_f32_e32 v16, 0xb102e308, v12
	v_pk_add_f32 v[12:13], v[6:7], v[16:17]
	v_sub_f32_e32 v17, v13, v17
	v_sub_f32_e32 v17, v7, v17
	v_add_f32_e32 v19, v19, v17
	v_mov_b32_e32 v18, v6
	v_pk_add_f32 v[6:7], v[12:13], v[6:7] neg_lo:[0,1] neg_hi:[0,1]
	v_pk_add_f32 v[20:21], v[12:13], v[18:19]
	v_mov_b32_e32 v7, v21
	v_mov_b32_e32 v17, v12
	v_pk_add_f32 v[22:23], v[16:17], v[6:7] neg_lo:[0,1] neg_hi:[0,1]
	v_pk_add_f32 v[6:7], v[16:17], v[6:7]
	v_mov_b32_e32 v16, v7
	v_pk_add_f32 v[68:69], v[16:17], v[12:13] neg_lo:[0,1] neg_hi:[0,1]
	v_mov_b32_e32 v17, v68
	v_pk_add_f32 v[70:71], v[20:21], v[16:17] neg_lo:[0,1] neg_hi:[0,1]
	v_mov_b32_e32 v6, v21
	v_mov_b32_e32 v20, v13
	;; [unrolled: 1-line block ×4, first 2 shown]
	v_pk_add_f32 v[6:7], v[6:7], v[20:21] neg_lo:[0,1] neg_hi:[0,1]
	v_mov_b32_e32 v18, v19
	v_mov_b32_e32 v19, v12
	v_pk_add_f32 v[6:7], v[18:19], v[6:7] neg_lo:[0,1] neg_hi:[0,1]
	v_mov_b32_e32 v70, v22
	v_pk_add_f32 v[12:13], v[70:71], v[6:7]
	v_mov_b32_e32 v18, v13
	v_pk_add_f32 v[18:19], v[12:13], v[18:19]
	v_pk_add_f32 v[16:17], v[16:17], v[18:19]
	v_mov_b32_e32 v13, v16
	v_pk_add_f32 v[20:21], v[12:13], v[22:23] neg_lo:[0,1] neg_hi:[0,1]
	v_mov_b32_e32 v7, v18
	v_sub_f32_e32 v12, v12, v20
	v_pk_add_f32 v[6:7], v[6:7], v[20:21] neg_lo:[0,1] neg_hi:[0,1]
	v_sub_f32_e32 v12, v22, v12
	s_mov_b32 s10, 0x7f800000
	v_add_f32_e32 v6, v6, v12
	s_mov_b32 s8, 0x33800000
	v_add_f32_e32 v6, v6, v7
	v_cmp_eq_f32_e32 vcc, s10, v80
	v_cmp_lt_f32_e64 s[10:11], |v80|, s8
	v_add_f32_e32 v6, v16, v6
	s_or_b64 vcc, vcc, s[10:11]
	v_cndmask_b32_e32 v6, v6, v80, vcc
	v_add_f32_e32 v6, v3, v6
.LBB444_370:
	s_or_b64 exec, exec, s[6:7]
	v_bfe_u32 v3, v6, 16, 1
	v_add3_u32 v3, v6, v3, s9
	v_lshrrev_b32_e32 v3, 16, v3
	v_cmp_o_f32_e32 vcc, v6, v6
	v_cndmask_b32_e32 v68, v2, v3, vcc
	v_lshlrev_b32_e32 v3, 16, v68
	v_max_f32_e32 v2, v3, v3
	v_min_f32_e32 v6, v2, v85
	v_cmp_u_f32_e32 vcc, v3, v3
	v_max_f32_e32 v2, v2, v85
	v_cndmask_b32_e32 v6, v6, v3, vcc
	v_cndmask_b32_e32 v2, v2, v3, vcc
	v_cndmask_b32_e64 v6, v6, v14, s[48:49]
	v_cndmask_b32_e64 v2, v2, v14, s[48:49]
	s_movk_i32 s8, 0x1f8
	v_cmp_neq_f32_e32 vcc, v6, v2
	v_cmp_class_f32_e64 s[6:7], v6, s8
	s_or_b64 s[10:11], vcc, s[6:7]
	s_and_saveexec_b64 s[6:7], s[10:11]
	s_cbranch_execz .LBB444_372
; %bb.371:
	v_sub_f32_e32 v3, v6, v2
	s_mov_b32 s9, 0x3fb8aa3b
	v_mul_f32_e32 v6, 0x3fb8aa3b, v3
	v_fma_f32 v7, v3, s9, -v6
	v_rndne_f32_e32 v12, v6
	v_fmac_f32_e32 v7, 0x32a5705f, v3
	v_sub_f32_e32 v6, v6, v12
	v_add_f32_e32 v6, v6, v7
	v_exp_f32_e32 v6, v6
	v_cvt_i32_f32_e32 v7, v12
	s_mov_b32 s9, 0xc2ce8ed0
	v_cmp_ngt_f32_e32 vcc, s9, v3
	s_mov_b32 s9, 0x42b17218
	v_ldexp_f32 v6, v6, v7
	v_cndmask_b32_e32 v6, 0, v6, vcc
	v_mov_b32_e32 v7, 0x7f800000
	v_cmp_nlt_f32_e32 vcc, s9, v3
	v_cndmask_b32_e32 v69, v7, v6, vcc
	v_add_f32_e32 v3, 1.0, v69
	v_add_f32_e32 v6, -1.0, v3
	v_sub_f32_e32 v7, v6, v3
	v_add_f32_e32 v7, 1.0, v7
	v_sub_f32_e32 v6, v69, v6
	v_add_f32_e32 v12, v6, v7
	v_frexp_mant_f32_e32 v13, v3
	s_mov_b32 s9, 0x3f2aaaab
	v_cvt_f64_f32_e32 v[6:7], v3
	v_frexp_exp_i32_f64_e32 v6, v[6:7]
	v_cmp_gt_f32_e32 vcc, s9, v13
	v_subbrev_co_u32_e32 v14, vcc, 0, v6, vcc
	v_sub_u32_e32 v6, 0, v14
	v_ldexp_f32 v3, v3, v6
	v_ldexp_f32 v6, v12, v6
	v_add_f32_e32 v12, -1.0, v3
	v_add_f32_e32 v7, 1.0, v12
	v_sub_f32_e32 v7, v3, v7
	v_add_f32_e32 v13, v6, v7
	v_add_f32_e32 v7, 1.0, v3
	v_add_f32_e32 v16, -1.0, v7
	v_sub_f32_e32 v3, v3, v16
	v_add_f32_e32 v3, v6, v3
	v_add_f32_e32 v20, v7, v3
	v_rcp_f32_e32 v21, v20
	v_sub_f32_e32 v6, v7, v20
	v_add_f32_e32 v7, v12, v13
	v_add_f32_e32 v3, v3, v6
	v_mul_f32_e32 v23, v7, v21
	v_sub_f32_e32 v6, v12, v7
	v_mul_f32_e32 v12, v20, v23
	v_fma_f32 v16, v23, v20, -v12
	v_fmac_f32_e32 v16, v23, v3
	v_add_f32_e32 v22, v13, v6
	v_add_f32_e32 v6, v12, v16
	v_sub_f32_e32 v13, v7, v6
	v_pk_add_f32 v[18:19], v[6:7], v[12:13] neg_lo:[0,1] neg_hi:[0,1]
	v_mov_b32_e32 v17, v6
	v_pk_add_f32 v[6:7], v[18:19], v[16:17] neg_lo:[0,1] neg_hi:[0,1]
	v_add_f32_e32 v7, v22, v7
	v_add_f32_e32 v6, v6, v7
	;; [unrolled: 1-line block ×3, first 2 shown]
	v_mul_f32_e32 v22, v21, v7
	v_mul_f32_e32 v12, v20, v22
	v_fma_f32 v16, v22, v20, -v12
	v_fmac_f32_e32 v16, v22, v3
	v_sub_f32_e32 v3, v13, v7
	v_add_f32_e32 v3, v6, v3
	v_add_f32_e32 v6, v12, v16
	v_sub_f32_e32 v13, v7, v6
	v_pk_add_f32 v[18:19], v[6:7], v[12:13] neg_lo:[0,1] neg_hi:[0,1]
	v_mov_b32_e32 v17, v6
	v_pk_add_f32 v[6:7], v[18:19], v[16:17] neg_lo:[0,1] neg_hi:[0,1]
	v_add_f32_e32 v3, v3, v7
	v_add_f32_e32 v3, v6, v3
	;; [unrolled: 1-line block ×4, first 2 shown]
	v_sub_f32_e32 v7, v6, v23
	v_mul_f32_e32 v3, v21, v3
	v_sub_f32_e32 v7, v22, v7
	v_add_f32_e32 v3, v7, v3
	v_add_f32_e32 v13, v6, v3
	v_mul_f32_e32 v16, v13, v13
	v_mov_b32_e32 v12, 0x3ecc95a3
	v_fmac_f32_e32 v12, 0x3e9b6dac, v16
	v_mov_b32_e32 v7, 0x3f2aaada
	v_fmac_f32_e32 v7, v16, v12
	v_cvt_f32_i32_e32 v12, v14
	v_sub_f32_e32 v6, v13, v6
	v_sub_f32_e32 v3, v3, v6
	v_ldexp_f32 v17, v13, 1
	v_mul_f32_e32 v13, v13, v16
	v_mov_b32_e32 v6, 0x3f317218
	s_mov_b32 s9, 0x3f317218
	v_pk_mul_f32 v[6:7], v[12:13], v[6:7]
	v_fma_f32 v16, v12, s9, -v6
	v_fmac_f32_e32 v16, 0xb102e308, v12
	v_pk_add_f32 v[12:13], v[6:7], v[16:17]
	v_sub_f32_e32 v14, v13, v17
	v_ldexp_f32 v3, v3, 1
	v_sub_f32_e32 v14, v7, v14
	v_add_f32_e32 v19, v3, v14
	v_mov_b32_e32 v18, v6
	v_pk_add_f32 v[6:7], v[12:13], v[6:7] neg_lo:[0,1] neg_hi:[0,1]
	v_pk_add_f32 v[20:21], v[12:13], v[18:19]
	v_mov_b32_e32 v7, v21
	v_mov_b32_e32 v17, v12
	v_pk_add_f32 v[22:23], v[16:17], v[6:7] neg_lo:[0,1] neg_hi:[0,1]
	v_pk_add_f32 v[6:7], v[16:17], v[6:7]
	v_mov_b32_e32 v14, v7
	v_pk_add_f32 v[16:17], v[14:15], v[12:13] neg_lo:[0,1] neg_hi:[0,1]
	v_mov_b32_e32 v3, v16
	v_pk_add_f32 v[70:71], v[20:21], v[2:3] neg_lo:[0,1] neg_hi:[0,1]
	v_mov_b32_e32 v6, v21
	v_mov_b32_e32 v20, v13
	;; [unrolled: 1-line block ×4, first 2 shown]
	v_pk_add_f32 v[6:7], v[6:7], v[20:21] neg_lo:[0,1] neg_hi:[0,1]
	v_mov_b32_e32 v16, v19
	v_mov_b32_e32 v17, v12
	v_pk_add_f32 v[6:7], v[16:17], v[6:7] neg_lo:[0,1] neg_hi:[0,1]
	v_mov_b32_e32 v70, v22
	v_pk_add_f32 v[12:13], v[70:71], v[6:7]
	v_mov_b32_e32 v16, v13
	v_pk_add_f32 v[16:17], v[12:13], v[16:17]
	v_pk_add_f32 v[18:19], v[14:15], v[16:17]
	v_mov_b32_e32 v13, v18
	v_pk_add_f32 v[20:21], v[12:13], v[22:23] neg_lo:[0,1] neg_hi:[0,1]
	v_mov_b32_e32 v7, v16
	v_sub_f32_e32 v3, v12, v20
	v_pk_add_f32 v[6:7], v[6:7], v[20:21] neg_lo:[0,1] neg_hi:[0,1]
	v_sub_f32_e32 v3, v22, v3
	s_mov_b32 s10, 0x7f800000
	v_add_f32_e32 v3, v6, v3
	s_mov_b32 s9, 0x33800000
	v_add_f32_e32 v3, v3, v7
	v_cmp_eq_f32_e32 vcc, s10, v69
	v_cmp_lt_f32_e64 s[10:11], |v69|, s9
	v_add_f32_e32 v3, v18, v3
	s_or_b64 vcc, vcc, s[10:11]
	v_cndmask_b32_e32 v3, v3, v69, vcc
	v_add_f32_e32 v3, v2, v3
.LBB444_372:
	s_or_b64 exec, exec, s[6:7]
	v_bfe_u32 v2, v3, 16, 1
	s_movk_i32 s9, 0x7fff
	v_add3_u32 v2, v3, v2, s9
	v_lshrrev_b32_e32 v6, 16, v2
	v_mov_b32_e32 v2, 0x7fc0
	v_cmp_o_f32_e32 vcc, v3, v3
	v_cndmask_b32_e32 v69, v2, v6, vcc
	v_lshlrev_b32_e32 v6, 16, v69
	v_max_f32_e32 v3, v6, v6
	v_min_f32_e32 v7, v3, v86
	v_cmp_u_f32_e32 vcc, v6, v6
	v_max_f32_e32 v3, v3, v86
	v_cndmask_b32_e32 v7, v7, v6, vcc
	v_cndmask_b32_e32 v3, v3, v6, vcc
	v_cndmask_b32_e64 v7, v7, v83, s[50:51]
	v_cndmask_b32_e64 v3, v3, v83, s[50:51]
	v_cmp_neq_f32_e32 vcc, v7, v3
	v_cmp_class_f32_e64 s[6:7], v7, s8
	s_or_b64 s[10:11], vcc, s[6:7]
	s_and_saveexec_b64 s[6:7], s[10:11]
	s_cbranch_execz .LBB444_374
; %bb.373:
	v_sub_f32_e32 v6, v7, v3
	s_mov_b32 s8, 0x3fb8aa3b
	v_mul_f32_e32 v7, 0x3fb8aa3b, v6
	v_fma_f32 v12, v6, s8, -v7
	v_rndne_f32_e32 v13, v7
	v_fmac_f32_e32 v12, 0x32a5705f, v6
	v_sub_f32_e32 v7, v7, v13
	v_add_f32_e32 v7, v7, v12
	v_exp_f32_e32 v7, v7
	v_cvt_i32_f32_e32 v12, v13
	s_mov_b32 s8, 0xc2ce8ed0
	v_cmp_ngt_f32_e32 vcc, s8, v6
	s_mov_b32 s8, 0x42b17218
	v_ldexp_f32 v7, v7, v12
	v_cndmask_b32_e32 v7, 0, v7, vcc
	v_mov_b32_e32 v12, 0x7f800000
	v_cmp_nlt_f32_e32 vcc, s8, v6
	v_cndmask_b32_e32 v80, v12, v7, vcc
	v_add_f32_e32 v12, 1.0, v80
	v_add_f32_e32 v6, -1.0, v12
	v_sub_f32_e32 v7, v6, v12
	v_add_f32_e32 v7, 1.0, v7
	v_sub_f32_e32 v6, v80, v6
	v_add_f32_e32 v13, v6, v7
	v_frexp_mant_f32_e32 v14, v12
	s_mov_b32 s8, 0x3f2aaaab
	v_cvt_f64_f32_e32 v[6:7], v12
	v_frexp_exp_i32_f64_e32 v6, v[6:7]
	v_cmp_gt_f32_e32 vcc, s8, v14
	v_subbrev_co_u32_e32 v14, vcc, 0, v6, vcc
	v_sub_u32_e32 v6, 0, v14
	v_ldexp_f32 v7, v12, v6
	v_add_f32_e32 v12, -1.0, v7
	v_add_f32_e32 v16, 1.0, v7
	v_ldexp_f32 v6, v13, v6
	v_add_f32_e32 v13, 1.0, v12
	v_add_f32_e32 v17, -1.0, v16
	v_sub_f32_e32 v13, v7, v13
	v_sub_f32_e32 v7, v7, v17
	v_add_f32_e32 v13, v6, v13
	v_add_f32_e32 v6, v6, v7
	;; [unrolled: 1-line block ×3, first 2 shown]
	v_rcp_f32_e32 v22, v20
	v_sub_f32_e32 v7, v16, v20
	v_add_f32_e32 v21, v6, v7
	v_add_f32_e32 v7, v12, v13
	v_mul_f32_e32 v70, v7, v22
	v_sub_f32_e32 v6, v12, v7
	v_mul_f32_e32 v12, v20, v70
	v_fma_f32 v16, v70, v20, -v12
	v_fmac_f32_e32 v16, v70, v21
	v_add_f32_e32 v23, v13, v6
	v_add_f32_e32 v6, v12, v16
	v_sub_f32_e32 v13, v7, v6
	v_pk_add_f32 v[18:19], v[6:7], v[12:13] neg_lo:[0,1] neg_hi:[0,1]
	v_mov_b32_e32 v17, v6
	v_pk_add_f32 v[6:7], v[18:19], v[16:17] neg_lo:[0,1] neg_hi:[0,1]
	v_add_f32_e32 v7, v23, v7
	v_add_f32_e32 v6, v6, v7
	;; [unrolled: 1-line block ×3, first 2 shown]
	v_mul_f32_e32 v23, v22, v7
	v_mul_f32_e32 v12, v20, v23
	v_fma_f32 v16, v23, v20, -v12
	v_fmac_f32_e32 v16, v23, v21
	v_sub_f32_e32 v13, v13, v7
	v_add_f32_e32 v20, v6, v13
	v_add_f32_e32 v6, v12, v16
	v_sub_f32_e32 v13, v7, v6
	v_pk_add_f32 v[18:19], v[6:7], v[12:13] neg_lo:[0,1] neg_hi:[0,1]
	v_mov_b32_e32 v17, v6
	v_pk_add_f32 v[6:7], v[18:19], v[16:17] neg_lo:[0,1] neg_hi:[0,1]
	v_add_f32_e32 v7, v20, v7
	v_add_f32_e32 v6, v6, v7
	;; [unrolled: 1-line block ×4, first 2 shown]
	v_sub_f32_e32 v7, v13, v70
	v_mul_f32_e32 v6, v22, v6
	v_sub_f32_e32 v7, v23, v7
	v_add_f32_e32 v6, v7, v6
	v_add_f32_e32 v16, v13, v6
	v_mul_f32_e32 v18, v16, v16
	v_mov_b32_e32 v12, 0x3ecc95a3
	v_fmac_f32_e32 v12, 0x3e9b6dac, v18
	v_mov_b32_e32 v7, 0x3f2aaada
	v_fmac_f32_e32 v7, v18, v12
	v_cvt_f32_i32_e32 v12, v14
	v_sub_f32_e32 v13, v16, v13
	v_sub_f32_e32 v6, v6, v13
	v_ldexp_f32 v14, v6, 1
	v_mul_f32_e32 v13, v16, v18
	v_mov_b32_e32 v6, 0x3f317218
	s_mov_b32 s8, 0x3f317218
	v_pk_mul_f32 v[6:7], v[12:13], v[6:7]
	v_ldexp_f32 v17, v16, 1
	v_fma_f32 v16, v12, s8, -v6
	v_fmac_f32_e32 v16, 0xb102e308, v12
	v_pk_add_f32 v[12:13], v[6:7], v[16:17]
	v_sub_f32_e32 v17, v13, v17
	v_sub_f32_e32 v17, v7, v17
	v_add_f32_e32 v19, v14, v17
	v_mov_b32_e32 v18, v6
	v_pk_add_f32 v[6:7], v[12:13], v[6:7] neg_lo:[0,1] neg_hi:[0,1]
	v_pk_add_f32 v[20:21], v[12:13], v[18:19]
	v_mov_b32_e32 v7, v21
	v_mov_b32_e32 v17, v12
	v_pk_add_f32 v[22:23], v[16:17], v[6:7] neg_lo:[0,1] neg_hi:[0,1]
	v_pk_add_f32 v[6:7], v[16:17], v[6:7]
	v_mov_b32_e32 v14, v7
	v_pk_add_f32 v[16:17], v[14:15], v[12:13] neg_lo:[0,1] neg_hi:[0,1]
	v_mov_b32_e32 v17, v16
	v_pk_add_f32 v[70:71], v[20:21], v[16:17] neg_lo:[0,1] neg_hi:[0,1]
	v_mov_b32_e32 v6, v21
	v_mov_b32_e32 v20, v13
	;; [unrolled: 1-line block ×4, first 2 shown]
	v_pk_add_f32 v[6:7], v[6:7], v[20:21] neg_lo:[0,1] neg_hi:[0,1]
	v_mov_b32_e32 v16, v19
	v_mov_b32_e32 v17, v12
	v_pk_add_f32 v[6:7], v[16:17], v[6:7] neg_lo:[0,1] neg_hi:[0,1]
	v_mov_b32_e32 v70, v22
	v_pk_add_f32 v[12:13], v[70:71], v[6:7]
	v_mov_b32_e32 v16, v13
	v_pk_add_f32 v[16:17], v[12:13], v[16:17]
	v_pk_add_f32 v[18:19], v[14:15], v[16:17]
	v_mov_b32_e32 v13, v18
	v_pk_add_f32 v[20:21], v[12:13], v[22:23] neg_lo:[0,1] neg_hi:[0,1]
	v_mov_b32_e32 v7, v16
	v_sub_f32_e32 v12, v12, v20
	v_pk_add_f32 v[6:7], v[6:7], v[20:21] neg_lo:[0,1] neg_hi:[0,1]
	v_sub_f32_e32 v12, v22, v12
	s_mov_b32 s10, 0x7f800000
	v_add_f32_e32 v6, v6, v12
	s_mov_b32 s8, 0x33800000
	v_add_f32_e32 v6, v6, v7
	v_cmp_eq_f32_e32 vcc, s10, v80
	v_cmp_lt_f32_e64 s[10:11], |v80|, s8
	v_add_f32_e32 v6, v18, v6
	s_or_b64 vcc, vcc, s[10:11]
	v_cndmask_b32_e32 v6, v6, v80, vcc
	v_add_f32_e32 v6, v3, v6
.LBB444_374:
	s_or_b64 exec, exec, s[6:7]
	v_bfe_u32 v3, v6, 16, 1
	v_add3_u32 v3, v6, v3, s9
	v_lshrrev_b32_e32 v3, 16, v3
	v_cmp_o_f32_e32 vcc, v6, v6
	v_cndmask_b32_e32 v70, v2, v3, vcc
	v_lshlrev_b32_e32 v3, 16, v70
	v_max_f32_e32 v2, v3, v3
	v_min_f32_e32 v6, v2, v87
	v_cmp_u_f32_e32 vcc, v3, v3
	v_max_f32_e32 v2, v2, v87
	v_cndmask_b32_e32 v6, v6, v3, vcc
	v_cndmask_b32_e32 v2, v2, v3, vcc
	v_cndmask_b32_e64 v6, v6, v15, s[52:53]
	v_cndmask_b32_e64 v2, v2, v15, s[52:53]
	s_movk_i32 s6, 0x1f8
	v_cmp_neq_f32_e32 vcc, v6, v2
	v_cmp_class_f32_e64 s[6:7], v6, s6
	s_or_b64 s[8:9], vcc, s[6:7]
	s_and_saveexec_b64 s[6:7], s[8:9]
	s_cbranch_execz .LBB444_376
; %bb.375:
	v_sub_f32_e32 v3, v6, v2
	s_mov_b32 s8, 0x3fb8aa3b
	v_mul_f32_e32 v6, 0x3fb8aa3b, v3
	v_fma_f32 v7, v3, s8, -v6
	v_rndne_f32_e32 v12, v6
	v_fmac_f32_e32 v7, 0x32a5705f, v3
	v_sub_f32_e32 v6, v6, v12
	v_add_f32_e32 v6, v6, v7
	v_exp_f32_e32 v6, v6
	v_cvt_i32_f32_e32 v7, v12
	s_mov_b32 s8, 0xc2ce8ed0
	v_cmp_ngt_f32_e32 vcc, s8, v3
	s_mov_b32 s8, 0x42b17218
	v_ldexp_f32 v6, v6, v7
	v_cndmask_b32_e32 v6, 0, v6, vcc
	v_mov_b32_e32 v7, 0x7f800000
	v_cmp_nlt_f32_e32 vcc, s8, v3
	v_cndmask_b32_e32 v71, v7, v6, vcc
	v_add_f32_e32 v3, 1.0, v71
	v_add_f32_e32 v6, -1.0, v3
	v_sub_f32_e32 v7, v6, v3
	v_add_f32_e32 v7, 1.0, v7
	v_sub_f32_e32 v6, v71, v6
	v_add_f32_e32 v12, v6, v7
	v_frexp_mant_f32_e32 v13, v3
	s_mov_b32 s8, 0x3f2aaaab
	v_cvt_f64_f32_e32 v[6:7], v3
	v_frexp_exp_i32_f64_e32 v6, v[6:7]
	v_cmp_gt_f32_e32 vcc, s8, v13
	v_subbrev_co_u32_e32 v18, vcc, 0, v6, vcc
	v_sub_u32_e32 v6, 0, v18
	v_ldexp_f32 v3, v3, v6
	v_ldexp_f32 v6, v12, v6
	v_add_f32_e32 v12, -1.0, v3
	v_add_f32_e32 v7, 1.0, v12
	v_sub_f32_e32 v7, v3, v7
	v_add_f32_e32 v13, v6, v7
	v_add_f32_e32 v7, 1.0, v3
	v_add_f32_e32 v14, -1.0, v7
	v_sub_f32_e32 v3, v3, v14
	v_add_f32_e32 v3, v6, v3
	v_add_f32_e32 v19, v7, v3
	v_rcp_f32_e32 v20, v19
	v_sub_f32_e32 v6, v7, v19
	v_add_f32_e32 v7, v12, v13
	v_add_f32_e32 v3, v3, v6
	v_mul_f32_e32 v22, v7, v20
	v_sub_f32_e32 v6, v12, v7
	v_mul_f32_e32 v12, v19, v22
	v_fma_f32 v14, v22, v19, -v12
	v_fmac_f32_e32 v14, v22, v3
	v_add_f32_e32 v21, v13, v6
	v_add_f32_e32 v6, v12, v14
	v_sub_f32_e32 v13, v7, v6
	v_pk_add_f32 v[16:17], v[6:7], v[12:13] neg_lo:[0,1] neg_hi:[0,1]
	v_mov_b32_e32 v15, v6
	v_pk_add_f32 v[6:7], v[16:17], v[14:15] neg_lo:[0,1] neg_hi:[0,1]
	v_add_f32_e32 v7, v21, v7
	v_add_f32_e32 v6, v6, v7
	v_add_f32_e32 v7, v13, v6
	v_mul_f32_e32 v21, v20, v7
	v_mul_f32_e32 v12, v19, v21
	v_fma_f32 v14, v21, v19, -v12
	v_fmac_f32_e32 v14, v21, v3
	v_sub_f32_e32 v3, v13, v7
	v_add_f32_e32 v3, v6, v3
	v_add_f32_e32 v6, v12, v14
	v_sub_f32_e32 v13, v7, v6
	v_pk_add_f32 v[16:17], v[6:7], v[12:13] neg_lo:[0,1] neg_hi:[0,1]
	v_mov_b32_e32 v15, v6
	v_pk_add_f32 v[6:7], v[16:17], v[14:15] neg_lo:[0,1] neg_hi:[0,1]
	v_add_f32_e32 v3, v3, v7
	v_add_f32_e32 v3, v6, v3
	;; [unrolled: 1-line block ×4, first 2 shown]
	v_sub_f32_e32 v7, v6, v22
	v_mul_f32_e32 v3, v20, v3
	v_sub_f32_e32 v7, v21, v7
	v_add_f32_e32 v3, v7, v3
	v_add_f32_e32 v13, v6, v3
	v_mul_f32_e32 v14, v13, v13
	v_mov_b32_e32 v12, 0x3ecc95a3
	v_fmac_f32_e32 v12, 0x3e9b6dac, v14
	v_mov_b32_e32 v7, 0x3f2aaada
	v_fmac_f32_e32 v7, v14, v12
	v_cvt_f32_i32_e32 v12, v18
	v_sub_f32_e32 v6, v13, v6
	v_sub_f32_e32 v3, v3, v6
	v_ldexp_f32 v15, v13, 1
	v_mul_f32_e32 v13, v13, v14
	v_mov_b32_e32 v6, 0x3f317218
	s_mov_b32 s8, 0x3f317218
	v_pk_mul_f32 v[6:7], v[12:13], v[6:7]
	v_fma_f32 v14, v12, s8, -v6
	v_fmac_f32_e32 v14, 0xb102e308, v12
	v_pk_add_f32 v[12:13], v[6:7], v[14:15]
	v_sub_f32_e32 v15, v13, v15
	v_ldexp_f32 v3, v3, 1
	v_sub_f32_e32 v15, v7, v15
	v_add_f32_e32 v17, v3, v15
	v_mov_b32_e32 v16, v6
	v_pk_add_f32 v[6:7], v[12:13], v[6:7] neg_lo:[0,1] neg_hi:[0,1]
	v_pk_add_f32 v[18:19], v[12:13], v[16:17]
	v_mov_b32_e32 v7, v19
	v_mov_b32_e32 v15, v12
	v_pk_add_f32 v[20:21], v[14:15], v[6:7] neg_lo:[0,1] neg_hi:[0,1]
	v_pk_add_f32 v[6:7], v[14:15], v[6:7]
	v_mov_b32_e32 v14, v7
	v_pk_add_f32 v[22:23], v[14:15], v[12:13] neg_lo:[0,1] neg_hi:[0,1]
	v_mov_b32_e32 v3, v22
	v_pk_add_f32 v[80:81], v[18:19], v[2:3] neg_lo:[0,1] neg_hi:[0,1]
	v_mov_b32_e32 v6, v19
	v_mov_b32_e32 v18, v13
	;; [unrolled: 1-line block ×4, first 2 shown]
	v_pk_add_f32 v[6:7], v[6:7], v[18:19] neg_lo:[0,1] neg_hi:[0,1]
	v_mov_b32_e32 v16, v17
	v_mov_b32_e32 v17, v12
	v_pk_add_f32 v[6:7], v[16:17], v[6:7] neg_lo:[0,1] neg_hi:[0,1]
	v_mov_b32_e32 v80, v20
	v_pk_add_f32 v[12:13], v[80:81], v[6:7]
	v_mov_b32_e32 v16, v13
	v_pk_add_f32 v[16:17], v[12:13], v[16:17]
	v_pk_add_f32 v[14:15], v[14:15], v[16:17]
	v_mov_b32_e32 v13, v14
	v_pk_add_f32 v[18:19], v[12:13], v[20:21] neg_lo:[0,1] neg_hi:[0,1]
	v_mov_b32_e32 v7, v16
	v_sub_f32_e32 v3, v12, v18
	v_pk_add_f32 v[6:7], v[6:7], v[18:19] neg_lo:[0,1] neg_hi:[0,1]
	v_sub_f32_e32 v3, v20, v3
	s_mov_b32 s9, 0x7f800000
	v_add_f32_e32 v3, v6, v3
	s_mov_b32 s8, 0x33800000
	v_add_f32_e32 v3, v3, v7
	v_cmp_eq_f32_e32 vcc, s9, v71
	v_cmp_lt_f32_e64 s[8:9], |v71|, s8
	v_add_f32_e32 v3, v14, v3
	s_or_b64 vcc, vcc, s[8:9]
	v_cndmask_b32_e32 v3, v3, v71, vcc
	v_add_f32_e32 v3, v2, v3
.LBB444_376:
	s_or_b64 exec, exec, s[6:7]
	v_bfe_u32 v2, v3, 16, 1
	s_movk_i32 s6, 0x7fff
	v_add3_u32 v2, v3, v2, s6
	v_lshrrev_b32_e32 v2, 16, v2
	v_mov_b32_e32 v6, 0x7fc0
	v_cmp_o_f32_e32 vcc, v3, v3
	v_cndmask_b32_e32 v71, v6, v2, vcc
	s_and_saveexec_b64 s[6:7], s[56:57]
	s_cbranch_execz .LBB444_378
; %bb.377:
	s_mov_b32 s8, 0x20000
	v_or_b32_sdwa v2, v71, s8 dst_sel:DWORD dst_unused:UNUSED_PAD src0_sel:WORD_0 src1_sel:DWORD
	flat_store_dword v[24:25], v2 offset:256
.LBB444_378:
	s_or_b64 exec, exec, s[6:7]
.LBB444_379:
	v_add_co_u32_e32 v2, vcc, v10, v28
	v_addc_co_u32_e32 v3, vcc, v11, v29, vcc
	v_mov_b32_e32 v6, s63
	v_add_co_u32_e32 v2, vcc, s62, v2
	v_addc_co_u32_e32 v3, vcc, v3, v6, vcc
	s_waitcnt lgkmcnt(0)
	; wave barrier
	s_waitcnt lgkmcnt(0)
	s_and_saveexec_b64 s[6:7], s[4:5]
	s_xor_b64 s[4:5], exec, s[6:7]
	s_cbranch_execz .LBB444_381
; %bb.380:
	s_mov_b32 s6, 0x5040100
	v_perm_b32 v7, v35, v34, s6
	v_perm_b32 v6, v33, v32, s6
	;; [unrolled: 1-line block ×4, first 2 shown]
	ds_write_b128 v1, v[4:7]
	v_perm_b32 v7, v55, v54, s6
	v_perm_b32 v6, v53, v52, s6
	;; [unrolled: 1-line block ×4, first 2 shown]
	ds_write_b128 v1, v[4:7] offset:16
	v_perm_b32 v7, v71, v70, s6
	v_perm_b32 v6, v69, v68, s6
	v_perm_b32 v5, v67, v66, s6
	v_perm_b32 v4, v65, v64, s6
	ds_write_b128 v1, v[4:7] offset:32
	s_waitcnt lgkmcnt(0)
	; wave barrier
	s_waitcnt lgkmcnt(0)
	ds_read_u16 v4, v38
	ds_read_u16 v5, v38 offset:128
	ds_read_u16 v6, v38 offset:256
	;; [unrolled: 1-line block ×23, first 2 shown]
	v_add_co_u32_e32 v0, vcc, v2, v38
	v_addc_co_u32_e32 v1, vcc, 0, v3, vcc
	s_waitcnt lgkmcnt(0)
	flat_store_short v[0:1], v4
	flat_store_short v[0:1], v5 offset:128
	flat_store_short v[0:1], v6 offset:256
	;; [unrolled: 1-line block ×23, first 2 shown]
                                        ; implicit-def: $vgpr2_vgpr3_vgpr4_vgpr5
                                        ; implicit-def: $vgpr6_vgpr7_vgpr8_vgpr9
                                        ; implicit-def: $vgpr0
                                        ; implicit-def: $vgpr1
                                        ; implicit-def: $vgpr26
                                        ; implicit-def: $vgpr27
                                        ; implicit-def: $vgpr30
                                        ; implicit-def: $vgpr31
                                        ; implicit-def: $vgpr32
                                        ; implicit-def: $vgpr33
                                        ; implicit-def: $vgpr34
                                        ; implicit-def: $vgpr35
                                        ; implicit-def: $vgpr48
                                        ; implicit-def: $vgpr50
                                        ; implicit-def: $vgpr49
                                        ; implicit-def: $vgpr51
                                        ; implicit-def: $vgpr52
                                        ; implicit-def: $vgpr53
                                        ; implicit-def: $vgpr54
                                        ; implicit-def: $vgpr55
                                        ; implicit-def: $vgpr64
                                        ; implicit-def: $vgpr65
                                        ; implicit-def: $vgpr66
                                        ; implicit-def: $vgpr67
                                        ; implicit-def: $vgpr68
                                        ; implicit-def: $vgpr69
                                        ; implicit-def: $vgpr70
                                        ; implicit-def: $vgpr71
                                        ; implicit-def: $vgpr39
                                        ; implicit-def: $vgpr36
                                        ; implicit-def: $vgpr37
                                        ; implicit-def: $vgpr2
                                        ; implicit-def: $vgpr3
                                        ; implicit-def: $vgpr38
.LBB444_381:
	s_andn2_saveexec_b64 s[6:7], s[4:5]
	s_cbranch_execz .LBB444_522
; %bb.382:
	s_mov_b32 s4, 0x5040100
	v_perm_b32 v13, v35, v34, s4
	v_perm_b32 v12, v33, v32, s4
	;; [unrolled: 1-line block ×4, first 2 shown]
	ds_write_b128 v1, v[10:13]
	v_perm_b32 v13, v55, v54, s4
	v_perm_b32 v12, v53, v52, s4
	;; [unrolled: 1-line block ×4, first 2 shown]
	ds_write_b128 v1, v[10:13] offset:16
	v_perm_b32 v13, v71, v70, s4
	v_perm_b32 v12, v69, v68, s4
	;; [unrolled: 1-line block ×4, first 2 shown]
	ds_write_b128 v1, v[10:13] offset:32
	s_waitcnt lgkmcnt(0)
	; wave barrier
	s_waitcnt lgkmcnt(0)
	ds_read_u16 v7, v38
	ds_read_u16 v6, v38 offset:128
	ds_read_u16 v11, v38 offset:256
	;; [unrolled: 1-line block ×23, first 2 shown]
	v_add_co_u32_e32 v2, vcc, v2, v38
	v_addc_co_u32_e32 v3, vcc, 0, v3, vcc
	v_mov_b32_e32 v1, 0
	v_cmp_lt_u32_e32 vcc, v0, v36
	s_and_saveexec_b64 s[4:5], vcc
	s_cbranch_execz .LBB444_384
; %bb.383:
	s_waitcnt lgkmcnt(0)
	flat_store_short v[2:3], v7
.LBB444_384:
	s_or_b64 exec, exec, s[4:5]
	v_add_u32_e32 v32, 64, v0
	v_cmp_lt_u32_e32 vcc, v32, v36
	s_and_saveexec_b64 s[4:5], vcc
	s_cbranch_execz .LBB444_386
; %bb.385:
	s_waitcnt lgkmcnt(0)
	flat_store_short v[2:3], v6 offset:128
.LBB444_386:
	s_or_b64 exec, exec, s[4:5]
	v_add_u32_e32 v32, 0x80, v0
	v_cmp_lt_u32_e32 vcc, v32, v36
	s_and_saveexec_b64 s[4:5], vcc
	s_cbranch_execz .LBB444_388
; %bb.387:
	s_waitcnt lgkmcnt(0)
	flat_store_short v[2:3], v11 offset:256
.LBB444_388:
	;; [unrolled: 9-line block ×15, first 2 shown]
	s_or_b64 exec, exec, s[4:5]
	v_or_b32_e32 v32, 0x400, v0
	v_cmp_lt_u32_e32 vcc, v32, v36
	s_and_saveexec_b64 s[4:5], vcc
	s_cbranch_execz .LBB444_416
; %bb.415:
	s_waitcnt lgkmcnt(0)
	flat_store_short v[2:3], v26 offset:2048
.LBB444_416:
	s_or_b64 exec, exec, s[4:5]
	v_add_u32_e32 v32, 0x440, v0
	v_cmp_lt_u32_e32 vcc, v32, v36
	s_and_saveexec_b64 s[4:5], vcc
	s_cbranch_execz .LBB444_418
; %bb.417:
	s_waitcnt lgkmcnt(0)
	flat_store_short v[2:3], v30 offset:2176
.LBB444_418:
	s_or_b64 exec, exec, s[4:5]
	v_add_u32_e32 v32, 0x480, v0
	;; [unrolled: 9-line block ×7, first 2 shown]
	v_cmp_lt_u32_e32 vcc, v32, v36
	s_and_saveexec_b64 s[4:5], vcc
	s_cbranch_execz .LBB444_430
; %bb.429:
	s_waitcnt lgkmcnt(0)
	flat_store_short v[2:3], v31 offset:2944
.LBB444_430:
	s_or_b64 exec, exec, s[4:5]
	v_cmp_lt_u64_e32 vcc, 1, v[8:9]
	s_and_saveexec_b64 s[8:9], vcc
	s_cbranch_execz .LBB444_521
; %bb.431:
	s_add_u32 s4, 0, 0xaaaa0000
	s_addc_u32 s5, 0, 42
	s_add_i32 s5, s5, 0xaaaaa80
	s_mul_hi_u32 s13, s4, 0xffffffe8
	s_sub_i32 s13, s13, s4
	s_mul_i32 s14, s5, 0xffffffe8
	s_mul_i32 s10, s4, 0xffffffe8
	s_add_i32 s13, s13, s14
	s_mul_hi_u32 s11, s5, s10
	s_mul_i32 s12, s5, s10
	s_mul_i32 s15, s4, s13
	s_mul_hi_u32 s10, s4, s10
	s_mul_hi_u32 s14, s4, s13
	s_add_u32 s10, s10, s15
	s_addc_u32 s14, 0, s14
	s_add_u32 s10, s10, s12
	s_mul_hi_u32 s15, s5, s13
	s_addc_u32 s10, s14, s11
	s_addc_u32 s11, s15, 0
	s_mul_i32 s12, s5, s13
	v_add_co_u32_e32 v2, vcc, -1, v36
	s_add_u32 s10, s10, s12
	v_addc_co_u32_e32 v3, vcc, -1, v37, vcc
	v_mov_b32_e32 v8, s10
	s_addc_u32 s11, 0, s11
	v_add_co_u32_e32 v32, vcc, s4, v8
	s_cmp_lg_u64 vcc, 0
	s_addc_u32 s10, s5, s11
	v_mad_u64_u32 v[8:9], s[4:5], v2, s10, 0
	v_mul_hi_u32 v33, v2, v32
	v_add_co_u32_e32 v34, vcc, v33, v8
	v_addc_co_u32_e32 v35, vcc, 0, v9, vcc
	v_mad_u64_u32 v[32:33], s[4:5], v3, v32, 0
	v_add_co_u32_e32 v32, vcc, v34, v32
	v_mad_u64_u32 v[8:9], s[4:5], v3, s10, 0
	v_addc_co_u32_e32 v32, vcc, v35, v33, vcc
	v_addc_co_u32_e32 v9, vcc, 0, v9, vcc
	v_add_co_u32_e32 v34, vcc, v32, v8
	v_addc_co_u32_e32 v35, vcc, 0, v9, vcc
	v_mad_u64_u32 v[8:9], s[4:5], v34, 24, 0
	v_mov_b32_e32 v32, v9
	v_mad_u64_u32 v[32:33], s[4:5], v35, 24, v[32:33]
	v_sub_co_u32_e32 v8, vcc, v2, v8
	v_subb_co_u32_e32 v9, vcc, v3, v32, vcc
	v_subrev_co_u32_e32 v32, vcc, 24, v8
	v_subbrev_co_u32_e32 v33, vcc, 0, v9, vcc
	v_cmp_lt_u32_e32 vcc, 23, v32
	v_cndmask_b32_e64 v32, 0, -1, vcc
	v_cmp_eq_u32_e32 vcc, 0, v33
	v_cndmask_b32_e32 v32, -1, v32, vcc
	v_add_co_u32_e32 v33, vcc, 2, v34
	v_addc_co_u32_e32 v36, vcc, 0, v35, vcc
	v_add_co_u32_e32 v37, vcc, 1, v34
	v_cmp_lt_u32_e64 s[4:5], 23, v8
	v_addc_co_u32_e32 v38, vcc, 0, v35, vcc
	v_cndmask_b32_e64 v8, 0, -1, s[4:5]
	v_cmp_eq_u32_e64 s[4:5], 0, v9
	v_cmp_ne_u32_e32 vcc, 0, v32
	v_cndmask_b32_e64 v8, -1, v8, s[4:5]
	v_cndmask_b32_e32 v32, v38, v36, vcc
	v_cmp_ne_u32_e64 s[4:5], 0, v8
	v_cndmask_b32_e32 v8, v37, v33, vcc
	v_cndmask_b32_e64 v9, v35, v32, s[4:5]
	v_cndmask_b32_e64 v8, v34, v8, s[4:5]
	v_cmp_eq_u64_e32 vcc, v[8:9], v[0:1]
	s_and_b64 exec, exec, vcc
	s_cbranch_execz .LBB444_521
; %bb.432:
	v_mul_hi_u32_u24_e32 v1, 24, v0
	v_sub_co_u32_e32 v0, vcc, v2, v39
	v_subb_co_u32_e32 v1, vcc, v3, v1, vcc
	v_cmp_lt_i64_e32 vcc, 11, v[0:1]
	s_mov_b64 s[4:5], 0
	s_mov_b64 s[16:17], 0
	;; [unrolled: 1-line block ×4, first 2 shown]
	s_and_saveexec_b64 s[10:11], vcc
	s_xor_b64 s[10:11], exec, s[10:11]
	s_cbranch_execnz .LBB444_438
; %bb.433:
	s_andn2_saveexec_b64 s[10:11], s[10:11]
	s_cbranch_execnz .LBB444_483
.LBB444_434:
	s_or_b64 exec, exec, s[10:11]
	s_and_saveexec_b64 s[10:11], s[16:17]
	s_cbranch_execnz .LBB444_500
.LBB444_435:
	s_or_b64 exec, exec, s[10:11]
	s_and_saveexec_b64 s[10:11], s[14:15]
	s_cbranch_execnz .LBB444_501
.LBB444_436:
	s_or_b64 exec, exec, s[10:11]
	s_and_saveexec_b64 s[10:11], s[12:13]
	s_xor_b64 s[10:11], exec, s[10:11]
	s_cbranch_execnz .LBB444_502
.LBB444_437:
	s_or_b64 exec, exec, s[10:11]
	s_and_b64 exec, exec, s[4:5]
	s_cbranch_execnz .LBB444_503
	s_branch .LBB444_521
.LBB444_438:
	v_cmp_lt_i64_e32 vcc, 17, v[0:1]
	s_and_saveexec_b64 s[18:19], vcc
	s_xor_b64 s[18:19], exec, s[18:19]
	s_cbranch_execz .LBB444_460
; %bb.439:
	v_cmp_lt_i64_e32 vcc, 20, v[0:1]
                                        ; implicit-def: $vgpr14
	s_and_saveexec_b64 s[20:21], vcc
	s_xor_b64 s[20:21], exec, s[20:21]
	s_cbranch_execz .LBB444_449
; %bb.440:
	v_cmp_lt_i64_e32 vcc, 21, v[0:1]
	s_mov_b64 s[22:23], 0
                                        ; implicit-def: $vgpr14
	s_and_saveexec_b64 s[12:13], vcc
	s_xor_b64 s[12:13], exec, s[12:13]
	s_cbranch_execz .LBB444_446
; %bb.441:
	v_cmp_lt_i64_e32 vcc, 22, v[0:1]
	s_and_saveexec_b64 s[22:23], vcc
	s_xor_b64 s[22:23], exec, s[22:23]
	s_cbranch_execz .LBB444_443
; %bb.442:
	s_waitcnt lgkmcnt(0)
	flat_store_short v[4:5], v31
                                        ; implicit-def: $vgpr29
.LBB444_443:
	s_or_saveexec_b64 s[22:23], s[22:23]
	s_mov_b64 s[24:25], 0
	s_xor_b64 exec, exec, s[22:23]
; %bb.444:
	s_mov_b64 s[24:25], exec
; %bb.445:
	s_or_b64 exec, exec, s[22:23]
	s_and_b64 s[22:23], s[24:25], exec
	s_waitcnt lgkmcnt(0)
	v_mov_b32_e32 v14, v29
                                        ; implicit-def: $vgpr15
.LBB444_446:
	s_andn2_saveexec_b64 s[12:13], s[12:13]
; %bb.447:
	s_mov_b64 s[14:15], exec
                                        ; implicit-def: $vgpr14
; %bb.448:
	s_or_b64 exec, exec, s[12:13]
	s_and_b64 s[12:13], s[22:23], exec
	s_and_b64 s[14:15], s[14:15], exec
                                        ; implicit-def: $vgpr28
                                        ; implicit-def: $vgpr16
                                        ; implicit-def: $vgpr25
.LBB444_449:
	s_andn2_saveexec_b64 s[20:21], s[20:21]
	s_cbranch_execz .LBB444_459
; %bb.450:
	v_cmp_lt_i64_e32 vcc, 18, v[0:1]
	s_mov_b64 s[22:23], 0
	s_and_saveexec_b64 s[16:17], vcc
	s_xor_b64 s[16:17], exec, s[16:17]
	s_cbranch_execz .LBB444_456
; %bb.451:
	v_cmp_lt_i64_e32 vcc, 19, v[0:1]
	s_and_saveexec_b64 s[24:25], vcc
	s_xor_b64 s[24:25], exec, s[24:25]
; %bb.452:
	s_mov_b64 s[22:23], exec
                                        ; implicit-def: $vgpr25
; %bb.453:
	s_andn2_saveexec_b64 s[24:25], s[24:25]
	s_cbranch_execz .LBB444_455
; %bb.454:
	s_waitcnt lgkmcnt(0)
	flat_store_short v[4:5], v25
                                        ; implicit-def: $vgpr16
.LBB444_455:
	s_or_b64 exec, exec, s[24:25]
	s_and_b64 s[22:23], s[22:23], exec
                                        ; implicit-def: $vgpr28
.LBB444_456:
	s_andn2_saveexec_b64 s[16:17], s[16:17]
	s_cbranch_execz .LBB444_458
; %bb.457:
	s_waitcnt lgkmcnt(0)
	flat_store_short v[4:5], v28
                                        ; implicit-def: $vgpr16
.LBB444_458:
	s_or_b64 exec, exec, s[16:17]
	s_and_b64 s[16:17], s[22:23], exec
                                        ; implicit-def: $vgpr14
                                        ; implicit-def: $vgpr15
.LBB444_459:
	s_or_b64 exec, exec, s[20:21]
	s_and_b64 s[12:13], s[12:13], exec
	s_and_b64 s[14:15], s[14:15], exec
	;; [unrolled: 1-line block ×3, first 2 shown]
                                        ; implicit-def: $vgpr22
                                        ; implicit-def: $vgpr17
                                        ; implicit-def: $vgpr18
                                        ; implicit-def: $vgpr26
                                        ; implicit-def: $vgpr30
.LBB444_460:
	s_andn2_saveexec_b64 s[18:19], s[18:19]
	s_cbranch_execz .LBB444_482
; %bb.461:
	v_cmp_lt_i64_e32 vcc, 14, v[0:1]
	s_mov_b64 s[20:21], s[12:13]
	s_and_saveexec_b64 s[22:23], vcc
	s_xor_b64 s[22:23], exec, s[22:23]
	s_cbranch_execz .LBB444_471
; %bb.462:
	v_cmp_lt_i64_e32 vcc, 15, v[0:1]
	s_and_saveexec_b64 s[20:21], vcc
	s_xor_b64 s[20:21], exec, s[20:21]
	s_cbranch_execz .LBB444_468
; %bb.463:
	v_cmp_lt_i64_e32 vcc, 16, v[0:1]
	s_and_saveexec_b64 s[24:25], vcc
	s_xor_b64 s[24:25], exec, s[24:25]
	s_cbranch_execz .LBB444_465
; %bb.464:
	s_waitcnt lgkmcnt(0)
	flat_store_short v[4:5], v30
                                        ; implicit-def: $vgpr26
.LBB444_465:
	s_andn2_saveexec_b64 s[24:25], s[24:25]
	s_cbranch_execz .LBB444_467
; %bb.466:
	s_waitcnt lgkmcnt(0)
	flat_store_short v[4:5], v26
.LBB444_467:
	s_or_b64 exec, exec, s[24:25]
                                        ; implicit-def: $vgpr14
.LBB444_468:
	s_or_saveexec_b64 s[20:21], s[20:21]
	s_mov_b64 s[24:25], s[12:13]
	s_xor_b64 exec, exec, s[20:21]
; %bb.469:
	s_or_b64 s[24:25], s[12:13], exec
; %bb.470:
	s_or_b64 exec, exec, s[20:21]
	s_andn2_b64 s[20:21], s[12:13], exec
	s_and_b64 s[24:25], s[24:25], exec
	s_or_b64 s[20:21], s[20:21], s[24:25]
                                        ; implicit-def: $vgpr22
                                        ; implicit-def: $vgpr17
                                        ; implicit-def: $vgpr18
.LBB444_471:
	s_or_saveexec_b64 s[22:23], s[22:23]
	s_mov_b64 s[24:25], s[14:15]
                                        ; implicit-def: $vgpr15
	s_xor_b64 exec, exec, s[22:23]
	s_cbranch_execz .LBB444_481
; %bb.472:
	v_cmp_lt_i64_e32 vcc, 12, v[0:1]
	s_mov_b64 s[26:27], s[14:15]
	s_mov_b64 s[28:29], s[20:21]
                                        ; implicit-def: $vgpr14
                                        ; implicit-def: $vgpr15
	s_and_saveexec_b64 s[24:25], vcc
	s_xor_b64 s[24:25], exec, s[24:25]
	s_cbranch_execz .LBB444_478
; %bb.473:
	v_cmp_lt_i64_e32 vcc, 13, v[0:1]
	s_mov_b64 s[26:27], s[20:21]
	s_and_saveexec_b64 s[28:29], vcc
	s_xor_b64 s[28:29], exec, s[28:29]
; %bb.474:
	s_or_b64 s[26:27], s[20:21], exec
                                        ; implicit-def: $vgpr17
; %bb.475:
	s_or_saveexec_b64 s[28:29], s[28:29]
	s_mov_b64 vcc, s[14:15]
	s_xor_b64 exec, exec, s[28:29]
; %bb.476:
	s_or_b64 vcc, s[14:15], exec
                                        ; implicit-def: $vgpr18
; %bb.477:
	s_or_b64 exec, exec, s[28:29]
	s_andn2_b64 s[28:29], s[20:21], exec
	s_and_b64 s[26:27], s[26:27], exec
	s_or_b64 s[28:29], s[28:29], s[26:27]
	s_andn2_b64 s[26:27], s[14:15], exec
	s_and_b64 vcc, vcc, exec
	s_or_b64 s[26:27], s[26:27], vcc
	s_waitcnt lgkmcnt(0)
	v_mov_b32_e32 v14, v18
	v_mov_b32_e32 v15, v17
                                        ; implicit-def: $vgpr22
.LBB444_478:
	s_andn2_saveexec_b64 s[24:25], s[24:25]
	s_cbranch_execz .LBB444_480
; %bb.479:
	s_or_b64 s[26:27], s[26:27], exec
                                        ; implicit-def: $vgpr14
	s_waitcnt lgkmcnt(0)
	v_mov_b32_e32 v15, v22
.LBB444_480:
	s_or_b64 exec, exec, s[24:25]
	s_andn2_b64 s[20:21], s[20:21], exec
	s_and_b64 s[24:25], s[28:29], exec
	s_or_b64 s[20:21], s[20:21], s[24:25]
	s_andn2_b64 s[24:25], s[14:15], exec
	s_and_b64 s[26:27], s[26:27], exec
	s_or_b64 s[24:25], s[24:25], s[26:27]
.LBB444_481:
	s_or_b64 exec, exec, s[22:23]
	s_andn2_b64 s[12:13], s[12:13], exec
	s_and_b64 s[20:21], s[20:21], exec
	s_or_b64 s[12:13], s[12:13], s[20:21]
	s_andn2_b64 s[14:15], s[14:15], exec
	s_and_b64 s[20:21], s[24:25], exec
	s_or_b64 s[14:15], s[14:15], s[20:21]
                                        ; implicit-def: $vgpr16
.LBB444_482:
	s_or_b64 exec, exec, s[18:19]
	s_and_b64 s[12:13], s[12:13], exec
	s_and_b64 s[14:15], s[14:15], exec
	;; [unrolled: 1-line block ×3, first 2 shown]
                                        ; implicit-def: $vgpr21
                                        ; implicit-def: $vgpr19
                                        ; implicit-def: $vgpr20
                                        ; implicit-def: $vgpr27
                                        ; implicit-def: $vgpr24
                                        ; implicit-def: $vgpr23
	s_andn2_saveexec_b64 s[10:11], s[10:11]
	s_cbranch_execz .LBB444_434
.LBB444_483:
	v_cmp_lt_i64_e32 vcc, 5, v[0:1]
	s_mov_b64 s[20:21], -1
	s_mov_b64 s[18:19], s[16:17]
	s_mov_b64 s[22:23], s[14:15]
	;; [unrolled: 1-line block ×3, first 2 shown]
                                        ; implicit-def: $vgpr14
                                        ; implicit-def: $vgpr15
                                        ; implicit-def: $vgpr16
	s_and_saveexec_b64 s[4:5], vcc
	s_cbranch_execz .LBB444_499
; %bb.484:
	v_cmp_lt_i64_e32 vcc, 8, v[0:1]
	s_mov_b64 s[18:19], s[16:17]
                                        ; implicit-def: $vgpr16
	s_and_saveexec_b64 s[20:21], vcc
	s_xor_b64 s[20:21], exec, s[20:21]
	s_cbranch_execz .LBB444_494
; %bb.485:
	v_cmp_lt_i64_e32 vcc, 9, v[0:1]
	s_and_saveexec_b64 s[18:19], vcc
	s_xor_b64 s[18:19], exec, s[18:19]
	s_cbranch_execz .LBB444_491
; %bb.486:
	v_cmp_lt_i64_e32 vcc, 10, v[0:1]
	s_and_saveexec_b64 s[22:23], vcc
	s_xor_b64 s[22:23], exec, s[22:23]
; %bb.487:
                                        ; implicit-def: $vgpr24
; %bb.488:
	s_andn2_saveexec_b64 s[22:23], s[22:23]
	s_cbranch_execz .LBB444_490
; %bb.489:
	s_waitcnt lgkmcnt(0)
	v_mov_b32_e32 v23, v24
.LBB444_490:
	s_or_b64 exec, exec, s[22:23]
                                        ; implicit-def: $vgpr27
.LBB444_491:
	s_andn2_saveexec_b64 s[18:19], s[18:19]
	s_cbranch_execz .LBB444_493
; %bb.492:
	s_waitcnt lgkmcnt(0)
	v_mov_b32_e32 v23, v27
.LBB444_493:
	s_or_b64 exec, exec, s[18:19]
	s_or_b64 s[18:19], s[16:17], exec
	s_waitcnt lgkmcnt(0)
	v_mov_b32_e32 v16, v23
                                        ; implicit-def: $vgpr21
                                        ; implicit-def: $vgpr19
                                        ; implicit-def: $vgpr20
.LBB444_494:
	s_or_saveexec_b64 s[20:21], s[20:21]
	s_mov_b64 s[22:23], s[14:15]
	s_mov_b64 s[26:27], s[12:13]
                                        ; implicit-def: $vgpr14
                                        ; implicit-def: $vgpr15
	s_xor_b64 exec, exec, s[20:21]
	s_cbranch_execz .LBB444_498
; %bb.495:
	v_cmp_lt_i64_e32 vcc, 6, v[0:1]
	s_mov_b64 s[26:27], -1
	s_mov_b64 s[24:25], s[18:19]
	s_mov_b64 s[22:23], s[14:15]
	s_and_saveexec_b64 s[28:29], vcc
; %bb.496:
	v_cmp_lt_i64_e32 vcc, 7, v[0:1]
	s_andn2_b64 s[24:25], s[18:19], exec
	s_and_b64 vcc, vcc, exec
	s_xor_b64 s[26:27], exec, -1
	s_or_b64 s[22:23], s[14:15], exec
	s_or_b64 s[24:25], s[24:25], vcc
                                        ; implicit-def: $vgpr21
; %bb.497:
	s_or_b64 exec, exec, s[28:29]
	s_andn2_b64 s[28:29], s[12:13], exec
	s_and_b64 s[26:27], s[26:27], exec
	s_or_b64 s[26:27], s[28:29], s[26:27]
	s_andn2_b64 s[28:29], s[14:15], exec
	s_and_b64 s[22:23], s[22:23], exec
	s_andn2_b64 s[18:19], s[18:19], exec
	s_and_b64 s[24:25], s[24:25], exec
	s_or_b64 s[22:23], s[28:29], s[22:23]
	s_or_b64 s[18:19], s[18:19], s[24:25]
	s_waitcnt lgkmcnt(0)
	v_mov_b32_e32 v14, v21
	v_mov_b32_e32 v15, v19
	;; [unrolled: 1-line block ×3, first 2 shown]
.LBB444_498:
	s_or_b64 exec, exec, s[20:21]
	s_andn2_b64 s[24:25], s[12:13], exec
	s_and_b64 s[26:27], s[26:27], exec
	s_or_b64 s[24:25], s[24:25], s[26:27]
	s_andn2_b64 s[26:27], s[14:15], exec
	s_and_b64 s[22:23], s[22:23], exec
	s_or_b64 s[22:23], s[26:27], s[22:23]
	s_andn2_b64 s[26:27], s[16:17], exec
	s_and_b64 s[18:19], s[18:19], exec
	s_xor_b64 s[20:21], exec, -1
	s_or_b64 s[18:19], s[26:27], s[18:19]
.LBB444_499:
	s_or_b64 exec, exec, s[4:5]
	s_and_b64 s[4:5], s[20:21], exec
	s_andn2_b64 s[12:13], s[12:13], exec
	s_and_b64 s[20:21], s[24:25], exec
	s_or_b64 s[12:13], s[12:13], s[20:21]
	s_andn2_b64 s[14:15], s[14:15], exec
	s_and_b64 s[20:21], s[22:23], exec
	s_andn2_b64 s[16:17], s[16:17], exec
	s_and_b64 s[18:19], s[18:19], exec
	s_or_b64 s[14:15], s[14:15], s[20:21]
	s_or_b64 s[16:17], s[16:17], s[18:19]
	s_or_b64 exec, exec, s[10:11]
	s_and_saveexec_b64 s[10:11], s[16:17]
	s_cbranch_execz .LBB444_435
.LBB444_500:
	s_andn2_b64 s[14:15], s[14:15], exec
	s_waitcnt lgkmcnt(0)
	flat_store_short v[4:5], v16
                                        ; implicit-def: $vgpr14
                                        ; implicit-def: $vgpr15
	s_or_b64 exec, exec, s[10:11]
	s_and_saveexec_b64 s[10:11], s[14:15]
	s_cbranch_execz .LBB444_436
.LBB444_501:
	s_waitcnt lgkmcnt(0)
	flat_store_short v[4:5], v15
                                        ; implicit-def: $vgpr14
	s_or_b64 exec, exec, s[10:11]
	s_and_saveexec_b64 s[10:11], s[12:13]
	s_xor_b64 s[10:11], exec, s[10:11]
	s_cbranch_execz .LBB444_437
.LBB444_502:
	s_waitcnt lgkmcnt(0)
	flat_store_short v[4:5], v14
	s_or_b64 exec, exec, s[10:11]
	s_and_b64 exec, exec, s[4:5]
	s_cbranch_execz .LBB444_521
.LBB444_503:
	v_cmp_lt_i64_e32 vcc, 2, v[0:1]
	s_and_saveexec_b64 s[4:5], vcc
	s_xor_b64 s[4:5], exec, s[4:5]
	s_cbranch_execz .LBB444_513
; %bb.504:
	v_cmp_lt_i64_e32 vcc, 3, v[0:1]
	s_and_saveexec_b64 s[10:11], vcc
	s_xor_b64 s[10:11], exec, s[10:11]
	s_cbranch_execz .LBB444_510
; %bb.505:
	;; [unrolled: 5-line block ×3, first 2 shown]
	s_waitcnt lgkmcnt(0)
	flat_store_short v[4:5], v13
                                        ; implicit-def: $vgpr4_vgpr5
                                        ; implicit-def: $vgpr10
.LBB444_507:
	s_andn2_saveexec_b64 s[12:13], s[12:13]
	s_cbranch_execz .LBB444_509
; %bb.508:
	s_waitcnt lgkmcnt(0)
	flat_store_short v[4:5], v10
.LBB444_509:
	s_or_b64 exec, exec, s[12:13]
                                        ; implicit-def: $vgpr4_vgpr5
                                        ; implicit-def: $vgpr12
.LBB444_510:
	s_andn2_saveexec_b64 s[10:11], s[10:11]
	s_cbranch_execz .LBB444_512
; %bb.511:
	s_waitcnt lgkmcnt(0)
	flat_store_short v[4:5], v12
.LBB444_512:
	s_or_b64 exec, exec, s[10:11]
                                        ; implicit-def: $vgpr0_vgpr1
                                        ; implicit-def: $vgpr4_vgpr5
                                        ; implicit-def: $vgpr11
                                        ; implicit-def: $vgpr6
                                        ; implicit-def: $vgpr7
.LBB444_513:
	s_andn2_saveexec_b64 s[4:5], s[4:5]
	s_cbranch_execz .LBB444_521
; %bb.514:
	v_cmp_lt_i64_e32 vcc, 1, v[0:1]
	s_and_saveexec_b64 s[4:5], vcc
	s_xor_b64 s[4:5], exec, s[4:5]
	s_cbranch_execz .LBB444_516
; %bb.515:
	s_waitcnt lgkmcnt(0)
	flat_store_short v[4:5], v11
                                        ; implicit-def: $vgpr4_vgpr5
                                        ; implicit-def: $vgpr6
                                        ; implicit-def: $vgpr0_vgpr1
                                        ; implicit-def: $vgpr7
.LBB444_516:
	s_andn2_saveexec_b64 s[4:5], s[4:5]
	s_cbranch_execz .LBB444_521
; %bb.517:
	v_cmp_ne_u64_e32 vcc, 1, v[0:1]
	s_and_saveexec_b64 s[4:5], vcc
	s_xor_b64 s[4:5], exec, s[4:5]
	s_cbranch_execz .LBB444_519
; %bb.518:
	s_waitcnt lgkmcnt(0)
	flat_store_short v[4:5], v7
                                        ; implicit-def: $vgpr4_vgpr5
                                        ; implicit-def: $vgpr6
.LBB444_519:
	s_andn2_saveexec_b64 s[4:5], s[4:5]
	s_cbranch_execz .LBB444_521
; %bb.520:
	s_waitcnt lgkmcnt(0)
	flat_store_short v[4:5], v6
.LBB444_521:
	s_or_b64 exec, exec, s[8:9]
.LBB444_522:
	s_or_b64 exec, exec, s[6:7]
	v_readlane_b32 s30, v40, 0
	v_readlane_b32 s31, v40, 1
	s_or_saveexec_b64 s[4:5], -1
	buffer_load_dword v40, off, s[0:3], s32 ; 4-byte Folded Reload
	s_mov_b64 exec, s[4:5]
	s_waitcnt vmcnt(0) lgkmcnt(0)
	s_setpc_b64 s[30:31]
.Lfunc_end444:
	.size	_ZZZN7rocprim17ROCPRIM_400000_NS6detail9scan_implILNS1_25lookback_scan_determinismE0ELb0ELb0ENS0_14default_configEPKN3c108BFloat16EPS6_S6_ZZZN2at6native31launch_logcumsumexp_cuda_kernelERKNSA_10TensorBaseESE_lENKUlvE_clEvENKUlvE4_clEvEUlS6_S6_E_S6_EEDaPvRmT3_T4_T5_mT6_P12ihipStream_tbENKUlT_T0_E_clISt17integral_constantIbLb0EESV_EEDaSQ_SR_ENKUlSQ_E_clINS1_13target_configIS4_NS1_20scan_config_selectorIS6_EENS1_11comp_targetILNS1_3genE4ELNS1_11target_archE910ELNS1_3gpuE8ELNS1_3repE0EEELNS0_4arch9wavefront6targetE1EEEEEDaSQ_, .Lfunc_end444-_ZZZN7rocprim17ROCPRIM_400000_NS6detail9scan_implILNS1_25lookback_scan_determinismE0ELb0ELb0ENS0_14default_configEPKN3c108BFloat16EPS6_S6_ZZZN2at6native31launch_logcumsumexp_cuda_kernelERKNSA_10TensorBaseESE_lENKUlvE_clEvENKUlvE4_clEvEUlS6_S6_E_S6_EEDaPvRmT3_T4_T5_mT6_P12ihipStream_tbENKUlT_T0_E_clISt17integral_constantIbLb0EESV_EEDaSQ_SR_ENKUlSQ_E_clINS1_13target_configIS4_NS1_20scan_config_selectorIS6_EENS1_11comp_targetILNS1_3genE4ELNS1_11target_archE910ELNS1_3gpuE8ELNS1_3repE0EEELNS0_4arch9wavefront6targetE1EEEEEDaSQ_
                                        ; -- End function
	.section	.AMDGPU.csdata,"",@progbits
; Function info:
; codeLenInByte = 113204
; NumSgprs: 82
; NumVgprs: 213
; NumAgprs: 0
; TotalNumVgprs: 213
; ScratchSize: 8
; MemoryBound: 0
	.section	.text._ZN7rocprim17ROCPRIM_400000_NS6detail17trampoline_kernelINS0_14default_configENS1_20scan_config_selectorIN3c108BFloat16EEEZZNS1_9scan_implILNS1_25lookback_scan_determinismE0ELb0ELb0ES3_PKS6_PS6_S6_ZZZN2at6native31launch_logcumsumexp_cuda_kernelERKNSD_10TensorBaseESH_lENKUlvE_clEvENKUlvE4_clEvEUlS6_S6_E_S6_EEDaPvRmT3_T4_T5_mT6_P12ihipStream_tbENKUlT_T0_E_clISt17integral_constantIbLb0EESY_EEDaST_SU_EUlST_E_NS1_11comp_targetILNS1_3genE4ELNS1_11target_archE910ELNS1_3gpuE8ELNS1_3repE0EEENS1_30default_config_static_selectorELNS0_4arch9wavefront6targetE1EEEvT1_,"axG",@progbits,_ZN7rocprim17ROCPRIM_400000_NS6detail17trampoline_kernelINS0_14default_configENS1_20scan_config_selectorIN3c108BFloat16EEEZZNS1_9scan_implILNS1_25lookback_scan_determinismE0ELb0ELb0ES3_PKS6_PS6_S6_ZZZN2at6native31launch_logcumsumexp_cuda_kernelERKNSD_10TensorBaseESH_lENKUlvE_clEvENKUlvE4_clEvEUlS6_S6_E_S6_EEDaPvRmT3_T4_T5_mT6_P12ihipStream_tbENKUlT_T0_E_clISt17integral_constantIbLb0EESY_EEDaST_SU_EUlST_E_NS1_11comp_targetILNS1_3genE4ELNS1_11target_archE910ELNS1_3gpuE8ELNS1_3repE0EEENS1_30default_config_static_selectorELNS0_4arch9wavefront6targetE1EEEvT1_,comdat
	.globl	_ZN7rocprim17ROCPRIM_400000_NS6detail17trampoline_kernelINS0_14default_configENS1_20scan_config_selectorIN3c108BFloat16EEEZZNS1_9scan_implILNS1_25lookback_scan_determinismE0ELb0ELb0ES3_PKS6_PS6_S6_ZZZN2at6native31launch_logcumsumexp_cuda_kernelERKNSD_10TensorBaseESH_lENKUlvE_clEvENKUlvE4_clEvEUlS6_S6_E_S6_EEDaPvRmT3_T4_T5_mT6_P12ihipStream_tbENKUlT_T0_E_clISt17integral_constantIbLb0EESY_EEDaST_SU_EUlST_E_NS1_11comp_targetILNS1_3genE4ELNS1_11target_archE910ELNS1_3gpuE8ELNS1_3repE0EEENS1_30default_config_static_selectorELNS0_4arch9wavefront6targetE1EEEvT1_ ; -- Begin function _ZN7rocprim17ROCPRIM_400000_NS6detail17trampoline_kernelINS0_14default_configENS1_20scan_config_selectorIN3c108BFloat16EEEZZNS1_9scan_implILNS1_25lookback_scan_determinismE0ELb0ELb0ES3_PKS6_PS6_S6_ZZZN2at6native31launch_logcumsumexp_cuda_kernelERKNSD_10TensorBaseESH_lENKUlvE_clEvENKUlvE4_clEvEUlS6_S6_E_S6_EEDaPvRmT3_T4_T5_mT6_P12ihipStream_tbENKUlT_T0_E_clISt17integral_constantIbLb0EESY_EEDaST_SU_EUlST_E_NS1_11comp_targetILNS1_3genE4ELNS1_11target_archE910ELNS1_3gpuE8ELNS1_3repE0EEENS1_30default_config_static_selectorELNS0_4arch9wavefront6targetE1EEEvT1_
	.p2align	8
	.type	_ZN7rocprim17ROCPRIM_400000_NS6detail17trampoline_kernelINS0_14default_configENS1_20scan_config_selectorIN3c108BFloat16EEEZZNS1_9scan_implILNS1_25lookback_scan_determinismE0ELb0ELb0ES3_PKS6_PS6_S6_ZZZN2at6native31launch_logcumsumexp_cuda_kernelERKNSD_10TensorBaseESH_lENKUlvE_clEvENKUlvE4_clEvEUlS6_S6_E_S6_EEDaPvRmT3_T4_T5_mT6_P12ihipStream_tbENKUlT_T0_E_clISt17integral_constantIbLb0EESY_EEDaST_SU_EUlST_E_NS1_11comp_targetILNS1_3genE4ELNS1_11target_archE910ELNS1_3gpuE8ELNS1_3repE0EEENS1_30default_config_static_selectorELNS0_4arch9wavefront6targetE1EEEvT1_,@function
_ZN7rocprim17ROCPRIM_400000_NS6detail17trampoline_kernelINS0_14default_configENS1_20scan_config_selectorIN3c108BFloat16EEEZZNS1_9scan_implILNS1_25lookback_scan_determinismE0ELb0ELb0ES3_PKS6_PS6_S6_ZZZN2at6native31launch_logcumsumexp_cuda_kernelERKNSD_10TensorBaseESH_lENKUlvE_clEvENKUlvE4_clEvEUlS6_S6_E_S6_EEDaPvRmT3_T4_T5_mT6_P12ihipStream_tbENKUlT_T0_E_clISt17integral_constantIbLb0EESY_EEDaST_SU_EUlST_E_NS1_11comp_targetILNS1_3genE4ELNS1_11target_archE910ELNS1_3gpuE8ELNS1_3repE0EEENS1_30default_config_static_selectorELNS0_4arch9wavefront6targetE1EEEvT1_: ; @_ZN7rocprim17ROCPRIM_400000_NS6detail17trampoline_kernelINS0_14default_configENS1_20scan_config_selectorIN3c108BFloat16EEEZZNS1_9scan_implILNS1_25lookback_scan_determinismE0ELb0ELb0ES3_PKS6_PS6_S6_ZZZN2at6native31launch_logcumsumexp_cuda_kernelERKNSD_10TensorBaseESH_lENKUlvE_clEvENKUlvE4_clEvEUlS6_S6_E_S6_EEDaPvRmT3_T4_T5_mT6_P12ihipStream_tbENKUlT_T0_E_clISt17integral_constantIbLb0EESY_EEDaST_SU_EUlST_E_NS1_11comp_targetILNS1_3genE4ELNS1_11target_archE910ELNS1_3gpuE8ELNS1_3repE0EEENS1_30default_config_static_selectorELNS0_4arch9wavefront6targetE1EEEvT1_
; %bb.0:
	s_load_dwordx8 s[16:23], s[4:5], 0x0
	s_add_u32 flat_scratch_lo, s6, s9
	s_addc_u32 flat_scratch_hi, s7, 0
	s_add_u32 s0, s0, s9
	s_addc_u32 s1, s1, 0
	s_waitcnt lgkmcnt(0)
	v_mov_b32_e32 v1, s19
	buffer_store_dword v1, off, s[0:3], 0 offset:12
	v_mov_b32_e32 v1, s18
	buffer_store_dword v1, off, s[0:3], 0 offset:8
	v_mov_b32_e32 v1, s17
	s_load_dwordx8 s[24:31], s[4:5], 0x20
	buffer_store_dword v1, off, s[0:3], 0 offset:4
	v_mov_b32_e32 v1, s16
	buffer_store_dword v1, off, s[0:3], 0
	v_mov_b32_e32 v1, s23
	buffer_store_dword v1, off, s[0:3], 0 offset:28
	v_mov_b32_e32 v1, s22
	buffer_store_dword v1, off, s[0:3], 0 offset:24
	;; [unrolled: 2-line block ×4, first 2 shown]
	s_waitcnt lgkmcnt(0)
	v_mov_b32_e32 v1, s27
	buffer_store_dword v1, off, s[0:3], 0 offset:44
	v_mov_b32_e32 v1, s26
	buffer_store_dword v1, off, s[0:3], 0 offset:40
	;; [unrolled: 2-line block ×3, first 2 shown]
	v_mov_b32_e32 v1, s24
	s_load_dwordx8 s[16:23], s[4:5], 0x40
	buffer_store_dword v1, off, s[0:3], 0 offset:32
	v_mov_b32_e32 v1, s31
	buffer_store_dword v1, off, s[0:3], 0 offset:60
	v_mov_b32_e32 v1, s30
	;; [unrolled: 2-line block ×4, first 2 shown]
	buffer_store_dword v1, off, s[0:3], 0 offset:48
	s_waitcnt lgkmcnt(0)
	v_mov_b32_e32 v1, s19
	buffer_store_dword v1, off, s[0:3], 0 offset:76
	v_mov_b32_e32 v1, s18
	buffer_store_dword v1, off, s[0:3], 0 offset:72
	v_mov_b32_e32 v1, s17
	buffer_store_dword v1, off, s[0:3], 0 offset:68
	v_mov_b32_e32 v1, s16
	buffer_store_dword v1, off, s[0:3], 0 offset:64
	v_mov_b32_e32 v1, s23
	buffer_store_dword v1, off, s[0:3], 0 offset:92
	v_mov_b32_e32 v1, s22
	buffer_store_dword v1, off, s[0:3], 0 offset:88
	v_mov_b32_e32 v1, s21
	s_mov_b32 s12, s8
	s_mov_b64 s[6:7], src_private_base
	buffer_store_dword v1, off, s[0:3], 0 offset:84
	v_mov_b32_e32 v1, s20
	s_add_u32 s8, s4, 0x60
	buffer_store_dword v1, off, s[0:3], 0 offset:80
	s_addc_u32 s9, s5, 0
	v_mov_b32_e32 v31, v0
	v_mov_b32_e32 v0, 0
	;; [unrolled: 1-line block ×3, first 2 shown]
	s_movk_i32 s32, 0x1c00
	s_getpc_b64 s[4:5]
	s_add_u32 s4, s4, _ZZZN7rocprim17ROCPRIM_400000_NS6detail9scan_implILNS1_25lookback_scan_determinismE0ELb0ELb0ENS0_14default_configEPKN3c108BFloat16EPS6_S6_ZZZN2at6native31launch_logcumsumexp_cuda_kernelERKNSA_10TensorBaseESE_lENKUlvE_clEvENKUlvE4_clEvEUlS6_S6_E_S6_EEDaPvRmT3_T4_T5_mT6_P12ihipStream_tbENKUlT_T0_E_clISt17integral_constantIbLb0EESV_EEDaSQ_SR_ENKUlSQ_E_clINS1_13target_configIS4_NS1_20scan_config_selectorIS6_EENS1_11comp_targetILNS1_3genE4ELNS1_11target_archE910ELNS1_3gpuE8ELNS1_3repE0EEELNS0_4arch9wavefront6targetE1EEEEEDaSQ_@rel32@lo+4
	s_addc_u32 s5, s5, _ZZZN7rocprim17ROCPRIM_400000_NS6detail9scan_implILNS1_25lookback_scan_determinismE0ELb0ELb0ENS0_14default_configEPKN3c108BFloat16EPS6_S6_ZZZN2at6native31launch_logcumsumexp_cuda_kernelERKNSA_10TensorBaseESE_lENKUlvE_clEvENKUlvE4_clEvEUlS6_S6_E_S6_EEDaPvRmT3_T4_T5_mT6_P12ihipStream_tbENKUlT_T0_E_clISt17integral_constantIbLb0EESV_EEDaSQ_SR_ENKUlSQ_E_clINS1_13target_configIS4_NS1_20scan_config_selectorIS6_EENS1_11comp_targetILNS1_3genE4ELNS1_11target_archE910ELNS1_3gpuE8ELNS1_3repE0EEELNS0_4arch9wavefront6targetE1EEEEEDaSQ_@rel32@hi+12
	s_swappc_b64 s[30:31], s[4:5]
	s_endpgm
	.section	.rodata,"a",@progbits
	.p2align	6, 0x0
	.amdhsa_kernel _ZN7rocprim17ROCPRIM_400000_NS6detail17trampoline_kernelINS0_14default_configENS1_20scan_config_selectorIN3c108BFloat16EEEZZNS1_9scan_implILNS1_25lookback_scan_determinismE0ELb0ELb0ES3_PKS6_PS6_S6_ZZZN2at6native31launch_logcumsumexp_cuda_kernelERKNSD_10TensorBaseESH_lENKUlvE_clEvENKUlvE4_clEvEUlS6_S6_E_S6_EEDaPvRmT3_T4_T5_mT6_P12ihipStream_tbENKUlT_T0_E_clISt17integral_constantIbLb0EESY_EEDaST_SU_EUlST_E_NS1_11comp_targetILNS1_3genE4ELNS1_11target_archE910ELNS1_3gpuE8ELNS1_3repE0EEENS1_30default_config_static_selectorELNS0_4arch9wavefront6targetE1EEEvT1_
		.amdhsa_group_segment_fixed_size 3072
		.amdhsa_private_segment_fixed_size 120
		.amdhsa_kernarg_size 352
		.amdhsa_user_sgpr_count 8
		.amdhsa_user_sgpr_private_segment_buffer 1
		.amdhsa_user_sgpr_dispatch_ptr 0
		.amdhsa_user_sgpr_queue_ptr 0
		.amdhsa_user_sgpr_kernarg_segment_ptr 1
		.amdhsa_user_sgpr_dispatch_id 0
		.amdhsa_user_sgpr_flat_scratch_init 1
		.amdhsa_user_sgpr_kernarg_preload_length 0
		.amdhsa_user_sgpr_kernarg_preload_offset 0
		.amdhsa_user_sgpr_private_segment_size 0
		.amdhsa_uses_dynamic_stack 0
		.amdhsa_system_sgpr_private_segment_wavefront_offset 1
		.amdhsa_system_sgpr_workgroup_id_x 1
		.amdhsa_system_sgpr_workgroup_id_y 0
		.amdhsa_system_sgpr_workgroup_id_z 0
		.amdhsa_system_sgpr_workgroup_info 0
		.amdhsa_system_vgpr_workitem_id 0
		.amdhsa_next_free_vgpr 213
		.amdhsa_next_free_sgpr 78
		.amdhsa_accum_offset 216
		.amdhsa_reserve_vcc 1
		.amdhsa_reserve_flat_scratch 1
		.amdhsa_float_round_mode_32 0
		.amdhsa_float_round_mode_16_64 0
		.amdhsa_float_denorm_mode_32 3
		.amdhsa_float_denorm_mode_16_64 3
		.amdhsa_dx10_clamp 1
		.amdhsa_ieee_mode 1
		.amdhsa_fp16_overflow 0
		.amdhsa_tg_split 0
		.amdhsa_exception_fp_ieee_invalid_op 0
		.amdhsa_exception_fp_denorm_src 0
		.amdhsa_exception_fp_ieee_div_zero 0
		.amdhsa_exception_fp_ieee_overflow 0
		.amdhsa_exception_fp_ieee_underflow 0
		.amdhsa_exception_fp_ieee_inexact 0
		.amdhsa_exception_int_div_zero 0
	.end_amdhsa_kernel
	.section	.text._ZN7rocprim17ROCPRIM_400000_NS6detail17trampoline_kernelINS0_14default_configENS1_20scan_config_selectorIN3c108BFloat16EEEZZNS1_9scan_implILNS1_25lookback_scan_determinismE0ELb0ELb0ES3_PKS6_PS6_S6_ZZZN2at6native31launch_logcumsumexp_cuda_kernelERKNSD_10TensorBaseESH_lENKUlvE_clEvENKUlvE4_clEvEUlS6_S6_E_S6_EEDaPvRmT3_T4_T5_mT6_P12ihipStream_tbENKUlT_T0_E_clISt17integral_constantIbLb0EESY_EEDaST_SU_EUlST_E_NS1_11comp_targetILNS1_3genE4ELNS1_11target_archE910ELNS1_3gpuE8ELNS1_3repE0EEENS1_30default_config_static_selectorELNS0_4arch9wavefront6targetE1EEEvT1_,"axG",@progbits,_ZN7rocprim17ROCPRIM_400000_NS6detail17trampoline_kernelINS0_14default_configENS1_20scan_config_selectorIN3c108BFloat16EEEZZNS1_9scan_implILNS1_25lookback_scan_determinismE0ELb0ELb0ES3_PKS6_PS6_S6_ZZZN2at6native31launch_logcumsumexp_cuda_kernelERKNSD_10TensorBaseESH_lENKUlvE_clEvENKUlvE4_clEvEUlS6_S6_E_S6_EEDaPvRmT3_T4_T5_mT6_P12ihipStream_tbENKUlT_T0_E_clISt17integral_constantIbLb0EESY_EEDaST_SU_EUlST_E_NS1_11comp_targetILNS1_3genE4ELNS1_11target_archE910ELNS1_3gpuE8ELNS1_3repE0EEENS1_30default_config_static_selectorELNS0_4arch9wavefront6targetE1EEEvT1_,comdat
.Lfunc_end445:
	.size	_ZN7rocprim17ROCPRIM_400000_NS6detail17trampoline_kernelINS0_14default_configENS1_20scan_config_selectorIN3c108BFloat16EEEZZNS1_9scan_implILNS1_25lookback_scan_determinismE0ELb0ELb0ES3_PKS6_PS6_S6_ZZZN2at6native31launch_logcumsumexp_cuda_kernelERKNSD_10TensorBaseESH_lENKUlvE_clEvENKUlvE4_clEvEUlS6_S6_E_S6_EEDaPvRmT3_T4_T5_mT6_P12ihipStream_tbENKUlT_T0_E_clISt17integral_constantIbLb0EESY_EEDaST_SU_EUlST_E_NS1_11comp_targetILNS1_3genE4ELNS1_11target_archE910ELNS1_3gpuE8ELNS1_3repE0EEENS1_30default_config_static_selectorELNS0_4arch9wavefront6targetE1EEEvT1_, .Lfunc_end445-_ZN7rocprim17ROCPRIM_400000_NS6detail17trampoline_kernelINS0_14default_configENS1_20scan_config_selectorIN3c108BFloat16EEEZZNS1_9scan_implILNS1_25lookback_scan_determinismE0ELb0ELb0ES3_PKS6_PS6_S6_ZZZN2at6native31launch_logcumsumexp_cuda_kernelERKNSD_10TensorBaseESH_lENKUlvE_clEvENKUlvE4_clEvEUlS6_S6_E_S6_EEDaPvRmT3_T4_T5_mT6_P12ihipStream_tbENKUlT_T0_E_clISt17integral_constantIbLb0EESY_EEDaST_SU_EUlST_E_NS1_11comp_targetILNS1_3genE4ELNS1_11target_archE910ELNS1_3gpuE8ELNS1_3repE0EEENS1_30default_config_static_selectorELNS0_4arch9wavefront6targetE1EEEvT1_
                                        ; -- End function
	.section	.AMDGPU.csdata,"",@progbits
; Kernel info:
; codeLenInByte = 404
; NumSgprs: 84
; NumVgprs: 213
; NumAgprs: 0
; TotalNumVgprs: 213
; ScratchSize: 120
; MemoryBound: 0
; FloatMode: 240
; IeeeMode: 1
; LDSByteSize: 3072 bytes/workgroup (compile time only)
; SGPRBlocks: 10
; VGPRBlocks: 26
; NumSGPRsForWavesPerEU: 84
; NumVGPRsForWavesPerEU: 213
; AccumOffset: 216
; Occupancy: 2
; WaveLimiterHint : 1
; COMPUTE_PGM_RSRC2:SCRATCH_EN: 1
; COMPUTE_PGM_RSRC2:USER_SGPR: 8
; COMPUTE_PGM_RSRC2:TRAP_HANDLER: 0
; COMPUTE_PGM_RSRC2:TGID_X_EN: 1
; COMPUTE_PGM_RSRC2:TGID_Y_EN: 0
; COMPUTE_PGM_RSRC2:TGID_Z_EN: 0
; COMPUTE_PGM_RSRC2:TIDIG_COMP_CNT: 0
; COMPUTE_PGM_RSRC3_GFX90A:ACCUM_OFFSET: 53
; COMPUTE_PGM_RSRC3_GFX90A:TG_SPLIT: 0
	.section	.text._ZN7rocprim17ROCPRIM_400000_NS6detail17trampoline_kernelINS0_14default_configENS1_20scan_config_selectorIN3c108BFloat16EEEZZNS1_9scan_implILNS1_25lookback_scan_determinismE0ELb0ELb0ES3_PKS6_PS6_S6_ZZZN2at6native31launch_logcumsumexp_cuda_kernelERKNSD_10TensorBaseESH_lENKUlvE_clEvENKUlvE4_clEvEUlS6_S6_E_S6_EEDaPvRmT3_T4_T5_mT6_P12ihipStream_tbENKUlT_T0_E_clISt17integral_constantIbLb0EESY_EEDaST_SU_EUlST_E_NS1_11comp_targetILNS1_3genE3ELNS1_11target_archE908ELNS1_3gpuE7ELNS1_3repE0EEENS1_30default_config_static_selectorELNS0_4arch9wavefront6targetE1EEEvT1_,"axG",@progbits,_ZN7rocprim17ROCPRIM_400000_NS6detail17trampoline_kernelINS0_14default_configENS1_20scan_config_selectorIN3c108BFloat16EEEZZNS1_9scan_implILNS1_25lookback_scan_determinismE0ELb0ELb0ES3_PKS6_PS6_S6_ZZZN2at6native31launch_logcumsumexp_cuda_kernelERKNSD_10TensorBaseESH_lENKUlvE_clEvENKUlvE4_clEvEUlS6_S6_E_S6_EEDaPvRmT3_T4_T5_mT6_P12ihipStream_tbENKUlT_T0_E_clISt17integral_constantIbLb0EESY_EEDaST_SU_EUlST_E_NS1_11comp_targetILNS1_3genE3ELNS1_11target_archE908ELNS1_3gpuE7ELNS1_3repE0EEENS1_30default_config_static_selectorELNS0_4arch9wavefront6targetE1EEEvT1_,comdat
	.globl	_ZN7rocprim17ROCPRIM_400000_NS6detail17trampoline_kernelINS0_14default_configENS1_20scan_config_selectorIN3c108BFloat16EEEZZNS1_9scan_implILNS1_25lookback_scan_determinismE0ELb0ELb0ES3_PKS6_PS6_S6_ZZZN2at6native31launch_logcumsumexp_cuda_kernelERKNSD_10TensorBaseESH_lENKUlvE_clEvENKUlvE4_clEvEUlS6_S6_E_S6_EEDaPvRmT3_T4_T5_mT6_P12ihipStream_tbENKUlT_T0_E_clISt17integral_constantIbLb0EESY_EEDaST_SU_EUlST_E_NS1_11comp_targetILNS1_3genE3ELNS1_11target_archE908ELNS1_3gpuE7ELNS1_3repE0EEENS1_30default_config_static_selectorELNS0_4arch9wavefront6targetE1EEEvT1_ ; -- Begin function _ZN7rocprim17ROCPRIM_400000_NS6detail17trampoline_kernelINS0_14default_configENS1_20scan_config_selectorIN3c108BFloat16EEEZZNS1_9scan_implILNS1_25lookback_scan_determinismE0ELb0ELb0ES3_PKS6_PS6_S6_ZZZN2at6native31launch_logcumsumexp_cuda_kernelERKNSD_10TensorBaseESH_lENKUlvE_clEvENKUlvE4_clEvEUlS6_S6_E_S6_EEDaPvRmT3_T4_T5_mT6_P12ihipStream_tbENKUlT_T0_E_clISt17integral_constantIbLb0EESY_EEDaST_SU_EUlST_E_NS1_11comp_targetILNS1_3genE3ELNS1_11target_archE908ELNS1_3gpuE7ELNS1_3repE0EEENS1_30default_config_static_selectorELNS0_4arch9wavefront6targetE1EEEvT1_
	.p2align	8
	.type	_ZN7rocprim17ROCPRIM_400000_NS6detail17trampoline_kernelINS0_14default_configENS1_20scan_config_selectorIN3c108BFloat16EEEZZNS1_9scan_implILNS1_25lookback_scan_determinismE0ELb0ELb0ES3_PKS6_PS6_S6_ZZZN2at6native31launch_logcumsumexp_cuda_kernelERKNSD_10TensorBaseESH_lENKUlvE_clEvENKUlvE4_clEvEUlS6_S6_E_S6_EEDaPvRmT3_T4_T5_mT6_P12ihipStream_tbENKUlT_T0_E_clISt17integral_constantIbLb0EESY_EEDaST_SU_EUlST_E_NS1_11comp_targetILNS1_3genE3ELNS1_11target_archE908ELNS1_3gpuE7ELNS1_3repE0EEENS1_30default_config_static_selectorELNS0_4arch9wavefront6targetE1EEEvT1_,@function
_ZN7rocprim17ROCPRIM_400000_NS6detail17trampoline_kernelINS0_14default_configENS1_20scan_config_selectorIN3c108BFloat16EEEZZNS1_9scan_implILNS1_25lookback_scan_determinismE0ELb0ELb0ES3_PKS6_PS6_S6_ZZZN2at6native31launch_logcumsumexp_cuda_kernelERKNSD_10TensorBaseESH_lENKUlvE_clEvENKUlvE4_clEvEUlS6_S6_E_S6_EEDaPvRmT3_T4_T5_mT6_P12ihipStream_tbENKUlT_T0_E_clISt17integral_constantIbLb0EESY_EEDaST_SU_EUlST_E_NS1_11comp_targetILNS1_3genE3ELNS1_11target_archE908ELNS1_3gpuE7ELNS1_3repE0EEENS1_30default_config_static_selectorELNS0_4arch9wavefront6targetE1EEEvT1_: ; @_ZN7rocprim17ROCPRIM_400000_NS6detail17trampoline_kernelINS0_14default_configENS1_20scan_config_selectorIN3c108BFloat16EEEZZNS1_9scan_implILNS1_25lookback_scan_determinismE0ELb0ELb0ES3_PKS6_PS6_S6_ZZZN2at6native31launch_logcumsumexp_cuda_kernelERKNSD_10TensorBaseESH_lENKUlvE_clEvENKUlvE4_clEvEUlS6_S6_E_S6_EEDaPvRmT3_T4_T5_mT6_P12ihipStream_tbENKUlT_T0_E_clISt17integral_constantIbLb0EESY_EEDaST_SU_EUlST_E_NS1_11comp_targetILNS1_3genE3ELNS1_11target_archE908ELNS1_3gpuE7ELNS1_3repE0EEENS1_30default_config_static_selectorELNS0_4arch9wavefront6targetE1EEEvT1_
; %bb.0:
	.section	.rodata,"a",@progbits
	.p2align	6, 0x0
	.amdhsa_kernel _ZN7rocprim17ROCPRIM_400000_NS6detail17trampoline_kernelINS0_14default_configENS1_20scan_config_selectorIN3c108BFloat16EEEZZNS1_9scan_implILNS1_25lookback_scan_determinismE0ELb0ELb0ES3_PKS6_PS6_S6_ZZZN2at6native31launch_logcumsumexp_cuda_kernelERKNSD_10TensorBaseESH_lENKUlvE_clEvENKUlvE4_clEvEUlS6_S6_E_S6_EEDaPvRmT3_T4_T5_mT6_P12ihipStream_tbENKUlT_T0_E_clISt17integral_constantIbLb0EESY_EEDaST_SU_EUlST_E_NS1_11comp_targetILNS1_3genE3ELNS1_11target_archE908ELNS1_3gpuE7ELNS1_3repE0EEENS1_30default_config_static_selectorELNS0_4arch9wavefront6targetE1EEEvT1_
		.amdhsa_group_segment_fixed_size 0
		.amdhsa_private_segment_fixed_size 0
		.amdhsa_kernarg_size 96
		.amdhsa_user_sgpr_count 6
		.amdhsa_user_sgpr_private_segment_buffer 1
		.amdhsa_user_sgpr_dispatch_ptr 0
		.amdhsa_user_sgpr_queue_ptr 0
		.amdhsa_user_sgpr_kernarg_segment_ptr 1
		.amdhsa_user_sgpr_dispatch_id 0
		.amdhsa_user_sgpr_flat_scratch_init 0
		.amdhsa_user_sgpr_kernarg_preload_length 0
		.amdhsa_user_sgpr_kernarg_preload_offset 0
		.amdhsa_user_sgpr_private_segment_size 0
		.amdhsa_uses_dynamic_stack 0
		.amdhsa_system_sgpr_private_segment_wavefront_offset 0
		.amdhsa_system_sgpr_workgroup_id_x 1
		.amdhsa_system_sgpr_workgroup_id_y 0
		.amdhsa_system_sgpr_workgroup_id_z 0
		.amdhsa_system_sgpr_workgroup_info 0
		.amdhsa_system_vgpr_workitem_id 0
		.amdhsa_next_free_vgpr 1
		.amdhsa_next_free_sgpr 0
		.amdhsa_accum_offset 4
		.amdhsa_reserve_vcc 0
		.amdhsa_reserve_flat_scratch 0
		.amdhsa_float_round_mode_32 0
		.amdhsa_float_round_mode_16_64 0
		.amdhsa_float_denorm_mode_32 3
		.amdhsa_float_denorm_mode_16_64 3
		.amdhsa_dx10_clamp 1
		.amdhsa_ieee_mode 1
		.amdhsa_fp16_overflow 0
		.amdhsa_tg_split 0
		.amdhsa_exception_fp_ieee_invalid_op 0
		.amdhsa_exception_fp_denorm_src 0
		.amdhsa_exception_fp_ieee_div_zero 0
		.amdhsa_exception_fp_ieee_overflow 0
		.amdhsa_exception_fp_ieee_underflow 0
		.amdhsa_exception_fp_ieee_inexact 0
		.amdhsa_exception_int_div_zero 0
	.end_amdhsa_kernel
	.section	.text._ZN7rocprim17ROCPRIM_400000_NS6detail17trampoline_kernelINS0_14default_configENS1_20scan_config_selectorIN3c108BFloat16EEEZZNS1_9scan_implILNS1_25lookback_scan_determinismE0ELb0ELb0ES3_PKS6_PS6_S6_ZZZN2at6native31launch_logcumsumexp_cuda_kernelERKNSD_10TensorBaseESH_lENKUlvE_clEvENKUlvE4_clEvEUlS6_S6_E_S6_EEDaPvRmT3_T4_T5_mT6_P12ihipStream_tbENKUlT_T0_E_clISt17integral_constantIbLb0EESY_EEDaST_SU_EUlST_E_NS1_11comp_targetILNS1_3genE3ELNS1_11target_archE908ELNS1_3gpuE7ELNS1_3repE0EEENS1_30default_config_static_selectorELNS0_4arch9wavefront6targetE1EEEvT1_,"axG",@progbits,_ZN7rocprim17ROCPRIM_400000_NS6detail17trampoline_kernelINS0_14default_configENS1_20scan_config_selectorIN3c108BFloat16EEEZZNS1_9scan_implILNS1_25lookback_scan_determinismE0ELb0ELb0ES3_PKS6_PS6_S6_ZZZN2at6native31launch_logcumsumexp_cuda_kernelERKNSD_10TensorBaseESH_lENKUlvE_clEvENKUlvE4_clEvEUlS6_S6_E_S6_EEDaPvRmT3_T4_T5_mT6_P12ihipStream_tbENKUlT_T0_E_clISt17integral_constantIbLb0EESY_EEDaST_SU_EUlST_E_NS1_11comp_targetILNS1_3genE3ELNS1_11target_archE908ELNS1_3gpuE7ELNS1_3repE0EEENS1_30default_config_static_selectorELNS0_4arch9wavefront6targetE1EEEvT1_,comdat
.Lfunc_end446:
	.size	_ZN7rocprim17ROCPRIM_400000_NS6detail17trampoline_kernelINS0_14default_configENS1_20scan_config_selectorIN3c108BFloat16EEEZZNS1_9scan_implILNS1_25lookback_scan_determinismE0ELb0ELb0ES3_PKS6_PS6_S6_ZZZN2at6native31launch_logcumsumexp_cuda_kernelERKNSD_10TensorBaseESH_lENKUlvE_clEvENKUlvE4_clEvEUlS6_S6_E_S6_EEDaPvRmT3_T4_T5_mT6_P12ihipStream_tbENKUlT_T0_E_clISt17integral_constantIbLb0EESY_EEDaST_SU_EUlST_E_NS1_11comp_targetILNS1_3genE3ELNS1_11target_archE908ELNS1_3gpuE7ELNS1_3repE0EEENS1_30default_config_static_selectorELNS0_4arch9wavefront6targetE1EEEvT1_, .Lfunc_end446-_ZN7rocprim17ROCPRIM_400000_NS6detail17trampoline_kernelINS0_14default_configENS1_20scan_config_selectorIN3c108BFloat16EEEZZNS1_9scan_implILNS1_25lookback_scan_determinismE0ELb0ELb0ES3_PKS6_PS6_S6_ZZZN2at6native31launch_logcumsumexp_cuda_kernelERKNSD_10TensorBaseESH_lENKUlvE_clEvENKUlvE4_clEvEUlS6_S6_E_S6_EEDaPvRmT3_T4_T5_mT6_P12ihipStream_tbENKUlT_T0_E_clISt17integral_constantIbLb0EESY_EEDaST_SU_EUlST_E_NS1_11comp_targetILNS1_3genE3ELNS1_11target_archE908ELNS1_3gpuE7ELNS1_3repE0EEENS1_30default_config_static_selectorELNS0_4arch9wavefront6targetE1EEEvT1_
                                        ; -- End function
	.section	.AMDGPU.csdata,"",@progbits
; Kernel info:
; codeLenInByte = 0
; NumSgprs: 4
; NumVgprs: 0
; NumAgprs: 0
; TotalNumVgprs: 0
; ScratchSize: 0
; MemoryBound: 0
; FloatMode: 240
; IeeeMode: 1
; LDSByteSize: 0 bytes/workgroup (compile time only)
; SGPRBlocks: 0
; VGPRBlocks: 0
; NumSGPRsForWavesPerEU: 4
; NumVGPRsForWavesPerEU: 1
; AccumOffset: 4
; Occupancy: 8
; WaveLimiterHint : 0
; COMPUTE_PGM_RSRC2:SCRATCH_EN: 0
; COMPUTE_PGM_RSRC2:USER_SGPR: 6
; COMPUTE_PGM_RSRC2:TRAP_HANDLER: 0
; COMPUTE_PGM_RSRC2:TGID_X_EN: 1
; COMPUTE_PGM_RSRC2:TGID_Y_EN: 0
; COMPUTE_PGM_RSRC2:TGID_Z_EN: 0
; COMPUTE_PGM_RSRC2:TIDIG_COMP_CNT: 0
; COMPUTE_PGM_RSRC3_GFX90A:ACCUM_OFFSET: 0
; COMPUTE_PGM_RSRC3_GFX90A:TG_SPLIT: 0
	.section	.text._ZN7rocprim17ROCPRIM_400000_NS6detail17trampoline_kernelINS0_14default_configENS1_20scan_config_selectorIN3c108BFloat16EEEZZNS1_9scan_implILNS1_25lookback_scan_determinismE0ELb0ELb0ES3_PKS6_PS6_S6_ZZZN2at6native31launch_logcumsumexp_cuda_kernelERKNSD_10TensorBaseESH_lENKUlvE_clEvENKUlvE4_clEvEUlS6_S6_E_S6_EEDaPvRmT3_T4_T5_mT6_P12ihipStream_tbENKUlT_T0_E_clISt17integral_constantIbLb0EESY_EEDaST_SU_EUlST_E_NS1_11comp_targetILNS1_3genE2ELNS1_11target_archE906ELNS1_3gpuE6ELNS1_3repE0EEENS1_30default_config_static_selectorELNS0_4arch9wavefront6targetE1EEEvT1_,"axG",@progbits,_ZN7rocprim17ROCPRIM_400000_NS6detail17trampoline_kernelINS0_14default_configENS1_20scan_config_selectorIN3c108BFloat16EEEZZNS1_9scan_implILNS1_25lookback_scan_determinismE0ELb0ELb0ES3_PKS6_PS6_S6_ZZZN2at6native31launch_logcumsumexp_cuda_kernelERKNSD_10TensorBaseESH_lENKUlvE_clEvENKUlvE4_clEvEUlS6_S6_E_S6_EEDaPvRmT3_T4_T5_mT6_P12ihipStream_tbENKUlT_T0_E_clISt17integral_constantIbLb0EESY_EEDaST_SU_EUlST_E_NS1_11comp_targetILNS1_3genE2ELNS1_11target_archE906ELNS1_3gpuE6ELNS1_3repE0EEENS1_30default_config_static_selectorELNS0_4arch9wavefront6targetE1EEEvT1_,comdat
	.globl	_ZN7rocprim17ROCPRIM_400000_NS6detail17trampoline_kernelINS0_14default_configENS1_20scan_config_selectorIN3c108BFloat16EEEZZNS1_9scan_implILNS1_25lookback_scan_determinismE0ELb0ELb0ES3_PKS6_PS6_S6_ZZZN2at6native31launch_logcumsumexp_cuda_kernelERKNSD_10TensorBaseESH_lENKUlvE_clEvENKUlvE4_clEvEUlS6_S6_E_S6_EEDaPvRmT3_T4_T5_mT6_P12ihipStream_tbENKUlT_T0_E_clISt17integral_constantIbLb0EESY_EEDaST_SU_EUlST_E_NS1_11comp_targetILNS1_3genE2ELNS1_11target_archE906ELNS1_3gpuE6ELNS1_3repE0EEENS1_30default_config_static_selectorELNS0_4arch9wavefront6targetE1EEEvT1_ ; -- Begin function _ZN7rocprim17ROCPRIM_400000_NS6detail17trampoline_kernelINS0_14default_configENS1_20scan_config_selectorIN3c108BFloat16EEEZZNS1_9scan_implILNS1_25lookback_scan_determinismE0ELb0ELb0ES3_PKS6_PS6_S6_ZZZN2at6native31launch_logcumsumexp_cuda_kernelERKNSD_10TensorBaseESH_lENKUlvE_clEvENKUlvE4_clEvEUlS6_S6_E_S6_EEDaPvRmT3_T4_T5_mT6_P12ihipStream_tbENKUlT_T0_E_clISt17integral_constantIbLb0EESY_EEDaST_SU_EUlST_E_NS1_11comp_targetILNS1_3genE2ELNS1_11target_archE906ELNS1_3gpuE6ELNS1_3repE0EEENS1_30default_config_static_selectorELNS0_4arch9wavefront6targetE1EEEvT1_
	.p2align	8
	.type	_ZN7rocprim17ROCPRIM_400000_NS6detail17trampoline_kernelINS0_14default_configENS1_20scan_config_selectorIN3c108BFloat16EEEZZNS1_9scan_implILNS1_25lookback_scan_determinismE0ELb0ELb0ES3_PKS6_PS6_S6_ZZZN2at6native31launch_logcumsumexp_cuda_kernelERKNSD_10TensorBaseESH_lENKUlvE_clEvENKUlvE4_clEvEUlS6_S6_E_S6_EEDaPvRmT3_T4_T5_mT6_P12ihipStream_tbENKUlT_T0_E_clISt17integral_constantIbLb0EESY_EEDaST_SU_EUlST_E_NS1_11comp_targetILNS1_3genE2ELNS1_11target_archE906ELNS1_3gpuE6ELNS1_3repE0EEENS1_30default_config_static_selectorELNS0_4arch9wavefront6targetE1EEEvT1_,@function
_ZN7rocprim17ROCPRIM_400000_NS6detail17trampoline_kernelINS0_14default_configENS1_20scan_config_selectorIN3c108BFloat16EEEZZNS1_9scan_implILNS1_25lookback_scan_determinismE0ELb0ELb0ES3_PKS6_PS6_S6_ZZZN2at6native31launch_logcumsumexp_cuda_kernelERKNSD_10TensorBaseESH_lENKUlvE_clEvENKUlvE4_clEvEUlS6_S6_E_S6_EEDaPvRmT3_T4_T5_mT6_P12ihipStream_tbENKUlT_T0_E_clISt17integral_constantIbLb0EESY_EEDaST_SU_EUlST_E_NS1_11comp_targetILNS1_3genE2ELNS1_11target_archE906ELNS1_3gpuE6ELNS1_3repE0EEENS1_30default_config_static_selectorELNS0_4arch9wavefront6targetE1EEEvT1_: ; @_ZN7rocprim17ROCPRIM_400000_NS6detail17trampoline_kernelINS0_14default_configENS1_20scan_config_selectorIN3c108BFloat16EEEZZNS1_9scan_implILNS1_25lookback_scan_determinismE0ELb0ELb0ES3_PKS6_PS6_S6_ZZZN2at6native31launch_logcumsumexp_cuda_kernelERKNSD_10TensorBaseESH_lENKUlvE_clEvENKUlvE4_clEvEUlS6_S6_E_S6_EEDaPvRmT3_T4_T5_mT6_P12ihipStream_tbENKUlT_T0_E_clISt17integral_constantIbLb0EESY_EEDaST_SU_EUlST_E_NS1_11comp_targetILNS1_3genE2ELNS1_11target_archE906ELNS1_3gpuE6ELNS1_3repE0EEENS1_30default_config_static_selectorELNS0_4arch9wavefront6targetE1EEEvT1_
; %bb.0:
	.section	.rodata,"a",@progbits
	.p2align	6, 0x0
	.amdhsa_kernel _ZN7rocprim17ROCPRIM_400000_NS6detail17trampoline_kernelINS0_14default_configENS1_20scan_config_selectorIN3c108BFloat16EEEZZNS1_9scan_implILNS1_25lookback_scan_determinismE0ELb0ELb0ES3_PKS6_PS6_S6_ZZZN2at6native31launch_logcumsumexp_cuda_kernelERKNSD_10TensorBaseESH_lENKUlvE_clEvENKUlvE4_clEvEUlS6_S6_E_S6_EEDaPvRmT3_T4_T5_mT6_P12ihipStream_tbENKUlT_T0_E_clISt17integral_constantIbLb0EESY_EEDaST_SU_EUlST_E_NS1_11comp_targetILNS1_3genE2ELNS1_11target_archE906ELNS1_3gpuE6ELNS1_3repE0EEENS1_30default_config_static_selectorELNS0_4arch9wavefront6targetE1EEEvT1_
		.amdhsa_group_segment_fixed_size 0
		.amdhsa_private_segment_fixed_size 0
		.amdhsa_kernarg_size 96
		.amdhsa_user_sgpr_count 6
		.amdhsa_user_sgpr_private_segment_buffer 1
		.amdhsa_user_sgpr_dispatch_ptr 0
		.amdhsa_user_sgpr_queue_ptr 0
		.amdhsa_user_sgpr_kernarg_segment_ptr 1
		.amdhsa_user_sgpr_dispatch_id 0
		.amdhsa_user_sgpr_flat_scratch_init 0
		.amdhsa_user_sgpr_kernarg_preload_length 0
		.amdhsa_user_sgpr_kernarg_preload_offset 0
		.amdhsa_user_sgpr_private_segment_size 0
		.amdhsa_uses_dynamic_stack 0
		.amdhsa_system_sgpr_private_segment_wavefront_offset 0
		.amdhsa_system_sgpr_workgroup_id_x 1
		.amdhsa_system_sgpr_workgroup_id_y 0
		.amdhsa_system_sgpr_workgroup_id_z 0
		.amdhsa_system_sgpr_workgroup_info 0
		.amdhsa_system_vgpr_workitem_id 0
		.amdhsa_next_free_vgpr 1
		.amdhsa_next_free_sgpr 0
		.amdhsa_accum_offset 4
		.amdhsa_reserve_vcc 0
		.amdhsa_reserve_flat_scratch 0
		.amdhsa_float_round_mode_32 0
		.amdhsa_float_round_mode_16_64 0
		.amdhsa_float_denorm_mode_32 3
		.amdhsa_float_denorm_mode_16_64 3
		.amdhsa_dx10_clamp 1
		.amdhsa_ieee_mode 1
		.amdhsa_fp16_overflow 0
		.amdhsa_tg_split 0
		.amdhsa_exception_fp_ieee_invalid_op 0
		.amdhsa_exception_fp_denorm_src 0
		.amdhsa_exception_fp_ieee_div_zero 0
		.amdhsa_exception_fp_ieee_overflow 0
		.amdhsa_exception_fp_ieee_underflow 0
		.amdhsa_exception_fp_ieee_inexact 0
		.amdhsa_exception_int_div_zero 0
	.end_amdhsa_kernel
	.section	.text._ZN7rocprim17ROCPRIM_400000_NS6detail17trampoline_kernelINS0_14default_configENS1_20scan_config_selectorIN3c108BFloat16EEEZZNS1_9scan_implILNS1_25lookback_scan_determinismE0ELb0ELb0ES3_PKS6_PS6_S6_ZZZN2at6native31launch_logcumsumexp_cuda_kernelERKNSD_10TensorBaseESH_lENKUlvE_clEvENKUlvE4_clEvEUlS6_S6_E_S6_EEDaPvRmT3_T4_T5_mT6_P12ihipStream_tbENKUlT_T0_E_clISt17integral_constantIbLb0EESY_EEDaST_SU_EUlST_E_NS1_11comp_targetILNS1_3genE2ELNS1_11target_archE906ELNS1_3gpuE6ELNS1_3repE0EEENS1_30default_config_static_selectorELNS0_4arch9wavefront6targetE1EEEvT1_,"axG",@progbits,_ZN7rocprim17ROCPRIM_400000_NS6detail17trampoline_kernelINS0_14default_configENS1_20scan_config_selectorIN3c108BFloat16EEEZZNS1_9scan_implILNS1_25lookback_scan_determinismE0ELb0ELb0ES3_PKS6_PS6_S6_ZZZN2at6native31launch_logcumsumexp_cuda_kernelERKNSD_10TensorBaseESH_lENKUlvE_clEvENKUlvE4_clEvEUlS6_S6_E_S6_EEDaPvRmT3_T4_T5_mT6_P12ihipStream_tbENKUlT_T0_E_clISt17integral_constantIbLb0EESY_EEDaST_SU_EUlST_E_NS1_11comp_targetILNS1_3genE2ELNS1_11target_archE906ELNS1_3gpuE6ELNS1_3repE0EEENS1_30default_config_static_selectorELNS0_4arch9wavefront6targetE1EEEvT1_,comdat
.Lfunc_end447:
	.size	_ZN7rocprim17ROCPRIM_400000_NS6detail17trampoline_kernelINS0_14default_configENS1_20scan_config_selectorIN3c108BFloat16EEEZZNS1_9scan_implILNS1_25lookback_scan_determinismE0ELb0ELb0ES3_PKS6_PS6_S6_ZZZN2at6native31launch_logcumsumexp_cuda_kernelERKNSD_10TensorBaseESH_lENKUlvE_clEvENKUlvE4_clEvEUlS6_S6_E_S6_EEDaPvRmT3_T4_T5_mT6_P12ihipStream_tbENKUlT_T0_E_clISt17integral_constantIbLb0EESY_EEDaST_SU_EUlST_E_NS1_11comp_targetILNS1_3genE2ELNS1_11target_archE906ELNS1_3gpuE6ELNS1_3repE0EEENS1_30default_config_static_selectorELNS0_4arch9wavefront6targetE1EEEvT1_, .Lfunc_end447-_ZN7rocprim17ROCPRIM_400000_NS6detail17trampoline_kernelINS0_14default_configENS1_20scan_config_selectorIN3c108BFloat16EEEZZNS1_9scan_implILNS1_25lookback_scan_determinismE0ELb0ELb0ES3_PKS6_PS6_S6_ZZZN2at6native31launch_logcumsumexp_cuda_kernelERKNSD_10TensorBaseESH_lENKUlvE_clEvENKUlvE4_clEvEUlS6_S6_E_S6_EEDaPvRmT3_T4_T5_mT6_P12ihipStream_tbENKUlT_T0_E_clISt17integral_constantIbLb0EESY_EEDaST_SU_EUlST_E_NS1_11comp_targetILNS1_3genE2ELNS1_11target_archE906ELNS1_3gpuE6ELNS1_3repE0EEENS1_30default_config_static_selectorELNS0_4arch9wavefront6targetE1EEEvT1_
                                        ; -- End function
	.section	.AMDGPU.csdata,"",@progbits
; Kernel info:
; codeLenInByte = 0
; NumSgprs: 4
; NumVgprs: 0
; NumAgprs: 0
; TotalNumVgprs: 0
; ScratchSize: 0
; MemoryBound: 0
; FloatMode: 240
; IeeeMode: 1
; LDSByteSize: 0 bytes/workgroup (compile time only)
; SGPRBlocks: 0
; VGPRBlocks: 0
; NumSGPRsForWavesPerEU: 4
; NumVGPRsForWavesPerEU: 1
; AccumOffset: 4
; Occupancy: 8
; WaveLimiterHint : 0
; COMPUTE_PGM_RSRC2:SCRATCH_EN: 0
; COMPUTE_PGM_RSRC2:USER_SGPR: 6
; COMPUTE_PGM_RSRC2:TRAP_HANDLER: 0
; COMPUTE_PGM_RSRC2:TGID_X_EN: 1
; COMPUTE_PGM_RSRC2:TGID_Y_EN: 0
; COMPUTE_PGM_RSRC2:TGID_Z_EN: 0
; COMPUTE_PGM_RSRC2:TIDIG_COMP_CNT: 0
; COMPUTE_PGM_RSRC3_GFX90A:ACCUM_OFFSET: 0
; COMPUTE_PGM_RSRC3_GFX90A:TG_SPLIT: 0
	.section	.text._ZN7rocprim17ROCPRIM_400000_NS6detail17trampoline_kernelINS0_14default_configENS1_20scan_config_selectorIN3c108BFloat16EEEZZNS1_9scan_implILNS1_25lookback_scan_determinismE0ELb0ELb0ES3_PKS6_PS6_S6_ZZZN2at6native31launch_logcumsumexp_cuda_kernelERKNSD_10TensorBaseESH_lENKUlvE_clEvENKUlvE4_clEvEUlS6_S6_E_S6_EEDaPvRmT3_T4_T5_mT6_P12ihipStream_tbENKUlT_T0_E_clISt17integral_constantIbLb0EESY_EEDaST_SU_EUlST_E_NS1_11comp_targetILNS1_3genE10ELNS1_11target_archE1201ELNS1_3gpuE5ELNS1_3repE0EEENS1_30default_config_static_selectorELNS0_4arch9wavefront6targetE1EEEvT1_,"axG",@progbits,_ZN7rocprim17ROCPRIM_400000_NS6detail17trampoline_kernelINS0_14default_configENS1_20scan_config_selectorIN3c108BFloat16EEEZZNS1_9scan_implILNS1_25lookback_scan_determinismE0ELb0ELb0ES3_PKS6_PS6_S6_ZZZN2at6native31launch_logcumsumexp_cuda_kernelERKNSD_10TensorBaseESH_lENKUlvE_clEvENKUlvE4_clEvEUlS6_S6_E_S6_EEDaPvRmT3_T4_T5_mT6_P12ihipStream_tbENKUlT_T0_E_clISt17integral_constantIbLb0EESY_EEDaST_SU_EUlST_E_NS1_11comp_targetILNS1_3genE10ELNS1_11target_archE1201ELNS1_3gpuE5ELNS1_3repE0EEENS1_30default_config_static_selectorELNS0_4arch9wavefront6targetE1EEEvT1_,comdat
	.globl	_ZN7rocprim17ROCPRIM_400000_NS6detail17trampoline_kernelINS0_14default_configENS1_20scan_config_selectorIN3c108BFloat16EEEZZNS1_9scan_implILNS1_25lookback_scan_determinismE0ELb0ELb0ES3_PKS6_PS6_S6_ZZZN2at6native31launch_logcumsumexp_cuda_kernelERKNSD_10TensorBaseESH_lENKUlvE_clEvENKUlvE4_clEvEUlS6_S6_E_S6_EEDaPvRmT3_T4_T5_mT6_P12ihipStream_tbENKUlT_T0_E_clISt17integral_constantIbLb0EESY_EEDaST_SU_EUlST_E_NS1_11comp_targetILNS1_3genE10ELNS1_11target_archE1201ELNS1_3gpuE5ELNS1_3repE0EEENS1_30default_config_static_selectorELNS0_4arch9wavefront6targetE1EEEvT1_ ; -- Begin function _ZN7rocprim17ROCPRIM_400000_NS6detail17trampoline_kernelINS0_14default_configENS1_20scan_config_selectorIN3c108BFloat16EEEZZNS1_9scan_implILNS1_25lookback_scan_determinismE0ELb0ELb0ES3_PKS6_PS6_S6_ZZZN2at6native31launch_logcumsumexp_cuda_kernelERKNSD_10TensorBaseESH_lENKUlvE_clEvENKUlvE4_clEvEUlS6_S6_E_S6_EEDaPvRmT3_T4_T5_mT6_P12ihipStream_tbENKUlT_T0_E_clISt17integral_constantIbLb0EESY_EEDaST_SU_EUlST_E_NS1_11comp_targetILNS1_3genE10ELNS1_11target_archE1201ELNS1_3gpuE5ELNS1_3repE0EEENS1_30default_config_static_selectorELNS0_4arch9wavefront6targetE1EEEvT1_
	.p2align	8
	.type	_ZN7rocprim17ROCPRIM_400000_NS6detail17trampoline_kernelINS0_14default_configENS1_20scan_config_selectorIN3c108BFloat16EEEZZNS1_9scan_implILNS1_25lookback_scan_determinismE0ELb0ELb0ES3_PKS6_PS6_S6_ZZZN2at6native31launch_logcumsumexp_cuda_kernelERKNSD_10TensorBaseESH_lENKUlvE_clEvENKUlvE4_clEvEUlS6_S6_E_S6_EEDaPvRmT3_T4_T5_mT6_P12ihipStream_tbENKUlT_T0_E_clISt17integral_constantIbLb0EESY_EEDaST_SU_EUlST_E_NS1_11comp_targetILNS1_3genE10ELNS1_11target_archE1201ELNS1_3gpuE5ELNS1_3repE0EEENS1_30default_config_static_selectorELNS0_4arch9wavefront6targetE1EEEvT1_,@function
_ZN7rocprim17ROCPRIM_400000_NS6detail17trampoline_kernelINS0_14default_configENS1_20scan_config_selectorIN3c108BFloat16EEEZZNS1_9scan_implILNS1_25lookback_scan_determinismE0ELb0ELb0ES3_PKS6_PS6_S6_ZZZN2at6native31launch_logcumsumexp_cuda_kernelERKNSD_10TensorBaseESH_lENKUlvE_clEvENKUlvE4_clEvEUlS6_S6_E_S6_EEDaPvRmT3_T4_T5_mT6_P12ihipStream_tbENKUlT_T0_E_clISt17integral_constantIbLb0EESY_EEDaST_SU_EUlST_E_NS1_11comp_targetILNS1_3genE10ELNS1_11target_archE1201ELNS1_3gpuE5ELNS1_3repE0EEENS1_30default_config_static_selectorELNS0_4arch9wavefront6targetE1EEEvT1_: ; @_ZN7rocprim17ROCPRIM_400000_NS6detail17trampoline_kernelINS0_14default_configENS1_20scan_config_selectorIN3c108BFloat16EEEZZNS1_9scan_implILNS1_25lookback_scan_determinismE0ELb0ELb0ES3_PKS6_PS6_S6_ZZZN2at6native31launch_logcumsumexp_cuda_kernelERKNSD_10TensorBaseESH_lENKUlvE_clEvENKUlvE4_clEvEUlS6_S6_E_S6_EEDaPvRmT3_T4_T5_mT6_P12ihipStream_tbENKUlT_T0_E_clISt17integral_constantIbLb0EESY_EEDaST_SU_EUlST_E_NS1_11comp_targetILNS1_3genE10ELNS1_11target_archE1201ELNS1_3gpuE5ELNS1_3repE0EEENS1_30default_config_static_selectorELNS0_4arch9wavefront6targetE1EEEvT1_
; %bb.0:
	.section	.rodata,"a",@progbits
	.p2align	6, 0x0
	.amdhsa_kernel _ZN7rocprim17ROCPRIM_400000_NS6detail17trampoline_kernelINS0_14default_configENS1_20scan_config_selectorIN3c108BFloat16EEEZZNS1_9scan_implILNS1_25lookback_scan_determinismE0ELb0ELb0ES3_PKS6_PS6_S6_ZZZN2at6native31launch_logcumsumexp_cuda_kernelERKNSD_10TensorBaseESH_lENKUlvE_clEvENKUlvE4_clEvEUlS6_S6_E_S6_EEDaPvRmT3_T4_T5_mT6_P12ihipStream_tbENKUlT_T0_E_clISt17integral_constantIbLb0EESY_EEDaST_SU_EUlST_E_NS1_11comp_targetILNS1_3genE10ELNS1_11target_archE1201ELNS1_3gpuE5ELNS1_3repE0EEENS1_30default_config_static_selectorELNS0_4arch9wavefront6targetE1EEEvT1_
		.amdhsa_group_segment_fixed_size 0
		.amdhsa_private_segment_fixed_size 0
		.amdhsa_kernarg_size 96
		.amdhsa_user_sgpr_count 6
		.amdhsa_user_sgpr_private_segment_buffer 1
		.amdhsa_user_sgpr_dispatch_ptr 0
		.amdhsa_user_sgpr_queue_ptr 0
		.amdhsa_user_sgpr_kernarg_segment_ptr 1
		.amdhsa_user_sgpr_dispatch_id 0
		.amdhsa_user_sgpr_flat_scratch_init 0
		.amdhsa_user_sgpr_kernarg_preload_length 0
		.amdhsa_user_sgpr_kernarg_preload_offset 0
		.amdhsa_user_sgpr_private_segment_size 0
		.amdhsa_uses_dynamic_stack 0
		.amdhsa_system_sgpr_private_segment_wavefront_offset 0
		.amdhsa_system_sgpr_workgroup_id_x 1
		.amdhsa_system_sgpr_workgroup_id_y 0
		.amdhsa_system_sgpr_workgroup_id_z 0
		.amdhsa_system_sgpr_workgroup_info 0
		.amdhsa_system_vgpr_workitem_id 0
		.amdhsa_next_free_vgpr 1
		.amdhsa_next_free_sgpr 0
		.amdhsa_accum_offset 4
		.amdhsa_reserve_vcc 0
		.amdhsa_reserve_flat_scratch 0
		.amdhsa_float_round_mode_32 0
		.amdhsa_float_round_mode_16_64 0
		.amdhsa_float_denorm_mode_32 3
		.amdhsa_float_denorm_mode_16_64 3
		.amdhsa_dx10_clamp 1
		.amdhsa_ieee_mode 1
		.amdhsa_fp16_overflow 0
		.amdhsa_tg_split 0
		.amdhsa_exception_fp_ieee_invalid_op 0
		.amdhsa_exception_fp_denorm_src 0
		.amdhsa_exception_fp_ieee_div_zero 0
		.amdhsa_exception_fp_ieee_overflow 0
		.amdhsa_exception_fp_ieee_underflow 0
		.amdhsa_exception_fp_ieee_inexact 0
		.amdhsa_exception_int_div_zero 0
	.end_amdhsa_kernel
	.section	.text._ZN7rocprim17ROCPRIM_400000_NS6detail17trampoline_kernelINS0_14default_configENS1_20scan_config_selectorIN3c108BFloat16EEEZZNS1_9scan_implILNS1_25lookback_scan_determinismE0ELb0ELb0ES3_PKS6_PS6_S6_ZZZN2at6native31launch_logcumsumexp_cuda_kernelERKNSD_10TensorBaseESH_lENKUlvE_clEvENKUlvE4_clEvEUlS6_S6_E_S6_EEDaPvRmT3_T4_T5_mT6_P12ihipStream_tbENKUlT_T0_E_clISt17integral_constantIbLb0EESY_EEDaST_SU_EUlST_E_NS1_11comp_targetILNS1_3genE10ELNS1_11target_archE1201ELNS1_3gpuE5ELNS1_3repE0EEENS1_30default_config_static_selectorELNS0_4arch9wavefront6targetE1EEEvT1_,"axG",@progbits,_ZN7rocprim17ROCPRIM_400000_NS6detail17trampoline_kernelINS0_14default_configENS1_20scan_config_selectorIN3c108BFloat16EEEZZNS1_9scan_implILNS1_25lookback_scan_determinismE0ELb0ELb0ES3_PKS6_PS6_S6_ZZZN2at6native31launch_logcumsumexp_cuda_kernelERKNSD_10TensorBaseESH_lENKUlvE_clEvENKUlvE4_clEvEUlS6_S6_E_S6_EEDaPvRmT3_T4_T5_mT6_P12ihipStream_tbENKUlT_T0_E_clISt17integral_constantIbLb0EESY_EEDaST_SU_EUlST_E_NS1_11comp_targetILNS1_3genE10ELNS1_11target_archE1201ELNS1_3gpuE5ELNS1_3repE0EEENS1_30default_config_static_selectorELNS0_4arch9wavefront6targetE1EEEvT1_,comdat
.Lfunc_end448:
	.size	_ZN7rocprim17ROCPRIM_400000_NS6detail17trampoline_kernelINS0_14default_configENS1_20scan_config_selectorIN3c108BFloat16EEEZZNS1_9scan_implILNS1_25lookback_scan_determinismE0ELb0ELb0ES3_PKS6_PS6_S6_ZZZN2at6native31launch_logcumsumexp_cuda_kernelERKNSD_10TensorBaseESH_lENKUlvE_clEvENKUlvE4_clEvEUlS6_S6_E_S6_EEDaPvRmT3_T4_T5_mT6_P12ihipStream_tbENKUlT_T0_E_clISt17integral_constantIbLb0EESY_EEDaST_SU_EUlST_E_NS1_11comp_targetILNS1_3genE10ELNS1_11target_archE1201ELNS1_3gpuE5ELNS1_3repE0EEENS1_30default_config_static_selectorELNS0_4arch9wavefront6targetE1EEEvT1_, .Lfunc_end448-_ZN7rocprim17ROCPRIM_400000_NS6detail17trampoline_kernelINS0_14default_configENS1_20scan_config_selectorIN3c108BFloat16EEEZZNS1_9scan_implILNS1_25lookback_scan_determinismE0ELb0ELb0ES3_PKS6_PS6_S6_ZZZN2at6native31launch_logcumsumexp_cuda_kernelERKNSD_10TensorBaseESH_lENKUlvE_clEvENKUlvE4_clEvEUlS6_S6_E_S6_EEDaPvRmT3_T4_T5_mT6_P12ihipStream_tbENKUlT_T0_E_clISt17integral_constantIbLb0EESY_EEDaST_SU_EUlST_E_NS1_11comp_targetILNS1_3genE10ELNS1_11target_archE1201ELNS1_3gpuE5ELNS1_3repE0EEENS1_30default_config_static_selectorELNS0_4arch9wavefront6targetE1EEEvT1_
                                        ; -- End function
	.section	.AMDGPU.csdata,"",@progbits
; Kernel info:
; codeLenInByte = 0
; NumSgprs: 4
; NumVgprs: 0
; NumAgprs: 0
; TotalNumVgprs: 0
; ScratchSize: 0
; MemoryBound: 0
; FloatMode: 240
; IeeeMode: 1
; LDSByteSize: 0 bytes/workgroup (compile time only)
; SGPRBlocks: 0
; VGPRBlocks: 0
; NumSGPRsForWavesPerEU: 4
; NumVGPRsForWavesPerEU: 1
; AccumOffset: 4
; Occupancy: 8
; WaveLimiterHint : 0
; COMPUTE_PGM_RSRC2:SCRATCH_EN: 0
; COMPUTE_PGM_RSRC2:USER_SGPR: 6
; COMPUTE_PGM_RSRC2:TRAP_HANDLER: 0
; COMPUTE_PGM_RSRC2:TGID_X_EN: 1
; COMPUTE_PGM_RSRC2:TGID_Y_EN: 0
; COMPUTE_PGM_RSRC2:TGID_Z_EN: 0
; COMPUTE_PGM_RSRC2:TIDIG_COMP_CNT: 0
; COMPUTE_PGM_RSRC3_GFX90A:ACCUM_OFFSET: 0
; COMPUTE_PGM_RSRC3_GFX90A:TG_SPLIT: 0
	.section	.text._ZN7rocprim17ROCPRIM_400000_NS6detail17trampoline_kernelINS0_14default_configENS1_20scan_config_selectorIN3c108BFloat16EEEZZNS1_9scan_implILNS1_25lookback_scan_determinismE0ELb0ELb0ES3_PKS6_PS6_S6_ZZZN2at6native31launch_logcumsumexp_cuda_kernelERKNSD_10TensorBaseESH_lENKUlvE_clEvENKUlvE4_clEvEUlS6_S6_E_S6_EEDaPvRmT3_T4_T5_mT6_P12ihipStream_tbENKUlT_T0_E_clISt17integral_constantIbLb0EESY_EEDaST_SU_EUlST_E_NS1_11comp_targetILNS1_3genE10ELNS1_11target_archE1200ELNS1_3gpuE4ELNS1_3repE0EEENS1_30default_config_static_selectorELNS0_4arch9wavefront6targetE1EEEvT1_,"axG",@progbits,_ZN7rocprim17ROCPRIM_400000_NS6detail17trampoline_kernelINS0_14default_configENS1_20scan_config_selectorIN3c108BFloat16EEEZZNS1_9scan_implILNS1_25lookback_scan_determinismE0ELb0ELb0ES3_PKS6_PS6_S6_ZZZN2at6native31launch_logcumsumexp_cuda_kernelERKNSD_10TensorBaseESH_lENKUlvE_clEvENKUlvE4_clEvEUlS6_S6_E_S6_EEDaPvRmT3_T4_T5_mT6_P12ihipStream_tbENKUlT_T0_E_clISt17integral_constantIbLb0EESY_EEDaST_SU_EUlST_E_NS1_11comp_targetILNS1_3genE10ELNS1_11target_archE1200ELNS1_3gpuE4ELNS1_3repE0EEENS1_30default_config_static_selectorELNS0_4arch9wavefront6targetE1EEEvT1_,comdat
	.globl	_ZN7rocprim17ROCPRIM_400000_NS6detail17trampoline_kernelINS0_14default_configENS1_20scan_config_selectorIN3c108BFloat16EEEZZNS1_9scan_implILNS1_25lookback_scan_determinismE0ELb0ELb0ES3_PKS6_PS6_S6_ZZZN2at6native31launch_logcumsumexp_cuda_kernelERKNSD_10TensorBaseESH_lENKUlvE_clEvENKUlvE4_clEvEUlS6_S6_E_S6_EEDaPvRmT3_T4_T5_mT6_P12ihipStream_tbENKUlT_T0_E_clISt17integral_constantIbLb0EESY_EEDaST_SU_EUlST_E_NS1_11comp_targetILNS1_3genE10ELNS1_11target_archE1200ELNS1_3gpuE4ELNS1_3repE0EEENS1_30default_config_static_selectorELNS0_4arch9wavefront6targetE1EEEvT1_ ; -- Begin function _ZN7rocprim17ROCPRIM_400000_NS6detail17trampoline_kernelINS0_14default_configENS1_20scan_config_selectorIN3c108BFloat16EEEZZNS1_9scan_implILNS1_25lookback_scan_determinismE0ELb0ELb0ES3_PKS6_PS6_S6_ZZZN2at6native31launch_logcumsumexp_cuda_kernelERKNSD_10TensorBaseESH_lENKUlvE_clEvENKUlvE4_clEvEUlS6_S6_E_S6_EEDaPvRmT3_T4_T5_mT6_P12ihipStream_tbENKUlT_T0_E_clISt17integral_constantIbLb0EESY_EEDaST_SU_EUlST_E_NS1_11comp_targetILNS1_3genE10ELNS1_11target_archE1200ELNS1_3gpuE4ELNS1_3repE0EEENS1_30default_config_static_selectorELNS0_4arch9wavefront6targetE1EEEvT1_
	.p2align	8
	.type	_ZN7rocprim17ROCPRIM_400000_NS6detail17trampoline_kernelINS0_14default_configENS1_20scan_config_selectorIN3c108BFloat16EEEZZNS1_9scan_implILNS1_25lookback_scan_determinismE0ELb0ELb0ES3_PKS6_PS6_S6_ZZZN2at6native31launch_logcumsumexp_cuda_kernelERKNSD_10TensorBaseESH_lENKUlvE_clEvENKUlvE4_clEvEUlS6_S6_E_S6_EEDaPvRmT3_T4_T5_mT6_P12ihipStream_tbENKUlT_T0_E_clISt17integral_constantIbLb0EESY_EEDaST_SU_EUlST_E_NS1_11comp_targetILNS1_3genE10ELNS1_11target_archE1200ELNS1_3gpuE4ELNS1_3repE0EEENS1_30default_config_static_selectorELNS0_4arch9wavefront6targetE1EEEvT1_,@function
_ZN7rocprim17ROCPRIM_400000_NS6detail17trampoline_kernelINS0_14default_configENS1_20scan_config_selectorIN3c108BFloat16EEEZZNS1_9scan_implILNS1_25lookback_scan_determinismE0ELb0ELb0ES3_PKS6_PS6_S6_ZZZN2at6native31launch_logcumsumexp_cuda_kernelERKNSD_10TensorBaseESH_lENKUlvE_clEvENKUlvE4_clEvEUlS6_S6_E_S6_EEDaPvRmT3_T4_T5_mT6_P12ihipStream_tbENKUlT_T0_E_clISt17integral_constantIbLb0EESY_EEDaST_SU_EUlST_E_NS1_11comp_targetILNS1_3genE10ELNS1_11target_archE1200ELNS1_3gpuE4ELNS1_3repE0EEENS1_30default_config_static_selectorELNS0_4arch9wavefront6targetE1EEEvT1_: ; @_ZN7rocprim17ROCPRIM_400000_NS6detail17trampoline_kernelINS0_14default_configENS1_20scan_config_selectorIN3c108BFloat16EEEZZNS1_9scan_implILNS1_25lookback_scan_determinismE0ELb0ELb0ES3_PKS6_PS6_S6_ZZZN2at6native31launch_logcumsumexp_cuda_kernelERKNSD_10TensorBaseESH_lENKUlvE_clEvENKUlvE4_clEvEUlS6_S6_E_S6_EEDaPvRmT3_T4_T5_mT6_P12ihipStream_tbENKUlT_T0_E_clISt17integral_constantIbLb0EESY_EEDaST_SU_EUlST_E_NS1_11comp_targetILNS1_3genE10ELNS1_11target_archE1200ELNS1_3gpuE4ELNS1_3repE0EEENS1_30default_config_static_selectorELNS0_4arch9wavefront6targetE1EEEvT1_
; %bb.0:
	.section	.rodata,"a",@progbits
	.p2align	6, 0x0
	.amdhsa_kernel _ZN7rocprim17ROCPRIM_400000_NS6detail17trampoline_kernelINS0_14default_configENS1_20scan_config_selectorIN3c108BFloat16EEEZZNS1_9scan_implILNS1_25lookback_scan_determinismE0ELb0ELb0ES3_PKS6_PS6_S6_ZZZN2at6native31launch_logcumsumexp_cuda_kernelERKNSD_10TensorBaseESH_lENKUlvE_clEvENKUlvE4_clEvEUlS6_S6_E_S6_EEDaPvRmT3_T4_T5_mT6_P12ihipStream_tbENKUlT_T0_E_clISt17integral_constantIbLb0EESY_EEDaST_SU_EUlST_E_NS1_11comp_targetILNS1_3genE10ELNS1_11target_archE1200ELNS1_3gpuE4ELNS1_3repE0EEENS1_30default_config_static_selectorELNS0_4arch9wavefront6targetE1EEEvT1_
		.amdhsa_group_segment_fixed_size 0
		.amdhsa_private_segment_fixed_size 0
		.amdhsa_kernarg_size 96
		.amdhsa_user_sgpr_count 6
		.amdhsa_user_sgpr_private_segment_buffer 1
		.amdhsa_user_sgpr_dispatch_ptr 0
		.amdhsa_user_sgpr_queue_ptr 0
		.amdhsa_user_sgpr_kernarg_segment_ptr 1
		.amdhsa_user_sgpr_dispatch_id 0
		.amdhsa_user_sgpr_flat_scratch_init 0
		.amdhsa_user_sgpr_kernarg_preload_length 0
		.amdhsa_user_sgpr_kernarg_preload_offset 0
		.amdhsa_user_sgpr_private_segment_size 0
		.amdhsa_uses_dynamic_stack 0
		.amdhsa_system_sgpr_private_segment_wavefront_offset 0
		.amdhsa_system_sgpr_workgroup_id_x 1
		.amdhsa_system_sgpr_workgroup_id_y 0
		.amdhsa_system_sgpr_workgroup_id_z 0
		.amdhsa_system_sgpr_workgroup_info 0
		.amdhsa_system_vgpr_workitem_id 0
		.amdhsa_next_free_vgpr 1
		.amdhsa_next_free_sgpr 0
		.amdhsa_accum_offset 4
		.amdhsa_reserve_vcc 0
		.amdhsa_reserve_flat_scratch 0
		.amdhsa_float_round_mode_32 0
		.amdhsa_float_round_mode_16_64 0
		.amdhsa_float_denorm_mode_32 3
		.amdhsa_float_denorm_mode_16_64 3
		.amdhsa_dx10_clamp 1
		.amdhsa_ieee_mode 1
		.amdhsa_fp16_overflow 0
		.amdhsa_tg_split 0
		.amdhsa_exception_fp_ieee_invalid_op 0
		.amdhsa_exception_fp_denorm_src 0
		.amdhsa_exception_fp_ieee_div_zero 0
		.amdhsa_exception_fp_ieee_overflow 0
		.amdhsa_exception_fp_ieee_underflow 0
		.amdhsa_exception_fp_ieee_inexact 0
		.amdhsa_exception_int_div_zero 0
	.end_amdhsa_kernel
	.section	.text._ZN7rocprim17ROCPRIM_400000_NS6detail17trampoline_kernelINS0_14default_configENS1_20scan_config_selectorIN3c108BFloat16EEEZZNS1_9scan_implILNS1_25lookback_scan_determinismE0ELb0ELb0ES3_PKS6_PS6_S6_ZZZN2at6native31launch_logcumsumexp_cuda_kernelERKNSD_10TensorBaseESH_lENKUlvE_clEvENKUlvE4_clEvEUlS6_S6_E_S6_EEDaPvRmT3_T4_T5_mT6_P12ihipStream_tbENKUlT_T0_E_clISt17integral_constantIbLb0EESY_EEDaST_SU_EUlST_E_NS1_11comp_targetILNS1_3genE10ELNS1_11target_archE1200ELNS1_3gpuE4ELNS1_3repE0EEENS1_30default_config_static_selectorELNS0_4arch9wavefront6targetE1EEEvT1_,"axG",@progbits,_ZN7rocprim17ROCPRIM_400000_NS6detail17trampoline_kernelINS0_14default_configENS1_20scan_config_selectorIN3c108BFloat16EEEZZNS1_9scan_implILNS1_25lookback_scan_determinismE0ELb0ELb0ES3_PKS6_PS6_S6_ZZZN2at6native31launch_logcumsumexp_cuda_kernelERKNSD_10TensorBaseESH_lENKUlvE_clEvENKUlvE4_clEvEUlS6_S6_E_S6_EEDaPvRmT3_T4_T5_mT6_P12ihipStream_tbENKUlT_T0_E_clISt17integral_constantIbLb0EESY_EEDaST_SU_EUlST_E_NS1_11comp_targetILNS1_3genE10ELNS1_11target_archE1200ELNS1_3gpuE4ELNS1_3repE0EEENS1_30default_config_static_selectorELNS0_4arch9wavefront6targetE1EEEvT1_,comdat
.Lfunc_end449:
	.size	_ZN7rocprim17ROCPRIM_400000_NS6detail17trampoline_kernelINS0_14default_configENS1_20scan_config_selectorIN3c108BFloat16EEEZZNS1_9scan_implILNS1_25lookback_scan_determinismE0ELb0ELb0ES3_PKS6_PS6_S6_ZZZN2at6native31launch_logcumsumexp_cuda_kernelERKNSD_10TensorBaseESH_lENKUlvE_clEvENKUlvE4_clEvEUlS6_S6_E_S6_EEDaPvRmT3_T4_T5_mT6_P12ihipStream_tbENKUlT_T0_E_clISt17integral_constantIbLb0EESY_EEDaST_SU_EUlST_E_NS1_11comp_targetILNS1_3genE10ELNS1_11target_archE1200ELNS1_3gpuE4ELNS1_3repE0EEENS1_30default_config_static_selectorELNS0_4arch9wavefront6targetE1EEEvT1_, .Lfunc_end449-_ZN7rocprim17ROCPRIM_400000_NS6detail17trampoline_kernelINS0_14default_configENS1_20scan_config_selectorIN3c108BFloat16EEEZZNS1_9scan_implILNS1_25lookback_scan_determinismE0ELb0ELb0ES3_PKS6_PS6_S6_ZZZN2at6native31launch_logcumsumexp_cuda_kernelERKNSD_10TensorBaseESH_lENKUlvE_clEvENKUlvE4_clEvEUlS6_S6_E_S6_EEDaPvRmT3_T4_T5_mT6_P12ihipStream_tbENKUlT_T0_E_clISt17integral_constantIbLb0EESY_EEDaST_SU_EUlST_E_NS1_11comp_targetILNS1_3genE10ELNS1_11target_archE1200ELNS1_3gpuE4ELNS1_3repE0EEENS1_30default_config_static_selectorELNS0_4arch9wavefront6targetE1EEEvT1_
                                        ; -- End function
	.section	.AMDGPU.csdata,"",@progbits
; Kernel info:
; codeLenInByte = 0
; NumSgprs: 4
; NumVgprs: 0
; NumAgprs: 0
; TotalNumVgprs: 0
; ScratchSize: 0
; MemoryBound: 0
; FloatMode: 240
; IeeeMode: 1
; LDSByteSize: 0 bytes/workgroup (compile time only)
; SGPRBlocks: 0
; VGPRBlocks: 0
; NumSGPRsForWavesPerEU: 4
; NumVGPRsForWavesPerEU: 1
; AccumOffset: 4
; Occupancy: 8
; WaveLimiterHint : 0
; COMPUTE_PGM_RSRC2:SCRATCH_EN: 0
; COMPUTE_PGM_RSRC2:USER_SGPR: 6
; COMPUTE_PGM_RSRC2:TRAP_HANDLER: 0
; COMPUTE_PGM_RSRC2:TGID_X_EN: 1
; COMPUTE_PGM_RSRC2:TGID_Y_EN: 0
; COMPUTE_PGM_RSRC2:TGID_Z_EN: 0
; COMPUTE_PGM_RSRC2:TIDIG_COMP_CNT: 0
; COMPUTE_PGM_RSRC3_GFX90A:ACCUM_OFFSET: 0
; COMPUTE_PGM_RSRC3_GFX90A:TG_SPLIT: 0
	.section	.text._ZN7rocprim17ROCPRIM_400000_NS6detail17trampoline_kernelINS0_14default_configENS1_20scan_config_selectorIN3c108BFloat16EEEZZNS1_9scan_implILNS1_25lookback_scan_determinismE0ELb0ELb0ES3_PKS6_PS6_S6_ZZZN2at6native31launch_logcumsumexp_cuda_kernelERKNSD_10TensorBaseESH_lENKUlvE_clEvENKUlvE4_clEvEUlS6_S6_E_S6_EEDaPvRmT3_T4_T5_mT6_P12ihipStream_tbENKUlT_T0_E_clISt17integral_constantIbLb0EESY_EEDaST_SU_EUlST_E_NS1_11comp_targetILNS1_3genE9ELNS1_11target_archE1100ELNS1_3gpuE3ELNS1_3repE0EEENS1_30default_config_static_selectorELNS0_4arch9wavefront6targetE1EEEvT1_,"axG",@progbits,_ZN7rocprim17ROCPRIM_400000_NS6detail17trampoline_kernelINS0_14default_configENS1_20scan_config_selectorIN3c108BFloat16EEEZZNS1_9scan_implILNS1_25lookback_scan_determinismE0ELb0ELb0ES3_PKS6_PS6_S6_ZZZN2at6native31launch_logcumsumexp_cuda_kernelERKNSD_10TensorBaseESH_lENKUlvE_clEvENKUlvE4_clEvEUlS6_S6_E_S6_EEDaPvRmT3_T4_T5_mT6_P12ihipStream_tbENKUlT_T0_E_clISt17integral_constantIbLb0EESY_EEDaST_SU_EUlST_E_NS1_11comp_targetILNS1_3genE9ELNS1_11target_archE1100ELNS1_3gpuE3ELNS1_3repE0EEENS1_30default_config_static_selectorELNS0_4arch9wavefront6targetE1EEEvT1_,comdat
	.globl	_ZN7rocprim17ROCPRIM_400000_NS6detail17trampoline_kernelINS0_14default_configENS1_20scan_config_selectorIN3c108BFloat16EEEZZNS1_9scan_implILNS1_25lookback_scan_determinismE0ELb0ELb0ES3_PKS6_PS6_S6_ZZZN2at6native31launch_logcumsumexp_cuda_kernelERKNSD_10TensorBaseESH_lENKUlvE_clEvENKUlvE4_clEvEUlS6_S6_E_S6_EEDaPvRmT3_T4_T5_mT6_P12ihipStream_tbENKUlT_T0_E_clISt17integral_constantIbLb0EESY_EEDaST_SU_EUlST_E_NS1_11comp_targetILNS1_3genE9ELNS1_11target_archE1100ELNS1_3gpuE3ELNS1_3repE0EEENS1_30default_config_static_selectorELNS0_4arch9wavefront6targetE1EEEvT1_ ; -- Begin function _ZN7rocprim17ROCPRIM_400000_NS6detail17trampoline_kernelINS0_14default_configENS1_20scan_config_selectorIN3c108BFloat16EEEZZNS1_9scan_implILNS1_25lookback_scan_determinismE0ELb0ELb0ES3_PKS6_PS6_S6_ZZZN2at6native31launch_logcumsumexp_cuda_kernelERKNSD_10TensorBaseESH_lENKUlvE_clEvENKUlvE4_clEvEUlS6_S6_E_S6_EEDaPvRmT3_T4_T5_mT6_P12ihipStream_tbENKUlT_T0_E_clISt17integral_constantIbLb0EESY_EEDaST_SU_EUlST_E_NS1_11comp_targetILNS1_3genE9ELNS1_11target_archE1100ELNS1_3gpuE3ELNS1_3repE0EEENS1_30default_config_static_selectorELNS0_4arch9wavefront6targetE1EEEvT1_
	.p2align	8
	.type	_ZN7rocprim17ROCPRIM_400000_NS6detail17trampoline_kernelINS0_14default_configENS1_20scan_config_selectorIN3c108BFloat16EEEZZNS1_9scan_implILNS1_25lookback_scan_determinismE0ELb0ELb0ES3_PKS6_PS6_S6_ZZZN2at6native31launch_logcumsumexp_cuda_kernelERKNSD_10TensorBaseESH_lENKUlvE_clEvENKUlvE4_clEvEUlS6_S6_E_S6_EEDaPvRmT3_T4_T5_mT6_P12ihipStream_tbENKUlT_T0_E_clISt17integral_constantIbLb0EESY_EEDaST_SU_EUlST_E_NS1_11comp_targetILNS1_3genE9ELNS1_11target_archE1100ELNS1_3gpuE3ELNS1_3repE0EEENS1_30default_config_static_selectorELNS0_4arch9wavefront6targetE1EEEvT1_,@function
_ZN7rocprim17ROCPRIM_400000_NS6detail17trampoline_kernelINS0_14default_configENS1_20scan_config_selectorIN3c108BFloat16EEEZZNS1_9scan_implILNS1_25lookback_scan_determinismE0ELb0ELb0ES3_PKS6_PS6_S6_ZZZN2at6native31launch_logcumsumexp_cuda_kernelERKNSD_10TensorBaseESH_lENKUlvE_clEvENKUlvE4_clEvEUlS6_S6_E_S6_EEDaPvRmT3_T4_T5_mT6_P12ihipStream_tbENKUlT_T0_E_clISt17integral_constantIbLb0EESY_EEDaST_SU_EUlST_E_NS1_11comp_targetILNS1_3genE9ELNS1_11target_archE1100ELNS1_3gpuE3ELNS1_3repE0EEENS1_30default_config_static_selectorELNS0_4arch9wavefront6targetE1EEEvT1_: ; @_ZN7rocprim17ROCPRIM_400000_NS6detail17trampoline_kernelINS0_14default_configENS1_20scan_config_selectorIN3c108BFloat16EEEZZNS1_9scan_implILNS1_25lookback_scan_determinismE0ELb0ELb0ES3_PKS6_PS6_S6_ZZZN2at6native31launch_logcumsumexp_cuda_kernelERKNSD_10TensorBaseESH_lENKUlvE_clEvENKUlvE4_clEvEUlS6_S6_E_S6_EEDaPvRmT3_T4_T5_mT6_P12ihipStream_tbENKUlT_T0_E_clISt17integral_constantIbLb0EESY_EEDaST_SU_EUlST_E_NS1_11comp_targetILNS1_3genE9ELNS1_11target_archE1100ELNS1_3gpuE3ELNS1_3repE0EEENS1_30default_config_static_selectorELNS0_4arch9wavefront6targetE1EEEvT1_
; %bb.0:
	.section	.rodata,"a",@progbits
	.p2align	6, 0x0
	.amdhsa_kernel _ZN7rocprim17ROCPRIM_400000_NS6detail17trampoline_kernelINS0_14default_configENS1_20scan_config_selectorIN3c108BFloat16EEEZZNS1_9scan_implILNS1_25lookback_scan_determinismE0ELb0ELb0ES3_PKS6_PS6_S6_ZZZN2at6native31launch_logcumsumexp_cuda_kernelERKNSD_10TensorBaseESH_lENKUlvE_clEvENKUlvE4_clEvEUlS6_S6_E_S6_EEDaPvRmT3_T4_T5_mT6_P12ihipStream_tbENKUlT_T0_E_clISt17integral_constantIbLb0EESY_EEDaST_SU_EUlST_E_NS1_11comp_targetILNS1_3genE9ELNS1_11target_archE1100ELNS1_3gpuE3ELNS1_3repE0EEENS1_30default_config_static_selectorELNS0_4arch9wavefront6targetE1EEEvT1_
		.amdhsa_group_segment_fixed_size 0
		.amdhsa_private_segment_fixed_size 0
		.amdhsa_kernarg_size 96
		.amdhsa_user_sgpr_count 6
		.amdhsa_user_sgpr_private_segment_buffer 1
		.amdhsa_user_sgpr_dispatch_ptr 0
		.amdhsa_user_sgpr_queue_ptr 0
		.amdhsa_user_sgpr_kernarg_segment_ptr 1
		.amdhsa_user_sgpr_dispatch_id 0
		.amdhsa_user_sgpr_flat_scratch_init 0
		.amdhsa_user_sgpr_kernarg_preload_length 0
		.amdhsa_user_sgpr_kernarg_preload_offset 0
		.amdhsa_user_sgpr_private_segment_size 0
		.amdhsa_uses_dynamic_stack 0
		.amdhsa_system_sgpr_private_segment_wavefront_offset 0
		.amdhsa_system_sgpr_workgroup_id_x 1
		.amdhsa_system_sgpr_workgroup_id_y 0
		.amdhsa_system_sgpr_workgroup_id_z 0
		.amdhsa_system_sgpr_workgroup_info 0
		.amdhsa_system_vgpr_workitem_id 0
		.amdhsa_next_free_vgpr 1
		.amdhsa_next_free_sgpr 0
		.amdhsa_accum_offset 4
		.amdhsa_reserve_vcc 0
		.amdhsa_reserve_flat_scratch 0
		.amdhsa_float_round_mode_32 0
		.amdhsa_float_round_mode_16_64 0
		.amdhsa_float_denorm_mode_32 3
		.amdhsa_float_denorm_mode_16_64 3
		.amdhsa_dx10_clamp 1
		.amdhsa_ieee_mode 1
		.amdhsa_fp16_overflow 0
		.amdhsa_tg_split 0
		.amdhsa_exception_fp_ieee_invalid_op 0
		.amdhsa_exception_fp_denorm_src 0
		.amdhsa_exception_fp_ieee_div_zero 0
		.amdhsa_exception_fp_ieee_overflow 0
		.amdhsa_exception_fp_ieee_underflow 0
		.amdhsa_exception_fp_ieee_inexact 0
		.amdhsa_exception_int_div_zero 0
	.end_amdhsa_kernel
	.section	.text._ZN7rocprim17ROCPRIM_400000_NS6detail17trampoline_kernelINS0_14default_configENS1_20scan_config_selectorIN3c108BFloat16EEEZZNS1_9scan_implILNS1_25lookback_scan_determinismE0ELb0ELb0ES3_PKS6_PS6_S6_ZZZN2at6native31launch_logcumsumexp_cuda_kernelERKNSD_10TensorBaseESH_lENKUlvE_clEvENKUlvE4_clEvEUlS6_S6_E_S6_EEDaPvRmT3_T4_T5_mT6_P12ihipStream_tbENKUlT_T0_E_clISt17integral_constantIbLb0EESY_EEDaST_SU_EUlST_E_NS1_11comp_targetILNS1_3genE9ELNS1_11target_archE1100ELNS1_3gpuE3ELNS1_3repE0EEENS1_30default_config_static_selectorELNS0_4arch9wavefront6targetE1EEEvT1_,"axG",@progbits,_ZN7rocprim17ROCPRIM_400000_NS6detail17trampoline_kernelINS0_14default_configENS1_20scan_config_selectorIN3c108BFloat16EEEZZNS1_9scan_implILNS1_25lookback_scan_determinismE0ELb0ELb0ES3_PKS6_PS6_S6_ZZZN2at6native31launch_logcumsumexp_cuda_kernelERKNSD_10TensorBaseESH_lENKUlvE_clEvENKUlvE4_clEvEUlS6_S6_E_S6_EEDaPvRmT3_T4_T5_mT6_P12ihipStream_tbENKUlT_T0_E_clISt17integral_constantIbLb0EESY_EEDaST_SU_EUlST_E_NS1_11comp_targetILNS1_3genE9ELNS1_11target_archE1100ELNS1_3gpuE3ELNS1_3repE0EEENS1_30default_config_static_selectorELNS0_4arch9wavefront6targetE1EEEvT1_,comdat
.Lfunc_end450:
	.size	_ZN7rocprim17ROCPRIM_400000_NS6detail17trampoline_kernelINS0_14default_configENS1_20scan_config_selectorIN3c108BFloat16EEEZZNS1_9scan_implILNS1_25lookback_scan_determinismE0ELb0ELb0ES3_PKS6_PS6_S6_ZZZN2at6native31launch_logcumsumexp_cuda_kernelERKNSD_10TensorBaseESH_lENKUlvE_clEvENKUlvE4_clEvEUlS6_S6_E_S6_EEDaPvRmT3_T4_T5_mT6_P12ihipStream_tbENKUlT_T0_E_clISt17integral_constantIbLb0EESY_EEDaST_SU_EUlST_E_NS1_11comp_targetILNS1_3genE9ELNS1_11target_archE1100ELNS1_3gpuE3ELNS1_3repE0EEENS1_30default_config_static_selectorELNS0_4arch9wavefront6targetE1EEEvT1_, .Lfunc_end450-_ZN7rocprim17ROCPRIM_400000_NS6detail17trampoline_kernelINS0_14default_configENS1_20scan_config_selectorIN3c108BFloat16EEEZZNS1_9scan_implILNS1_25lookback_scan_determinismE0ELb0ELb0ES3_PKS6_PS6_S6_ZZZN2at6native31launch_logcumsumexp_cuda_kernelERKNSD_10TensorBaseESH_lENKUlvE_clEvENKUlvE4_clEvEUlS6_S6_E_S6_EEDaPvRmT3_T4_T5_mT6_P12ihipStream_tbENKUlT_T0_E_clISt17integral_constantIbLb0EESY_EEDaST_SU_EUlST_E_NS1_11comp_targetILNS1_3genE9ELNS1_11target_archE1100ELNS1_3gpuE3ELNS1_3repE0EEENS1_30default_config_static_selectorELNS0_4arch9wavefront6targetE1EEEvT1_
                                        ; -- End function
	.section	.AMDGPU.csdata,"",@progbits
; Kernel info:
; codeLenInByte = 0
; NumSgprs: 4
; NumVgprs: 0
; NumAgprs: 0
; TotalNumVgprs: 0
; ScratchSize: 0
; MemoryBound: 0
; FloatMode: 240
; IeeeMode: 1
; LDSByteSize: 0 bytes/workgroup (compile time only)
; SGPRBlocks: 0
; VGPRBlocks: 0
; NumSGPRsForWavesPerEU: 4
; NumVGPRsForWavesPerEU: 1
; AccumOffset: 4
; Occupancy: 8
; WaveLimiterHint : 0
; COMPUTE_PGM_RSRC2:SCRATCH_EN: 0
; COMPUTE_PGM_RSRC2:USER_SGPR: 6
; COMPUTE_PGM_RSRC2:TRAP_HANDLER: 0
; COMPUTE_PGM_RSRC2:TGID_X_EN: 1
; COMPUTE_PGM_RSRC2:TGID_Y_EN: 0
; COMPUTE_PGM_RSRC2:TGID_Z_EN: 0
; COMPUTE_PGM_RSRC2:TIDIG_COMP_CNT: 0
; COMPUTE_PGM_RSRC3_GFX90A:ACCUM_OFFSET: 0
; COMPUTE_PGM_RSRC3_GFX90A:TG_SPLIT: 0
	.section	.text._ZN7rocprim17ROCPRIM_400000_NS6detail17trampoline_kernelINS0_14default_configENS1_20scan_config_selectorIN3c108BFloat16EEEZZNS1_9scan_implILNS1_25lookback_scan_determinismE0ELb0ELb0ES3_PKS6_PS6_S6_ZZZN2at6native31launch_logcumsumexp_cuda_kernelERKNSD_10TensorBaseESH_lENKUlvE_clEvENKUlvE4_clEvEUlS6_S6_E_S6_EEDaPvRmT3_T4_T5_mT6_P12ihipStream_tbENKUlT_T0_E_clISt17integral_constantIbLb0EESY_EEDaST_SU_EUlST_E_NS1_11comp_targetILNS1_3genE8ELNS1_11target_archE1030ELNS1_3gpuE2ELNS1_3repE0EEENS1_30default_config_static_selectorELNS0_4arch9wavefront6targetE1EEEvT1_,"axG",@progbits,_ZN7rocprim17ROCPRIM_400000_NS6detail17trampoline_kernelINS0_14default_configENS1_20scan_config_selectorIN3c108BFloat16EEEZZNS1_9scan_implILNS1_25lookback_scan_determinismE0ELb0ELb0ES3_PKS6_PS6_S6_ZZZN2at6native31launch_logcumsumexp_cuda_kernelERKNSD_10TensorBaseESH_lENKUlvE_clEvENKUlvE4_clEvEUlS6_S6_E_S6_EEDaPvRmT3_T4_T5_mT6_P12ihipStream_tbENKUlT_T0_E_clISt17integral_constantIbLb0EESY_EEDaST_SU_EUlST_E_NS1_11comp_targetILNS1_3genE8ELNS1_11target_archE1030ELNS1_3gpuE2ELNS1_3repE0EEENS1_30default_config_static_selectorELNS0_4arch9wavefront6targetE1EEEvT1_,comdat
	.globl	_ZN7rocprim17ROCPRIM_400000_NS6detail17trampoline_kernelINS0_14default_configENS1_20scan_config_selectorIN3c108BFloat16EEEZZNS1_9scan_implILNS1_25lookback_scan_determinismE0ELb0ELb0ES3_PKS6_PS6_S6_ZZZN2at6native31launch_logcumsumexp_cuda_kernelERKNSD_10TensorBaseESH_lENKUlvE_clEvENKUlvE4_clEvEUlS6_S6_E_S6_EEDaPvRmT3_T4_T5_mT6_P12ihipStream_tbENKUlT_T0_E_clISt17integral_constantIbLb0EESY_EEDaST_SU_EUlST_E_NS1_11comp_targetILNS1_3genE8ELNS1_11target_archE1030ELNS1_3gpuE2ELNS1_3repE0EEENS1_30default_config_static_selectorELNS0_4arch9wavefront6targetE1EEEvT1_ ; -- Begin function _ZN7rocprim17ROCPRIM_400000_NS6detail17trampoline_kernelINS0_14default_configENS1_20scan_config_selectorIN3c108BFloat16EEEZZNS1_9scan_implILNS1_25lookback_scan_determinismE0ELb0ELb0ES3_PKS6_PS6_S6_ZZZN2at6native31launch_logcumsumexp_cuda_kernelERKNSD_10TensorBaseESH_lENKUlvE_clEvENKUlvE4_clEvEUlS6_S6_E_S6_EEDaPvRmT3_T4_T5_mT6_P12ihipStream_tbENKUlT_T0_E_clISt17integral_constantIbLb0EESY_EEDaST_SU_EUlST_E_NS1_11comp_targetILNS1_3genE8ELNS1_11target_archE1030ELNS1_3gpuE2ELNS1_3repE0EEENS1_30default_config_static_selectorELNS0_4arch9wavefront6targetE1EEEvT1_
	.p2align	8
	.type	_ZN7rocprim17ROCPRIM_400000_NS6detail17trampoline_kernelINS0_14default_configENS1_20scan_config_selectorIN3c108BFloat16EEEZZNS1_9scan_implILNS1_25lookback_scan_determinismE0ELb0ELb0ES3_PKS6_PS6_S6_ZZZN2at6native31launch_logcumsumexp_cuda_kernelERKNSD_10TensorBaseESH_lENKUlvE_clEvENKUlvE4_clEvEUlS6_S6_E_S6_EEDaPvRmT3_T4_T5_mT6_P12ihipStream_tbENKUlT_T0_E_clISt17integral_constantIbLb0EESY_EEDaST_SU_EUlST_E_NS1_11comp_targetILNS1_3genE8ELNS1_11target_archE1030ELNS1_3gpuE2ELNS1_3repE0EEENS1_30default_config_static_selectorELNS0_4arch9wavefront6targetE1EEEvT1_,@function
_ZN7rocprim17ROCPRIM_400000_NS6detail17trampoline_kernelINS0_14default_configENS1_20scan_config_selectorIN3c108BFloat16EEEZZNS1_9scan_implILNS1_25lookback_scan_determinismE0ELb0ELb0ES3_PKS6_PS6_S6_ZZZN2at6native31launch_logcumsumexp_cuda_kernelERKNSD_10TensorBaseESH_lENKUlvE_clEvENKUlvE4_clEvEUlS6_S6_E_S6_EEDaPvRmT3_T4_T5_mT6_P12ihipStream_tbENKUlT_T0_E_clISt17integral_constantIbLb0EESY_EEDaST_SU_EUlST_E_NS1_11comp_targetILNS1_3genE8ELNS1_11target_archE1030ELNS1_3gpuE2ELNS1_3repE0EEENS1_30default_config_static_selectorELNS0_4arch9wavefront6targetE1EEEvT1_: ; @_ZN7rocprim17ROCPRIM_400000_NS6detail17trampoline_kernelINS0_14default_configENS1_20scan_config_selectorIN3c108BFloat16EEEZZNS1_9scan_implILNS1_25lookback_scan_determinismE0ELb0ELb0ES3_PKS6_PS6_S6_ZZZN2at6native31launch_logcumsumexp_cuda_kernelERKNSD_10TensorBaseESH_lENKUlvE_clEvENKUlvE4_clEvEUlS6_S6_E_S6_EEDaPvRmT3_T4_T5_mT6_P12ihipStream_tbENKUlT_T0_E_clISt17integral_constantIbLb0EESY_EEDaST_SU_EUlST_E_NS1_11comp_targetILNS1_3genE8ELNS1_11target_archE1030ELNS1_3gpuE2ELNS1_3repE0EEENS1_30default_config_static_selectorELNS0_4arch9wavefront6targetE1EEEvT1_
; %bb.0:
	.section	.rodata,"a",@progbits
	.p2align	6, 0x0
	.amdhsa_kernel _ZN7rocprim17ROCPRIM_400000_NS6detail17trampoline_kernelINS0_14default_configENS1_20scan_config_selectorIN3c108BFloat16EEEZZNS1_9scan_implILNS1_25lookback_scan_determinismE0ELb0ELb0ES3_PKS6_PS6_S6_ZZZN2at6native31launch_logcumsumexp_cuda_kernelERKNSD_10TensorBaseESH_lENKUlvE_clEvENKUlvE4_clEvEUlS6_S6_E_S6_EEDaPvRmT3_T4_T5_mT6_P12ihipStream_tbENKUlT_T0_E_clISt17integral_constantIbLb0EESY_EEDaST_SU_EUlST_E_NS1_11comp_targetILNS1_3genE8ELNS1_11target_archE1030ELNS1_3gpuE2ELNS1_3repE0EEENS1_30default_config_static_selectorELNS0_4arch9wavefront6targetE1EEEvT1_
		.amdhsa_group_segment_fixed_size 0
		.amdhsa_private_segment_fixed_size 0
		.amdhsa_kernarg_size 96
		.amdhsa_user_sgpr_count 6
		.amdhsa_user_sgpr_private_segment_buffer 1
		.amdhsa_user_sgpr_dispatch_ptr 0
		.amdhsa_user_sgpr_queue_ptr 0
		.amdhsa_user_sgpr_kernarg_segment_ptr 1
		.amdhsa_user_sgpr_dispatch_id 0
		.amdhsa_user_sgpr_flat_scratch_init 0
		.amdhsa_user_sgpr_kernarg_preload_length 0
		.amdhsa_user_sgpr_kernarg_preload_offset 0
		.amdhsa_user_sgpr_private_segment_size 0
		.amdhsa_uses_dynamic_stack 0
		.amdhsa_system_sgpr_private_segment_wavefront_offset 0
		.amdhsa_system_sgpr_workgroup_id_x 1
		.amdhsa_system_sgpr_workgroup_id_y 0
		.amdhsa_system_sgpr_workgroup_id_z 0
		.amdhsa_system_sgpr_workgroup_info 0
		.amdhsa_system_vgpr_workitem_id 0
		.amdhsa_next_free_vgpr 1
		.amdhsa_next_free_sgpr 0
		.amdhsa_accum_offset 4
		.amdhsa_reserve_vcc 0
		.amdhsa_reserve_flat_scratch 0
		.amdhsa_float_round_mode_32 0
		.amdhsa_float_round_mode_16_64 0
		.amdhsa_float_denorm_mode_32 3
		.amdhsa_float_denorm_mode_16_64 3
		.amdhsa_dx10_clamp 1
		.amdhsa_ieee_mode 1
		.amdhsa_fp16_overflow 0
		.amdhsa_tg_split 0
		.amdhsa_exception_fp_ieee_invalid_op 0
		.amdhsa_exception_fp_denorm_src 0
		.amdhsa_exception_fp_ieee_div_zero 0
		.amdhsa_exception_fp_ieee_overflow 0
		.amdhsa_exception_fp_ieee_underflow 0
		.amdhsa_exception_fp_ieee_inexact 0
		.amdhsa_exception_int_div_zero 0
	.end_amdhsa_kernel
	.section	.text._ZN7rocprim17ROCPRIM_400000_NS6detail17trampoline_kernelINS0_14default_configENS1_20scan_config_selectorIN3c108BFloat16EEEZZNS1_9scan_implILNS1_25lookback_scan_determinismE0ELb0ELb0ES3_PKS6_PS6_S6_ZZZN2at6native31launch_logcumsumexp_cuda_kernelERKNSD_10TensorBaseESH_lENKUlvE_clEvENKUlvE4_clEvEUlS6_S6_E_S6_EEDaPvRmT3_T4_T5_mT6_P12ihipStream_tbENKUlT_T0_E_clISt17integral_constantIbLb0EESY_EEDaST_SU_EUlST_E_NS1_11comp_targetILNS1_3genE8ELNS1_11target_archE1030ELNS1_3gpuE2ELNS1_3repE0EEENS1_30default_config_static_selectorELNS0_4arch9wavefront6targetE1EEEvT1_,"axG",@progbits,_ZN7rocprim17ROCPRIM_400000_NS6detail17trampoline_kernelINS0_14default_configENS1_20scan_config_selectorIN3c108BFloat16EEEZZNS1_9scan_implILNS1_25lookback_scan_determinismE0ELb0ELb0ES3_PKS6_PS6_S6_ZZZN2at6native31launch_logcumsumexp_cuda_kernelERKNSD_10TensorBaseESH_lENKUlvE_clEvENKUlvE4_clEvEUlS6_S6_E_S6_EEDaPvRmT3_T4_T5_mT6_P12ihipStream_tbENKUlT_T0_E_clISt17integral_constantIbLb0EESY_EEDaST_SU_EUlST_E_NS1_11comp_targetILNS1_3genE8ELNS1_11target_archE1030ELNS1_3gpuE2ELNS1_3repE0EEENS1_30default_config_static_selectorELNS0_4arch9wavefront6targetE1EEEvT1_,comdat
.Lfunc_end451:
	.size	_ZN7rocprim17ROCPRIM_400000_NS6detail17trampoline_kernelINS0_14default_configENS1_20scan_config_selectorIN3c108BFloat16EEEZZNS1_9scan_implILNS1_25lookback_scan_determinismE0ELb0ELb0ES3_PKS6_PS6_S6_ZZZN2at6native31launch_logcumsumexp_cuda_kernelERKNSD_10TensorBaseESH_lENKUlvE_clEvENKUlvE4_clEvEUlS6_S6_E_S6_EEDaPvRmT3_T4_T5_mT6_P12ihipStream_tbENKUlT_T0_E_clISt17integral_constantIbLb0EESY_EEDaST_SU_EUlST_E_NS1_11comp_targetILNS1_3genE8ELNS1_11target_archE1030ELNS1_3gpuE2ELNS1_3repE0EEENS1_30default_config_static_selectorELNS0_4arch9wavefront6targetE1EEEvT1_, .Lfunc_end451-_ZN7rocprim17ROCPRIM_400000_NS6detail17trampoline_kernelINS0_14default_configENS1_20scan_config_selectorIN3c108BFloat16EEEZZNS1_9scan_implILNS1_25lookback_scan_determinismE0ELb0ELb0ES3_PKS6_PS6_S6_ZZZN2at6native31launch_logcumsumexp_cuda_kernelERKNSD_10TensorBaseESH_lENKUlvE_clEvENKUlvE4_clEvEUlS6_S6_E_S6_EEDaPvRmT3_T4_T5_mT6_P12ihipStream_tbENKUlT_T0_E_clISt17integral_constantIbLb0EESY_EEDaST_SU_EUlST_E_NS1_11comp_targetILNS1_3genE8ELNS1_11target_archE1030ELNS1_3gpuE2ELNS1_3repE0EEENS1_30default_config_static_selectorELNS0_4arch9wavefront6targetE1EEEvT1_
                                        ; -- End function
	.section	.AMDGPU.csdata,"",@progbits
; Kernel info:
; codeLenInByte = 0
; NumSgprs: 4
; NumVgprs: 0
; NumAgprs: 0
; TotalNumVgprs: 0
; ScratchSize: 0
; MemoryBound: 0
; FloatMode: 240
; IeeeMode: 1
; LDSByteSize: 0 bytes/workgroup (compile time only)
; SGPRBlocks: 0
; VGPRBlocks: 0
; NumSGPRsForWavesPerEU: 4
; NumVGPRsForWavesPerEU: 1
; AccumOffset: 4
; Occupancy: 8
; WaveLimiterHint : 0
; COMPUTE_PGM_RSRC2:SCRATCH_EN: 0
; COMPUTE_PGM_RSRC2:USER_SGPR: 6
; COMPUTE_PGM_RSRC2:TRAP_HANDLER: 0
; COMPUTE_PGM_RSRC2:TGID_X_EN: 1
; COMPUTE_PGM_RSRC2:TGID_Y_EN: 0
; COMPUTE_PGM_RSRC2:TGID_Z_EN: 0
; COMPUTE_PGM_RSRC2:TIDIG_COMP_CNT: 0
; COMPUTE_PGM_RSRC3_GFX90A:ACCUM_OFFSET: 0
; COMPUTE_PGM_RSRC3_GFX90A:TG_SPLIT: 0
	.section	.text._ZN7rocprim17ROCPRIM_400000_NS6detail17trampoline_kernelINS0_14default_configENS1_25transform_config_selectorIN3c108BFloat16ELb1EEEZNS1_14transform_implILb1ES3_S7_PS6_S9_NS0_8identityIS6_EEEE10hipError_tT2_T3_mT4_P12ihipStream_tbEUlT_E_NS1_11comp_targetILNS1_3genE0ELNS1_11target_archE4294967295ELNS1_3gpuE0ELNS1_3repE0EEENS1_30default_config_static_selectorELNS0_4arch9wavefront6targetE1EEEvT1_,"axG",@progbits,_ZN7rocprim17ROCPRIM_400000_NS6detail17trampoline_kernelINS0_14default_configENS1_25transform_config_selectorIN3c108BFloat16ELb1EEEZNS1_14transform_implILb1ES3_S7_PS6_S9_NS0_8identityIS6_EEEE10hipError_tT2_T3_mT4_P12ihipStream_tbEUlT_E_NS1_11comp_targetILNS1_3genE0ELNS1_11target_archE4294967295ELNS1_3gpuE0ELNS1_3repE0EEENS1_30default_config_static_selectorELNS0_4arch9wavefront6targetE1EEEvT1_,comdat
	.protected	_ZN7rocprim17ROCPRIM_400000_NS6detail17trampoline_kernelINS0_14default_configENS1_25transform_config_selectorIN3c108BFloat16ELb1EEEZNS1_14transform_implILb1ES3_S7_PS6_S9_NS0_8identityIS6_EEEE10hipError_tT2_T3_mT4_P12ihipStream_tbEUlT_E_NS1_11comp_targetILNS1_3genE0ELNS1_11target_archE4294967295ELNS1_3gpuE0ELNS1_3repE0EEENS1_30default_config_static_selectorELNS0_4arch9wavefront6targetE1EEEvT1_ ; -- Begin function _ZN7rocprim17ROCPRIM_400000_NS6detail17trampoline_kernelINS0_14default_configENS1_25transform_config_selectorIN3c108BFloat16ELb1EEEZNS1_14transform_implILb1ES3_S7_PS6_S9_NS0_8identityIS6_EEEE10hipError_tT2_T3_mT4_P12ihipStream_tbEUlT_E_NS1_11comp_targetILNS1_3genE0ELNS1_11target_archE4294967295ELNS1_3gpuE0ELNS1_3repE0EEENS1_30default_config_static_selectorELNS0_4arch9wavefront6targetE1EEEvT1_
	.globl	_ZN7rocprim17ROCPRIM_400000_NS6detail17trampoline_kernelINS0_14default_configENS1_25transform_config_selectorIN3c108BFloat16ELb1EEEZNS1_14transform_implILb1ES3_S7_PS6_S9_NS0_8identityIS6_EEEE10hipError_tT2_T3_mT4_P12ihipStream_tbEUlT_E_NS1_11comp_targetILNS1_3genE0ELNS1_11target_archE4294967295ELNS1_3gpuE0ELNS1_3repE0EEENS1_30default_config_static_selectorELNS0_4arch9wavefront6targetE1EEEvT1_
	.p2align	8
	.type	_ZN7rocprim17ROCPRIM_400000_NS6detail17trampoline_kernelINS0_14default_configENS1_25transform_config_selectorIN3c108BFloat16ELb1EEEZNS1_14transform_implILb1ES3_S7_PS6_S9_NS0_8identityIS6_EEEE10hipError_tT2_T3_mT4_P12ihipStream_tbEUlT_E_NS1_11comp_targetILNS1_3genE0ELNS1_11target_archE4294967295ELNS1_3gpuE0ELNS1_3repE0EEENS1_30default_config_static_selectorELNS0_4arch9wavefront6targetE1EEEvT1_,@function
_ZN7rocprim17ROCPRIM_400000_NS6detail17trampoline_kernelINS0_14default_configENS1_25transform_config_selectorIN3c108BFloat16ELb1EEEZNS1_14transform_implILb1ES3_S7_PS6_S9_NS0_8identityIS6_EEEE10hipError_tT2_T3_mT4_P12ihipStream_tbEUlT_E_NS1_11comp_targetILNS1_3genE0ELNS1_11target_archE4294967295ELNS1_3gpuE0ELNS1_3repE0EEENS1_30default_config_static_selectorELNS0_4arch9wavefront6targetE1EEEvT1_: ; @_ZN7rocprim17ROCPRIM_400000_NS6detail17trampoline_kernelINS0_14default_configENS1_25transform_config_selectorIN3c108BFloat16ELb1EEEZNS1_14transform_implILb1ES3_S7_PS6_S9_NS0_8identityIS6_EEEE10hipError_tT2_T3_mT4_P12ihipStream_tbEUlT_E_NS1_11comp_targetILNS1_3genE0ELNS1_11target_archE4294967295ELNS1_3gpuE0ELNS1_3repE0EEENS1_30default_config_static_selectorELNS0_4arch9wavefront6targetE1EEEvT1_
; %bb.0:
	.section	.rodata,"a",@progbits
	.p2align	6, 0x0
	.amdhsa_kernel _ZN7rocprim17ROCPRIM_400000_NS6detail17trampoline_kernelINS0_14default_configENS1_25transform_config_selectorIN3c108BFloat16ELb1EEEZNS1_14transform_implILb1ES3_S7_PS6_S9_NS0_8identityIS6_EEEE10hipError_tT2_T3_mT4_P12ihipStream_tbEUlT_E_NS1_11comp_targetILNS1_3genE0ELNS1_11target_archE4294967295ELNS1_3gpuE0ELNS1_3repE0EEENS1_30default_config_static_selectorELNS0_4arch9wavefront6targetE1EEEvT1_
		.amdhsa_group_segment_fixed_size 0
		.amdhsa_private_segment_fixed_size 0
		.amdhsa_kernarg_size 40
		.amdhsa_user_sgpr_count 6
		.amdhsa_user_sgpr_private_segment_buffer 1
		.amdhsa_user_sgpr_dispatch_ptr 0
		.amdhsa_user_sgpr_queue_ptr 0
		.amdhsa_user_sgpr_kernarg_segment_ptr 1
		.amdhsa_user_sgpr_dispatch_id 0
		.amdhsa_user_sgpr_flat_scratch_init 0
		.amdhsa_user_sgpr_kernarg_preload_length 0
		.amdhsa_user_sgpr_kernarg_preload_offset 0
		.amdhsa_user_sgpr_private_segment_size 0
		.amdhsa_uses_dynamic_stack 0
		.amdhsa_system_sgpr_private_segment_wavefront_offset 0
		.amdhsa_system_sgpr_workgroup_id_x 1
		.amdhsa_system_sgpr_workgroup_id_y 0
		.amdhsa_system_sgpr_workgroup_id_z 0
		.amdhsa_system_sgpr_workgroup_info 0
		.amdhsa_system_vgpr_workitem_id 0
		.amdhsa_next_free_vgpr 1
		.amdhsa_next_free_sgpr 0
		.amdhsa_accum_offset 4
		.amdhsa_reserve_vcc 0
		.amdhsa_reserve_flat_scratch 0
		.amdhsa_float_round_mode_32 0
		.amdhsa_float_round_mode_16_64 0
		.amdhsa_float_denorm_mode_32 3
		.amdhsa_float_denorm_mode_16_64 3
		.amdhsa_dx10_clamp 1
		.amdhsa_ieee_mode 1
		.amdhsa_fp16_overflow 0
		.amdhsa_tg_split 0
		.amdhsa_exception_fp_ieee_invalid_op 0
		.amdhsa_exception_fp_denorm_src 0
		.amdhsa_exception_fp_ieee_div_zero 0
		.amdhsa_exception_fp_ieee_overflow 0
		.amdhsa_exception_fp_ieee_underflow 0
		.amdhsa_exception_fp_ieee_inexact 0
		.amdhsa_exception_int_div_zero 0
	.end_amdhsa_kernel
	.section	.text._ZN7rocprim17ROCPRIM_400000_NS6detail17trampoline_kernelINS0_14default_configENS1_25transform_config_selectorIN3c108BFloat16ELb1EEEZNS1_14transform_implILb1ES3_S7_PS6_S9_NS0_8identityIS6_EEEE10hipError_tT2_T3_mT4_P12ihipStream_tbEUlT_E_NS1_11comp_targetILNS1_3genE0ELNS1_11target_archE4294967295ELNS1_3gpuE0ELNS1_3repE0EEENS1_30default_config_static_selectorELNS0_4arch9wavefront6targetE1EEEvT1_,"axG",@progbits,_ZN7rocprim17ROCPRIM_400000_NS6detail17trampoline_kernelINS0_14default_configENS1_25transform_config_selectorIN3c108BFloat16ELb1EEEZNS1_14transform_implILb1ES3_S7_PS6_S9_NS0_8identityIS6_EEEE10hipError_tT2_T3_mT4_P12ihipStream_tbEUlT_E_NS1_11comp_targetILNS1_3genE0ELNS1_11target_archE4294967295ELNS1_3gpuE0ELNS1_3repE0EEENS1_30default_config_static_selectorELNS0_4arch9wavefront6targetE1EEEvT1_,comdat
.Lfunc_end452:
	.size	_ZN7rocprim17ROCPRIM_400000_NS6detail17trampoline_kernelINS0_14default_configENS1_25transform_config_selectorIN3c108BFloat16ELb1EEEZNS1_14transform_implILb1ES3_S7_PS6_S9_NS0_8identityIS6_EEEE10hipError_tT2_T3_mT4_P12ihipStream_tbEUlT_E_NS1_11comp_targetILNS1_3genE0ELNS1_11target_archE4294967295ELNS1_3gpuE0ELNS1_3repE0EEENS1_30default_config_static_selectorELNS0_4arch9wavefront6targetE1EEEvT1_, .Lfunc_end452-_ZN7rocprim17ROCPRIM_400000_NS6detail17trampoline_kernelINS0_14default_configENS1_25transform_config_selectorIN3c108BFloat16ELb1EEEZNS1_14transform_implILb1ES3_S7_PS6_S9_NS0_8identityIS6_EEEE10hipError_tT2_T3_mT4_P12ihipStream_tbEUlT_E_NS1_11comp_targetILNS1_3genE0ELNS1_11target_archE4294967295ELNS1_3gpuE0ELNS1_3repE0EEENS1_30default_config_static_selectorELNS0_4arch9wavefront6targetE1EEEvT1_
                                        ; -- End function
	.section	.AMDGPU.csdata,"",@progbits
; Kernel info:
; codeLenInByte = 0
; NumSgprs: 4
; NumVgprs: 0
; NumAgprs: 0
; TotalNumVgprs: 0
; ScratchSize: 0
; MemoryBound: 0
; FloatMode: 240
; IeeeMode: 1
; LDSByteSize: 0 bytes/workgroup (compile time only)
; SGPRBlocks: 0
; VGPRBlocks: 0
; NumSGPRsForWavesPerEU: 4
; NumVGPRsForWavesPerEU: 1
; AccumOffset: 4
; Occupancy: 8
; WaveLimiterHint : 0
; COMPUTE_PGM_RSRC2:SCRATCH_EN: 0
; COMPUTE_PGM_RSRC2:USER_SGPR: 6
; COMPUTE_PGM_RSRC2:TRAP_HANDLER: 0
; COMPUTE_PGM_RSRC2:TGID_X_EN: 1
; COMPUTE_PGM_RSRC2:TGID_Y_EN: 0
; COMPUTE_PGM_RSRC2:TGID_Z_EN: 0
; COMPUTE_PGM_RSRC2:TIDIG_COMP_CNT: 0
; COMPUTE_PGM_RSRC3_GFX90A:ACCUM_OFFSET: 0
; COMPUTE_PGM_RSRC3_GFX90A:TG_SPLIT: 0
	.section	.text._ZN7rocprim17ROCPRIM_400000_NS6detail17trampoline_kernelINS0_14default_configENS1_25transform_config_selectorIN3c108BFloat16ELb1EEEZNS1_14transform_implILb1ES3_S7_PS6_S9_NS0_8identityIS6_EEEE10hipError_tT2_T3_mT4_P12ihipStream_tbEUlT_E_NS1_11comp_targetILNS1_3genE10ELNS1_11target_archE1201ELNS1_3gpuE5ELNS1_3repE0EEENS1_30default_config_static_selectorELNS0_4arch9wavefront6targetE1EEEvT1_,"axG",@progbits,_ZN7rocprim17ROCPRIM_400000_NS6detail17trampoline_kernelINS0_14default_configENS1_25transform_config_selectorIN3c108BFloat16ELb1EEEZNS1_14transform_implILb1ES3_S7_PS6_S9_NS0_8identityIS6_EEEE10hipError_tT2_T3_mT4_P12ihipStream_tbEUlT_E_NS1_11comp_targetILNS1_3genE10ELNS1_11target_archE1201ELNS1_3gpuE5ELNS1_3repE0EEENS1_30default_config_static_selectorELNS0_4arch9wavefront6targetE1EEEvT1_,comdat
	.protected	_ZN7rocprim17ROCPRIM_400000_NS6detail17trampoline_kernelINS0_14default_configENS1_25transform_config_selectorIN3c108BFloat16ELb1EEEZNS1_14transform_implILb1ES3_S7_PS6_S9_NS0_8identityIS6_EEEE10hipError_tT2_T3_mT4_P12ihipStream_tbEUlT_E_NS1_11comp_targetILNS1_3genE10ELNS1_11target_archE1201ELNS1_3gpuE5ELNS1_3repE0EEENS1_30default_config_static_selectorELNS0_4arch9wavefront6targetE1EEEvT1_ ; -- Begin function _ZN7rocprim17ROCPRIM_400000_NS6detail17trampoline_kernelINS0_14default_configENS1_25transform_config_selectorIN3c108BFloat16ELb1EEEZNS1_14transform_implILb1ES3_S7_PS6_S9_NS0_8identityIS6_EEEE10hipError_tT2_T3_mT4_P12ihipStream_tbEUlT_E_NS1_11comp_targetILNS1_3genE10ELNS1_11target_archE1201ELNS1_3gpuE5ELNS1_3repE0EEENS1_30default_config_static_selectorELNS0_4arch9wavefront6targetE1EEEvT1_
	.globl	_ZN7rocprim17ROCPRIM_400000_NS6detail17trampoline_kernelINS0_14default_configENS1_25transform_config_selectorIN3c108BFloat16ELb1EEEZNS1_14transform_implILb1ES3_S7_PS6_S9_NS0_8identityIS6_EEEE10hipError_tT2_T3_mT4_P12ihipStream_tbEUlT_E_NS1_11comp_targetILNS1_3genE10ELNS1_11target_archE1201ELNS1_3gpuE5ELNS1_3repE0EEENS1_30default_config_static_selectorELNS0_4arch9wavefront6targetE1EEEvT1_
	.p2align	8
	.type	_ZN7rocprim17ROCPRIM_400000_NS6detail17trampoline_kernelINS0_14default_configENS1_25transform_config_selectorIN3c108BFloat16ELb1EEEZNS1_14transform_implILb1ES3_S7_PS6_S9_NS0_8identityIS6_EEEE10hipError_tT2_T3_mT4_P12ihipStream_tbEUlT_E_NS1_11comp_targetILNS1_3genE10ELNS1_11target_archE1201ELNS1_3gpuE5ELNS1_3repE0EEENS1_30default_config_static_selectorELNS0_4arch9wavefront6targetE1EEEvT1_,@function
_ZN7rocprim17ROCPRIM_400000_NS6detail17trampoline_kernelINS0_14default_configENS1_25transform_config_selectorIN3c108BFloat16ELb1EEEZNS1_14transform_implILb1ES3_S7_PS6_S9_NS0_8identityIS6_EEEE10hipError_tT2_T3_mT4_P12ihipStream_tbEUlT_E_NS1_11comp_targetILNS1_3genE10ELNS1_11target_archE1201ELNS1_3gpuE5ELNS1_3repE0EEENS1_30default_config_static_selectorELNS0_4arch9wavefront6targetE1EEEvT1_: ; @_ZN7rocprim17ROCPRIM_400000_NS6detail17trampoline_kernelINS0_14default_configENS1_25transform_config_selectorIN3c108BFloat16ELb1EEEZNS1_14transform_implILb1ES3_S7_PS6_S9_NS0_8identityIS6_EEEE10hipError_tT2_T3_mT4_P12ihipStream_tbEUlT_E_NS1_11comp_targetILNS1_3genE10ELNS1_11target_archE1201ELNS1_3gpuE5ELNS1_3repE0EEENS1_30default_config_static_selectorELNS0_4arch9wavefront6targetE1EEEvT1_
; %bb.0:
	.section	.rodata,"a",@progbits
	.p2align	6, 0x0
	.amdhsa_kernel _ZN7rocprim17ROCPRIM_400000_NS6detail17trampoline_kernelINS0_14default_configENS1_25transform_config_selectorIN3c108BFloat16ELb1EEEZNS1_14transform_implILb1ES3_S7_PS6_S9_NS0_8identityIS6_EEEE10hipError_tT2_T3_mT4_P12ihipStream_tbEUlT_E_NS1_11comp_targetILNS1_3genE10ELNS1_11target_archE1201ELNS1_3gpuE5ELNS1_3repE0EEENS1_30default_config_static_selectorELNS0_4arch9wavefront6targetE1EEEvT1_
		.amdhsa_group_segment_fixed_size 0
		.amdhsa_private_segment_fixed_size 0
		.amdhsa_kernarg_size 40
		.amdhsa_user_sgpr_count 6
		.amdhsa_user_sgpr_private_segment_buffer 1
		.amdhsa_user_sgpr_dispatch_ptr 0
		.amdhsa_user_sgpr_queue_ptr 0
		.amdhsa_user_sgpr_kernarg_segment_ptr 1
		.amdhsa_user_sgpr_dispatch_id 0
		.amdhsa_user_sgpr_flat_scratch_init 0
		.amdhsa_user_sgpr_kernarg_preload_length 0
		.amdhsa_user_sgpr_kernarg_preload_offset 0
		.amdhsa_user_sgpr_private_segment_size 0
		.amdhsa_uses_dynamic_stack 0
		.amdhsa_system_sgpr_private_segment_wavefront_offset 0
		.amdhsa_system_sgpr_workgroup_id_x 1
		.amdhsa_system_sgpr_workgroup_id_y 0
		.amdhsa_system_sgpr_workgroup_id_z 0
		.amdhsa_system_sgpr_workgroup_info 0
		.amdhsa_system_vgpr_workitem_id 0
		.amdhsa_next_free_vgpr 1
		.amdhsa_next_free_sgpr 0
		.amdhsa_accum_offset 4
		.amdhsa_reserve_vcc 0
		.amdhsa_reserve_flat_scratch 0
		.amdhsa_float_round_mode_32 0
		.amdhsa_float_round_mode_16_64 0
		.amdhsa_float_denorm_mode_32 3
		.amdhsa_float_denorm_mode_16_64 3
		.amdhsa_dx10_clamp 1
		.amdhsa_ieee_mode 1
		.amdhsa_fp16_overflow 0
		.amdhsa_tg_split 0
		.amdhsa_exception_fp_ieee_invalid_op 0
		.amdhsa_exception_fp_denorm_src 0
		.amdhsa_exception_fp_ieee_div_zero 0
		.amdhsa_exception_fp_ieee_overflow 0
		.amdhsa_exception_fp_ieee_underflow 0
		.amdhsa_exception_fp_ieee_inexact 0
		.amdhsa_exception_int_div_zero 0
	.end_amdhsa_kernel
	.section	.text._ZN7rocprim17ROCPRIM_400000_NS6detail17trampoline_kernelINS0_14default_configENS1_25transform_config_selectorIN3c108BFloat16ELb1EEEZNS1_14transform_implILb1ES3_S7_PS6_S9_NS0_8identityIS6_EEEE10hipError_tT2_T3_mT4_P12ihipStream_tbEUlT_E_NS1_11comp_targetILNS1_3genE10ELNS1_11target_archE1201ELNS1_3gpuE5ELNS1_3repE0EEENS1_30default_config_static_selectorELNS0_4arch9wavefront6targetE1EEEvT1_,"axG",@progbits,_ZN7rocprim17ROCPRIM_400000_NS6detail17trampoline_kernelINS0_14default_configENS1_25transform_config_selectorIN3c108BFloat16ELb1EEEZNS1_14transform_implILb1ES3_S7_PS6_S9_NS0_8identityIS6_EEEE10hipError_tT2_T3_mT4_P12ihipStream_tbEUlT_E_NS1_11comp_targetILNS1_3genE10ELNS1_11target_archE1201ELNS1_3gpuE5ELNS1_3repE0EEENS1_30default_config_static_selectorELNS0_4arch9wavefront6targetE1EEEvT1_,comdat
.Lfunc_end453:
	.size	_ZN7rocprim17ROCPRIM_400000_NS6detail17trampoline_kernelINS0_14default_configENS1_25transform_config_selectorIN3c108BFloat16ELb1EEEZNS1_14transform_implILb1ES3_S7_PS6_S9_NS0_8identityIS6_EEEE10hipError_tT2_T3_mT4_P12ihipStream_tbEUlT_E_NS1_11comp_targetILNS1_3genE10ELNS1_11target_archE1201ELNS1_3gpuE5ELNS1_3repE0EEENS1_30default_config_static_selectorELNS0_4arch9wavefront6targetE1EEEvT1_, .Lfunc_end453-_ZN7rocprim17ROCPRIM_400000_NS6detail17trampoline_kernelINS0_14default_configENS1_25transform_config_selectorIN3c108BFloat16ELb1EEEZNS1_14transform_implILb1ES3_S7_PS6_S9_NS0_8identityIS6_EEEE10hipError_tT2_T3_mT4_P12ihipStream_tbEUlT_E_NS1_11comp_targetILNS1_3genE10ELNS1_11target_archE1201ELNS1_3gpuE5ELNS1_3repE0EEENS1_30default_config_static_selectorELNS0_4arch9wavefront6targetE1EEEvT1_
                                        ; -- End function
	.section	.AMDGPU.csdata,"",@progbits
; Kernel info:
; codeLenInByte = 0
; NumSgprs: 4
; NumVgprs: 0
; NumAgprs: 0
; TotalNumVgprs: 0
; ScratchSize: 0
; MemoryBound: 0
; FloatMode: 240
; IeeeMode: 1
; LDSByteSize: 0 bytes/workgroup (compile time only)
; SGPRBlocks: 0
; VGPRBlocks: 0
; NumSGPRsForWavesPerEU: 4
; NumVGPRsForWavesPerEU: 1
; AccumOffset: 4
; Occupancy: 8
; WaveLimiterHint : 0
; COMPUTE_PGM_RSRC2:SCRATCH_EN: 0
; COMPUTE_PGM_RSRC2:USER_SGPR: 6
; COMPUTE_PGM_RSRC2:TRAP_HANDLER: 0
; COMPUTE_PGM_RSRC2:TGID_X_EN: 1
; COMPUTE_PGM_RSRC2:TGID_Y_EN: 0
; COMPUTE_PGM_RSRC2:TGID_Z_EN: 0
; COMPUTE_PGM_RSRC2:TIDIG_COMP_CNT: 0
; COMPUTE_PGM_RSRC3_GFX90A:ACCUM_OFFSET: 0
; COMPUTE_PGM_RSRC3_GFX90A:TG_SPLIT: 0
	.section	.text._ZN7rocprim17ROCPRIM_400000_NS6detail17trampoline_kernelINS0_14default_configENS1_25transform_config_selectorIN3c108BFloat16ELb1EEEZNS1_14transform_implILb1ES3_S7_PS6_S9_NS0_8identityIS6_EEEE10hipError_tT2_T3_mT4_P12ihipStream_tbEUlT_E_NS1_11comp_targetILNS1_3genE5ELNS1_11target_archE942ELNS1_3gpuE9ELNS1_3repE0EEENS1_30default_config_static_selectorELNS0_4arch9wavefront6targetE1EEEvT1_,"axG",@progbits,_ZN7rocprim17ROCPRIM_400000_NS6detail17trampoline_kernelINS0_14default_configENS1_25transform_config_selectorIN3c108BFloat16ELb1EEEZNS1_14transform_implILb1ES3_S7_PS6_S9_NS0_8identityIS6_EEEE10hipError_tT2_T3_mT4_P12ihipStream_tbEUlT_E_NS1_11comp_targetILNS1_3genE5ELNS1_11target_archE942ELNS1_3gpuE9ELNS1_3repE0EEENS1_30default_config_static_selectorELNS0_4arch9wavefront6targetE1EEEvT1_,comdat
	.protected	_ZN7rocprim17ROCPRIM_400000_NS6detail17trampoline_kernelINS0_14default_configENS1_25transform_config_selectorIN3c108BFloat16ELb1EEEZNS1_14transform_implILb1ES3_S7_PS6_S9_NS0_8identityIS6_EEEE10hipError_tT2_T3_mT4_P12ihipStream_tbEUlT_E_NS1_11comp_targetILNS1_3genE5ELNS1_11target_archE942ELNS1_3gpuE9ELNS1_3repE0EEENS1_30default_config_static_selectorELNS0_4arch9wavefront6targetE1EEEvT1_ ; -- Begin function _ZN7rocprim17ROCPRIM_400000_NS6detail17trampoline_kernelINS0_14default_configENS1_25transform_config_selectorIN3c108BFloat16ELb1EEEZNS1_14transform_implILb1ES3_S7_PS6_S9_NS0_8identityIS6_EEEE10hipError_tT2_T3_mT4_P12ihipStream_tbEUlT_E_NS1_11comp_targetILNS1_3genE5ELNS1_11target_archE942ELNS1_3gpuE9ELNS1_3repE0EEENS1_30default_config_static_selectorELNS0_4arch9wavefront6targetE1EEEvT1_
	.globl	_ZN7rocprim17ROCPRIM_400000_NS6detail17trampoline_kernelINS0_14default_configENS1_25transform_config_selectorIN3c108BFloat16ELb1EEEZNS1_14transform_implILb1ES3_S7_PS6_S9_NS0_8identityIS6_EEEE10hipError_tT2_T3_mT4_P12ihipStream_tbEUlT_E_NS1_11comp_targetILNS1_3genE5ELNS1_11target_archE942ELNS1_3gpuE9ELNS1_3repE0EEENS1_30default_config_static_selectorELNS0_4arch9wavefront6targetE1EEEvT1_
	.p2align	8
	.type	_ZN7rocprim17ROCPRIM_400000_NS6detail17trampoline_kernelINS0_14default_configENS1_25transform_config_selectorIN3c108BFloat16ELb1EEEZNS1_14transform_implILb1ES3_S7_PS6_S9_NS0_8identityIS6_EEEE10hipError_tT2_T3_mT4_P12ihipStream_tbEUlT_E_NS1_11comp_targetILNS1_3genE5ELNS1_11target_archE942ELNS1_3gpuE9ELNS1_3repE0EEENS1_30default_config_static_selectorELNS0_4arch9wavefront6targetE1EEEvT1_,@function
_ZN7rocprim17ROCPRIM_400000_NS6detail17trampoline_kernelINS0_14default_configENS1_25transform_config_selectorIN3c108BFloat16ELb1EEEZNS1_14transform_implILb1ES3_S7_PS6_S9_NS0_8identityIS6_EEEE10hipError_tT2_T3_mT4_P12ihipStream_tbEUlT_E_NS1_11comp_targetILNS1_3genE5ELNS1_11target_archE942ELNS1_3gpuE9ELNS1_3repE0EEENS1_30default_config_static_selectorELNS0_4arch9wavefront6targetE1EEEvT1_: ; @_ZN7rocprim17ROCPRIM_400000_NS6detail17trampoline_kernelINS0_14default_configENS1_25transform_config_selectorIN3c108BFloat16ELb1EEEZNS1_14transform_implILb1ES3_S7_PS6_S9_NS0_8identityIS6_EEEE10hipError_tT2_T3_mT4_P12ihipStream_tbEUlT_E_NS1_11comp_targetILNS1_3genE5ELNS1_11target_archE942ELNS1_3gpuE9ELNS1_3repE0EEENS1_30default_config_static_selectorELNS0_4arch9wavefront6targetE1EEEvT1_
; %bb.0:
	.section	.rodata,"a",@progbits
	.p2align	6, 0x0
	.amdhsa_kernel _ZN7rocprim17ROCPRIM_400000_NS6detail17trampoline_kernelINS0_14default_configENS1_25transform_config_selectorIN3c108BFloat16ELb1EEEZNS1_14transform_implILb1ES3_S7_PS6_S9_NS0_8identityIS6_EEEE10hipError_tT2_T3_mT4_P12ihipStream_tbEUlT_E_NS1_11comp_targetILNS1_3genE5ELNS1_11target_archE942ELNS1_3gpuE9ELNS1_3repE0EEENS1_30default_config_static_selectorELNS0_4arch9wavefront6targetE1EEEvT1_
		.amdhsa_group_segment_fixed_size 0
		.amdhsa_private_segment_fixed_size 0
		.amdhsa_kernarg_size 40
		.amdhsa_user_sgpr_count 6
		.amdhsa_user_sgpr_private_segment_buffer 1
		.amdhsa_user_sgpr_dispatch_ptr 0
		.amdhsa_user_sgpr_queue_ptr 0
		.amdhsa_user_sgpr_kernarg_segment_ptr 1
		.amdhsa_user_sgpr_dispatch_id 0
		.amdhsa_user_sgpr_flat_scratch_init 0
		.amdhsa_user_sgpr_kernarg_preload_length 0
		.amdhsa_user_sgpr_kernarg_preload_offset 0
		.amdhsa_user_sgpr_private_segment_size 0
		.amdhsa_uses_dynamic_stack 0
		.amdhsa_system_sgpr_private_segment_wavefront_offset 0
		.amdhsa_system_sgpr_workgroup_id_x 1
		.amdhsa_system_sgpr_workgroup_id_y 0
		.amdhsa_system_sgpr_workgroup_id_z 0
		.amdhsa_system_sgpr_workgroup_info 0
		.amdhsa_system_vgpr_workitem_id 0
		.amdhsa_next_free_vgpr 1
		.amdhsa_next_free_sgpr 0
		.amdhsa_accum_offset 4
		.amdhsa_reserve_vcc 0
		.amdhsa_reserve_flat_scratch 0
		.amdhsa_float_round_mode_32 0
		.amdhsa_float_round_mode_16_64 0
		.amdhsa_float_denorm_mode_32 3
		.amdhsa_float_denorm_mode_16_64 3
		.amdhsa_dx10_clamp 1
		.amdhsa_ieee_mode 1
		.amdhsa_fp16_overflow 0
		.amdhsa_tg_split 0
		.amdhsa_exception_fp_ieee_invalid_op 0
		.amdhsa_exception_fp_denorm_src 0
		.amdhsa_exception_fp_ieee_div_zero 0
		.amdhsa_exception_fp_ieee_overflow 0
		.amdhsa_exception_fp_ieee_underflow 0
		.amdhsa_exception_fp_ieee_inexact 0
		.amdhsa_exception_int_div_zero 0
	.end_amdhsa_kernel
	.section	.text._ZN7rocprim17ROCPRIM_400000_NS6detail17trampoline_kernelINS0_14default_configENS1_25transform_config_selectorIN3c108BFloat16ELb1EEEZNS1_14transform_implILb1ES3_S7_PS6_S9_NS0_8identityIS6_EEEE10hipError_tT2_T3_mT4_P12ihipStream_tbEUlT_E_NS1_11comp_targetILNS1_3genE5ELNS1_11target_archE942ELNS1_3gpuE9ELNS1_3repE0EEENS1_30default_config_static_selectorELNS0_4arch9wavefront6targetE1EEEvT1_,"axG",@progbits,_ZN7rocprim17ROCPRIM_400000_NS6detail17trampoline_kernelINS0_14default_configENS1_25transform_config_selectorIN3c108BFloat16ELb1EEEZNS1_14transform_implILb1ES3_S7_PS6_S9_NS0_8identityIS6_EEEE10hipError_tT2_T3_mT4_P12ihipStream_tbEUlT_E_NS1_11comp_targetILNS1_3genE5ELNS1_11target_archE942ELNS1_3gpuE9ELNS1_3repE0EEENS1_30default_config_static_selectorELNS0_4arch9wavefront6targetE1EEEvT1_,comdat
.Lfunc_end454:
	.size	_ZN7rocprim17ROCPRIM_400000_NS6detail17trampoline_kernelINS0_14default_configENS1_25transform_config_selectorIN3c108BFloat16ELb1EEEZNS1_14transform_implILb1ES3_S7_PS6_S9_NS0_8identityIS6_EEEE10hipError_tT2_T3_mT4_P12ihipStream_tbEUlT_E_NS1_11comp_targetILNS1_3genE5ELNS1_11target_archE942ELNS1_3gpuE9ELNS1_3repE0EEENS1_30default_config_static_selectorELNS0_4arch9wavefront6targetE1EEEvT1_, .Lfunc_end454-_ZN7rocprim17ROCPRIM_400000_NS6detail17trampoline_kernelINS0_14default_configENS1_25transform_config_selectorIN3c108BFloat16ELb1EEEZNS1_14transform_implILb1ES3_S7_PS6_S9_NS0_8identityIS6_EEEE10hipError_tT2_T3_mT4_P12ihipStream_tbEUlT_E_NS1_11comp_targetILNS1_3genE5ELNS1_11target_archE942ELNS1_3gpuE9ELNS1_3repE0EEENS1_30default_config_static_selectorELNS0_4arch9wavefront6targetE1EEEvT1_
                                        ; -- End function
	.section	.AMDGPU.csdata,"",@progbits
; Kernel info:
; codeLenInByte = 0
; NumSgprs: 4
; NumVgprs: 0
; NumAgprs: 0
; TotalNumVgprs: 0
; ScratchSize: 0
; MemoryBound: 0
; FloatMode: 240
; IeeeMode: 1
; LDSByteSize: 0 bytes/workgroup (compile time only)
; SGPRBlocks: 0
; VGPRBlocks: 0
; NumSGPRsForWavesPerEU: 4
; NumVGPRsForWavesPerEU: 1
; AccumOffset: 4
; Occupancy: 8
; WaveLimiterHint : 0
; COMPUTE_PGM_RSRC2:SCRATCH_EN: 0
; COMPUTE_PGM_RSRC2:USER_SGPR: 6
; COMPUTE_PGM_RSRC2:TRAP_HANDLER: 0
; COMPUTE_PGM_RSRC2:TGID_X_EN: 1
; COMPUTE_PGM_RSRC2:TGID_Y_EN: 0
; COMPUTE_PGM_RSRC2:TGID_Z_EN: 0
; COMPUTE_PGM_RSRC2:TIDIG_COMP_CNT: 0
; COMPUTE_PGM_RSRC3_GFX90A:ACCUM_OFFSET: 0
; COMPUTE_PGM_RSRC3_GFX90A:TG_SPLIT: 0
	.section	.text._ZN7rocprim17ROCPRIM_400000_NS6detail17trampoline_kernelINS0_14default_configENS1_25transform_config_selectorIN3c108BFloat16ELb1EEEZNS1_14transform_implILb1ES3_S7_PS6_S9_NS0_8identityIS6_EEEE10hipError_tT2_T3_mT4_P12ihipStream_tbEUlT_E_NS1_11comp_targetILNS1_3genE4ELNS1_11target_archE910ELNS1_3gpuE8ELNS1_3repE0EEENS1_30default_config_static_selectorELNS0_4arch9wavefront6targetE1EEEvT1_,"axG",@progbits,_ZN7rocprim17ROCPRIM_400000_NS6detail17trampoline_kernelINS0_14default_configENS1_25transform_config_selectorIN3c108BFloat16ELb1EEEZNS1_14transform_implILb1ES3_S7_PS6_S9_NS0_8identityIS6_EEEE10hipError_tT2_T3_mT4_P12ihipStream_tbEUlT_E_NS1_11comp_targetILNS1_3genE4ELNS1_11target_archE910ELNS1_3gpuE8ELNS1_3repE0EEENS1_30default_config_static_selectorELNS0_4arch9wavefront6targetE1EEEvT1_,comdat
	.protected	_ZN7rocprim17ROCPRIM_400000_NS6detail17trampoline_kernelINS0_14default_configENS1_25transform_config_selectorIN3c108BFloat16ELb1EEEZNS1_14transform_implILb1ES3_S7_PS6_S9_NS0_8identityIS6_EEEE10hipError_tT2_T3_mT4_P12ihipStream_tbEUlT_E_NS1_11comp_targetILNS1_3genE4ELNS1_11target_archE910ELNS1_3gpuE8ELNS1_3repE0EEENS1_30default_config_static_selectorELNS0_4arch9wavefront6targetE1EEEvT1_ ; -- Begin function _ZN7rocprim17ROCPRIM_400000_NS6detail17trampoline_kernelINS0_14default_configENS1_25transform_config_selectorIN3c108BFloat16ELb1EEEZNS1_14transform_implILb1ES3_S7_PS6_S9_NS0_8identityIS6_EEEE10hipError_tT2_T3_mT4_P12ihipStream_tbEUlT_E_NS1_11comp_targetILNS1_3genE4ELNS1_11target_archE910ELNS1_3gpuE8ELNS1_3repE0EEENS1_30default_config_static_selectorELNS0_4arch9wavefront6targetE1EEEvT1_
	.globl	_ZN7rocprim17ROCPRIM_400000_NS6detail17trampoline_kernelINS0_14default_configENS1_25transform_config_selectorIN3c108BFloat16ELb1EEEZNS1_14transform_implILb1ES3_S7_PS6_S9_NS0_8identityIS6_EEEE10hipError_tT2_T3_mT4_P12ihipStream_tbEUlT_E_NS1_11comp_targetILNS1_3genE4ELNS1_11target_archE910ELNS1_3gpuE8ELNS1_3repE0EEENS1_30default_config_static_selectorELNS0_4arch9wavefront6targetE1EEEvT1_
	.p2align	8
	.type	_ZN7rocprim17ROCPRIM_400000_NS6detail17trampoline_kernelINS0_14default_configENS1_25transform_config_selectorIN3c108BFloat16ELb1EEEZNS1_14transform_implILb1ES3_S7_PS6_S9_NS0_8identityIS6_EEEE10hipError_tT2_T3_mT4_P12ihipStream_tbEUlT_E_NS1_11comp_targetILNS1_3genE4ELNS1_11target_archE910ELNS1_3gpuE8ELNS1_3repE0EEENS1_30default_config_static_selectorELNS0_4arch9wavefront6targetE1EEEvT1_,@function
_ZN7rocprim17ROCPRIM_400000_NS6detail17trampoline_kernelINS0_14default_configENS1_25transform_config_selectorIN3c108BFloat16ELb1EEEZNS1_14transform_implILb1ES3_S7_PS6_S9_NS0_8identityIS6_EEEE10hipError_tT2_T3_mT4_P12ihipStream_tbEUlT_E_NS1_11comp_targetILNS1_3genE4ELNS1_11target_archE910ELNS1_3gpuE8ELNS1_3repE0EEENS1_30default_config_static_selectorELNS0_4arch9wavefront6targetE1EEEvT1_: ; @_ZN7rocprim17ROCPRIM_400000_NS6detail17trampoline_kernelINS0_14default_configENS1_25transform_config_selectorIN3c108BFloat16ELb1EEEZNS1_14transform_implILb1ES3_S7_PS6_S9_NS0_8identityIS6_EEEE10hipError_tT2_T3_mT4_P12ihipStream_tbEUlT_E_NS1_11comp_targetILNS1_3genE4ELNS1_11target_archE910ELNS1_3gpuE8ELNS1_3repE0EEENS1_30default_config_static_selectorELNS0_4arch9wavefront6targetE1EEEvT1_
; %bb.0:
	s_load_dwordx8 s[8:15], s[4:5], 0x0
	s_load_dword s2, s[4:5], 0x28
	s_waitcnt lgkmcnt(0)
	s_lshl_b64 s[0:1], s[10:11], 1
	s_add_u32 s3, s8, s0
	s_addc_u32 s4, s9, s1
	s_add_u32 s20, s14, s0
	s_addc_u32 s21, s15, s1
	s_lshl_b32 s0, s6, 13
	s_mov_b32 s1, 0
	s_add_i32 s2, s2, -1
	s_lshl_b64 s[14:15], s[0:1], 1
	s_add_u32 s16, s3, s14
	s_addc_u32 s17, s4, s15
	s_cmp_lg_u32 s6, s2
	s_mov_b64 s[2:3], -1
	s_cbranch_scc0 .LBB455_2
; %bb.1:
	v_lshlrev_b32_e32 v1, 4, v0
	global_load_dwordx4 v[2:5], v1, s[16:17]
	s_add_u32 s2, s20, s14
	s_addc_u32 s3, s21, s15
	s_waitcnt vmcnt(0)
	global_store_dwordx4 v1, v[2:5], s[2:3]
	s_mov_b64 s[2:3], 0
.LBB455_2:
	s_andn2_b64 vcc, exec, s[2:3]
	s_cbranch_vccnz .LBB455_28
; %bb.3:
	s_sub_i32 s18, s12, s0
	v_cmp_gt_u32_e32 vcc, s18, v0
	v_lshlrev_b32_e32 v1, 1, v0
                                        ; implicit-def: $vgpr2
	s_and_saveexec_b64 s[0:1], vcc
	s_cbranch_execz .LBB455_5
; %bb.4:
	global_load_ushort v2, v1, s[16:17]
.LBB455_5:
	s_or_b64 exec, exec, s[0:1]
	v_or_b32_e32 v3, 0x400, v0
	v_cmp_gt_u32_e64 s[0:1], s18, v3
                                        ; implicit-def: $vgpr3
	s_and_saveexec_b64 s[2:3], s[0:1]
	s_cbranch_execz .LBB455_7
; %bb.6:
	global_load_ushort v3, v1, s[16:17] offset:2048
.LBB455_7:
	s_or_b64 exec, exec, s[2:3]
	v_or_b32_e32 v5, 0x800, v0
	v_cmp_gt_u32_e64 s[2:3], s18, v5
                                        ; implicit-def: $vgpr4
	s_and_saveexec_b64 s[4:5], s[2:3]
	s_cbranch_execz .LBB455_9
; %bb.8:
	v_lshlrev_b32_e32 v4, 1, v5
	global_load_ushort v4, v4, s[16:17]
.LBB455_9:
	s_or_b64 exec, exec, s[4:5]
	v_or_b32_e32 v6, 0xc00, v0
	v_cmp_gt_u32_e64 s[4:5], s18, v6
                                        ; implicit-def: $vgpr5
	s_and_saveexec_b64 s[6:7], s[4:5]
	s_cbranch_execz .LBB455_11
; %bb.10:
	v_lshlrev_b32_e32 v5, 1, v6
	global_load_ushort v5, v5, s[16:17]
.LBB455_11:
	s_or_b64 exec, exec, s[6:7]
	v_or_b32_e32 v7, 0x1000, v0
	v_cmp_gt_u32_e64 s[6:7], s18, v7
                                        ; implicit-def: $vgpr6
	s_and_saveexec_b64 s[8:9], s[6:7]
	s_cbranch_execz .LBB455_13
; %bb.12:
	v_lshlrev_b32_e32 v6, 1, v7
	global_load_ushort v6, v6, s[16:17]
.LBB455_13:
	s_or_b64 exec, exec, s[8:9]
	v_or_b32_e32 v8, 0x1400, v0
	v_cmp_gt_u32_e64 s[8:9], s18, v8
                                        ; implicit-def: $vgpr7
	s_and_saveexec_b64 s[10:11], s[8:9]
	s_cbranch_execz .LBB455_15
; %bb.14:
	v_lshlrev_b32_e32 v7, 1, v8
	global_load_ushort v7, v7, s[16:17]
.LBB455_15:
	s_or_b64 exec, exec, s[10:11]
	v_or_b32_e32 v9, 0x1800, v0
	v_cmp_gt_u32_e64 s[10:11], s18, v9
                                        ; implicit-def: $vgpr8
	s_and_saveexec_b64 s[12:13], s[10:11]
	s_cbranch_execz .LBB455_17
; %bb.16:
	v_lshlrev_b32_e32 v8, 1, v9
	global_load_ushort v8, v8, s[16:17]
.LBB455_17:
	s_or_b64 exec, exec, s[12:13]
	v_or_b32_e32 v0, 0x1c00, v0
	v_cmp_gt_u32_e64 s[12:13], s18, v0
                                        ; implicit-def: $vgpr9
	s_and_saveexec_b64 s[18:19], s[12:13]
	s_cbranch_execz .LBB455_19
; %bb.18:
	v_lshlrev_b32_e32 v0, 1, v0
	global_load_ushort v9, v0, s[16:17]
.LBB455_19:
	s_or_b64 exec, exec, s[18:19]
	s_add_u32 s14, s20, s14
	s_addc_u32 s15, s21, s15
	v_mov_b32_e32 v10, s15
	v_add_co_u32_e64 v0, s[14:15], s14, v1
	v_addc_co_u32_e64 v1, s[14:15], 0, v10, s[14:15]
	s_and_saveexec_b64 s[14:15], vcc
	s_xor_b64 s[14:15], exec, s[14:15]
	s_cbranch_execnz .LBB455_29
; %bb.20:
	s_or_b64 exec, exec, s[14:15]
	s_and_saveexec_b64 s[14:15], s[0:1]
	s_cbranch_execnz .LBB455_30
.LBB455_21:
	s_or_b64 exec, exec, s[14:15]
	s_and_saveexec_b64 s[0:1], s[2:3]
	s_cbranch_execnz .LBB455_31
.LBB455_22:
	s_or_b64 exec, exec, s[0:1]
	s_and_saveexec_b64 s[0:1], s[4:5]
	s_cbranch_execnz .LBB455_32
.LBB455_23:
	s_or_b64 exec, exec, s[0:1]
	s_and_saveexec_b64 s[0:1], s[6:7]
	s_cbranch_execnz .LBB455_33
.LBB455_24:
	s_or_b64 exec, exec, s[0:1]
	s_and_saveexec_b64 s[0:1], s[8:9]
	s_cbranch_execnz .LBB455_34
.LBB455_25:
	s_or_b64 exec, exec, s[0:1]
	s_and_saveexec_b64 s[0:1], s[10:11]
	s_cbranch_execnz .LBB455_35
.LBB455_26:
	s_or_b64 exec, exec, s[0:1]
	s_and_saveexec_b64 s[0:1], s[12:13]
	s_cbranch_execz .LBB455_28
.LBB455_27:
	v_add_co_u32_e32 v0, vcc, 0x3000, v0
	v_addc_co_u32_e32 v1, vcc, 0, v1, vcc
	s_waitcnt vmcnt(0)
	global_store_short v[0:1], v9, off offset:2048
.LBB455_28:
	s_endpgm
.LBB455_29:
	s_waitcnt vmcnt(0)
	global_store_short v[0:1], v2, off
	s_or_b64 exec, exec, s[14:15]
	s_and_saveexec_b64 s[14:15], s[0:1]
	s_cbranch_execz .LBB455_21
.LBB455_30:
	s_waitcnt vmcnt(0)
	global_store_short v[0:1], v3, off offset:2048
	s_or_b64 exec, exec, s[14:15]
	s_and_saveexec_b64 s[0:1], s[2:3]
	s_cbranch_execz .LBB455_22
.LBB455_31:
	s_waitcnt vmcnt(0)
	v_add_co_u32_e32 v2, vcc, 0x1000, v0
	v_addc_co_u32_e32 v3, vcc, 0, v1, vcc
	global_store_short v[2:3], v4, off
	s_or_b64 exec, exec, s[0:1]
	s_and_saveexec_b64 s[0:1], s[4:5]
	s_cbranch_execz .LBB455_23
.LBB455_32:
	s_waitcnt vmcnt(0)
	v_add_co_u32_e32 v2, vcc, 0x1000, v0
	v_addc_co_u32_e32 v3, vcc, 0, v1, vcc
	global_store_short v[2:3], v5, off offset:2048
	s_or_b64 exec, exec, s[0:1]
	s_and_saveexec_b64 s[0:1], s[6:7]
	s_cbranch_execz .LBB455_24
.LBB455_33:
	s_waitcnt vmcnt(0)
	v_add_co_u32_e32 v2, vcc, 0x2000, v0
	v_addc_co_u32_e32 v3, vcc, 0, v1, vcc
	global_store_short v[2:3], v6, off
	s_or_b64 exec, exec, s[0:1]
	s_and_saveexec_b64 s[0:1], s[8:9]
	s_cbranch_execz .LBB455_25
.LBB455_34:
	s_waitcnt vmcnt(0)
	v_add_co_u32_e32 v2, vcc, 0x2000, v0
	v_addc_co_u32_e32 v3, vcc, 0, v1, vcc
	global_store_short v[2:3], v7, off offset:2048
	s_or_b64 exec, exec, s[0:1]
	s_and_saveexec_b64 s[0:1], s[10:11]
	s_cbranch_execz .LBB455_26
.LBB455_35:
	s_waitcnt vmcnt(0)
	v_add_co_u32_e32 v2, vcc, 0x3000, v0
	v_addc_co_u32_e32 v3, vcc, 0, v1, vcc
	global_store_short v[2:3], v8, off
	s_or_b64 exec, exec, s[0:1]
	s_and_saveexec_b64 s[0:1], s[12:13]
	s_cbranch_execnz .LBB455_27
	s_branch .LBB455_28
	.section	.rodata,"a",@progbits
	.p2align	6, 0x0
	.amdhsa_kernel _ZN7rocprim17ROCPRIM_400000_NS6detail17trampoline_kernelINS0_14default_configENS1_25transform_config_selectorIN3c108BFloat16ELb1EEEZNS1_14transform_implILb1ES3_S7_PS6_S9_NS0_8identityIS6_EEEE10hipError_tT2_T3_mT4_P12ihipStream_tbEUlT_E_NS1_11comp_targetILNS1_3genE4ELNS1_11target_archE910ELNS1_3gpuE8ELNS1_3repE0EEENS1_30default_config_static_selectorELNS0_4arch9wavefront6targetE1EEEvT1_
		.amdhsa_group_segment_fixed_size 0
		.amdhsa_private_segment_fixed_size 0
		.amdhsa_kernarg_size 296
		.amdhsa_user_sgpr_count 6
		.amdhsa_user_sgpr_private_segment_buffer 1
		.amdhsa_user_sgpr_dispatch_ptr 0
		.amdhsa_user_sgpr_queue_ptr 0
		.amdhsa_user_sgpr_kernarg_segment_ptr 1
		.amdhsa_user_sgpr_dispatch_id 0
		.amdhsa_user_sgpr_flat_scratch_init 0
		.amdhsa_user_sgpr_kernarg_preload_length 0
		.amdhsa_user_sgpr_kernarg_preload_offset 0
		.amdhsa_user_sgpr_private_segment_size 0
		.amdhsa_uses_dynamic_stack 0
		.amdhsa_system_sgpr_private_segment_wavefront_offset 0
		.amdhsa_system_sgpr_workgroup_id_x 1
		.amdhsa_system_sgpr_workgroup_id_y 0
		.amdhsa_system_sgpr_workgroup_id_z 0
		.amdhsa_system_sgpr_workgroup_info 0
		.amdhsa_system_vgpr_workitem_id 0
		.amdhsa_next_free_vgpr 11
		.amdhsa_next_free_sgpr 22
		.amdhsa_accum_offset 12
		.amdhsa_reserve_vcc 1
		.amdhsa_reserve_flat_scratch 0
		.amdhsa_float_round_mode_32 0
		.amdhsa_float_round_mode_16_64 0
		.amdhsa_float_denorm_mode_32 3
		.amdhsa_float_denorm_mode_16_64 3
		.amdhsa_dx10_clamp 1
		.amdhsa_ieee_mode 1
		.amdhsa_fp16_overflow 0
		.amdhsa_tg_split 0
		.amdhsa_exception_fp_ieee_invalid_op 0
		.amdhsa_exception_fp_denorm_src 0
		.amdhsa_exception_fp_ieee_div_zero 0
		.amdhsa_exception_fp_ieee_overflow 0
		.amdhsa_exception_fp_ieee_underflow 0
		.amdhsa_exception_fp_ieee_inexact 0
		.amdhsa_exception_int_div_zero 0
	.end_amdhsa_kernel
	.section	.text._ZN7rocprim17ROCPRIM_400000_NS6detail17trampoline_kernelINS0_14default_configENS1_25transform_config_selectorIN3c108BFloat16ELb1EEEZNS1_14transform_implILb1ES3_S7_PS6_S9_NS0_8identityIS6_EEEE10hipError_tT2_T3_mT4_P12ihipStream_tbEUlT_E_NS1_11comp_targetILNS1_3genE4ELNS1_11target_archE910ELNS1_3gpuE8ELNS1_3repE0EEENS1_30default_config_static_selectorELNS0_4arch9wavefront6targetE1EEEvT1_,"axG",@progbits,_ZN7rocprim17ROCPRIM_400000_NS6detail17trampoline_kernelINS0_14default_configENS1_25transform_config_selectorIN3c108BFloat16ELb1EEEZNS1_14transform_implILb1ES3_S7_PS6_S9_NS0_8identityIS6_EEEE10hipError_tT2_T3_mT4_P12ihipStream_tbEUlT_E_NS1_11comp_targetILNS1_3genE4ELNS1_11target_archE910ELNS1_3gpuE8ELNS1_3repE0EEENS1_30default_config_static_selectorELNS0_4arch9wavefront6targetE1EEEvT1_,comdat
.Lfunc_end455:
	.size	_ZN7rocprim17ROCPRIM_400000_NS6detail17trampoline_kernelINS0_14default_configENS1_25transform_config_selectorIN3c108BFloat16ELb1EEEZNS1_14transform_implILb1ES3_S7_PS6_S9_NS0_8identityIS6_EEEE10hipError_tT2_T3_mT4_P12ihipStream_tbEUlT_E_NS1_11comp_targetILNS1_3genE4ELNS1_11target_archE910ELNS1_3gpuE8ELNS1_3repE0EEENS1_30default_config_static_selectorELNS0_4arch9wavefront6targetE1EEEvT1_, .Lfunc_end455-_ZN7rocprim17ROCPRIM_400000_NS6detail17trampoline_kernelINS0_14default_configENS1_25transform_config_selectorIN3c108BFloat16ELb1EEEZNS1_14transform_implILb1ES3_S7_PS6_S9_NS0_8identityIS6_EEEE10hipError_tT2_T3_mT4_P12ihipStream_tbEUlT_E_NS1_11comp_targetILNS1_3genE4ELNS1_11target_archE910ELNS1_3gpuE8ELNS1_3repE0EEENS1_30default_config_static_selectorELNS0_4arch9wavefront6targetE1EEEvT1_
                                        ; -- End function
	.section	.AMDGPU.csdata,"",@progbits
; Kernel info:
; codeLenInByte = 812
; NumSgprs: 26
; NumVgprs: 11
; NumAgprs: 0
; TotalNumVgprs: 11
; ScratchSize: 0
; MemoryBound: 1
; FloatMode: 240
; IeeeMode: 1
; LDSByteSize: 0 bytes/workgroup (compile time only)
; SGPRBlocks: 3
; VGPRBlocks: 1
; NumSGPRsForWavesPerEU: 26
; NumVGPRsForWavesPerEU: 11
; AccumOffset: 12
; Occupancy: 8
; WaveLimiterHint : 0
; COMPUTE_PGM_RSRC2:SCRATCH_EN: 0
; COMPUTE_PGM_RSRC2:USER_SGPR: 6
; COMPUTE_PGM_RSRC2:TRAP_HANDLER: 0
; COMPUTE_PGM_RSRC2:TGID_X_EN: 1
; COMPUTE_PGM_RSRC2:TGID_Y_EN: 0
; COMPUTE_PGM_RSRC2:TGID_Z_EN: 0
; COMPUTE_PGM_RSRC2:TIDIG_COMP_CNT: 0
; COMPUTE_PGM_RSRC3_GFX90A:ACCUM_OFFSET: 2
; COMPUTE_PGM_RSRC3_GFX90A:TG_SPLIT: 0
	.section	.text._ZN7rocprim17ROCPRIM_400000_NS6detail17trampoline_kernelINS0_14default_configENS1_25transform_config_selectorIN3c108BFloat16ELb1EEEZNS1_14transform_implILb1ES3_S7_PS6_S9_NS0_8identityIS6_EEEE10hipError_tT2_T3_mT4_P12ihipStream_tbEUlT_E_NS1_11comp_targetILNS1_3genE3ELNS1_11target_archE908ELNS1_3gpuE7ELNS1_3repE0EEENS1_30default_config_static_selectorELNS0_4arch9wavefront6targetE1EEEvT1_,"axG",@progbits,_ZN7rocprim17ROCPRIM_400000_NS6detail17trampoline_kernelINS0_14default_configENS1_25transform_config_selectorIN3c108BFloat16ELb1EEEZNS1_14transform_implILb1ES3_S7_PS6_S9_NS0_8identityIS6_EEEE10hipError_tT2_T3_mT4_P12ihipStream_tbEUlT_E_NS1_11comp_targetILNS1_3genE3ELNS1_11target_archE908ELNS1_3gpuE7ELNS1_3repE0EEENS1_30default_config_static_selectorELNS0_4arch9wavefront6targetE1EEEvT1_,comdat
	.protected	_ZN7rocprim17ROCPRIM_400000_NS6detail17trampoline_kernelINS0_14default_configENS1_25transform_config_selectorIN3c108BFloat16ELb1EEEZNS1_14transform_implILb1ES3_S7_PS6_S9_NS0_8identityIS6_EEEE10hipError_tT2_T3_mT4_P12ihipStream_tbEUlT_E_NS1_11comp_targetILNS1_3genE3ELNS1_11target_archE908ELNS1_3gpuE7ELNS1_3repE0EEENS1_30default_config_static_selectorELNS0_4arch9wavefront6targetE1EEEvT1_ ; -- Begin function _ZN7rocprim17ROCPRIM_400000_NS6detail17trampoline_kernelINS0_14default_configENS1_25transform_config_selectorIN3c108BFloat16ELb1EEEZNS1_14transform_implILb1ES3_S7_PS6_S9_NS0_8identityIS6_EEEE10hipError_tT2_T3_mT4_P12ihipStream_tbEUlT_E_NS1_11comp_targetILNS1_3genE3ELNS1_11target_archE908ELNS1_3gpuE7ELNS1_3repE0EEENS1_30default_config_static_selectorELNS0_4arch9wavefront6targetE1EEEvT1_
	.globl	_ZN7rocprim17ROCPRIM_400000_NS6detail17trampoline_kernelINS0_14default_configENS1_25transform_config_selectorIN3c108BFloat16ELb1EEEZNS1_14transform_implILb1ES3_S7_PS6_S9_NS0_8identityIS6_EEEE10hipError_tT2_T3_mT4_P12ihipStream_tbEUlT_E_NS1_11comp_targetILNS1_3genE3ELNS1_11target_archE908ELNS1_3gpuE7ELNS1_3repE0EEENS1_30default_config_static_selectorELNS0_4arch9wavefront6targetE1EEEvT1_
	.p2align	8
	.type	_ZN7rocprim17ROCPRIM_400000_NS6detail17trampoline_kernelINS0_14default_configENS1_25transform_config_selectorIN3c108BFloat16ELb1EEEZNS1_14transform_implILb1ES3_S7_PS6_S9_NS0_8identityIS6_EEEE10hipError_tT2_T3_mT4_P12ihipStream_tbEUlT_E_NS1_11comp_targetILNS1_3genE3ELNS1_11target_archE908ELNS1_3gpuE7ELNS1_3repE0EEENS1_30default_config_static_selectorELNS0_4arch9wavefront6targetE1EEEvT1_,@function
_ZN7rocprim17ROCPRIM_400000_NS6detail17trampoline_kernelINS0_14default_configENS1_25transform_config_selectorIN3c108BFloat16ELb1EEEZNS1_14transform_implILb1ES3_S7_PS6_S9_NS0_8identityIS6_EEEE10hipError_tT2_T3_mT4_P12ihipStream_tbEUlT_E_NS1_11comp_targetILNS1_3genE3ELNS1_11target_archE908ELNS1_3gpuE7ELNS1_3repE0EEENS1_30default_config_static_selectorELNS0_4arch9wavefront6targetE1EEEvT1_: ; @_ZN7rocprim17ROCPRIM_400000_NS6detail17trampoline_kernelINS0_14default_configENS1_25transform_config_selectorIN3c108BFloat16ELb1EEEZNS1_14transform_implILb1ES3_S7_PS6_S9_NS0_8identityIS6_EEEE10hipError_tT2_T3_mT4_P12ihipStream_tbEUlT_E_NS1_11comp_targetILNS1_3genE3ELNS1_11target_archE908ELNS1_3gpuE7ELNS1_3repE0EEENS1_30default_config_static_selectorELNS0_4arch9wavefront6targetE1EEEvT1_
; %bb.0:
	.section	.rodata,"a",@progbits
	.p2align	6, 0x0
	.amdhsa_kernel _ZN7rocprim17ROCPRIM_400000_NS6detail17trampoline_kernelINS0_14default_configENS1_25transform_config_selectorIN3c108BFloat16ELb1EEEZNS1_14transform_implILb1ES3_S7_PS6_S9_NS0_8identityIS6_EEEE10hipError_tT2_T3_mT4_P12ihipStream_tbEUlT_E_NS1_11comp_targetILNS1_3genE3ELNS1_11target_archE908ELNS1_3gpuE7ELNS1_3repE0EEENS1_30default_config_static_selectorELNS0_4arch9wavefront6targetE1EEEvT1_
		.amdhsa_group_segment_fixed_size 0
		.amdhsa_private_segment_fixed_size 0
		.amdhsa_kernarg_size 40
		.amdhsa_user_sgpr_count 6
		.amdhsa_user_sgpr_private_segment_buffer 1
		.amdhsa_user_sgpr_dispatch_ptr 0
		.amdhsa_user_sgpr_queue_ptr 0
		.amdhsa_user_sgpr_kernarg_segment_ptr 1
		.amdhsa_user_sgpr_dispatch_id 0
		.amdhsa_user_sgpr_flat_scratch_init 0
		.amdhsa_user_sgpr_kernarg_preload_length 0
		.amdhsa_user_sgpr_kernarg_preload_offset 0
		.amdhsa_user_sgpr_private_segment_size 0
		.amdhsa_uses_dynamic_stack 0
		.amdhsa_system_sgpr_private_segment_wavefront_offset 0
		.amdhsa_system_sgpr_workgroup_id_x 1
		.amdhsa_system_sgpr_workgroup_id_y 0
		.amdhsa_system_sgpr_workgroup_id_z 0
		.amdhsa_system_sgpr_workgroup_info 0
		.amdhsa_system_vgpr_workitem_id 0
		.amdhsa_next_free_vgpr 1
		.amdhsa_next_free_sgpr 0
		.amdhsa_accum_offset 4
		.amdhsa_reserve_vcc 0
		.amdhsa_reserve_flat_scratch 0
		.amdhsa_float_round_mode_32 0
		.amdhsa_float_round_mode_16_64 0
		.amdhsa_float_denorm_mode_32 3
		.amdhsa_float_denorm_mode_16_64 3
		.amdhsa_dx10_clamp 1
		.amdhsa_ieee_mode 1
		.amdhsa_fp16_overflow 0
		.amdhsa_tg_split 0
		.amdhsa_exception_fp_ieee_invalid_op 0
		.amdhsa_exception_fp_denorm_src 0
		.amdhsa_exception_fp_ieee_div_zero 0
		.amdhsa_exception_fp_ieee_overflow 0
		.amdhsa_exception_fp_ieee_underflow 0
		.amdhsa_exception_fp_ieee_inexact 0
		.amdhsa_exception_int_div_zero 0
	.end_amdhsa_kernel
	.section	.text._ZN7rocprim17ROCPRIM_400000_NS6detail17trampoline_kernelINS0_14default_configENS1_25transform_config_selectorIN3c108BFloat16ELb1EEEZNS1_14transform_implILb1ES3_S7_PS6_S9_NS0_8identityIS6_EEEE10hipError_tT2_T3_mT4_P12ihipStream_tbEUlT_E_NS1_11comp_targetILNS1_3genE3ELNS1_11target_archE908ELNS1_3gpuE7ELNS1_3repE0EEENS1_30default_config_static_selectorELNS0_4arch9wavefront6targetE1EEEvT1_,"axG",@progbits,_ZN7rocprim17ROCPRIM_400000_NS6detail17trampoline_kernelINS0_14default_configENS1_25transform_config_selectorIN3c108BFloat16ELb1EEEZNS1_14transform_implILb1ES3_S7_PS6_S9_NS0_8identityIS6_EEEE10hipError_tT2_T3_mT4_P12ihipStream_tbEUlT_E_NS1_11comp_targetILNS1_3genE3ELNS1_11target_archE908ELNS1_3gpuE7ELNS1_3repE0EEENS1_30default_config_static_selectorELNS0_4arch9wavefront6targetE1EEEvT1_,comdat
.Lfunc_end456:
	.size	_ZN7rocprim17ROCPRIM_400000_NS6detail17trampoline_kernelINS0_14default_configENS1_25transform_config_selectorIN3c108BFloat16ELb1EEEZNS1_14transform_implILb1ES3_S7_PS6_S9_NS0_8identityIS6_EEEE10hipError_tT2_T3_mT4_P12ihipStream_tbEUlT_E_NS1_11comp_targetILNS1_3genE3ELNS1_11target_archE908ELNS1_3gpuE7ELNS1_3repE0EEENS1_30default_config_static_selectorELNS0_4arch9wavefront6targetE1EEEvT1_, .Lfunc_end456-_ZN7rocprim17ROCPRIM_400000_NS6detail17trampoline_kernelINS0_14default_configENS1_25transform_config_selectorIN3c108BFloat16ELb1EEEZNS1_14transform_implILb1ES3_S7_PS6_S9_NS0_8identityIS6_EEEE10hipError_tT2_T3_mT4_P12ihipStream_tbEUlT_E_NS1_11comp_targetILNS1_3genE3ELNS1_11target_archE908ELNS1_3gpuE7ELNS1_3repE0EEENS1_30default_config_static_selectorELNS0_4arch9wavefront6targetE1EEEvT1_
                                        ; -- End function
	.section	.AMDGPU.csdata,"",@progbits
; Kernel info:
; codeLenInByte = 0
; NumSgprs: 4
; NumVgprs: 0
; NumAgprs: 0
; TotalNumVgprs: 0
; ScratchSize: 0
; MemoryBound: 0
; FloatMode: 240
; IeeeMode: 1
; LDSByteSize: 0 bytes/workgroup (compile time only)
; SGPRBlocks: 0
; VGPRBlocks: 0
; NumSGPRsForWavesPerEU: 4
; NumVGPRsForWavesPerEU: 1
; AccumOffset: 4
; Occupancy: 8
; WaveLimiterHint : 0
; COMPUTE_PGM_RSRC2:SCRATCH_EN: 0
; COMPUTE_PGM_RSRC2:USER_SGPR: 6
; COMPUTE_PGM_RSRC2:TRAP_HANDLER: 0
; COMPUTE_PGM_RSRC2:TGID_X_EN: 1
; COMPUTE_PGM_RSRC2:TGID_Y_EN: 0
; COMPUTE_PGM_RSRC2:TGID_Z_EN: 0
; COMPUTE_PGM_RSRC2:TIDIG_COMP_CNT: 0
; COMPUTE_PGM_RSRC3_GFX90A:ACCUM_OFFSET: 0
; COMPUTE_PGM_RSRC3_GFX90A:TG_SPLIT: 0
	.section	.text._ZN7rocprim17ROCPRIM_400000_NS6detail17trampoline_kernelINS0_14default_configENS1_25transform_config_selectorIN3c108BFloat16ELb1EEEZNS1_14transform_implILb1ES3_S7_PS6_S9_NS0_8identityIS6_EEEE10hipError_tT2_T3_mT4_P12ihipStream_tbEUlT_E_NS1_11comp_targetILNS1_3genE2ELNS1_11target_archE906ELNS1_3gpuE6ELNS1_3repE0EEENS1_30default_config_static_selectorELNS0_4arch9wavefront6targetE1EEEvT1_,"axG",@progbits,_ZN7rocprim17ROCPRIM_400000_NS6detail17trampoline_kernelINS0_14default_configENS1_25transform_config_selectorIN3c108BFloat16ELb1EEEZNS1_14transform_implILb1ES3_S7_PS6_S9_NS0_8identityIS6_EEEE10hipError_tT2_T3_mT4_P12ihipStream_tbEUlT_E_NS1_11comp_targetILNS1_3genE2ELNS1_11target_archE906ELNS1_3gpuE6ELNS1_3repE0EEENS1_30default_config_static_selectorELNS0_4arch9wavefront6targetE1EEEvT1_,comdat
	.protected	_ZN7rocprim17ROCPRIM_400000_NS6detail17trampoline_kernelINS0_14default_configENS1_25transform_config_selectorIN3c108BFloat16ELb1EEEZNS1_14transform_implILb1ES3_S7_PS6_S9_NS0_8identityIS6_EEEE10hipError_tT2_T3_mT4_P12ihipStream_tbEUlT_E_NS1_11comp_targetILNS1_3genE2ELNS1_11target_archE906ELNS1_3gpuE6ELNS1_3repE0EEENS1_30default_config_static_selectorELNS0_4arch9wavefront6targetE1EEEvT1_ ; -- Begin function _ZN7rocprim17ROCPRIM_400000_NS6detail17trampoline_kernelINS0_14default_configENS1_25transform_config_selectorIN3c108BFloat16ELb1EEEZNS1_14transform_implILb1ES3_S7_PS6_S9_NS0_8identityIS6_EEEE10hipError_tT2_T3_mT4_P12ihipStream_tbEUlT_E_NS1_11comp_targetILNS1_3genE2ELNS1_11target_archE906ELNS1_3gpuE6ELNS1_3repE0EEENS1_30default_config_static_selectorELNS0_4arch9wavefront6targetE1EEEvT1_
	.globl	_ZN7rocprim17ROCPRIM_400000_NS6detail17trampoline_kernelINS0_14default_configENS1_25transform_config_selectorIN3c108BFloat16ELb1EEEZNS1_14transform_implILb1ES3_S7_PS6_S9_NS0_8identityIS6_EEEE10hipError_tT2_T3_mT4_P12ihipStream_tbEUlT_E_NS1_11comp_targetILNS1_3genE2ELNS1_11target_archE906ELNS1_3gpuE6ELNS1_3repE0EEENS1_30default_config_static_selectorELNS0_4arch9wavefront6targetE1EEEvT1_
	.p2align	8
	.type	_ZN7rocprim17ROCPRIM_400000_NS6detail17trampoline_kernelINS0_14default_configENS1_25transform_config_selectorIN3c108BFloat16ELb1EEEZNS1_14transform_implILb1ES3_S7_PS6_S9_NS0_8identityIS6_EEEE10hipError_tT2_T3_mT4_P12ihipStream_tbEUlT_E_NS1_11comp_targetILNS1_3genE2ELNS1_11target_archE906ELNS1_3gpuE6ELNS1_3repE0EEENS1_30default_config_static_selectorELNS0_4arch9wavefront6targetE1EEEvT1_,@function
_ZN7rocprim17ROCPRIM_400000_NS6detail17trampoline_kernelINS0_14default_configENS1_25transform_config_selectorIN3c108BFloat16ELb1EEEZNS1_14transform_implILb1ES3_S7_PS6_S9_NS0_8identityIS6_EEEE10hipError_tT2_T3_mT4_P12ihipStream_tbEUlT_E_NS1_11comp_targetILNS1_3genE2ELNS1_11target_archE906ELNS1_3gpuE6ELNS1_3repE0EEENS1_30default_config_static_selectorELNS0_4arch9wavefront6targetE1EEEvT1_: ; @_ZN7rocprim17ROCPRIM_400000_NS6detail17trampoline_kernelINS0_14default_configENS1_25transform_config_selectorIN3c108BFloat16ELb1EEEZNS1_14transform_implILb1ES3_S7_PS6_S9_NS0_8identityIS6_EEEE10hipError_tT2_T3_mT4_P12ihipStream_tbEUlT_E_NS1_11comp_targetILNS1_3genE2ELNS1_11target_archE906ELNS1_3gpuE6ELNS1_3repE0EEENS1_30default_config_static_selectorELNS0_4arch9wavefront6targetE1EEEvT1_
; %bb.0:
	.section	.rodata,"a",@progbits
	.p2align	6, 0x0
	.amdhsa_kernel _ZN7rocprim17ROCPRIM_400000_NS6detail17trampoline_kernelINS0_14default_configENS1_25transform_config_selectorIN3c108BFloat16ELb1EEEZNS1_14transform_implILb1ES3_S7_PS6_S9_NS0_8identityIS6_EEEE10hipError_tT2_T3_mT4_P12ihipStream_tbEUlT_E_NS1_11comp_targetILNS1_3genE2ELNS1_11target_archE906ELNS1_3gpuE6ELNS1_3repE0EEENS1_30default_config_static_selectorELNS0_4arch9wavefront6targetE1EEEvT1_
		.amdhsa_group_segment_fixed_size 0
		.amdhsa_private_segment_fixed_size 0
		.amdhsa_kernarg_size 40
		.amdhsa_user_sgpr_count 6
		.amdhsa_user_sgpr_private_segment_buffer 1
		.amdhsa_user_sgpr_dispatch_ptr 0
		.amdhsa_user_sgpr_queue_ptr 0
		.amdhsa_user_sgpr_kernarg_segment_ptr 1
		.amdhsa_user_sgpr_dispatch_id 0
		.amdhsa_user_sgpr_flat_scratch_init 0
		.amdhsa_user_sgpr_kernarg_preload_length 0
		.amdhsa_user_sgpr_kernarg_preload_offset 0
		.amdhsa_user_sgpr_private_segment_size 0
		.amdhsa_uses_dynamic_stack 0
		.amdhsa_system_sgpr_private_segment_wavefront_offset 0
		.amdhsa_system_sgpr_workgroup_id_x 1
		.amdhsa_system_sgpr_workgroup_id_y 0
		.amdhsa_system_sgpr_workgroup_id_z 0
		.amdhsa_system_sgpr_workgroup_info 0
		.amdhsa_system_vgpr_workitem_id 0
		.amdhsa_next_free_vgpr 1
		.amdhsa_next_free_sgpr 0
		.amdhsa_accum_offset 4
		.amdhsa_reserve_vcc 0
		.amdhsa_reserve_flat_scratch 0
		.amdhsa_float_round_mode_32 0
		.amdhsa_float_round_mode_16_64 0
		.amdhsa_float_denorm_mode_32 3
		.amdhsa_float_denorm_mode_16_64 3
		.amdhsa_dx10_clamp 1
		.amdhsa_ieee_mode 1
		.amdhsa_fp16_overflow 0
		.amdhsa_tg_split 0
		.amdhsa_exception_fp_ieee_invalid_op 0
		.amdhsa_exception_fp_denorm_src 0
		.amdhsa_exception_fp_ieee_div_zero 0
		.amdhsa_exception_fp_ieee_overflow 0
		.amdhsa_exception_fp_ieee_underflow 0
		.amdhsa_exception_fp_ieee_inexact 0
		.amdhsa_exception_int_div_zero 0
	.end_amdhsa_kernel
	.section	.text._ZN7rocprim17ROCPRIM_400000_NS6detail17trampoline_kernelINS0_14default_configENS1_25transform_config_selectorIN3c108BFloat16ELb1EEEZNS1_14transform_implILb1ES3_S7_PS6_S9_NS0_8identityIS6_EEEE10hipError_tT2_T3_mT4_P12ihipStream_tbEUlT_E_NS1_11comp_targetILNS1_3genE2ELNS1_11target_archE906ELNS1_3gpuE6ELNS1_3repE0EEENS1_30default_config_static_selectorELNS0_4arch9wavefront6targetE1EEEvT1_,"axG",@progbits,_ZN7rocprim17ROCPRIM_400000_NS6detail17trampoline_kernelINS0_14default_configENS1_25transform_config_selectorIN3c108BFloat16ELb1EEEZNS1_14transform_implILb1ES3_S7_PS6_S9_NS0_8identityIS6_EEEE10hipError_tT2_T3_mT4_P12ihipStream_tbEUlT_E_NS1_11comp_targetILNS1_3genE2ELNS1_11target_archE906ELNS1_3gpuE6ELNS1_3repE0EEENS1_30default_config_static_selectorELNS0_4arch9wavefront6targetE1EEEvT1_,comdat
.Lfunc_end457:
	.size	_ZN7rocprim17ROCPRIM_400000_NS6detail17trampoline_kernelINS0_14default_configENS1_25transform_config_selectorIN3c108BFloat16ELb1EEEZNS1_14transform_implILb1ES3_S7_PS6_S9_NS0_8identityIS6_EEEE10hipError_tT2_T3_mT4_P12ihipStream_tbEUlT_E_NS1_11comp_targetILNS1_3genE2ELNS1_11target_archE906ELNS1_3gpuE6ELNS1_3repE0EEENS1_30default_config_static_selectorELNS0_4arch9wavefront6targetE1EEEvT1_, .Lfunc_end457-_ZN7rocprim17ROCPRIM_400000_NS6detail17trampoline_kernelINS0_14default_configENS1_25transform_config_selectorIN3c108BFloat16ELb1EEEZNS1_14transform_implILb1ES3_S7_PS6_S9_NS0_8identityIS6_EEEE10hipError_tT2_T3_mT4_P12ihipStream_tbEUlT_E_NS1_11comp_targetILNS1_3genE2ELNS1_11target_archE906ELNS1_3gpuE6ELNS1_3repE0EEENS1_30default_config_static_selectorELNS0_4arch9wavefront6targetE1EEEvT1_
                                        ; -- End function
	.section	.AMDGPU.csdata,"",@progbits
; Kernel info:
; codeLenInByte = 0
; NumSgprs: 4
; NumVgprs: 0
; NumAgprs: 0
; TotalNumVgprs: 0
; ScratchSize: 0
; MemoryBound: 0
; FloatMode: 240
; IeeeMode: 1
; LDSByteSize: 0 bytes/workgroup (compile time only)
; SGPRBlocks: 0
; VGPRBlocks: 0
; NumSGPRsForWavesPerEU: 4
; NumVGPRsForWavesPerEU: 1
; AccumOffset: 4
; Occupancy: 8
; WaveLimiterHint : 0
; COMPUTE_PGM_RSRC2:SCRATCH_EN: 0
; COMPUTE_PGM_RSRC2:USER_SGPR: 6
; COMPUTE_PGM_RSRC2:TRAP_HANDLER: 0
; COMPUTE_PGM_RSRC2:TGID_X_EN: 1
; COMPUTE_PGM_RSRC2:TGID_Y_EN: 0
; COMPUTE_PGM_RSRC2:TGID_Z_EN: 0
; COMPUTE_PGM_RSRC2:TIDIG_COMP_CNT: 0
; COMPUTE_PGM_RSRC3_GFX90A:ACCUM_OFFSET: 0
; COMPUTE_PGM_RSRC3_GFX90A:TG_SPLIT: 0
	.section	.text._ZN7rocprim17ROCPRIM_400000_NS6detail17trampoline_kernelINS0_14default_configENS1_25transform_config_selectorIN3c108BFloat16ELb1EEEZNS1_14transform_implILb1ES3_S7_PS6_S9_NS0_8identityIS6_EEEE10hipError_tT2_T3_mT4_P12ihipStream_tbEUlT_E_NS1_11comp_targetILNS1_3genE9ELNS1_11target_archE1100ELNS1_3gpuE3ELNS1_3repE0EEENS1_30default_config_static_selectorELNS0_4arch9wavefront6targetE1EEEvT1_,"axG",@progbits,_ZN7rocprim17ROCPRIM_400000_NS6detail17trampoline_kernelINS0_14default_configENS1_25transform_config_selectorIN3c108BFloat16ELb1EEEZNS1_14transform_implILb1ES3_S7_PS6_S9_NS0_8identityIS6_EEEE10hipError_tT2_T3_mT4_P12ihipStream_tbEUlT_E_NS1_11comp_targetILNS1_3genE9ELNS1_11target_archE1100ELNS1_3gpuE3ELNS1_3repE0EEENS1_30default_config_static_selectorELNS0_4arch9wavefront6targetE1EEEvT1_,comdat
	.protected	_ZN7rocprim17ROCPRIM_400000_NS6detail17trampoline_kernelINS0_14default_configENS1_25transform_config_selectorIN3c108BFloat16ELb1EEEZNS1_14transform_implILb1ES3_S7_PS6_S9_NS0_8identityIS6_EEEE10hipError_tT2_T3_mT4_P12ihipStream_tbEUlT_E_NS1_11comp_targetILNS1_3genE9ELNS1_11target_archE1100ELNS1_3gpuE3ELNS1_3repE0EEENS1_30default_config_static_selectorELNS0_4arch9wavefront6targetE1EEEvT1_ ; -- Begin function _ZN7rocprim17ROCPRIM_400000_NS6detail17trampoline_kernelINS0_14default_configENS1_25transform_config_selectorIN3c108BFloat16ELb1EEEZNS1_14transform_implILb1ES3_S7_PS6_S9_NS0_8identityIS6_EEEE10hipError_tT2_T3_mT4_P12ihipStream_tbEUlT_E_NS1_11comp_targetILNS1_3genE9ELNS1_11target_archE1100ELNS1_3gpuE3ELNS1_3repE0EEENS1_30default_config_static_selectorELNS0_4arch9wavefront6targetE1EEEvT1_
	.globl	_ZN7rocprim17ROCPRIM_400000_NS6detail17trampoline_kernelINS0_14default_configENS1_25transform_config_selectorIN3c108BFloat16ELb1EEEZNS1_14transform_implILb1ES3_S7_PS6_S9_NS0_8identityIS6_EEEE10hipError_tT2_T3_mT4_P12ihipStream_tbEUlT_E_NS1_11comp_targetILNS1_3genE9ELNS1_11target_archE1100ELNS1_3gpuE3ELNS1_3repE0EEENS1_30default_config_static_selectorELNS0_4arch9wavefront6targetE1EEEvT1_
	.p2align	8
	.type	_ZN7rocprim17ROCPRIM_400000_NS6detail17trampoline_kernelINS0_14default_configENS1_25transform_config_selectorIN3c108BFloat16ELb1EEEZNS1_14transform_implILb1ES3_S7_PS6_S9_NS0_8identityIS6_EEEE10hipError_tT2_T3_mT4_P12ihipStream_tbEUlT_E_NS1_11comp_targetILNS1_3genE9ELNS1_11target_archE1100ELNS1_3gpuE3ELNS1_3repE0EEENS1_30default_config_static_selectorELNS0_4arch9wavefront6targetE1EEEvT1_,@function
_ZN7rocprim17ROCPRIM_400000_NS6detail17trampoline_kernelINS0_14default_configENS1_25transform_config_selectorIN3c108BFloat16ELb1EEEZNS1_14transform_implILb1ES3_S7_PS6_S9_NS0_8identityIS6_EEEE10hipError_tT2_T3_mT4_P12ihipStream_tbEUlT_E_NS1_11comp_targetILNS1_3genE9ELNS1_11target_archE1100ELNS1_3gpuE3ELNS1_3repE0EEENS1_30default_config_static_selectorELNS0_4arch9wavefront6targetE1EEEvT1_: ; @_ZN7rocprim17ROCPRIM_400000_NS6detail17trampoline_kernelINS0_14default_configENS1_25transform_config_selectorIN3c108BFloat16ELb1EEEZNS1_14transform_implILb1ES3_S7_PS6_S9_NS0_8identityIS6_EEEE10hipError_tT2_T3_mT4_P12ihipStream_tbEUlT_E_NS1_11comp_targetILNS1_3genE9ELNS1_11target_archE1100ELNS1_3gpuE3ELNS1_3repE0EEENS1_30default_config_static_selectorELNS0_4arch9wavefront6targetE1EEEvT1_
; %bb.0:
	.section	.rodata,"a",@progbits
	.p2align	6, 0x0
	.amdhsa_kernel _ZN7rocprim17ROCPRIM_400000_NS6detail17trampoline_kernelINS0_14default_configENS1_25transform_config_selectorIN3c108BFloat16ELb1EEEZNS1_14transform_implILb1ES3_S7_PS6_S9_NS0_8identityIS6_EEEE10hipError_tT2_T3_mT4_P12ihipStream_tbEUlT_E_NS1_11comp_targetILNS1_3genE9ELNS1_11target_archE1100ELNS1_3gpuE3ELNS1_3repE0EEENS1_30default_config_static_selectorELNS0_4arch9wavefront6targetE1EEEvT1_
		.amdhsa_group_segment_fixed_size 0
		.amdhsa_private_segment_fixed_size 0
		.amdhsa_kernarg_size 40
		.amdhsa_user_sgpr_count 6
		.amdhsa_user_sgpr_private_segment_buffer 1
		.amdhsa_user_sgpr_dispatch_ptr 0
		.amdhsa_user_sgpr_queue_ptr 0
		.amdhsa_user_sgpr_kernarg_segment_ptr 1
		.amdhsa_user_sgpr_dispatch_id 0
		.amdhsa_user_sgpr_flat_scratch_init 0
		.amdhsa_user_sgpr_kernarg_preload_length 0
		.amdhsa_user_sgpr_kernarg_preload_offset 0
		.amdhsa_user_sgpr_private_segment_size 0
		.amdhsa_uses_dynamic_stack 0
		.amdhsa_system_sgpr_private_segment_wavefront_offset 0
		.amdhsa_system_sgpr_workgroup_id_x 1
		.amdhsa_system_sgpr_workgroup_id_y 0
		.amdhsa_system_sgpr_workgroup_id_z 0
		.amdhsa_system_sgpr_workgroup_info 0
		.amdhsa_system_vgpr_workitem_id 0
		.amdhsa_next_free_vgpr 1
		.amdhsa_next_free_sgpr 0
		.amdhsa_accum_offset 4
		.amdhsa_reserve_vcc 0
		.amdhsa_reserve_flat_scratch 0
		.amdhsa_float_round_mode_32 0
		.amdhsa_float_round_mode_16_64 0
		.amdhsa_float_denorm_mode_32 3
		.amdhsa_float_denorm_mode_16_64 3
		.amdhsa_dx10_clamp 1
		.amdhsa_ieee_mode 1
		.amdhsa_fp16_overflow 0
		.amdhsa_tg_split 0
		.amdhsa_exception_fp_ieee_invalid_op 0
		.amdhsa_exception_fp_denorm_src 0
		.amdhsa_exception_fp_ieee_div_zero 0
		.amdhsa_exception_fp_ieee_overflow 0
		.amdhsa_exception_fp_ieee_underflow 0
		.amdhsa_exception_fp_ieee_inexact 0
		.amdhsa_exception_int_div_zero 0
	.end_amdhsa_kernel
	.section	.text._ZN7rocprim17ROCPRIM_400000_NS6detail17trampoline_kernelINS0_14default_configENS1_25transform_config_selectorIN3c108BFloat16ELb1EEEZNS1_14transform_implILb1ES3_S7_PS6_S9_NS0_8identityIS6_EEEE10hipError_tT2_T3_mT4_P12ihipStream_tbEUlT_E_NS1_11comp_targetILNS1_3genE9ELNS1_11target_archE1100ELNS1_3gpuE3ELNS1_3repE0EEENS1_30default_config_static_selectorELNS0_4arch9wavefront6targetE1EEEvT1_,"axG",@progbits,_ZN7rocprim17ROCPRIM_400000_NS6detail17trampoline_kernelINS0_14default_configENS1_25transform_config_selectorIN3c108BFloat16ELb1EEEZNS1_14transform_implILb1ES3_S7_PS6_S9_NS0_8identityIS6_EEEE10hipError_tT2_T3_mT4_P12ihipStream_tbEUlT_E_NS1_11comp_targetILNS1_3genE9ELNS1_11target_archE1100ELNS1_3gpuE3ELNS1_3repE0EEENS1_30default_config_static_selectorELNS0_4arch9wavefront6targetE1EEEvT1_,comdat
.Lfunc_end458:
	.size	_ZN7rocprim17ROCPRIM_400000_NS6detail17trampoline_kernelINS0_14default_configENS1_25transform_config_selectorIN3c108BFloat16ELb1EEEZNS1_14transform_implILb1ES3_S7_PS6_S9_NS0_8identityIS6_EEEE10hipError_tT2_T3_mT4_P12ihipStream_tbEUlT_E_NS1_11comp_targetILNS1_3genE9ELNS1_11target_archE1100ELNS1_3gpuE3ELNS1_3repE0EEENS1_30default_config_static_selectorELNS0_4arch9wavefront6targetE1EEEvT1_, .Lfunc_end458-_ZN7rocprim17ROCPRIM_400000_NS6detail17trampoline_kernelINS0_14default_configENS1_25transform_config_selectorIN3c108BFloat16ELb1EEEZNS1_14transform_implILb1ES3_S7_PS6_S9_NS0_8identityIS6_EEEE10hipError_tT2_T3_mT4_P12ihipStream_tbEUlT_E_NS1_11comp_targetILNS1_3genE9ELNS1_11target_archE1100ELNS1_3gpuE3ELNS1_3repE0EEENS1_30default_config_static_selectorELNS0_4arch9wavefront6targetE1EEEvT1_
                                        ; -- End function
	.section	.AMDGPU.csdata,"",@progbits
; Kernel info:
; codeLenInByte = 0
; NumSgprs: 4
; NumVgprs: 0
; NumAgprs: 0
; TotalNumVgprs: 0
; ScratchSize: 0
; MemoryBound: 0
; FloatMode: 240
; IeeeMode: 1
; LDSByteSize: 0 bytes/workgroup (compile time only)
; SGPRBlocks: 0
; VGPRBlocks: 0
; NumSGPRsForWavesPerEU: 4
; NumVGPRsForWavesPerEU: 1
; AccumOffset: 4
; Occupancy: 8
; WaveLimiterHint : 0
; COMPUTE_PGM_RSRC2:SCRATCH_EN: 0
; COMPUTE_PGM_RSRC2:USER_SGPR: 6
; COMPUTE_PGM_RSRC2:TRAP_HANDLER: 0
; COMPUTE_PGM_RSRC2:TGID_X_EN: 1
; COMPUTE_PGM_RSRC2:TGID_Y_EN: 0
; COMPUTE_PGM_RSRC2:TGID_Z_EN: 0
; COMPUTE_PGM_RSRC2:TIDIG_COMP_CNT: 0
; COMPUTE_PGM_RSRC3_GFX90A:ACCUM_OFFSET: 0
; COMPUTE_PGM_RSRC3_GFX90A:TG_SPLIT: 0
	.section	.text._ZN7rocprim17ROCPRIM_400000_NS6detail17trampoline_kernelINS0_14default_configENS1_25transform_config_selectorIN3c108BFloat16ELb1EEEZNS1_14transform_implILb1ES3_S7_PS6_S9_NS0_8identityIS6_EEEE10hipError_tT2_T3_mT4_P12ihipStream_tbEUlT_E_NS1_11comp_targetILNS1_3genE8ELNS1_11target_archE1030ELNS1_3gpuE2ELNS1_3repE0EEENS1_30default_config_static_selectorELNS0_4arch9wavefront6targetE1EEEvT1_,"axG",@progbits,_ZN7rocprim17ROCPRIM_400000_NS6detail17trampoline_kernelINS0_14default_configENS1_25transform_config_selectorIN3c108BFloat16ELb1EEEZNS1_14transform_implILb1ES3_S7_PS6_S9_NS0_8identityIS6_EEEE10hipError_tT2_T3_mT4_P12ihipStream_tbEUlT_E_NS1_11comp_targetILNS1_3genE8ELNS1_11target_archE1030ELNS1_3gpuE2ELNS1_3repE0EEENS1_30default_config_static_selectorELNS0_4arch9wavefront6targetE1EEEvT1_,comdat
	.protected	_ZN7rocprim17ROCPRIM_400000_NS6detail17trampoline_kernelINS0_14default_configENS1_25transform_config_selectorIN3c108BFloat16ELb1EEEZNS1_14transform_implILb1ES3_S7_PS6_S9_NS0_8identityIS6_EEEE10hipError_tT2_T3_mT4_P12ihipStream_tbEUlT_E_NS1_11comp_targetILNS1_3genE8ELNS1_11target_archE1030ELNS1_3gpuE2ELNS1_3repE0EEENS1_30default_config_static_selectorELNS0_4arch9wavefront6targetE1EEEvT1_ ; -- Begin function _ZN7rocprim17ROCPRIM_400000_NS6detail17trampoline_kernelINS0_14default_configENS1_25transform_config_selectorIN3c108BFloat16ELb1EEEZNS1_14transform_implILb1ES3_S7_PS6_S9_NS0_8identityIS6_EEEE10hipError_tT2_T3_mT4_P12ihipStream_tbEUlT_E_NS1_11comp_targetILNS1_3genE8ELNS1_11target_archE1030ELNS1_3gpuE2ELNS1_3repE0EEENS1_30default_config_static_selectorELNS0_4arch9wavefront6targetE1EEEvT1_
	.globl	_ZN7rocprim17ROCPRIM_400000_NS6detail17trampoline_kernelINS0_14default_configENS1_25transform_config_selectorIN3c108BFloat16ELb1EEEZNS1_14transform_implILb1ES3_S7_PS6_S9_NS0_8identityIS6_EEEE10hipError_tT2_T3_mT4_P12ihipStream_tbEUlT_E_NS1_11comp_targetILNS1_3genE8ELNS1_11target_archE1030ELNS1_3gpuE2ELNS1_3repE0EEENS1_30default_config_static_selectorELNS0_4arch9wavefront6targetE1EEEvT1_
	.p2align	8
	.type	_ZN7rocprim17ROCPRIM_400000_NS6detail17trampoline_kernelINS0_14default_configENS1_25transform_config_selectorIN3c108BFloat16ELb1EEEZNS1_14transform_implILb1ES3_S7_PS6_S9_NS0_8identityIS6_EEEE10hipError_tT2_T3_mT4_P12ihipStream_tbEUlT_E_NS1_11comp_targetILNS1_3genE8ELNS1_11target_archE1030ELNS1_3gpuE2ELNS1_3repE0EEENS1_30default_config_static_selectorELNS0_4arch9wavefront6targetE1EEEvT1_,@function
_ZN7rocprim17ROCPRIM_400000_NS6detail17trampoline_kernelINS0_14default_configENS1_25transform_config_selectorIN3c108BFloat16ELb1EEEZNS1_14transform_implILb1ES3_S7_PS6_S9_NS0_8identityIS6_EEEE10hipError_tT2_T3_mT4_P12ihipStream_tbEUlT_E_NS1_11comp_targetILNS1_3genE8ELNS1_11target_archE1030ELNS1_3gpuE2ELNS1_3repE0EEENS1_30default_config_static_selectorELNS0_4arch9wavefront6targetE1EEEvT1_: ; @_ZN7rocprim17ROCPRIM_400000_NS6detail17trampoline_kernelINS0_14default_configENS1_25transform_config_selectorIN3c108BFloat16ELb1EEEZNS1_14transform_implILb1ES3_S7_PS6_S9_NS0_8identityIS6_EEEE10hipError_tT2_T3_mT4_P12ihipStream_tbEUlT_E_NS1_11comp_targetILNS1_3genE8ELNS1_11target_archE1030ELNS1_3gpuE2ELNS1_3repE0EEENS1_30default_config_static_selectorELNS0_4arch9wavefront6targetE1EEEvT1_
; %bb.0:
	.section	.rodata,"a",@progbits
	.p2align	6, 0x0
	.amdhsa_kernel _ZN7rocprim17ROCPRIM_400000_NS6detail17trampoline_kernelINS0_14default_configENS1_25transform_config_selectorIN3c108BFloat16ELb1EEEZNS1_14transform_implILb1ES3_S7_PS6_S9_NS0_8identityIS6_EEEE10hipError_tT2_T3_mT4_P12ihipStream_tbEUlT_E_NS1_11comp_targetILNS1_3genE8ELNS1_11target_archE1030ELNS1_3gpuE2ELNS1_3repE0EEENS1_30default_config_static_selectorELNS0_4arch9wavefront6targetE1EEEvT1_
		.amdhsa_group_segment_fixed_size 0
		.amdhsa_private_segment_fixed_size 0
		.amdhsa_kernarg_size 40
		.amdhsa_user_sgpr_count 6
		.amdhsa_user_sgpr_private_segment_buffer 1
		.amdhsa_user_sgpr_dispatch_ptr 0
		.amdhsa_user_sgpr_queue_ptr 0
		.amdhsa_user_sgpr_kernarg_segment_ptr 1
		.amdhsa_user_sgpr_dispatch_id 0
		.amdhsa_user_sgpr_flat_scratch_init 0
		.amdhsa_user_sgpr_kernarg_preload_length 0
		.amdhsa_user_sgpr_kernarg_preload_offset 0
		.amdhsa_user_sgpr_private_segment_size 0
		.amdhsa_uses_dynamic_stack 0
		.amdhsa_system_sgpr_private_segment_wavefront_offset 0
		.amdhsa_system_sgpr_workgroup_id_x 1
		.amdhsa_system_sgpr_workgroup_id_y 0
		.amdhsa_system_sgpr_workgroup_id_z 0
		.amdhsa_system_sgpr_workgroup_info 0
		.amdhsa_system_vgpr_workitem_id 0
		.amdhsa_next_free_vgpr 1
		.amdhsa_next_free_sgpr 0
		.amdhsa_accum_offset 4
		.amdhsa_reserve_vcc 0
		.amdhsa_reserve_flat_scratch 0
		.amdhsa_float_round_mode_32 0
		.amdhsa_float_round_mode_16_64 0
		.amdhsa_float_denorm_mode_32 3
		.amdhsa_float_denorm_mode_16_64 3
		.amdhsa_dx10_clamp 1
		.amdhsa_ieee_mode 1
		.amdhsa_fp16_overflow 0
		.amdhsa_tg_split 0
		.amdhsa_exception_fp_ieee_invalid_op 0
		.amdhsa_exception_fp_denorm_src 0
		.amdhsa_exception_fp_ieee_div_zero 0
		.amdhsa_exception_fp_ieee_overflow 0
		.amdhsa_exception_fp_ieee_underflow 0
		.amdhsa_exception_fp_ieee_inexact 0
		.amdhsa_exception_int_div_zero 0
	.end_amdhsa_kernel
	.section	.text._ZN7rocprim17ROCPRIM_400000_NS6detail17trampoline_kernelINS0_14default_configENS1_25transform_config_selectorIN3c108BFloat16ELb1EEEZNS1_14transform_implILb1ES3_S7_PS6_S9_NS0_8identityIS6_EEEE10hipError_tT2_T3_mT4_P12ihipStream_tbEUlT_E_NS1_11comp_targetILNS1_3genE8ELNS1_11target_archE1030ELNS1_3gpuE2ELNS1_3repE0EEENS1_30default_config_static_selectorELNS0_4arch9wavefront6targetE1EEEvT1_,"axG",@progbits,_ZN7rocprim17ROCPRIM_400000_NS6detail17trampoline_kernelINS0_14default_configENS1_25transform_config_selectorIN3c108BFloat16ELb1EEEZNS1_14transform_implILb1ES3_S7_PS6_S9_NS0_8identityIS6_EEEE10hipError_tT2_T3_mT4_P12ihipStream_tbEUlT_E_NS1_11comp_targetILNS1_3genE8ELNS1_11target_archE1030ELNS1_3gpuE2ELNS1_3repE0EEENS1_30default_config_static_selectorELNS0_4arch9wavefront6targetE1EEEvT1_,comdat
.Lfunc_end459:
	.size	_ZN7rocprim17ROCPRIM_400000_NS6detail17trampoline_kernelINS0_14default_configENS1_25transform_config_selectorIN3c108BFloat16ELb1EEEZNS1_14transform_implILb1ES3_S7_PS6_S9_NS0_8identityIS6_EEEE10hipError_tT2_T3_mT4_P12ihipStream_tbEUlT_E_NS1_11comp_targetILNS1_3genE8ELNS1_11target_archE1030ELNS1_3gpuE2ELNS1_3repE0EEENS1_30default_config_static_selectorELNS0_4arch9wavefront6targetE1EEEvT1_, .Lfunc_end459-_ZN7rocprim17ROCPRIM_400000_NS6detail17trampoline_kernelINS0_14default_configENS1_25transform_config_selectorIN3c108BFloat16ELb1EEEZNS1_14transform_implILb1ES3_S7_PS6_S9_NS0_8identityIS6_EEEE10hipError_tT2_T3_mT4_P12ihipStream_tbEUlT_E_NS1_11comp_targetILNS1_3genE8ELNS1_11target_archE1030ELNS1_3gpuE2ELNS1_3repE0EEENS1_30default_config_static_selectorELNS0_4arch9wavefront6targetE1EEEvT1_
                                        ; -- End function
	.section	.AMDGPU.csdata,"",@progbits
; Kernel info:
; codeLenInByte = 0
; NumSgprs: 4
; NumVgprs: 0
; NumAgprs: 0
; TotalNumVgprs: 0
; ScratchSize: 0
; MemoryBound: 0
; FloatMode: 240
; IeeeMode: 1
; LDSByteSize: 0 bytes/workgroup (compile time only)
; SGPRBlocks: 0
; VGPRBlocks: 0
; NumSGPRsForWavesPerEU: 4
; NumVGPRsForWavesPerEU: 1
; AccumOffset: 4
; Occupancy: 8
; WaveLimiterHint : 0
; COMPUTE_PGM_RSRC2:SCRATCH_EN: 0
; COMPUTE_PGM_RSRC2:USER_SGPR: 6
; COMPUTE_PGM_RSRC2:TRAP_HANDLER: 0
; COMPUTE_PGM_RSRC2:TGID_X_EN: 1
; COMPUTE_PGM_RSRC2:TGID_Y_EN: 0
; COMPUTE_PGM_RSRC2:TGID_Z_EN: 0
; COMPUTE_PGM_RSRC2:TIDIG_COMP_CNT: 0
; COMPUTE_PGM_RSRC3_GFX90A:ACCUM_OFFSET: 0
; COMPUTE_PGM_RSRC3_GFX90A:TG_SPLIT: 0
	.section	.text._ZN7rocprim17ROCPRIM_400000_NS6detail17trampoline_kernelINS0_14default_configENS1_20scan_config_selectorIN3c108BFloat16EEEZZNS1_9scan_implILNS1_25lookback_scan_determinismE0ELb0ELb0ES3_PKS6_PS6_S6_ZZZN2at6native31launch_logcumsumexp_cuda_kernelERKNSD_10TensorBaseESH_lENKUlvE_clEvENKUlvE4_clEvEUlS6_S6_E_S6_EEDaPvRmT3_T4_T5_mT6_P12ihipStream_tbENKUlT_T0_E_clISt17integral_constantIbLb0EESY_EEDaST_SU_EUlST_E0_NS1_11comp_targetILNS1_3genE0ELNS1_11target_archE4294967295ELNS1_3gpuE0ELNS1_3repE0EEENS1_30default_config_static_selectorELNS0_4arch9wavefront6targetE1EEEvT1_,"axG",@progbits,_ZN7rocprim17ROCPRIM_400000_NS6detail17trampoline_kernelINS0_14default_configENS1_20scan_config_selectorIN3c108BFloat16EEEZZNS1_9scan_implILNS1_25lookback_scan_determinismE0ELb0ELb0ES3_PKS6_PS6_S6_ZZZN2at6native31launch_logcumsumexp_cuda_kernelERKNSD_10TensorBaseESH_lENKUlvE_clEvENKUlvE4_clEvEUlS6_S6_E_S6_EEDaPvRmT3_T4_T5_mT6_P12ihipStream_tbENKUlT_T0_E_clISt17integral_constantIbLb0EESY_EEDaST_SU_EUlST_E0_NS1_11comp_targetILNS1_3genE0ELNS1_11target_archE4294967295ELNS1_3gpuE0ELNS1_3repE0EEENS1_30default_config_static_selectorELNS0_4arch9wavefront6targetE1EEEvT1_,comdat
	.globl	_ZN7rocprim17ROCPRIM_400000_NS6detail17trampoline_kernelINS0_14default_configENS1_20scan_config_selectorIN3c108BFloat16EEEZZNS1_9scan_implILNS1_25lookback_scan_determinismE0ELb0ELb0ES3_PKS6_PS6_S6_ZZZN2at6native31launch_logcumsumexp_cuda_kernelERKNSD_10TensorBaseESH_lENKUlvE_clEvENKUlvE4_clEvEUlS6_S6_E_S6_EEDaPvRmT3_T4_T5_mT6_P12ihipStream_tbENKUlT_T0_E_clISt17integral_constantIbLb0EESY_EEDaST_SU_EUlST_E0_NS1_11comp_targetILNS1_3genE0ELNS1_11target_archE4294967295ELNS1_3gpuE0ELNS1_3repE0EEENS1_30default_config_static_selectorELNS0_4arch9wavefront6targetE1EEEvT1_ ; -- Begin function _ZN7rocprim17ROCPRIM_400000_NS6detail17trampoline_kernelINS0_14default_configENS1_20scan_config_selectorIN3c108BFloat16EEEZZNS1_9scan_implILNS1_25lookback_scan_determinismE0ELb0ELb0ES3_PKS6_PS6_S6_ZZZN2at6native31launch_logcumsumexp_cuda_kernelERKNSD_10TensorBaseESH_lENKUlvE_clEvENKUlvE4_clEvEUlS6_S6_E_S6_EEDaPvRmT3_T4_T5_mT6_P12ihipStream_tbENKUlT_T0_E_clISt17integral_constantIbLb0EESY_EEDaST_SU_EUlST_E0_NS1_11comp_targetILNS1_3genE0ELNS1_11target_archE4294967295ELNS1_3gpuE0ELNS1_3repE0EEENS1_30default_config_static_selectorELNS0_4arch9wavefront6targetE1EEEvT1_
	.p2align	8
	.type	_ZN7rocprim17ROCPRIM_400000_NS6detail17trampoline_kernelINS0_14default_configENS1_20scan_config_selectorIN3c108BFloat16EEEZZNS1_9scan_implILNS1_25lookback_scan_determinismE0ELb0ELb0ES3_PKS6_PS6_S6_ZZZN2at6native31launch_logcumsumexp_cuda_kernelERKNSD_10TensorBaseESH_lENKUlvE_clEvENKUlvE4_clEvEUlS6_S6_E_S6_EEDaPvRmT3_T4_T5_mT6_P12ihipStream_tbENKUlT_T0_E_clISt17integral_constantIbLb0EESY_EEDaST_SU_EUlST_E0_NS1_11comp_targetILNS1_3genE0ELNS1_11target_archE4294967295ELNS1_3gpuE0ELNS1_3repE0EEENS1_30default_config_static_selectorELNS0_4arch9wavefront6targetE1EEEvT1_,@function
_ZN7rocprim17ROCPRIM_400000_NS6detail17trampoline_kernelINS0_14default_configENS1_20scan_config_selectorIN3c108BFloat16EEEZZNS1_9scan_implILNS1_25lookback_scan_determinismE0ELb0ELb0ES3_PKS6_PS6_S6_ZZZN2at6native31launch_logcumsumexp_cuda_kernelERKNSD_10TensorBaseESH_lENKUlvE_clEvENKUlvE4_clEvEUlS6_S6_E_S6_EEDaPvRmT3_T4_T5_mT6_P12ihipStream_tbENKUlT_T0_E_clISt17integral_constantIbLb0EESY_EEDaST_SU_EUlST_E0_NS1_11comp_targetILNS1_3genE0ELNS1_11target_archE4294967295ELNS1_3gpuE0ELNS1_3repE0EEENS1_30default_config_static_selectorELNS0_4arch9wavefront6targetE1EEEvT1_: ; @_ZN7rocprim17ROCPRIM_400000_NS6detail17trampoline_kernelINS0_14default_configENS1_20scan_config_selectorIN3c108BFloat16EEEZZNS1_9scan_implILNS1_25lookback_scan_determinismE0ELb0ELb0ES3_PKS6_PS6_S6_ZZZN2at6native31launch_logcumsumexp_cuda_kernelERKNSD_10TensorBaseESH_lENKUlvE_clEvENKUlvE4_clEvEUlS6_S6_E_S6_EEDaPvRmT3_T4_T5_mT6_P12ihipStream_tbENKUlT_T0_E_clISt17integral_constantIbLb0EESY_EEDaST_SU_EUlST_E0_NS1_11comp_targetILNS1_3genE0ELNS1_11target_archE4294967295ELNS1_3gpuE0ELNS1_3repE0EEENS1_30default_config_static_selectorELNS0_4arch9wavefront6targetE1EEEvT1_
; %bb.0:
	.section	.rodata,"a",@progbits
	.p2align	6, 0x0
	.amdhsa_kernel _ZN7rocprim17ROCPRIM_400000_NS6detail17trampoline_kernelINS0_14default_configENS1_20scan_config_selectorIN3c108BFloat16EEEZZNS1_9scan_implILNS1_25lookback_scan_determinismE0ELb0ELb0ES3_PKS6_PS6_S6_ZZZN2at6native31launch_logcumsumexp_cuda_kernelERKNSD_10TensorBaseESH_lENKUlvE_clEvENKUlvE4_clEvEUlS6_S6_E_S6_EEDaPvRmT3_T4_T5_mT6_P12ihipStream_tbENKUlT_T0_E_clISt17integral_constantIbLb0EESY_EEDaST_SU_EUlST_E0_NS1_11comp_targetILNS1_3genE0ELNS1_11target_archE4294967295ELNS1_3gpuE0ELNS1_3repE0EEENS1_30default_config_static_selectorELNS0_4arch9wavefront6targetE1EEEvT1_
		.amdhsa_group_segment_fixed_size 0
		.amdhsa_private_segment_fixed_size 0
		.amdhsa_kernarg_size 32
		.amdhsa_user_sgpr_count 6
		.amdhsa_user_sgpr_private_segment_buffer 1
		.amdhsa_user_sgpr_dispatch_ptr 0
		.amdhsa_user_sgpr_queue_ptr 0
		.amdhsa_user_sgpr_kernarg_segment_ptr 1
		.amdhsa_user_sgpr_dispatch_id 0
		.amdhsa_user_sgpr_flat_scratch_init 0
		.amdhsa_user_sgpr_kernarg_preload_length 0
		.amdhsa_user_sgpr_kernarg_preload_offset 0
		.amdhsa_user_sgpr_private_segment_size 0
		.amdhsa_uses_dynamic_stack 0
		.amdhsa_system_sgpr_private_segment_wavefront_offset 0
		.amdhsa_system_sgpr_workgroup_id_x 1
		.amdhsa_system_sgpr_workgroup_id_y 0
		.amdhsa_system_sgpr_workgroup_id_z 0
		.amdhsa_system_sgpr_workgroup_info 0
		.amdhsa_system_vgpr_workitem_id 0
		.amdhsa_next_free_vgpr 1
		.amdhsa_next_free_sgpr 0
		.amdhsa_accum_offset 4
		.amdhsa_reserve_vcc 0
		.amdhsa_reserve_flat_scratch 0
		.amdhsa_float_round_mode_32 0
		.amdhsa_float_round_mode_16_64 0
		.amdhsa_float_denorm_mode_32 3
		.amdhsa_float_denorm_mode_16_64 3
		.amdhsa_dx10_clamp 1
		.amdhsa_ieee_mode 1
		.amdhsa_fp16_overflow 0
		.amdhsa_tg_split 0
		.amdhsa_exception_fp_ieee_invalid_op 0
		.amdhsa_exception_fp_denorm_src 0
		.amdhsa_exception_fp_ieee_div_zero 0
		.amdhsa_exception_fp_ieee_overflow 0
		.amdhsa_exception_fp_ieee_underflow 0
		.amdhsa_exception_fp_ieee_inexact 0
		.amdhsa_exception_int_div_zero 0
	.end_amdhsa_kernel
	.section	.text._ZN7rocprim17ROCPRIM_400000_NS6detail17trampoline_kernelINS0_14default_configENS1_20scan_config_selectorIN3c108BFloat16EEEZZNS1_9scan_implILNS1_25lookback_scan_determinismE0ELb0ELb0ES3_PKS6_PS6_S6_ZZZN2at6native31launch_logcumsumexp_cuda_kernelERKNSD_10TensorBaseESH_lENKUlvE_clEvENKUlvE4_clEvEUlS6_S6_E_S6_EEDaPvRmT3_T4_T5_mT6_P12ihipStream_tbENKUlT_T0_E_clISt17integral_constantIbLb0EESY_EEDaST_SU_EUlST_E0_NS1_11comp_targetILNS1_3genE0ELNS1_11target_archE4294967295ELNS1_3gpuE0ELNS1_3repE0EEENS1_30default_config_static_selectorELNS0_4arch9wavefront6targetE1EEEvT1_,"axG",@progbits,_ZN7rocprim17ROCPRIM_400000_NS6detail17trampoline_kernelINS0_14default_configENS1_20scan_config_selectorIN3c108BFloat16EEEZZNS1_9scan_implILNS1_25lookback_scan_determinismE0ELb0ELb0ES3_PKS6_PS6_S6_ZZZN2at6native31launch_logcumsumexp_cuda_kernelERKNSD_10TensorBaseESH_lENKUlvE_clEvENKUlvE4_clEvEUlS6_S6_E_S6_EEDaPvRmT3_T4_T5_mT6_P12ihipStream_tbENKUlT_T0_E_clISt17integral_constantIbLb0EESY_EEDaST_SU_EUlST_E0_NS1_11comp_targetILNS1_3genE0ELNS1_11target_archE4294967295ELNS1_3gpuE0ELNS1_3repE0EEENS1_30default_config_static_selectorELNS0_4arch9wavefront6targetE1EEEvT1_,comdat
.Lfunc_end460:
	.size	_ZN7rocprim17ROCPRIM_400000_NS6detail17trampoline_kernelINS0_14default_configENS1_20scan_config_selectorIN3c108BFloat16EEEZZNS1_9scan_implILNS1_25lookback_scan_determinismE0ELb0ELb0ES3_PKS6_PS6_S6_ZZZN2at6native31launch_logcumsumexp_cuda_kernelERKNSD_10TensorBaseESH_lENKUlvE_clEvENKUlvE4_clEvEUlS6_S6_E_S6_EEDaPvRmT3_T4_T5_mT6_P12ihipStream_tbENKUlT_T0_E_clISt17integral_constantIbLb0EESY_EEDaST_SU_EUlST_E0_NS1_11comp_targetILNS1_3genE0ELNS1_11target_archE4294967295ELNS1_3gpuE0ELNS1_3repE0EEENS1_30default_config_static_selectorELNS0_4arch9wavefront6targetE1EEEvT1_, .Lfunc_end460-_ZN7rocprim17ROCPRIM_400000_NS6detail17trampoline_kernelINS0_14default_configENS1_20scan_config_selectorIN3c108BFloat16EEEZZNS1_9scan_implILNS1_25lookback_scan_determinismE0ELb0ELb0ES3_PKS6_PS6_S6_ZZZN2at6native31launch_logcumsumexp_cuda_kernelERKNSD_10TensorBaseESH_lENKUlvE_clEvENKUlvE4_clEvEUlS6_S6_E_S6_EEDaPvRmT3_T4_T5_mT6_P12ihipStream_tbENKUlT_T0_E_clISt17integral_constantIbLb0EESY_EEDaST_SU_EUlST_E0_NS1_11comp_targetILNS1_3genE0ELNS1_11target_archE4294967295ELNS1_3gpuE0ELNS1_3repE0EEENS1_30default_config_static_selectorELNS0_4arch9wavefront6targetE1EEEvT1_
                                        ; -- End function
	.section	.AMDGPU.csdata,"",@progbits
; Kernel info:
; codeLenInByte = 0
; NumSgprs: 4
; NumVgprs: 0
; NumAgprs: 0
; TotalNumVgprs: 0
; ScratchSize: 0
; MemoryBound: 0
; FloatMode: 240
; IeeeMode: 1
; LDSByteSize: 0 bytes/workgroup (compile time only)
; SGPRBlocks: 0
; VGPRBlocks: 0
; NumSGPRsForWavesPerEU: 4
; NumVGPRsForWavesPerEU: 1
; AccumOffset: 4
; Occupancy: 8
; WaveLimiterHint : 0
; COMPUTE_PGM_RSRC2:SCRATCH_EN: 0
; COMPUTE_PGM_RSRC2:USER_SGPR: 6
; COMPUTE_PGM_RSRC2:TRAP_HANDLER: 0
; COMPUTE_PGM_RSRC2:TGID_X_EN: 1
; COMPUTE_PGM_RSRC2:TGID_Y_EN: 0
; COMPUTE_PGM_RSRC2:TGID_Z_EN: 0
; COMPUTE_PGM_RSRC2:TIDIG_COMP_CNT: 0
; COMPUTE_PGM_RSRC3_GFX90A:ACCUM_OFFSET: 0
; COMPUTE_PGM_RSRC3_GFX90A:TG_SPLIT: 0
	.section	.text._ZN7rocprim17ROCPRIM_400000_NS6detail17trampoline_kernelINS0_14default_configENS1_20scan_config_selectorIN3c108BFloat16EEEZZNS1_9scan_implILNS1_25lookback_scan_determinismE0ELb0ELb0ES3_PKS6_PS6_S6_ZZZN2at6native31launch_logcumsumexp_cuda_kernelERKNSD_10TensorBaseESH_lENKUlvE_clEvENKUlvE4_clEvEUlS6_S6_E_S6_EEDaPvRmT3_T4_T5_mT6_P12ihipStream_tbENKUlT_T0_E_clISt17integral_constantIbLb0EESY_EEDaST_SU_EUlST_E0_NS1_11comp_targetILNS1_3genE5ELNS1_11target_archE942ELNS1_3gpuE9ELNS1_3repE0EEENS1_30default_config_static_selectorELNS0_4arch9wavefront6targetE1EEEvT1_,"axG",@progbits,_ZN7rocprim17ROCPRIM_400000_NS6detail17trampoline_kernelINS0_14default_configENS1_20scan_config_selectorIN3c108BFloat16EEEZZNS1_9scan_implILNS1_25lookback_scan_determinismE0ELb0ELb0ES3_PKS6_PS6_S6_ZZZN2at6native31launch_logcumsumexp_cuda_kernelERKNSD_10TensorBaseESH_lENKUlvE_clEvENKUlvE4_clEvEUlS6_S6_E_S6_EEDaPvRmT3_T4_T5_mT6_P12ihipStream_tbENKUlT_T0_E_clISt17integral_constantIbLb0EESY_EEDaST_SU_EUlST_E0_NS1_11comp_targetILNS1_3genE5ELNS1_11target_archE942ELNS1_3gpuE9ELNS1_3repE0EEENS1_30default_config_static_selectorELNS0_4arch9wavefront6targetE1EEEvT1_,comdat
	.globl	_ZN7rocprim17ROCPRIM_400000_NS6detail17trampoline_kernelINS0_14default_configENS1_20scan_config_selectorIN3c108BFloat16EEEZZNS1_9scan_implILNS1_25lookback_scan_determinismE0ELb0ELb0ES3_PKS6_PS6_S6_ZZZN2at6native31launch_logcumsumexp_cuda_kernelERKNSD_10TensorBaseESH_lENKUlvE_clEvENKUlvE4_clEvEUlS6_S6_E_S6_EEDaPvRmT3_T4_T5_mT6_P12ihipStream_tbENKUlT_T0_E_clISt17integral_constantIbLb0EESY_EEDaST_SU_EUlST_E0_NS1_11comp_targetILNS1_3genE5ELNS1_11target_archE942ELNS1_3gpuE9ELNS1_3repE0EEENS1_30default_config_static_selectorELNS0_4arch9wavefront6targetE1EEEvT1_ ; -- Begin function _ZN7rocprim17ROCPRIM_400000_NS6detail17trampoline_kernelINS0_14default_configENS1_20scan_config_selectorIN3c108BFloat16EEEZZNS1_9scan_implILNS1_25lookback_scan_determinismE0ELb0ELb0ES3_PKS6_PS6_S6_ZZZN2at6native31launch_logcumsumexp_cuda_kernelERKNSD_10TensorBaseESH_lENKUlvE_clEvENKUlvE4_clEvEUlS6_S6_E_S6_EEDaPvRmT3_T4_T5_mT6_P12ihipStream_tbENKUlT_T0_E_clISt17integral_constantIbLb0EESY_EEDaST_SU_EUlST_E0_NS1_11comp_targetILNS1_3genE5ELNS1_11target_archE942ELNS1_3gpuE9ELNS1_3repE0EEENS1_30default_config_static_selectorELNS0_4arch9wavefront6targetE1EEEvT1_
	.p2align	8
	.type	_ZN7rocprim17ROCPRIM_400000_NS6detail17trampoline_kernelINS0_14default_configENS1_20scan_config_selectorIN3c108BFloat16EEEZZNS1_9scan_implILNS1_25lookback_scan_determinismE0ELb0ELb0ES3_PKS6_PS6_S6_ZZZN2at6native31launch_logcumsumexp_cuda_kernelERKNSD_10TensorBaseESH_lENKUlvE_clEvENKUlvE4_clEvEUlS6_S6_E_S6_EEDaPvRmT3_T4_T5_mT6_P12ihipStream_tbENKUlT_T0_E_clISt17integral_constantIbLb0EESY_EEDaST_SU_EUlST_E0_NS1_11comp_targetILNS1_3genE5ELNS1_11target_archE942ELNS1_3gpuE9ELNS1_3repE0EEENS1_30default_config_static_selectorELNS0_4arch9wavefront6targetE1EEEvT1_,@function
_ZN7rocprim17ROCPRIM_400000_NS6detail17trampoline_kernelINS0_14default_configENS1_20scan_config_selectorIN3c108BFloat16EEEZZNS1_9scan_implILNS1_25lookback_scan_determinismE0ELb0ELb0ES3_PKS6_PS6_S6_ZZZN2at6native31launch_logcumsumexp_cuda_kernelERKNSD_10TensorBaseESH_lENKUlvE_clEvENKUlvE4_clEvEUlS6_S6_E_S6_EEDaPvRmT3_T4_T5_mT6_P12ihipStream_tbENKUlT_T0_E_clISt17integral_constantIbLb0EESY_EEDaST_SU_EUlST_E0_NS1_11comp_targetILNS1_3genE5ELNS1_11target_archE942ELNS1_3gpuE9ELNS1_3repE0EEENS1_30default_config_static_selectorELNS0_4arch9wavefront6targetE1EEEvT1_: ; @_ZN7rocprim17ROCPRIM_400000_NS6detail17trampoline_kernelINS0_14default_configENS1_20scan_config_selectorIN3c108BFloat16EEEZZNS1_9scan_implILNS1_25lookback_scan_determinismE0ELb0ELb0ES3_PKS6_PS6_S6_ZZZN2at6native31launch_logcumsumexp_cuda_kernelERKNSD_10TensorBaseESH_lENKUlvE_clEvENKUlvE4_clEvEUlS6_S6_E_S6_EEDaPvRmT3_T4_T5_mT6_P12ihipStream_tbENKUlT_T0_E_clISt17integral_constantIbLb0EESY_EEDaST_SU_EUlST_E0_NS1_11comp_targetILNS1_3genE5ELNS1_11target_archE942ELNS1_3gpuE9ELNS1_3repE0EEENS1_30default_config_static_selectorELNS0_4arch9wavefront6targetE1EEEvT1_
; %bb.0:
	.section	.rodata,"a",@progbits
	.p2align	6, 0x0
	.amdhsa_kernel _ZN7rocprim17ROCPRIM_400000_NS6detail17trampoline_kernelINS0_14default_configENS1_20scan_config_selectorIN3c108BFloat16EEEZZNS1_9scan_implILNS1_25lookback_scan_determinismE0ELb0ELb0ES3_PKS6_PS6_S6_ZZZN2at6native31launch_logcumsumexp_cuda_kernelERKNSD_10TensorBaseESH_lENKUlvE_clEvENKUlvE4_clEvEUlS6_S6_E_S6_EEDaPvRmT3_T4_T5_mT6_P12ihipStream_tbENKUlT_T0_E_clISt17integral_constantIbLb0EESY_EEDaST_SU_EUlST_E0_NS1_11comp_targetILNS1_3genE5ELNS1_11target_archE942ELNS1_3gpuE9ELNS1_3repE0EEENS1_30default_config_static_selectorELNS0_4arch9wavefront6targetE1EEEvT1_
		.amdhsa_group_segment_fixed_size 0
		.amdhsa_private_segment_fixed_size 0
		.amdhsa_kernarg_size 32
		.amdhsa_user_sgpr_count 6
		.amdhsa_user_sgpr_private_segment_buffer 1
		.amdhsa_user_sgpr_dispatch_ptr 0
		.amdhsa_user_sgpr_queue_ptr 0
		.amdhsa_user_sgpr_kernarg_segment_ptr 1
		.amdhsa_user_sgpr_dispatch_id 0
		.amdhsa_user_sgpr_flat_scratch_init 0
		.amdhsa_user_sgpr_kernarg_preload_length 0
		.amdhsa_user_sgpr_kernarg_preload_offset 0
		.amdhsa_user_sgpr_private_segment_size 0
		.amdhsa_uses_dynamic_stack 0
		.amdhsa_system_sgpr_private_segment_wavefront_offset 0
		.amdhsa_system_sgpr_workgroup_id_x 1
		.amdhsa_system_sgpr_workgroup_id_y 0
		.amdhsa_system_sgpr_workgroup_id_z 0
		.amdhsa_system_sgpr_workgroup_info 0
		.amdhsa_system_vgpr_workitem_id 0
		.amdhsa_next_free_vgpr 1
		.amdhsa_next_free_sgpr 0
		.amdhsa_accum_offset 4
		.amdhsa_reserve_vcc 0
		.amdhsa_reserve_flat_scratch 0
		.amdhsa_float_round_mode_32 0
		.amdhsa_float_round_mode_16_64 0
		.amdhsa_float_denorm_mode_32 3
		.amdhsa_float_denorm_mode_16_64 3
		.amdhsa_dx10_clamp 1
		.amdhsa_ieee_mode 1
		.amdhsa_fp16_overflow 0
		.amdhsa_tg_split 0
		.amdhsa_exception_fp_ieee_invalid_op 0
		.amdhsa_exception_fp_denorm_src 0
		.amdhsa_exception_fp_ieee_div_zero 0
		.amdhsa_exception_fp_ieee_overflow 0
		.amdhsa_exception_fp_ieee_underflow 0
		.amdhsa_exception_fp_ieee_inexact 0
		.amdhsa_exception_int_div_zero 0
	.end_amdhsa_kernel
	.section	.text._ZN7rocprim17ROCPRIM_400000_NS6detail17trampoline_kernelINS0_14default_configENS1_20scan_config_selectorIN3c108BFloat16EEEZZNS1_9scan_implILNS1_25lookback_scan_determinismE0ELb0ELb0ES3_PKS6_PS6_S6_ZZZN2at6native31launch_logcumsumexp_cuda_kernelERKNSD_10TensorBaseESH_lENKUlvE_clEvENKUlvE4_clEvEUlS6_S6_E_S6_EEDaPvRmT3_T4_T5_mT6_P12ihipStream_tbENKUlT_T0_E_clISt17integral_constantIbLb0EESY_EEDaST_SU_EUlST_E0_NS1_11comp_targetILNS1_3genE5ELNS1_11target_archE942ELNS1_3gpuE9ELNS1_3repE0EEENS1_30default_config_static_selectorELNS0_4arch9wavefront6targetE1EEEvT1_,"axG",@progbits,_ZN7rocprim17ROCPRIM_400000_NS6detail17trampoline_kernelINS0_14default_configENS1_20scan_config_selectorIN3c108BFloat16EEEZZNS1_9scan_implILNS1_25lookback_scan_determinismE0ELb0ELb0ES3_PKS6_PS6_S6_ZZZN2at6native31launch_logcumsumexp_cuda_kernelERKNSD_10TensorBaseESH_lENKUlvE_clEvENKUlvE4_clEvEUlS6_S6_E_S6_EEDaPvRmT3_T4_T5_mT6_P12ihipStream_tbENKUlT_T0_E_clISt17integral_constantIbLb0EESY_EEDaST_SU_EUlST_E0_NS1_11comp_targetILNS1_3genE5ELNS1_11target_archE942ELNS1_3gpuE9ELNS1_3repE0EEENS1_30default_config_static_selectorELNS0_4arch9wavefront6targetE1EEEvT1_,comdat
.Lfunc_end461:
	.size	_ZN7rocprim17ROCPRIM_400000_NS6detail17trampoline_kernelINS0_14default_configENS1_20scan_config_selectorIN3c108BFloat16EEEZZNS1_9scan_implILNS1_25lookback_scan_determinismE0ELb0ELb0ES3_PKS6_PS6_S6_ZZZN2at6native31launch_logcumsumexp_cuda_kernelERKNSD_10TensorBaseESH_lENKUlvE_clEvENKUlvE4_clEvEUlS6_S6_E_S6_EEDaPvRmT3_T4_T5_mT6_P12ihipStream_tbENKUlT_T0_E_clISt17integral_constantIbLb0EESY_EEDaST_SU_EUlST_E0_NS1_11comp_targetILNS1_3genE5ELNS1_11target_archE942ELNS1_3gpuE9ELNS1_3repE0EEENS1_30default_config_static_selectorELNS0_4arch9wavefront6targetE1EEEvT1_, .Lfunc_end461-_ZN7rocprim17ROCPRIM_400000_NS6detail17trampoline_kernelINS0_14default_configENS1_20scan_config_selectorIN3c108BFloat16EEEZZNS1_9scan_implILNS1_25lookback_scan_determinismE0ELb0ELb0ES3_PKS6_PS6_S6_ZZZN2at6native31launch_logcumsumexp_cuda_kernelERKNSD_10TensorBaseESH_lENKUlvE_clEvENKUlvE4_clEvEUlS6_S6_E_S6_EEDaPvRmT3_T4_T5_mT6_P12ihipStream_tbENKUlT_T0_E_clISt17integral_constantIbLb0EESY_EEDaST_SU_EUlST_E0_NS1_11comp_targetILNS1_3genE5ELNS1_11target_archE942ELNS1_3gpuE9ELNS1_3repE0EEENS1_30default_config_static_selectorELNS0_4arch9wavefront6targetE1EEEvT1_
                                        ; -- End function
	.section	.AMDGPU.csdata,"",@progbits
; Kernel info:
; codeLenInByte = 0
; NumSgprs: 4
; NumVgprs: 0
; NumAgprs: 0
; TotalNumVgprs: 0
; ScratchSize: 0
; MemoryBound: 0
; FloatMode: 240
; IeeeMode: 1
; LDSByteSize: 0 bytes/workgroup (compile time only)
; SGPRBlocks: 0
; VGPRBlocks: 0
; NumSGPRsForWavesPerEU: 4
; NumVGPRsForWavesPerEU: 1
; AccumOffset: 4
; Occupancy: 8
; WaveLimiterHint : 0
; COMPUTE_PGM_RSRC2:SCRATCH_EN: 0
; COMPUTE_PGM_RSRC2:USER_SGPR: 6
; COMPUTE_PGM_RSRC2:TRAP_HANDLER: 0
; COMPUTE_PGM_RSRC2:TGID_X_EN: 1
; COMPUTE_PGM_RSRC2:TGID_Y_EN: 0
; COMPUTE_PGM_RSRC2:TGID_Z_EN: 0
; COMPUTE_PGM_RSRC2:TIDIG_COMP_CNT: 0
; COMPUTE_PGM_RSRC3_GFX90A:ACCUM_OFFSET: 0
; COMPUTE_PGM_RSRC3_GFX90A:TG_SPLIT: 0
	.section	.text._ZN7rocprim17ROCPRIM_400000_NS6detail17trampoline_kernelINS0_14default_configENS1_20scan_config_selectorIN3c108BFloat16EEEZZNS1_9scan_implILNS1_25lookback_scan_determinismE0ELb0ELb0ES3_PKS6_PS6_S6_ZZZN2at6native31launch_logcumsumexp_cuda_kernelERKNSD_10TensorBaseESH_lENKUlvE_clEvENKUlvE4_clEvEUlS6_S6_E_S6_EEDaPvRmT3_T4_T5_mT6_P12ihipStream_tbENKUlT_T0_E_clISt17integral_constantIbLb0EESY_EEDaST_SU_EUlST_E0_NS1_11comp_targetILNS1_3genE4ELNS1_11target_archE910ELNS1_3gpuE8ELNS1_3repE0EEENS1_30default_config_static_selectorELNS0_4arch9wavefront6targetE1EEEvT1_,"axG",@progbits,_ZN7rocprim17ROCPRIM_400000_NS6detail17trampoline_kernelINS0_14default_configENS1_20scan_config_selectorIN3c108BFloat16EEEZZNS1_9scan_implILNS1_25lookback_scan_determinismE0ELb0ELb0ES3_PKS6_PS6_S6_ZZZN2at6native31launch_logcumsumexp_cuda_kernelERKNSD_10TensorBaseESH_lENKUlvE_clEvENKUlvE4_clEvEUlS6_S6_E_S6_EEDaPvRmT3_T4_T5_mT6_P12ihipStream_tbENKUlT_T0_E_clISt17integral_constantIbLb0EESY_EEDaST_SU_EUlST_E0_NS1_11comp_targetILNS1_3genE4ELNS1_11target_archE910ELNS1_3gpuE8ELNS1_3repE0EEENS1_30default_config_static_selectorELNS0_4arch9wavefront6targetE1EEEvT1_,comdat
	.globl	_ZN7rocprim17ROCPRIM_400000_NS6detail17trampoline_kernelINS0_14default_configENS1_20scan_config_selectorIN3c108BFloat16EEEZZNS1_9scan_implILNS1_25lookback_scan_determinismE0ELb0ELb0ES3_PKS6_PS6_S6_ZZZN2at6native31launch_logcumsumexp_cuda_kernelERKNSD_10TensorBaseESH_lENKUlvE_clEvENKUlvE4_clEvEUlS6_S6_E_S6_EEDaPvRmT3_T4_T5_mT6_P12ihipStream_tbENKUlT_T0_E_clISt17integral_constantIbLb0EESY_EEDaST_SU_EUlST_E0_NS1_11comp_targetILNS1_3genE4ELNS1_11target_archE910ELNS1_3gpuE8ELNS1_3repE0EEENS1_30default_config_static_selectorELNS0_4arch9wavefront6targetE1EEEvT1_ ; -- Begin function _ZN7rocprim17ROCPRIM_400000_NS6detail17trampoline_kernelINS0_14default_configENS1_20scan_config_selectorIN3c108BFloat16EEEZZNS1_9scan_implILNS1_25lookback_scan_determinismE0ELb0ELb0ES3_PKS6_PS6_S6_ZZZN2at6native31launch_logcumsumexp_cuda_kernelERKNSD_10TensorBaseESH_lENKUlvE_clEvENKUlvE4_clEvEUlS6_S6_E_S6_EEDaPvRmT3_T4_T5_mT6_P12ihipStream_tbENKUlT_T0_E_clISt17integral_constantIbLb0EESY_EEDaST_SU_EUlST_E0_NS1_11comp_targetILNS1_3genE4ELNS1_11target_archE910ELNS1_3gpuE8ELNS1_3repE0EEENS1_30default_config_static_selectorELNS0_4arch9wavefront6targetE1EEEvT1_
	.p2align	8
	.type	_ZN7rocprim17ROCPRIM_400000_NS6detail17trampoline_kernelINS0_14default_configENS1_20scan_config_selectorIN3c108BFloat16EEEZZNS1_9scan_implILNS1_25lookback_scan_determinismE0ELb0ELb0ES3_PKS6_PS6_S6_ZZZN2at6native31launch_logcumsumexp_cuda_kernelERKNSD_10TensorBaseESH_lENKUlvE_clEvENKUlvE4_clEvEUlS6_S6_E_S6_EEDaPvRmT3_T4_T5_mT6_P12ihipStream_tbENKUlT_T0_E_clISt17integral_constantIbLb0EESY_EEDaST_SU_EUlST_E0_NS1_11comp_targetILNS1_3genE4ELNS1_11target_archE910ELNS1_3gpuE8ELNS1_3repE0EEENS1_30default_config_static_selectorELNS0_4arch9wavefront6targetE1EEEvT1_,@function
_ZN7rocprim17ROCPRIM_400000_NS6detail17trampoline_kernelINS0_14default_configENS1_20scan_config_selectorIN3c108BFloat16EEEZZNS1_9scan_implILNS1_25lookback_scan_determinismE0ELb0ELb0ES3_PKS6_PS6_S6_ZZZN2at6native31launch_logcumsumexp_cuda_kernelERKNSD_10TensorBaseESH_lENKUlvE_clEvENKUlvE4_clEvEUlS6_S6_E_S6_EEDaPvRmT3_T4_T5_mT6_P12ihipStream_tbENKUlT_T0_E_clISt17integral_constantIbLb0EESY_EEDaST_SU_EUlST_E0_NS1_11comp_targetILNS1_3genE4ELNS1_11target_archE910ELNS1_3gpuE8ELNS1_3repE0EEENS1_30default_config_static_selectorELNS0_4arch9wavefront6targetE1EEEvT1_: ; @_ZN7rocprim17ROCPRIM_400000_NS6detail17trampoline_kernelINS0_14default_configENS1_20scan_config_selectorIN3c108BFloat16EEEZZNS1_9scan_implILNS1_25lookback_scan_determinismE0ELb0ELb0ES3_PKS6_PS6_S6_ZZZN2at6native31launch_logcumsumexp_cuda_kernelERKNSD_10TensorBaseESH_lENKUlvE_clEvENKUlvE4_clEvEUlS6_S6_E_S6_EEDaPvRmT3_T4_T5_mT6_P12ihipStream_tbENKUlT_T0_E_clISt17integral_constantIbLb0EESY_EEDaST_SU_EUlST_E0_NS1_11comp_targetILNS1_3genE4ELNS1_11target_archE910ELNS1_3gpuE8ELNS1_3repE0EEENS1_30default_config_static_selectorELNS0_4arch9wavefront6targetE1EEEvT1_
; %bb.0:
	s_load_dwordx4 s[52:55], s[4:5], 0x0
	v_mov_b32_e32 v1, 0
	v_lshlrev_b32_e32 v14, 1, v0
	s_waitcnt lgkmcnt(0)
	global_load_ushort v2, v1, s[52:53]
	v_cmp_gt_u32_e64 s[2:3], s54, v0
	s_waitcnt vmcnt(0)
	v_mov_b32_e32 v3, v2
	s_mov_b64 s[0:1], exec
                                        ; implicit-def: $vgpr75 : SGPR spill to VGPR lane
	v_writelane_b32 v75, s2, 0
	v_writelane_b32 v75, s3, 1
	s_and_b64 s[2:3], s[0:1], s[2:3]
	s_mov_b64 exec, s[2:3]
	s_cbranch_execz .LBB462_2
; %bb.1:
	global_load_ushort v3, v14, s[52:53]
.LBB462_2:
	s_or_b64 exec, exec, s[0:1]
	v_or_b32_e32 v1, 64, v0
	v_mov_b32_e32 v4, v2
	v_cmp_gt_u32_e64 s[2:3], s54, v1
	s_mov_b64 s[0:1], exec
	v_writelane_b32 v75, s2, 2
	v_writelane_b32 v75, s3, 3
	s_and_b64 s[2:3], s[0:1], s[2:3]
	s_mov_b64 exec, s[2:3]
	s_cbranch_execz .LBB462_4
; %bb.3:
	global_load_ushort v4, v14, s[52:53] offset:128
.LBB462_4:
	s_or_b64 exec, exec, s[0:1]
	v_or_b32_e32 v1, 0x80, v0
	v_cmp_gt_u32_e64 s[2:3], s54, v1
	v_mov_b32_e32 v5, v2
	v_writelane_b32 v75, s2, 4
	v_writelane_b32 v75, s3, 5
	s_and_saveexec_b64 s[0:1], s[2:3]
	s_cbranch_execz .LBB462_6
; %bb.5:
	global_load_ushort v5, v14, s[52:53] offset:256
.LBB462_6:
	s_or_b64 exec, exec, s[0:1]
	v_or_b32_e32 v1, 0xc0, v0
	v_cmp_gt_u32_e64 s[46:47], s54, v1
	v_mov_b32_e32 v6, v2
	s_and_saveexec_b64 s[0:1], s[46:47]
	s_cbranch_execz .LBB462_8
; %bb.7:
	global_load_ushort v6, v14, s[52:53] offset:384
.LBB462_8:
	s_or_b64 exec, exec, s[0:1]
	v_or_b32_e32 v1, 0x100, v0
	v_cmp_gt_u32_e64 s[6:7], s54, v1
	v_mov_b32_e32 v7, v2
	;; [unrolled: 9-line block ×20, first 2 shown]
	s_and_saveexec_b64 s[0:1], s[44:45]
	s_cbranch_execz .LBB462_46
; %bb.45:
	global_load_ushort v26, v14, s[52:53] offset:2816
.LBB462_46:
	s_or_b64 exec, exec, s[0:1]
	v_or_b32_e32 v1, 0x5c0, v0
	v_cmp_gt_u32_e64 s[0:1], s54, v1
	v_writelane_b32 v75, s0, 6
	v_cmp_le_u32_e64 s[48:49], s54, v1
	v_writelane_b32 v75, s1, 7
	s_and_saveexec_b64 s[0:1], s[48:49]
	s_xor_b64 s[0:1], exec, s[0:1]
; %bb.47:
	v_mov_b32_e32 v1, 0
; %bb.48:
	s_andn2_saveexec_b64 s[0:1], s[0:1]
	s_cbranch_execz .LBB462_50
; %bb.49:
	global_load_ushort v2, v14, s[52:53] offset:2944
	v_mov_b32_e32 v1, 0
.LBB462_50:
	s_or_b64 exec, exec, s[0:1]
	s_waitcnt vmcnt(0)
	ds_write_b16 v14, v3
	ds_write_b16 v14, v4 offset:128
	ds_write_b16 v14, v5 offset:256
	;; [unrolled: 1-line block ×23, first 2 shown]
	v_mad_u32_u24 v6, v0, 46, v14
	s_waitcnt lgkmcnt(0)
	; wave barrier
	s_waitcnt lgkmcnt(0)
	ds_read_b128 v[2:5], v6
	ds_read_b128 v[10:13], v6 offset:16
	ds_read_b128 v[6:9], v6 offset:32
	s_movk_i32 s33, 0x1f8
	s_waitcnt lgkmcnt(0)
	v_lshlrev_b32_e32 v50, 16, v2
	v_and_b32_e32 v15, 0xffff0000, v2
	v_max_f32_e32 v25, v15, v15
	v_max_f32_e32 v53, v50, v50
	v_min_f32_e32 v51, v53, v25
	v_cmp_u_f32_e64 s[94:95], v50, v50
	v_cndmask_b32_e64 v16, v51, v50, s[94:95]
	v_cmp_u_f32_e64 s[48:49], v15, v15
	v_max_f32_e32 v52, v53, v25
	v_cndmask_b32_e64 v17, v16, v15, s[48:49]
	v_cndmask_b32_e64 v16, v52, v50, s[94:95]
	;; [unrolled: 1-line block ×3, first 2 shown]
	v_cmp_neq_f32_e64 s[50:51], v17, v16
	v_cmp_class_f32_e64 s[0:1], v17, s33
	s_or_b64 s[50:51], s[50:51], s[0:1]
	v_mov_b32_e32 v18, v50
	; wave barrier
	s_and_saveexec_b64 s[0:1], s[50:51]
	s_cbranch_execz .LBB462_52
; %bb.51:
	v_sub_f32_e32 v17, v17, v16
	s_mov_b32 s2, 0x3fb8aa3b
	v_mul_f32_e32 v18, 0x3fb8aa3b, v17
	v_fma_f32 v19, v17, s2, -v18
	v_rndne_f32_e32 v20, v18
	v_fmac_f32_e32 v19, 0x32a5705f, v17
	v_sub_f32_e32 v18, v18, v20
	v_add_f32_e32 v18, v18, v19
	v_exp_f32_e32 v18, v18
	v_cvt_i32_f32_e32 v19, v20
	s_mov_b32 s2, 0xc2ce8ed0
	v_cmp_ngt_f32_e64 s[50:51], s2, v17
	s_mov_b32 s2, 0x42b17218
	v_ldexp_f32 v18, v18, v19
	v_cndmask_b32_e64 v18, 0, v18, s[50:51]
	v_mov_b32_e32 v19, 0x7f800000
	v_cmp_nlt_f32_e64 s[50:51], s2, v17
	v_cndmask_b32_e64 v36, v19, v18, s[50:51]
	v_add_f32_e32 v17, 1.0, v36
	v_add_f32_e32 v18, -1.0, v17
	v_sub_f32_e32 v19, v18, v17
	v_add_f32_e32 v19, 1.0, v19
	v_sub_f32_e32 v18, v36, v18
	v_add_f32_e32 v20, v18, v19
	v_frexp_mant_f32_e32 v21, v17
	s_mov_b32 s2, 0x3f2aaaab
	v_cvt_f64_f32_e32 v[18:19], v17
	v_frexp_exp_i32_f64_e32 v18, v[18:19]
	v_cmp_gt_f32_e64 s[50:51], s2, v21
	v_subbrev_co_u32_e64 v24, s[50:51], 0, v18, s[50:51]
	v_sub_u32_e32 v18, 0, v24
	v_ldexp_f32 v17, v17, v18
	v_ldexp_f32 v18, v20, v18
	v_add_f32_e32 v20, -1.0, v17
	v_add_f32_e32 v19, 1.0, v20
	v_sub_f32_e32 v19, v17, v19
	v_add_f32_e32 v21, v18, v19
	v_add_f32_e32 v19, 1.0, v17
	v_add_f32_e32 v22, -1.0, v19
	v_sub_f32_e32 v17, v17, v22
	v_add_f32_e32 v17, v18, v17
	v_add_f32_e32 v28, v19, v17
	v_rcp_f32_e32 v29, v28
	v_sub_f32_e32 v18, v19, v28
	v_add_f32_e32 v19, v20, v21
	v_add_f32_e32 v17, v17, v18
	v_mul_f32_e32 v31, v19, v29
	v_sub_f32_e32 v18, v20, v19
	v_mul_f32_e32 v20, v28, v31
	v_fma_f32 v22, v31, v28, -v20
	v_fmac_f32_e32 v22, v31, v17
	v_add_f32_e32 v30, v21, v18
	v_add_f32_e32 v18, v20, v22
	v_sub_f32_e32 v21, v19, v18
	v_pk_add_f32 v[26:27], v[18:19], v[20:21] neg_lo:[0,1] neg_hi:[0,1]
	v_mov_b32_e32 v23, v18
	v_pk_add_f32 v[18:19], v[26:27], v[22:23] neg_lo:[0,1] neg_hi:[0,1]
	v_add_f32_e32 v19, v30, v19
	v_add_f32_e32 v18, v18, v19
	;; [unrolled: 1-line block ×3, first 2 shown]
	v_mul_f32_e32 v30, v29, v19
	v_mul_f32_e32 v20, v28, v30
	v_fma_f32 v22, v30, v28, -v20
	v_fmac_f32_e32 v22, v30, v17
	v_sub_f32_e32 v17, v21, v19
	v_add_f32_e32 v17, v18, v17
	v_add_f32_e32 v18, v20, v22
	v_sub_f32_e32 v21, v19, v18
	v_pk_add_f32 v[26:27], v[18:19], v[20:21] neg_lo:[0,1] neg_hi:[0,1]
	v_mov_b32_e32 v23, v18
	v_pk_add_f32 v[18:19], v[26:27], v[22:23] neg_lo:[0,1] neg_hi:[0,1]
	v_add_f32_e32 v17, v17, v19
	v_add_f32_e32 v17, v18, v17
	;; [unrolled: 1-line block ×4, first 2 shown]
	v_sub_f32_e32 v19, v18, v31
	v_mul_f32_e32 v17, v29, v17
	v_sub_f32_e32 v19, v30, v19
	v_add_f32_e32 v17, v19, v17
	v_add_f32_e32 v21, v18, v17
	v_mul_f32_e32 v22, v21, v21
	v_mov_b32_e32 v20, 0x3ecc95a3
	v_fmac_f32_e32 v20, 0x3e9b6dac, v22
	v_mov_b32_e32 v19, 0x3f2aaada
	v_fmac_f32_e32 v19, v22, v20
	v_cvt_f32_i32_e32 v20, v24
	v_sub_f32_e32 v18, v21, v18
	v_sub_f32_e32 v17, v17, v18
	v_ldexp_f32 v23, v21, 1
	v_mul_f32_e32 v21, v21, v22
	v_mov_b32_e32 v18, 0x3f317218
	s_mov_b32 s2, 0x3f317218
	v_pk_mul_f32 v[18:19], v[20:21], v[18:19]
	v_fma_f32 v22, v20, s2, -v18
	v_fmac_f32_e32 v22, 0xb102e308, v20
	v_pk_add_f32 v[20:21], v[18:19], v[22:23]
	v_sub_f32_e32 v23, v21, v23
	v_ldexp_f32 v17, v17, 1
	v_sub_f32_e32 v23, v19, v23
	v_add_f32_e32 v27, v17, v23
	v_mov_b32_e32 v26, v18
	v_pk_add_f32 v[18:19], v[20:21], v[18:19] neg_lo:[0,1] neg_hi:[0,1]
	v_pk_add_f32 v[28:29], v[20:21], v[26:27]
	v_mov_b32_e32 v19, v29
	v_mov_b32_e32 v23, v20
	v_pk_add_f32 v[30:31], v[22:23], v[18:19] neg_lo:[0,1] neg_hi:[0,1]
	v_pk_add_f32 v[18:19], v[22:23], v[18:19]
	v_mov_b32_e32 v22, v19
	v_pk_add_f32 v[32:33], v[22:23], v[20:21] neg_lo:[0,1] neg_hi:[0,1]
	v_mov_b32_e32 v17, v32
	v_pk_add_f32 v[34:35], v[28:29], v[16:17] neg_lo:[0,1] neg_hi:[0,1]
	v_mov_b32_e32 v18, v29
	v_mov_b32_e32 v28, v21
	;; [unrolled: 1-line block ×4, first 2 shown]
	v_pk_add_f32 v[18:19], v[18:19], v[28:29] neg_lo:[0,1] neg_hi:[0,1]
	v_mov_b32_e32 v26, v27
	v_mov_b32_e32 v27, v20
	v_pk_add_f32 v[18:19], v[26:27], v[18:19] neg_lo:[0,1] neg_hi:[0,1]
	v_mov_b32_e32 v34, v30
	v_pk_add_f32 v[20:21], v[34:35], v[18:19]
	v_mov_b32_e32 v24, v21
	v_pk_add_f32 v[26:27], v[20:21], v[24:25]
	v_pk_add_f32 v[22:23], v[22:23], v[26:27]
	v_mov_b32_e32 v21, v22
	v_pk_add_f32 v[28:29], v[20:21], v[30:31] neg_lo:[0,1] neg_hi:[0,1]
	v_mov_b32_e32 v19, v26
	v_sub_f32_e32 v17, v20, v28
	v_pk_add_f32 v[18:19], v[18:19], v[28:29] neg_lo:[0,1] neg_hi:[0,1]
	v_sub_f32_e32 v17, v30, v17
	s_mov_b32 s3, 0x7f800000
	v_add_f32_e32 v17, v18, v17
	s_mov_b32 s2, 0x33800000
	v_add_f32_e32 v17, v17, v19
	v_cmp_eq_f32_e64 s[50:51], s3, v36
	v_cmp_lt_f32_e64 s[52:53], |v36|, s2
	v_add_f32_e32 v17, v22, v17
	s_or_b64 s[50:51], s[50:51], s[52:53]
	v_cndmask_b32_e64 v17, v17, v36, s[50:51]
	v_add_f32_e32 v18, v16, v17
.LBB462_52:
	s_or_b64 exec, exec, s[0:1]
	v_bfe_u32 v16, v18, 16, 1
	s_movk_i32 s54, 0x7fff
	v_add3_u32 v16, v18, v16, s54
	v_and_b32_e32 v16, 0xffff0000, v16
	v_mov_b32_e32 v17, 0x7fc00000
	v_cmp_o_f32_e64 s[50:51], v18, v18
	v_cndmask_b32_e64 v20, v17, v16, s[50:51]
	v_lshlrev_b32_e32 v16, 16, v3
	v_max_f32_e32 v19, v20, v20
	v_max_f32_e32 v18, v16, v16
	v_min_f32_e32 v21, v19, v18
	v_cmp_u_f32_e64 s[52:53], v20, v20
	v_max_f32_e32 v19, v19, v18
	v_cndmask_b32_e64 v21, v21, v20, s[52:53]
	v_cmp_u_f32_e64 s[50:51], v16, v16
	v_cndmask_b32_e64 v19, v19, v20, s[52:53]
	v_cndmask_b32_e64 v21, v21, v16, s[50:51]
	;; [unrolled: 1-line block ×3, first 2 shown]
	v_cmp_neq_f32_e64 s[52:53], v21, v19
	v_cmp_class_f32_e64 s[0:1], v21, s33
	s_or_b64 s[52:53], s[52:53], s[0:1]
	s_and_saveexec_b64 s[0:1], s[52:53]
	s_cbranch_execz .LBB462_54
; %bb.53:
	v_sub_f32_e32 v20, v21, v19
	s_mov_b32 s2, 0x3fb8aa3b
	v_mul_f32_e32 v21, 0x3fb8aa3b, v20
	v_fma_f32 v22, v20, s2, -v21
	v_rndne_f32_e32 v23, v21
	v_fmac_f32_e32 v22, 0x32a5705f, v20
	v_sub_f32_e32 v21, v21, v23
	v_add_f32_e32 v21, v21, v22
	v_exp_f32_e32 v21, v21
	v_cvt_i32_f32_e32 v22, v23
	s_mov_b32 s2, 0xc2ce8ed0
	v_cmp_ngt_f32_e64 s[52:53], s2, v20
	s_mov_b32 s2, 0x42b17218
	v_ldexp_f32 v21, v21, v22
	v_cndmask_b32_e64 v21, 0, v21, s[52:53]
	v_mov_b32_e32 v22, 0x7f800000
	v_cmp_nlt_f32_e64 s[52:53], s2, v20
	v_cndmask_b32_e64 v36, v22, v21, s[52:53]
	v_add_f32_e32 v22, 1.0, v36
	v_add_f32_e32 v20, -1.0, v22
	v_sub_f32_e32 v21, v20, v22
	v_add_f32_e32 v21, 1.0, v21
	v_sub_f32_e32 v20, v36, v20
	v_add_f32_e32 v23, v20, v21
	v_frexp_mant_f32_e32 v24, v22
	s_mov_b32 s2, 0x3f2aaaab
	v_cvt_f64_f32_e32 v[20:21], v22
	v_frexp_exp_i32_f64_e32 v20, v[20:21]
	v_cmp_gt_f32_e64 s[52:53], s2, v24
	v_subbrev_co_u32_e64 v24, s[52:53], 0, v20, s[52:53]
	v_sub_u32_e32 v20, 0, v24
	v_ldexp_f32 v21, v22, v20
	v_add_f32_e32 v22, -1.0, v21
	v_add_f32_e32 v26, 1.0, v21
	v_ldexp_f32 v20, v23, v20
	v_add_f32_e32 v23, 1.0, v22
	v_add_f32_e32 v27, -1.0, v26
	v_sub_f32_e32 v23, v21, v23
	v_sub_f32_e32 v21, v21, v27
	v_add_f32_e32 v23, v20, v23
	v_add_f32_e32 v20, v20, v21
	;; [unrolled: 1-line block ×3, first 2 shown]
	v_rcp_f32_e32 v32, v30
	v_sub_f32_e32 v21, v26, v30
	v_add_f32_e32 v31, v20, v21
	v_add_f32_e32 v21, v22, v23
	v_mul_f32_e32 v34, v21, v32
	v_sub_f32_e32 v20, v22, v21
	v_mul_f32_e32 v22, v30, v34
	v_fma_f32 v26, v34, v30, -v22
	v_fmac_f32_e32 v26, v34, v31
	v_add_f32_e32 v33, v23, v20
	v_add_f32_e32 v20, v22, v26
	v_sub_f32_e32 v23, v21, v20
	v_pk_add_f32 v[28:29], v[20:21], v[22:23] neg_lo:[0,1] neg_hi:[0,1]
	v_mov_b32_e32 v27, v20
	v_pk_add_f32 v[20:21], v[28:29], v[26:27] neg_lo:[0,1] neg_hi:[0,1]
	v_add_f32_e32 v21, v33, v21
	v_add_f32_e32 v20, v20, v21
	;; [unrolled: 1-line block ×3, first 2 shown]
	v_mul_f32_e32 v33, v32, v21
	v_mul_f32_e32 v22, v30, v33
	v_fma_f32 v26, v33, v30, -v22
	v_fmac_f32_e32 v26, v33, v31
	v_sub_f32_e32 v23, v23, v21
	v_add_f32_e32 v30, v20, v23
	v_add_f32_e32 v20, v22, v26
	v_sub_f32_e32 v23, v21, v20
	v_pk_add_f32 v[28:29], v[20:21], v[22:23] neg_lo:[0,1] neg_hi:[0,1]
	v_mov_b32_e32 v27, v20
	v_pk_add_f32 v[20:21], v[28:29], v[26:27] neg_lo:[0,1] neg_hi:[0,1]
	v_add_f32_e32 v21, v30, v21
	v_add_f32_e32 v20, v20, v21
	;; [unrolled: 1-line block ×4, first 2 shown]
	v_sub_f32_e32 v21, v23, v34
	v_mul_f32_e32 v20, v32, v20
	v_sub_f32_e32 v21, v33, v21
	v_add_f32_e32 v20, v21, v20
	v_add_f32_e32 v26, v23, v20
	v_mul_f32_e32 v28, v26, v26
	v_mov_b32_e32 v22, 0x3ecc95a3
	v_fmac_f32_e32 v22, 0x3e9b6dac, v28
	v_mov_b32_e32 v21, 0x3f2aaada
	v_fmac_f32_e32 v21, v28, v22
	v_cvt_f32_i32_e32 v22, v24
	v_sub_f32_e32 v23, v26, v23
	v_sub_f32_e32 v20, v20, v23
	v_ldexp_f32 v24, v20, 1
	v_mul_f32_e32 v23, v26, v28
	v_mov_b32_e32 v20, 0x3f317218
	s_mov_b32 s2, 0x3f317218
	v_pk_mul_f32 v[20:21], v[22:23], v[20:21]
	v_ldexp_f32 v27, v26, 1
	v_fma_f32 v26, v22, s2, -v20
	v_fmac_f32_e32 v26, 0xb102e308, v22
	v_pk_add_f32 v[22:23], v[20:21], v[26:27]
	v_sub_f32_e32 v27, v23, v27
	v_sub_f32_e32 v27, v21, v27
	v_add_f32_e32 v29, v24, v27
	v_mov_b32_e32 v28, v20
	v_pk_add_f32 v[20:21], v[22:23], v[20:21] neg_lo:[0,1] neg_hi:[0,1]
	v_pk_add_f32 v[30:31], v[22:23], v[28:29]
	v_mov_b32_e32 v21, v31
	v_mov_b32_e32 v27, v22
	v_pk_add_f32 v[32:33], v[26:27], v[20:21] neg_lo:[0,1] neg_hi:[0,1]
	v_pk_add_f32 v[20:21], v[26:27], v[20:21]
	v_mov_b32_e32 v24, v21
	v_pk_add_f32 v[26:27], v[24:25], v[22:23] neg_lo:[0,1] neg_hi:[0,1]
	v_mov_b32_e32 v27, v26
	v_pk_add_f32 v[34:35], v[30:31], v[26:27] neg_lo:[0,1] neg_hi:[0,1]
	v_mov_b32_e32 v20, v31
	v_mov_b32_e32 v30, v23
	;; [unrolled: 1-line block ×4, first 2 shown]
	v_pk_add_f32 v[20:21], v[20:21], v[30:31] neg_lo:[0,1] neg_hi:[0,1]
	v_mov_b32_e32 v26, v29
	v_mov_b32_e32 v27, v22
	v_pk_add_f32 v[20:21], v[26:27], v[20:21] neg_lo:[0,1] neg_hi:[0,1]
	v_mov_b32_e32 v34, v32
	v_pk_add_f32 v[22:23], v[34:35], v[20:21]
	v_mov_b32_e32 v26, v23
	v_pk_add_f32 v[26:27], v[22:23], v[26:27]
	v_pk_add_f32 v[28:29], v[24:25], v[26:27]
	v_mov_b32_e32 v23, v28
	v_pk_add_f32 v[30:31], v[22:23], v[32:33] neg_lo:[0,1] neg_hi:[0,1]
	v_mov_b32_e32 v21, v26
	v_sub_f32_e32 v22, v22, v30
	v_pk_add_f32 v[20:21], v[20:21], v[30:31] neg_lo:[0,1] neg_hi:[0,1]
	v_sub_f32_e32 v22, v32, v22
	s_mov_b32 s3, 0x7f800000
	v_add_f32_e32 v20, v20, v22
	s_mov_b32 s2, 0x33800000
	v_add_f32_e32 v20, v20, v21
	v_cmp_eq_f32_e64 s[52:53], s3, v36
	v_cmp_lt_f32_e64 s[56:57], |v36|, s2
	v_add_f32_e32 v20, v28, v20
	s_or_b64 s[52:53], s[52:53], s[56:57]
	v_cndmask_b32_e64 v20, v20, v36, s[52:53]
	v_add_f32_e32 v20, v19, v20
.LBB462_54:
	s_or_b64 exec, exec, s[0:1]
	v_bfe_u32 v19, v20, 16, 1
	v_add3_u32 v19, v20, v19, s54
	v_and_b32_e32 v19, 0xffff0000, v19
	v_cmp_o_f32_e64 s[52:53], v20, v20
	v_cndmask_b32_e64 v21, v17, v19, s[52:53]
	v_and_b32_e32 v3, 0xffff0000, v3
	v_max_f32_e32 v17, v21, v21
	v_max_f32_e32 v19, v3, v3
	v_min_f32_e32 v20, v17, v19
	v_cmp_u_f32_e64 s[54:55], v21, v21
	v_max_f32_e32 v17, v17, v19
	v_cndmask_b32_e64 v20, v20, v21, s[54:55]
	v_cmp_u_f32_e64 s[52:53], v3, v3
	v_cndmask_b32_e64 v17, v17, v21, s[54:55]
	v_cndmask_b32_e64 v20, v20, v3, s[52:53]
	;; [unrolled: 1-line block ×3, first 2 shown]
	v_cmp_neq_f32_e64 s[54:55], v20, v17
	v_cmp_class_f32_e64 s[0:1], v20, s33
	s_or_b64 s[54:55], s[54:55], s[0:1]
	s_and_saveexec_b64 s[0:1], s[54:55]
	s_cbranch_execz .LBB462_56
; %bb.55:
	v_sub_f32_e32 v20, v20, v17
	s_mov_b32 s2, 0x3fb8aa3b
	v_mul_f32_e32 v21, 0x3fb8aa3b, v20
	v_fma_f32 v22, v20, s2, -v21
	v_rndne_f32_e32 v23, v21
	v_fmac_f32_e32 v22, 0x32a5705f, v20
	v_sub_f32_e32 v21, v21, v23
	v_add_f32_e32 v21, v21, v22
	v_exp_f32_e32 v21, v21
	v_cvt_i32_f32_e32 v22, v23
	s_mov_b32 s2, 0xc2ce8ed0
	v_cmp_ngt_f32_e64 s[54:55], s2, v20
	s_mov_b32 s2, 0x42b17218
	v_ldexp_f32 v21, v21, v22
	v_cndmask_b32_e64 v21, 0, v21, s[54:55]
	v_mov_b32_e32 v22, 0x7f800000
	v_cmp_nlt_f32_e64 s[54:55], s2, v20
	v_cndmask_b32_e64 v36, v22, v21, s[54:55]
	v_add_f32_e32 v22, 1.0, v36
	v_add_f32_e32 v20, -1.0, v22
	v_sub_f32_e32 v21, v20, v22
	v_add_f32_e32 v21, 1.0, v21
	v_sub_f32_e32 v20, v36, v20
	v_add_f32_e32 v23, v20, v21
	v_frexp_mant_f32_e32 v24, v22
	s_mov_b32 s2, 0x3f2aaaab
	v_cvt_f64_f32_e32 v[20:21], v22
	v_frexp_exp_i32_f64_e32 v20, v[20:21]
	v_cmp_gt_f32_e64 s[54:55], s2, v24
	v_subbrev_co_u32_e64 v24, s[54:55], 0, v20, s[54:55]
	v_sub_u32_e32 v20, 0, v24
	v_ldexp_f32 v21, v22, v20
	v_add_f32_e32 v22, -1.0, v21
	v_add_f32_e32 v26, 1.0, v21
	v_ldexp_f32 v20, v23, v20
	v_add_f32_e32 v23, 1.0, v22
	v_add_f32_e32 v27, -1.0, v26
	v_sub_f32_e32 v23, v21, v23
	v_sub_f32_e32 v21, v21, v27
	v_add_f32_e32 v23, v20, v23
	v_add_f32_e32 v20, v20, v21
	;; [unrolled: 1-line block ×3, first 2 shown]
	v_rcp_f32_e32 v32, v30
	v_sub_f32_e32 v21, v26, v30
	v_add_f32_e32 v31, v20, v21
	v_add_f32_e32 v21, v22, v23
	v_mul_f32_e32 v34, v21, v32
	v_sub_f32_e32 v20, v22, v21
	v_mul_f32_e32 v22, v30, v34
	v_fma_f32 v26, v34, v30, -v22
	v_fmac_f32_e32 v26, v34, v31
	v_add_f32_e32 v33, v23, v20
	v_add_f32_e32 v20, v22, v26
	v_sub_f32_e32 v23, v21, v20
	v_pk_add_f32 v[28:29], v[20:21], v[22:23] neg_lo:[0,1] neg_hi:[0,1]
	v_mov_b32_e32 v27, v20
	v_pk_add_f32 v[20:21], v[28:29], v[26:27] neg_lo:[0,1] neg_hi:[0,1]
	v_add_f32_e32 v21, v33, v21
	v_add_f32_e32 v20, v20, v21
	;; [unrolled: 1-line block ×3, first 2 shown]
	v_mul_f32_e32 v33, v32, v21
	v_mul_f32_e32 v22, v30, v33
	v_fma_f32 v26, v33, v30, -v22
	v_fmac_f32_e32 v26, v33, v31
	v_sub_f32_e32 v23, v23, v21
	v_add_f32_e32 v30, v20, v23
	v_add_f32_e32 v20, v22, v26
	v_sub_f32_e32 v23, v21, v20
	v_pk_add_f32 v[28:29], v[20:21], v[22:23] neg_lo:[0,1] neg_hi:[0,1]
	v_mov_b32_e32 v27, v20
	v_pk_add_f32 v[20:21], v[28:29], v[26:27] neg_lo:[0,1] neg_hi:[0,1]
	v_add_f32_e32 v21, v30, v21
	v_add_f32_e32 v20, v20, v21
	;; [unrolled: 1-line block ×4, first 2 shown]
	v_sub_f32_e32 v21, v23, v34
	v_mul_f32_e32 v20, v32, v20
	v_sub_f32_e32 v21, v33, v21
	v_add_f32_e32 v20, v21, v20
	v_add_f32_e32 v26, v23, v20
	v_mul_f32_e32 v28, v26, v26
	v_mov_b32_e32 v22, 0x3ecc95a3
	v_fmac_f32_e32 v22, 0x3e9b6dac, v28
	v_mov_b32_e32 v21, 0x3f2aaada
	v_fmac_f32_e32 v21, v28, v22
	v_cvt_f32_i32_e32 v22, v24
	v_sub_f32_e32 v23, v26, v23
	v_sub_f32_e32 v20, v20, v23
	v_ldexp_f32 v24, v20, 1
	v_mul_f32_e32 v23, v26, v28
	v_mov_b32_e32 v20, 0x3f317218
	s_mov_b32 s2, 0x3f317218
	v_pk_mul_f32 v[20:21], v[22:23], v[20:21]
	v_ldexp_f32 v27, v26, 1
	v_fma_f32 v26, v22, s2, -v20
	v_fmac_f32_e32 v26, 0xb102e308, v22
	v_pk_add_f32 v[22:23], v[20:21], v[26:27]
	v_sub_f32_e32 v27, v23, v27
	v_sub_f32_e32 v27, v21, v27
	v_add_f32_e32 v29, v24, v27
	v_mov_b32_e32 v28, v20
	v_pk_add_f32 v[20:21], v[22:23], v[20:21] neg_lo:[0,1] neg_hi:[0,1]
	v_pk_add_f32 v[30:31], v[22:23], v[28:29]
	v_mov_b32_e32 v21, v31
	v_mov_b32_e32 v27, v22
	v_pk_add_f32 v[32:33], v[26:27], v[20:21] neg_lo:[0,1] neg_hi:[0,1]
	v_pk_add_f32 v[20:21], v[26:27], v[20:21]
	v_mov_b32_e32 v24, v21
	v_pk_add_f32 v[26:27], v[24:25], v[22:23] neg_lo:[0,1] neg_hi:[0,1]
	v_mov_b32_e32 v27, v26
	v_pk_add_f32 v[34:35], v[30:31], v[26:27] neg_lo:[0,1] neg_hi:[0,1]
	v_mov_b32_e32 v20, v31
	v_mov_b32_e32 v30, v23
	;; [unrolled: 1-line block ×4, first 2 shown]
	v_pk_add_f32 v[20:21], v[20:21], v[30:31] neg_lo:[0,1] neg_hi:[0,1]
	v_mov_b32_e32 v26, v29
	v_mov_b32_e32 v27, v22
	v_pk_add_f32 v[20:21], v[26:27], v[20:21] neg_lo:[0,1] neg_hi:[0,1]
	v_mov_b32_e32 v34, v32
	v_pk_add_f32 v[22:23], v[34:35], v[20:21]
	v_mov_b32_e32 v26, v23
	v_pk_add_f32 v[26:27], v[22:23], v[26:27]
	v_pk_add_f32 v[28:29], v[24:25], v[26:27]
	v_mov_b32_e32 v23, v28
	v_pk_add_f32 v[30:31], v[22:23], v[32:33] neg_lo:[0,1] neg_hi:[0,1]
	v_mov_b32_e32 v21, v26
	v_sub_f32_e32 v22, v22, v30
	v_pk_add_f32 v[20:21], v[20:21], v[30:31] neg_lo:[0,1] neg_hi:[0,1]
	v_sub_f32_e32 v22, v32, v22
	s_mov_b32 s3, 0x7f800000
	v_add_f32_e32 v20, v20, v22
	s_mov_b32 s2, 0x33800000
	v_add_f32_e32 v20, v20, v21
	v_cmp_eq_f32_e64 s[54:55], s3, v36
	v_cmp_lt_f32_e64 s[56:57], |v36|, s2
	v_add_f32_e32 v20, v28, v20
	s_or_b64 s[54:55], s[54:55], s[56:57]
	v_cndmask_b32_e64 v20, v20, v36, s[54:55]
	v_add_f32_e32 v21, v17, v20
.LBB462_56:
	s_or_b64 exec, exec, s[0:1]
	v_bfe_u32 v17, v21, 16, 1
	s_movk_i32 s58, 0x7fff
	v_add3_u32 v17, v21, v17, s58
	v_and_b32_e32 v17, 0xffff0000, v17
	v_mov_b32_e32 v20, 0x7fc00000
	v_cmp_o_f32_e64 s[54:55], v21, v21
	v_cndmask_b32_e64 v23, v20, v17, s[54:55]
	v_lshlrev_b32_e32 v17, 16, v4
	v_max_f32_e32 v22, v23, v23
	v_max_f32_e32 v21, v17, v17
	v_min_f32_e32 v24, v22, v21
	v_cmp_u_f32_e64 s[56:57], v23, v23
	v_max_f32_e32 v22, v22, v21
	v_cndmask_b32_e64 v24, v24, v23, s[56:57]
	v_cmp_u_f32_e64 s[54:55], v17, v17
	v_cndmask_b32_e64 v22, v22, v23, s[56:57]
	v_cndmask_b32_e64 v24, v24, v17, s[54:55]
	;; [unrolled: 1-line block ×3, first 2 shown]
	v_cmp_neq_f32_e64 s[56:57], v24, v22
	v_cmp_class_f32_e64 s[0:1], v24, s33
	s_or_b64 s[56:57], s[56:57], s[0:1]
	s_and_saveexec_b64 s[0:1], s[56:57]
	s_cbranch_execz .LBB462_58
; %bb.57:
	v_sub_f32_e32 v23, v24, v22
	s_mov_b32 s2, 0x3fb8aa3b
	v_mul_f32_e32 v24, 0x3fb8aa3b, v23
	v_fma_f32 v26, v23, s2, -v24
	v_rndne_f32_e32 v27, v24
	v_fmac_f32_e32 v26, 0x32a5705f, v23
	v_sub_f32_e32 v24, v24, v27
	v_add_f32_e32 v24, v24, v26
	v_exp_f32_e32 v24, v24
	v_cvt_i32_f32_e32 v26, v27
	s_mov_b32 s2, 0xc2ce8ed0
	v_cmp_ngt_f32_e64 s[56:57], s2, v23
	s_mov_b32 s2, 0x42b17218
	v_ldexp_f32 v24, v24, v26
	v_cndmask_b32_e64 v24, 0, v24, s[56:57]
	v_mov_b32_e32 v26, 0x7f800000
	v_cmp_nlt_f32_e64 s[56:57], s2, v23
	v_cndmask_b32_e64 v40, v26, v24, s[56:57]
	v_add_f32_e32 v23, 1.0, v40
	v_add_f32_e32 v24, -1.0, v23
	v_sub_f32_e32 v26, v24, v23
	v_add_f32_e32 v26, 1.0, v26
	v_sub_f32_e32 v24, v40, v24
	v_add_f32_e32 v24, v24, v26
	v_frexp_mant_f32_e32 v28, v23
	s_mov_b32 s2, 0x3f2aaaab
	v_cvt_f64_f32_e32 v[26:27], v23
	v_frexp_exp_i32_f64_e32 v26, v[26:27]
	v_cmp_gt_f32_e64 s[56:57], s2, v28
	v_subbrev_co_u32_e64 v34, s[56:57], 0, v26, s[56:57]
	v_sub_u32_e32 v26, 0, v34
	v_ldexp_f32 v23, v23, v26
	v_ldexp_f32 v24, v24, v26
	v_add_f32_e32 v26, -1.0, v23
	v_add_f32_e32 v27, 1.0, v26
	v_sub_f32_e32 v27, v23, v27
	v_add_f32_e32 v28, v24, v27
	v_add_f32_e32 v27, 1.0, v23
	v_add_f32_e32 v29, -1.0, v27
	v_sub_f32_e32 v23, v23, v29
	v_add_f32_e32 v23, v24, v23
	v_add_f32_e32 v24, v27, v23
	v_rcp_f32_e32 v35, v24
	v_sub_f32_e32 v27, v27, v24
	v_add_f32_e32 v23, v23, v27
	v_add_f32_e32 v27, v26, v28
	v_sub_f32_e32 v26, v26, v27
	v_mul_f32_e32 v37, v27, v35
	v_add_f32_e32 v36, v28, v26
	v_mul_f32_e32 v28, v24, v37
	v_fma_f32 v30, v37, v24, -v28
	v_fmac_f32_e32 v30, v37, v23
	v_add_f32_e32 v26, v28, v30
	v_sub_f32_e32 v29, v27, v26
	v_pk_add_f32 v[32:33], v[26:27], v[28:29] neg_lo:[0,1] neg_hi:[0,1]
	v_mov_b32_e32 v31, v26
	v_pk_add_f32 v[26:27], v[32:33], v[30:31] neg_lo:[0,1] neg_hi:[0,1]
	v_add_f32_e32 v27, v36, v27
	v_add_f32_e32 v26, v26, v27
	;; [unrolled: 1-line block ×3, first 2 shown]
	v_mul_f32_e32 v36, v35, v27
	v_mul_f32_e32 v28, v24, v36
	v_fma_f32 v30, v36, v24, -v28
	v_fmac_f32_e32 v30, v36, v23
	v_sub_f32_e32 v23, v29, v27
	v_add_f32_e32 v23, v26, v23
	v_add_f32_e32 v26, v28, v30
	v_sub_f32_e32 v29, v27, v26
	v_pk_add_f32 v[32:33], v[26:27], v[28:29] neg_lo:[0,1] neg_hi:[0,1]
	v_mov_b32_e32 v31, v26
	v_pk_add_f32 v[26:27], v[32:33], v[30:31] neg_lo:[0,1] neg_hi:[0,1]
	v_add_f32_e32 v23, v23, v27
	v_add_f32_e32 v23, v26, v23
	v_add_f32_e32 v24, v37, v36
	v_add_f32_e32 v23, v29, v23
	v_sub_f32_e32 v26, v24, v37
	v_mul_f32_e32 v23, v35, v23
	v_sub_f32_e32 v26, v36, v26
	v_add_f32_e32 v23, v26, v23
	v_add_f32_e32 v26, v24, v23
	v_mul_f32_e32 v29, v26, v26
	v_mov_b32_e32 v28, 0x3ecc95a3
	v_fmac_f32_e32 v28, 0x3e9b6dac, v29
	v_mov_b32_e32 v27, 0x3f2aaada
	v_fmac_f32_e32 v27, v29, v28
	v_cvt_f32_i32_e32 v28, v34
	v_sub_f32_e32 v24, v26, v24
	v_ldexp_f32 v31, v26, 1
	v_mul_f32_e32 v29, v26, v29
	v_mov_b32_e32 v26, 0x3f317218
	s_mov_b32 s2, 0x3f317218
	v_pk_mul_f32 v[26:27], v[28:29], v[26:27]
	v_fma_f32 v30, v28, s2, -v26
	v_fmac_f32_e32 v30, 0xb102e308, v28
	v_pk_add_f32 v[28:29], v[26:27], v[30:31]
	v_sub_f32_e32 v23, v23, v24
	v_sub_f32_e32 v24, v29, v31
	v_ldexp_f32 v23, v23, 1
	v_sub_f32_e32 v24, v27, v24
	v_add_f32_e32 v33, v23, v24
	v_mov_b32_e32 v32, v26
	v_pk_add_f32 v[26:27], v[28:29], v[26:27] neg_lo:[0,1] neg_hi:[0,1]
	v_pk_add_f32 v[34:35], v[28:29], v[32:33]
	v_mov_b32_e32 v27, v35
	v_mov_b32_e32 v31, v28
	v_pk_add_f32 v[36:37], v[30:31], v[26:27] neg_lo:[0,1] neg_hi:[0,1]
	v_pk_add_f32 v[26:27], v[30:31], v[26:27]
	v_mov_b32_e32 v24, v27
	v_pk_add_f32 v[30:31], v[24:25], v[28:29] neg_lo:[0,1] neg_hi:[0,1]
	v_mov_b32_e32 v23, v30
	v_pk_add_f32 v[38:39], v[34:35], v[22:23] neg_lo:[0,1] neg_hi:[0,1]
	v_mov_b32_e32 v26, v35
	v_mov_b32_e32 v34, v29
	;; [unrolled: 1-line block ×4, first 2 shown]
	v_pk_add_f32 v[26:27], v[26:27], v[34:35] neg_lo:[0,1] neg_hi:[0,1]
	v_mov_b32_e32 v30, v33
	v_mov_b32_e32 v31, v28
	v_pk_add_f32 v[26:27], v[30:31], v[26:27] neg_lo:[0,1] neg_hi:[0,1]
	v_mov_b32_e32 v38, v36
	v_pk_add_f32 v[28:29], v[38:39], v[26:27]
	v_mov_b32_e32 v30, v29
	v_pk_add_f32 v[30:31], v[28:29], v[30:31]
	v_pk_add_f32 v[32:33], v[24:25], v[30:31]
	v_mov_b32_e32 v29, v32
	v_pk_add_f32 v[34:35], v[28:29], v[36:37] neg_lo:[0,1] neg_hi:[0,1]
	v_mov_b32_e32 v27, v30
	v_sub_f32_e32 v23, v28, v34
	v_pk_add_f32 v[26:27], v[26:27], v[34:35] neg_lo:[0,1] neg_hi:[0,1]
	v_sub_f32_e32 v23, v36, v23
	s_mov_b32 s3, 0x7f800000
	v_add_f32_e32 v23, v26, v23
	s_mov_b32 s2, 0x33800000
	v_add_f32_e32 v23, v23, v27
	v_cmp_eq_f32_e64 s[56:57], s3, v40
	v_cmp_lt_f32_e64 s[60:61], |v40|, s2
	v_add_f32_e32 v23, v32, v23
	s_or_b64 s[56:57], s[56:57], s[60:61]
	v_cndmask_b32_e64 v23, v23, v40, s[56:57]
	v_add_f32_e32 v23, v22, v23
.LBB462_58:
	s_or_b64 exec, exec, s[0:1]
	v_bfe_u32 v22, v23, 16, 1
	v_add3_u32 v22, v23, v22, s58
	v_and_b32_e32 v22, 0xffff0000, v22
	v_cmp_o_f32_e64 s[56:57], v23, v23
	v_cndmask_b32_e64 v24, v20, v22, s[56:57]
	v_and_b32_e32 v4, 0xffff0000, v4
	v_max_f32_e32 v20, v24, v24
	v_max_f32_e32 v22, v4, v4
	v_min_f32_e32 v23, v20, v22
	v_cmp_u_f32_e64 s[58:59], v24, v24
	v_max_f32_e32 v20, v20, v22
	v_cndmask_b32_e64 v23, v23, v24, s[58:59]
	v_cmp_u_f32_e64 s[56:57], v4, v4
	v_cndmask_b32_e64 v20, v20, v24, s[58:59]
	v_cndmask_b32_e64 v23, v23, v4, s[56:57]
	v_cndmask_b32_e64 v20, v20, v4, s[56:57]
	v_cmp_neq_f32_e64 s[58:59], v23, v20
	v_cmp_class_f32_e64 s[0:1], v23, s33
	s_or_b64 s[58:59], s[58:59], s[0:1]
	s_and_saveexec_b64 s[0:1], s[58:59]
	s_cbranch_execz .LBB462_60
; %bb.59:
	v_sub_f32_e32 v23, v23, v20
	s_mov_b32 s2, 0x3fb8aa3b
	v_mul_f32_e32 v24, 0x3fb8aa3b, v23
	v_fma_f32 v26, v23, s2, -v24
	v_rndne_f32_e32 v27, v24
	v_fmac_f32_e32 v26, 0x32a5705f, v23
	v_sub_f32_e32 v24, v24, v27
	v_add_f32_e32 v24, v24, v26
	v_exp_f32_e32 v24, v24
	v_cvt_i32_f32_e32 v26, v27
	s_mov_b32 s2, 0xc2ce8ed0
	v_cmp_ngt_f32_e64 s[58:59], s2, v23
	s_mov_b32 s2, 0x42b17218
	v_ldexp_f32 v24, v24, v26
	v_cndmask_b32_e64 v24, 0, v24, s[58:59]
	v_mov_b32_e32 v26, 0x7f800000
	v_cmp_nlt_f32_e64 s[58:59], s2, v23
	v_cndmask_b32_e64 v40, v26, v24, s[58:59]
	v_add_f32_e32 v23, 1.0, v40
	v_add_f32_e32 v24, -1.0, v23
	v_sub_f32_e32 v26, v24, v23
	v_add_f32_e32 v26, 1.0, v26
	v_sub_f32_e32 v24, v40, v24
	v_add_f32_e32 v24, v24, v26
	v_frexp_mant_f32_e32 v28, v23
	s_mov_b32 s2, 0x3f2aaaab
	v_cvt_f64_f32_e32 v[26:27], v23
	v_frexp_exp_i32_f64_e32 v26, v[26:27]
	v_cmp_gt_f32_e64 s[58:59], s2, v28
	v_subbrev_co_u32_e64 v34, s[58:59], 0, v26, s[58:59]
	v_sub_u32_e32 v26, 0, v34
	v_ldexp_f32 v23, v23, v26
	v_ldexp_f32 v24, v24, v26
	v_add_f32_e32 v26, -1.0, v23
	v_add_f32_e32 v27, 1.0, v26
	v_sub_f32_e32 v27, v23, v27
	v_add_f32_e32 v28, v24, v27
	v_add_f32_e32 v27, 1.0, v23
	v_add_f32_e32 v29, -1.0, v27
	v_sub_f32_e32 v23, v23, v29
	v_add_f32_e32 v23, v24, v23
	v_add_f32_e32 v24, v27, v23
	v_rcp_f32_e32 v35, v24
	v_sub_f32_e32 v27, v27, v24
	v_add_f32_e32 v23, v23, v27
	v_add_f32_e32 v27, v26, v28
	v_sub_f32_e32 v26, v26, v27
	v_mul_f32_e32 v37, v27, v35
	v_add_f32_e32 v36, v28, v26
	v_mul_f32_e32 v28, v24, v37
	v_fma_f32 v30, v37, v24, -v28
	v_fmac_f32_e32 v30, v37, v23
	v_add_f32_e32 v26, v28, v30
	v_sub_f32_e32 v29, v27, v26
	v_pk_add_f32 v[32:33], v[26:27], v[28:29] neg_lo:[0,1] neg_hi:[0,1]
	v_mov_b32_e32 v31, v26
	v_pk_add_f32 v[26:27], v[32:33], v[30:31] neg_lo:[0,1] neg_hi:[0,1]
	v_add_f32_e32 v27, v36, v27
	v_add_f32_e32 v26, v26, v27
	;; [unrolled: 1-line block ×3, first 2 shown]
	v_mul_f32_e32 v36, v35, v27
	v_mul_f32_e32 v28, v24, v36
	v_fma_f32 v30, v36, v24, -v28
	v_fmac_f32_e32 v30, v36, v23
	v_sub_f32_e32 v23, v29, v27
	v_add_f32_e32 v23, v26, v23
	v_add_f32_e32 v26, v28, v30
	v_sub_f32_e32 v29, v27, v26
	v_pk_add_f32 v[32:33], v[26:27], v[28:29] neg_lo:[0,1] neg_hi:[0,1]
	v_mov_b32_e32 v31, v26
	v_pk_add_f32 v[26:27], v[32:33], v[30:31] neg_lo:[0,1] neg_hi:[0,1]
	v_add_f32_e32 v23, v23, v27
	v_add_f32_e32 v23, v26, v23
	;; [unrolled: 1-line block ×4, first 2 shown]
	v_sub_f32_e32 v26, v24, v37
	v_mul_f32_e32 v23, v35, v23
	v_sub_f32_e32 v26, v36, v26
	v_add_f32_e32 v23, v26, v23
	v_add_f32_e32 v26, v24, v23
	v_mul_f32_e32 v29, v26, v26
	v_mov_b32_e32 v28, 0x3ecc95a3
	v_fmac_f32_e32 v28, 0x3e9b6dac, v29
	v_mov_b32_e32 v27, 0x3f2aaada
	v_fmac_f32_e32 v27, v29, v28
	v_cvt_f32_i32_e32 v28, v34
	v_sub_f32_e32 v24, v26, v24
	v_ldexp_f32 v31, v26, 1
	v_mul_f32_e32 v29, v26, v29
	v_mov_b32_e32 v26, 0x3f317218
	s_mov_b32 s2, 0x3f317218
	v_pk_mul_f32 v[26:27], v[28:29], v[26:27]
	v_fma_f32 v30, v28, s2, -v26
	v_fmac_f32_e32 v30, 0xb102e308, v28
	v_pk_add_f32 v[28:29], v[26:27], v[30:31]
	v_sub_f32_e32 v23, v23, v24
	v_sub_f32_e32 v24, v29, v31
	v_ldexp_f32 v23, v23, 1
	v_sub_f32_e32 v24, v27, v24
	v_add_f32_e32 v33, v23, v24
	v_mov_b32_e32 v32, v26
	v_pk_add_f32 v[26:27], v[28:29], v[26:27] neg_lo:[0,1] neg_hi:[0,1]
	v_pk_add_f32 v[34:35], v[28:29], v[32:33]
	v_mov_b32_e32 v27, v35
	v_mov_b32_e32 v31, v28
	v_pk_add_f32 v[36:37], v[30:31], v[26:27] neg_lo:[0,1] neg_hi:[0,1]
	v_pk_add_f32 v[26:27], v[30:31], v[26:27]
	v_mov_b32_e32 v24, v27
	v_pk_add_f32 v[30:31], v[24:25], v[28:29] neg_lo:[0,1] neg_hi:[0,1]
	v_mov_b32_e32 v23, v30
	v_pk_add_f32 v[38:39], v[34:35], v[22:23] neg_lo:[0,1] neg_hi:[0,1]
	v_mov_b32_e32 v26, v35
	v_mov_b32_e32 v34, v29
	;; [unrolled: 1-line block ×4, first 2 shown]
	v_pk_add_f32 v[26:27], v[26:27], v[34:35] neg_lo:[0,1] neg_hi:[0,1]
	v_mov_b32_e32 v30, v33
	v_mov_b32_e32 v31, v28
	v_pk_add_f32 v[26:27], v[30:31], v[26:27] neg_lo:[0,1] neg_hi:[0,1]
	v_mov_b32_e32 v38, v36
	v_pk_add_f32 v[28:29], v[38:39], v[26:27]
	v_mov_b32_e32 v30, v29
	v_pk_add_f32 v[30:31], v[28:29], v[30:31]
	v_pk_add_f32 v[32:33], v[24:25], v[30:31]
	v_mov_b32_e32 v29, v32
	v_pk_add_f32 v[34:35], v[28:29], v[36:37] neg_lo:[0,1] neg_hi:[0,1]
	v_mov_b32_e32 v27, v30
	v_sub_f32_e32 v23, v28, v34
	v_pk_add_f32 v[26:27], v[26:27], v[34:35] neg_lo:[0,1] neg_hi:[0,1]
	v_sub_f32_e32 v23, v36, v23
	s_mov_b32 s3, 0x7f800000
	v_add_f32_e32 v23, v26, v23
	s_mov_b32 s2, 0x33800000
	v_add_f32_e32 v23, v23, v27
	v_cmp_eq_f32_e64 s[58:59], s3, v40
	v_cmp_lt_f32_e64 s[60:61], |v40|, s2
	v_add_f32_e32 v23, v32, v23
	s_or_b64 s[58:59], s[58:59], s[60:61]
	v_cndmask_b32_e64 v23, v23, v40, s[58:59]
	v_add_f32_e32 v24, v20, v23
.LBB462_60:
	s_or_b64 exec, exec, s[0:1]
	v_bfe_u32 v20, v24, 16, 1
	s_movk_i32 s62, 0x7fff
	v_add3_u32 v20, v24, v20, s62
	v_and_b32_e32 v20, 0xffff0000, v20
	v_mov_b32_e32 v23, 0x7fc00000
	v_cmp_o_f32_e64 s[58:59], v24, v24
	v_cndmask_b32_e64 v27, v23, v20, s[58:59]
	v_lshlrev_b32_e32 v20, 16, v5
	v_max_f32_e32 v26, v27, v27
	v_max_f32_e32 v24, v20, v20
	v_min_f32_e32 v28, v26, v24
	v_cmp_u_f32_e64 s[60:61], v27, v27
	v_max_f32_e32 v26, v26, v24
	v_cndmask_b32_e64 v28, v28, v27, s[60:61]
	v_cmp_u_f32_e64 s[58:59], v20, v20
	v_cndmask_b32_e64 v26, v26, v27, s[60:61]
	v_cndmask_b32_e64 v28, v28, v20, s[58:59]
	;; [unrolled: 1-line block ×3, first 2 shown]
	v_cmp_neq_f32_e64 s[60:61], v28, v26
	v_cmp_class_f32_e64 s[0:1], v28, s33
	s_or_b64 s[60:61], s[60:61], s[0:1]
	s_and_saveexec_b64 s[0:1], s[60:61]
	s_cbranch_execz .LBB462_62
; %bb.61:
	v_sub_f32_e32 v27, v28, v26
	s_mov_b32 s2, 0x3fb8aa3b
	v_mul_f32_e32 v28, 0x3fb8aa3b, v27
	v_fma_f32 v29, v27, s2, -v28
	v_rndne_f32_e32 v30, v28
	v_fmac_f32_e32 v29, 0x32a5705f, v27
	v_sub_f32_e32 v28, v28, v30
	v_add_f32_e32 v28, v28, v29
	v_exp_f32_e32 v28, v28
	v_cvt_i32_f32_e32 v29, v30
	s_mov_b32 s2, 0xc2ce8ed0
	v_cmp_ngt_f32_e64 s[60:61], s2, v27
	s_mov_b32 s2, 0x42b17218
	v_ldexp_f32 v28, v28, v29
	v_cndmask_b32_e64 v28, 0, v28, s[60:61]
	v_mov_b32_e32 v29, 0x7f800000
	v_cmp_nlt_f32_e64 s[60:61], s2, v27
	v_cndmask_b32_e64 v44, v29, v28, s[60:61]
	v_add_f32_e32 v27, 1.0, v44
	v_add_f32_e32 v28, -1.0, v27
	v_sub_f32_e32 v29, v28, v27
	v_add_f32_e32 v29, 1.0, v29
	v_sub_f32_e32 v28, v44, v28
	v_add_f32_e32 v30, v28, v29
	v_frexp_mant_f32_e32 v31, v27
	s_mov_b32 s2, 0x3f2aaaab
	v_cvt_f64_f32_e32 v[28:29], v27
	v_frexp_exp_i32_f64_e32 v28, v[28:29]
	v_cmp_gt_f32_e64 s[60:61], s2, v31
	v_subbrev_co_u32_e64 v36, s[60:61], 0, v28, s[60:61]
	v_sub_u32_e32 v28, 0, v36
	v_ldexp_f32 v27, v27, v28
	v_ldexp_f32 v28, v30, v28
	v_add_f32_e32 v30, -1.0, v27
	v_add_f32_e32 v29, 1.0, v30
	v_sub_f32_e32 v29, v27, v29
	v_add_f32_e32 v31, v28, v29
	v_add_f32_e32 v29, 1.0, v27
	v_add_f32_e32 v32, -1.0, v29
	v_sub_f32_e32 v27, v27, v32
	v_add_f32_e32 v27, v28, v27
	v_add_f32_e32 v37, v29, v27
	v_rcp_f32_e32 v38, v37
	v_sub_f32_e32 v28, v29, v37
	v_add_f32_e32 v29, v30, v31
	v_add_f32_e32 v27, v27, v28
	v_mul_f32_e32 v40, v29, v38
	v_sub_f32_e32 v28, v30, v29
	v_mul_f32_e32 v30, v37, v40
	v_fma_f32 v32, v40, v37, -v30
	v_fmac_f32_e32 v32, v40, v27
	v_add_f32_e32 v39, v31, v28
	v_add_f32_e32 v28, v30, v32
	v_sub_f32_e32 v31, v29, v28
	v_pk_add_f32 v[34:35], v[28:29], v[30:31] neg_lo:[0,1] neg_hi:[0,1]
	v_mov_b32_e32 v33, v28
	v_pk_add_f32 v[28:29], v[34:35], v[32:33] neg_lo:[0,1] neg_hi:[0,1]
	v_add_f32_e32 v29, v39, v29
	v_add_f32_e32 v28, v28, v29
	;; [unrolled: 1-line block ×3, first 2 shown]
	v_mul_f32_e32 v39, v38, v29
	v_mul_f32_e32 v30, v37, v39
	v_fma_f32 v32, v39, v37, -v30
	v_fmac_f32_e32 v32, v39, v27
	v_sub_f32_e32 v27, v31, v29
	v_add_f32_e32 v27, v28, v27
	v_add_f32_e32 v28, v30, v32
	v_sub_f32_e32 v31, v29, v28
	v_pk_add_f32 v[34:35], v[28:29], v[30:31] neg_lo:[0,1] neg_hi:[0,1]
	v_mov_b32_e32 v33, v28
	v_pk_add_f32 v[28:29], v[34:35], v[32:33] neg_lo:[0,1] neg_hi:[0,1]
	v_add_f32_e32 v27, v27, v29
	v_add_f32_e32 v27, v28, v27
	;; [unrolled: 1-line block ×4, first 2 shown]
	v_sub_f32_e32 v29, v28, v40
	v_mul_f32_e32 v27, v38, v27
	v_sub_f32_e32 v29, v39, v29
	v_add_f32_e32 v27, v29, v27
	v_add_f32_e32 v31, v28, v27
	v_mul_f32_e32 v32, v31, v31
	v_mov_b32_e32 v30, 0x3ecc95a3
	v_fmac_f32_e32 v30, 0x3e9b6dac, v32
	v_mov_b32_e32 v29, 0x3f2aaada
	v_fmac_f32_e32 v29, v32, v30
	v_cvt_f32_i32_e32 v30, v36
	v_sub_f32_e32 v28, v31, v28
	v_sub_f32_e32 v27, v27, v28
	v_ldexp_f32 v33, v31, 1
	v_mul_f32_e32 v31, v31, v32
	v_mov_b32_e32 v28, 0x3f317218
	s_mov_b32 s2, 0x3f317218
	v_pk_mul_f32 v[28:29], v[30:31], v[28:29]
	v_fma_f32 v32, v30, s2, -v28
	v_fmac_f32_e32 v32, 0xb102e308, v30
	v_pk_add_f32 v[30:31], v[28:29], v[32:33]
	v_sub_f32_e32 v33, v31, v33
	v_ldexp_f32 v27, v27, 1
	v_sub_f32_e32 v33, v29, v33
	v_add_f32_e32 v35, v27, v33
	v_mov_b32_e32 v34, v28
	v_pk_add_f32 v[28:29], v[30:31], v[28:29] neg_lo:[0,1] neg_hi:[0,1]
	v_pk_add_f32 v[36:37], v[30:31], v[34:35]
	v_mov_b32_e32 v29, v37
	v_mov_b32_e32 v33, v30
	v_pk_add_f32 v[38:39], v[32:33], v[28:29] neg_lo:[0,1] neg_hi:[0,1]
	v_pk_add_f32 v[28:29], v[32:33], v[28:29]
	v_mov_b32_e32 v32, v29
	v_pk_add_f32 v[40:41], v[32:33], v[30:31] neg_lo:[0,1] neg_hi:[0,1]
	v_mov_b32_e32 v27, v40
	v_pk_add_f32 v[42:43], v[36:37], v[26:27] neg_lo:[0,1] neg_hi:[0,1]
	v_mov_b32_e32 v28, v37
	v_mov_b32_e32 v36, v31
	;; [unrolled: 1-line block ×4, first 2 shown]
	v_pk_add_f32 v[28:29], v[28:29], v[36:37] neg_lo:[0,1] neg_hi:[0,1]
	v_mov_b32_e32 v34, v35
	v_mov_b32_e32 v35, v30
	v_pk_add_f32 v[28:29], v[34:35], v[28:29] neg_lo:[0,1] neg_hi:[0,1]
	v_mov_b32_e32 v42, v38
	v_pk_add_f32 v[30:31], v[42:43], v[28:29]
	v_mov_b32_e32 v34, v31
	v_pk_add_f32 v[34:35], v[30:31], v[34:35]
	v_pk_add_f32 v[32:33], v[32:33], v[34:35]
	v_mov_b32_e32 v31, v32
	v_pk_add_f32 v[36:37], v[30:31], v[38:39] neg_lo:[0,1] neg_hi:[0,1]
	v_mov_b32_e32 v29, v34
	v_sub_f32_e32 v27, v30, v36
	v_pk_add_f32 v[28:29], v[28:29], v[36:37] neg_lo:[0,1] neg_hi:[0,1]
	v_sub_f32_e32 v27, v38, v27
	s_mov_b32 s3, 0x7f800000
	v_add_f32_e32 v27, v28, v27
	s_mov_b32 s2, 0x33800000
	v_add_f32_e32 v27, v27, v29
	v_cmp_eq_f32_e64 s[60:61], s3, v44
	v_cmp_lt_f32_e64 s[64:65], |v44|, s2
	v_add_f32_e32 v27, v32, v27
	s_or_b64 s[60:61], s[60:61], s[64:65]
	v_cndmask_b32_e64 v27, v27, v44, s[60:61]
	v_add_f32_e32 v27, v26, v27
.LBB462_62:
	s_or_b64 exec, exec, s[0:1]
	v_bfe_u32 v26, v27, 16, 1
	v_add3_u32 v26, v27, v26, s62
	v_and_b32_e32 v26, 0xffff0000, v26
	v_cmp_o_f32_e64 s[60:61], v27, v27
	v_cndmask_b32_e64 v28, v23, v26, s[60:61]
	v_and_b32_e32 v5, 0xffff0000, v5
	v_max_f32_e32 v23, v28, v28
	v_max_f32_e32 v26, v5, v5
	v_min_f32_e32 v27, v23, v26
	v_cmp_u_f32_e64 s[62:63], v28, v28
	v_max_f32_e32 v23, v23, v26
	v_cndmask_b32_e64 v27, v27, v28, s[62:63]
	v_cmp_u_f32_e64 s[60:61], v5, v5
	v_cndmask_b32_e64 v23, v23, v28, s[62:63]
	v_cndmask_b32_e64 v27, v27, v5, s[60:61]
	v_cndmask_b32_e64 v23, v23, v5, s[60:61]
	v_cmp_neq_f32_e64 s[62:63], v27, v23
	v_cmp_class_f32_e64 s[0:1], v27, s33
	s_or_b64 s[62:63], s[62:63], s[0:1]
	s_and_saveexec_b64 s[0:1], s[62:63]
	s_cbranch_execz .LBB462_64
; %bb.63:
	v_sub_f32_e32 v27, v27, v23
	s_mov_b32 s2, 0x3fb8aa3b
	v_mul_f32_e32 v28, 0x3fb8aa3b, v27
	v_fma_f32 v29, v27, s2, -v28
	v_rndne_f32_e32 v30, v28
	v_fmac_f32_e32 v29, 0x32a5705f, v27
	v_sub_f32_e32 v28, v28, v30
	v_add_f32_e32 v28, v28, v29
	v_exp_f32_e32 v28, v28
	v_cvt_i32_f32_e32 v29, v30
	s_mov_b32 s2, 0xc2ce8ed0
	v_cmp_ngt_f32_e64 s[62:63], s2, v27
	s_mov_b32 s2, 0x42b17218
	v_ldexp_f32 v28, v28, v29
	v_cndmask_b32_e64 v28, 0, v28, s[62:63]
	v_mov_b32_e32 v29, 0x7f800000
	v_cmp_nlt_f32_e64 s[62:63], s2, v27
	v_cndmask_b32_e64 v44, v29, v28, s[62:63]
	v_add_f32_e32 v27, 1.0, v44
	v_add_f32_e32 v28, -1.0, v27
	v_sub_f32_e32 v29, v28, v27
	v_add_f32_e32 v29, 1.0, v29
	v_sub_f32_e32 v28, v44, v28
	v_add_f32_e32 v30, v28, v29
	v_frexp_mant_f32_e32 v31, v27
	s_mov_b32 s2, 0x3f2aaaab
	v_cvt_f64_f32_e32 v[28:29], v27
	v_frexp_exp_i32_f64_e32 v28, v[28:29]
	v_cmp_gt_f32_e64 s[62:63], s2, v31
	v_subbrev_co_u32_e64 v36, s[62:63], 0, v28, s[62:63]
	v_sub_u32_e32 v28, 0, v36
	v_ldexp_f32 v27, v27, v28
	v_ldexp_f32 v28, v30, v28
	v_add_f32_e32 v30, -1.0, v27
	v_add_f32_e32 v29, 1.0, v30
	v_sub_f32_e32 v29, v27, v29
	v_add_f32_e32 v31, v28, v29
	v_add_f32_e32 v29, 1.0, v27
	v_add_f32_e32 v32, -1.0, v29
	v_sub_f32_e32 v27, v27, v32
	v_add_f32_e32 v27, v28, v27
	v_add_f32_e32 v37, v29, v27
	v_rcp_f32_e32 v38, v37
	v_sub_f32_e32 v28, v29, v37
	v_add_f32_e32 v29, v30, v31
	v_add_f32_e32 v27, v27, v28
	v_mul_f32_e32 v40, v29, v38
	v_sub_f32_e32 v28, v30, v29
	v_mul_f32_e32 v30, v37, v40
	v_fma_f32 v32, v40, v37, -v30
	v_fmac_f32_e32 v32, v40, v27
	v_add_f32_e32 v39, v31, v28
	v_add_f32_e32 v28, v30, v32
	v_sub_f32_e32 v31, v29, v28
	v_pk_add_f32 v[34:35], v[28:29], v[30:31] neg_lo:[0,1] neg_hi:[0,1]
	v_mov_b32_e32 v33, v28
	v_pk_add_f32 v[28:29], v[34:35], v[32:33] neg_lo:[0,1] neg_hi:[0,1]
	v_add_f32_e32 v29, v39, v29
	v_add_f32_e32 v28, v28, v29
	;; [unrolled: 1-line block ×3, first 2 shown]
	v_mul_f32_e32 v39, v38, v29
	v_mul_f32_e32 v30, v37, v39
	v_fma_f32 v32, v39, v37, -v30
	v_fmac_f32_e32 v32, v39, v27
	v_sub_f32_e32 v27, v31, v29
	v_add_f32_e32 v27, v28, v27
	v_add_f32_e32 v28, v30, v32
	v_sub_f32_e32 v31, v29, v28
	v_pk_add_f32 v[34:35], v[28:29], v[30:31] neg_lo:[0,1] neg_hi:[0,1]
	v_mov_b32_e32 v33, v28
	v_pk_add_f32 v[28:29], v[34:35], v[32:33] neg_lo:[0,1] neg_hi:[0,1]
	v_add_f32_e32 v27, v27, v29
	v_add_f32_e32 v27, v28, v27
	;; [unrolled: 1-line block ×4, first 2 shown]
	v_sub_f32_e32 v29, v28, v40
	v_mul_f32_e32 v27, v38, v27
	v_sub_f32_e32 v29, v39, v29
	v_add_f32_e32 v27, v29, v27
	v_add_f32_e32 v31, v28, v27
	v_mul_f32_e32 v32, v31, v31
	v_mov_b32_e32 v30, 0x3ecc95a3
	v_fmac_f32_e32 v30, 0x3e9b6dac, v32
	v_mov_b32_e32 v29, 0x3f2aaada
	v_fmac_f32_e32 v29, v32, v30
	v_cvt_f32_i32_e32 v30, v36
	v_sub_f32_e32 v28, v31, v28
	v_sub_f32_e32 v27, v27, v28
	v_ldexp_f32 v33, v31, 1
	v_mul_f32_e32 v31, v31, v32
	v_mov_b32_e32 v28, 0x3f317218
	s_mov_b32 s2, 0x3f317218
	v_pk_mul_f32 v[28:29], v[30:31], v[28:29]
	v_fma_f32 v32, v30, s2, -v28
	v_fmac_f32_e32 v32, 0xb102e308, v30
	v_pk_add_f32 v[30:31], v[28:29], v[32:33]
	v_sub_f32_e32 v33, v31, v33
	v_ldexp_f32 v27, v27, 1
	v_sub_f32_e32 v33, v29, v33
	v_add_f32_e32 v35, v27, v33
	v_mov_b32_e32 v34, v28
	v_pk_add_f32 v[28:29], v[30:31], v[28:29] neg_lo:[0,1] neg_hi:[0,1]
	v_pk_add_f32 v[36:37], v[30:31], v[34:35]
	v_mov_b32_e32 v29, v37
	v_mov_b32_e32 v33, v30
	v_pk_add_f32 v[38:39], v[32:33], v[28:29] neg_lo:[0,1] neg_hi:[0,1]
	v_pk_add_f32 v[28:29], v[32:33], v[28:29]
	v_mov_b32_e32 v32, v29
	v_pk_add_f32 v[40:41], v[32:33], v[30:31] neg_lo:[0,1] neg_hi:[0,1]
	v_mov_b32_e32 v27, v40
	v_pk_add_f32 v[42:43], v[36:37], v[26:27] neg_lo:[0,1] neg_hi:[0,1]
	v_mov_b32_e32 v28, v37
	v_mov_b32_e32 v36, v31
	;; [unrolled: 1-line block ×4, first 2 shown]
	v_pk_add_f32 v[28:29], v[28:29], v[36:37] neg_lo:[0,1] neg_hi:[0,1]
	v_mov_b32_e32 v34, v35
	v_mov_b32_e32 v35, v30
	v_pk_add_f32 v[28:29], v[34:35], v[28:29] neg_lo:[0,1] neg_hi:[0,1]
	v_mov_b32_e32 v42, v38
	v_pk_add_f32 v[30:31], v[42:43], v[28:29]
	v_mov_b32_e32 v34, v31
	v_pk_add_f32 v[34:35], v[30:31], v[34:35]
	v_pk_add_f32 v[32:33], v[32:33], v[34:35]
	v_mov_b32_e32 v31, v32
	v_pk_add_f32 v[36:37], v[30:31], v[38:39] neg_lo:[0,1] neg_hi:[0,1]
	v_mov_b32_e32 v29, v34
	v_sub_f32_e32 v27, v30, v36
	v_pk_add_f32 v[28:29], v[28:29], v[36:37] neg_lo:[0,1] neg_hi:[0,1]
	v_sub_f32_e32 v27, v38, v27
	s_mov_b32 s3, 0x7f800000
	v_add_f32_e32 v27, v28, v27
	s_mov_b32 s2, 0x33800000
	v_add_f32_e32 v27, v27, v29
	v_cmp_eq_f32_e64 s[62:63], s3, v44
	v_cmp_lt_f32_e64 s[64:65], |v44|, s2
	v_add_f32_e32 v27, v32, v27
	s_or_b64 s[62:63], s[62:63], s[64:65]
	v_cndmask_b32_e64 v27, v27, v44, s[62:63]
	v_add_f32_e32 v28, v23, v27
.LBB462_64:
	s_or_b64 exec, exec, s[0:1]
	v_bfe_u32 v23, v28, 16, 1
	s_movk_i32 s66, 0x7fff
	v_add3_u32 v23, v28, v23, s66
	v_and_b32_e32 v23, 0xffff0000, v23
	v_mov_b32_e32 v27, 0x7fc00000
	v_cmp_o_f32_e64 s[62:63], v28, v28
	v_cndmask_b32_e64 v30, v27, v23, s[62:63]
	v_lshlrev_b32_e32 v23, 16, v10
	v_max_f32_e32 v29, v30, v30
	v_max_f32_e32 v28, v23, v23
	v_min_f32_e32 v31, v29, v28
	v_cmp_u_f32_e64 s[64:65], v30, v30
	v_max_f32_e32 v29, v29, v28
	v_cndmask_b32_e64 v31, v31, v30, s[64:65]
	v_cmp_u_f32_e64 s[62:63], v23, v23
	v_cndmask_b32_e64 v29, v29, v30, s[64:65]
	v_cndmask_b32_e64 v31, v31, v23, s[62:63]
	;; [unrolled: 1-line block ×3, first 2 shown]
	v_cmp_neq_f32_e64 s[64:65], v31, v29
	v_cmp_class_f32_e64 s[0:1], v31, s33
	s_or_b64 s[64:65], s[64:65], s[0:1]
	s_and_saveexec_b64 s[0:1], s[64:65]
	s_cbranch_execz .LBB462_66
; %bb.65:
	v_sub_f32_e32 v30, v31, v29
	s_mov_b32 s2, 0x3fb8aa3b
	v_mul_f32_e32 v31, 0x3fb8aa3b, v30
	v_fma_f32 v32, v30, s2, -v31
	v_rndne_f32_e32 v33, v31
	v_fmac_f32_e32 v32, 0x32a5705f, v30
	v_sub_f32_e32 v31, v31, v33
	v_add_f32_e32 v31, v31, v32
	v_exp_f32_e32 v31, v31
	v_cvt_i32_f32_e32 v32, v33
	s_mov_b32 s2, 0xc2ce8ed0
	v_cmp_ngt_f32_e64 s[64:65], s2, v30
	s_mov_b32 s2, 0x42b17218
	v_ldexp_f32 v31, v31, v32
	v_cndmask_b32_e64 v31, 0, v31, s[64:65]
	v_mov_b32_e32 v32, 0x7f800000
	v_cmp_nlt_f32_e64 s[64:65], s2, v30
	v_cndmask_b32_e64 v46, v32, v31, s[64:65]
	v_add_f32_e32 v32, 1.0, v46
	v_add_f32_e32 v30, -1.0, v32
	v_sub_f32_e32 v31, v30, v32
	v_add_f32_e32 v31, 1.0, v31
	v_sub_f32_e32 v30, v46, v30
	v_add_f32_e32 v33, v30, v31
	v_frexp_mant_f32_e32 v34, v32
	s_mov_b32 s2, 0x3f2aaaab
	v_cvt_f64_f32_e32 v[30:31], v32
	v_frexp_exp_i32_f64_e32 v30, v[30:31]
	v_cmp_gt_f32_e64 s[64:65], s2, v34
	v_subbrev_co_u32_e64 v38, s[64:65], 0, v30, s[64:65]
	v_sub_u32_e32 v30, 0, v38
	v_ldexp_f32 v31, v32, v30
	v_add_f32_e32 v32, -1.0, v31
	v_add_f32_e32 v34, 1.0, v31
	v_ldexp_f32 v30, v33, v30
	v_add_f32_e32 v33, 1.0, v32
	v_add_f32_e32 v35, -1.0, v34
	v_sub_f32_e32 v33, v31, v33
	v_sub_f32_e32 v31, v31, v35
	v_add_f32_e32 v33, v30, v33
	v_add_f32_e32 v30, v30, v31
	;; [unrolled: 1-line block ×3, first 2 shown]
	v_rcp_f32_e32 v41, v39
	v_sub_f32_e32 v31, v34, v39
	v_add_f32_e32 v40, v30, v31
	v_add_f32_e32 v31, v32, v33
	v_mul_f32_e32 v43, v31, v41
	v_sub_f32_e32 v30, v32, v31
	v_mul_f32_e32 v32, v39, v43
	v_fma_f32 v34, v43, v39, -v32
	v_fmac_f32_e32 v34, v43, v40
	v_add_f32_e32 v42, v33, v30
	v_add_f32_e32 v30, v32, v34
	v_sub_f32_e32 v33, v31, v30
	v_pk_add_f32 v[36:37], v[30:31], v[32:33] neg_lo:[0,1] neg_hi:[0,1]
	v_mov_b32_e32 v35, v30
	v_pk_add_f32 v[30:31], v[36:37], v[34:35] neg_lo:[0,1] neg_hi:[0,1]
	v_add_f32_e32 v31, v42, v31
	v_add_f32_e32 v30, v30, v31
	;; [unrolled: 1-line block ×3, first 2 shown]
	v_mul_f32_e32 v42, v41, v31
	v_mul_f32_e32 v32, v39, v42
	v_fma_f32 v34, v42, v39, -v32
	v_fmac_f32_e32 v34, v42, v40
	v_sub_f32_e32 v33, v33, v31
	v_add_f32_e32 v39, v30, v33
	v_add_f32_e32 v30, v32, v34
	v_sub_f32_e32 v33, v31, v30
	v_pk_add_f32 v[36:37], v[30:31], v[32:33] neg_lo:[0,1] neg_hi:[0,1]
	v_mov_b32_e32 v35, v30
	v_pk_add_f32 v[30:31], v[36:37], v[34:35] neg_lo:[0,1] neg_hi:[0,1]
	v_add_f32_e32 v31, v39, v31
	v_add_f32_e32 v30, v30, v31
	;; [unrolled: 1-line block ×4, first 2 shown]
	v_sub_f32_e32 v31, v33, v43
	v_mul_f32_e32 v30, v41, v30
	v_sub_f32_e32 v31, v42, v31
	v_add_f32_e32 v30, v31, v30
	v_add_f32_e32 v34, v33, v30
	v_mul_f32_e32 v36, v34, v34
	v_mov_b32_e32 v32, 0x3ecc95a3
	v_fmac_f32_e32 v32, 0x3e9b6dac, v36
	v_mov_b32_e32 v31, 0x3f2aaada
	v_fmac_f32_e32 v31, v36, v32
	v_cvt_f32_i32_e32 v32, v38
	v_sub_f32_e32 v33, v34, v33
	v_sub_f32_e32 v30, v30, v33
	v_ldexp_f32 v37, v30, 1
	v_mul_f32_e32 v33, v34, v36
	v_mov_b32_e32 v30, 0x3f317218
	s_mov_b32 s2, 0x3f317218
	v_pk_mul_f32 v[30:31], v[32:33], v[30:31]
	v_ldexp_f32 v35, v34, 1
	v_fma_f32 v34, v32, s2, -v30
	v_fmac_f32_e32 v34, 0xb102e308, v32
	v_pk_add_f32 v[32:33], v[30:31], v[34:35]
	v_sub_f32_e32 v35, v33, v35
	v_sub_f32_e32 v35, v31, v35
	v_add_f32_e32 v37, v37, v35
	v_mov_b32_e32 v36, v30
	v_pk_add_f32 v[30:31], v[32:33], v[30:31] neg_lo:[0,1] neg_hi:[0,1]
	v_pk_add_f32 v[38:39], v[32:33], v[36:37]
	v_mov_b32_e32 v31, v39
	v_mov_b32_e32 v35, v32
	v_pk_add_f32 v[40:41], v[34:35], v[30:31] neg_lo:[0,1] neg_hi:[0,1]
	v_pk_add_f32 v[30:31], v[34:35], v[30:31]
	v_mov_b32_e32 v34, v31
	v_pk_add_f32 v[42:43], v[34:35], v[32:33] neg_lo:[0,1] neg_hi:[0,1]
	v_mov_b32_e32 v35, v42
	v_pk_add_f32 v[44:45], v[38:39], v[34:35] neg_lo:[0,1] neg_hi:[0,1]
	v_mov_b32_e32 v30, v39
	v_mov_b32_e32 v38, v33
	;; [unrolled: 1-line block ×4, first 2 shown]
	v_pk_add_f32 v[30:31], v[30:31], v[38:39] neg_lo:[0,1] neg_hi:[0,1]
	v_mov_b32_e32 v36, v37
	v_mov_b32_e32 v37, v32
	v_pk_add_f32 v[30:31], v[36:37], v[30:31] neg_lo:[0,1] neg_hi:[0,1]
	v_mov_b32_e32 v44, v40
	v_pk_add_f32 v[32:33], v[44:45], v[30:31]
	v_mov_b32_e32 v36, v33
	v_pk_add_f32 v[36:37], v[32:33], v[36:37]
	v_pk_add_f32 v[34:35], v[34:35], v[36:37]
	v_mov_b32_e32 v33, v34
	v_pk_add_f32 v[38:39], v[32:33], v[40:41] neg_lo:[0,1] neg_hi:[0,1]
	v_mov_b32_e32 v31, v36
	v_sub_f32_e32 v32, v32, v38
	v_pk_add_f32 v[30:31], v[30:31], v[38:39] neg_lo:[0,1] neg_hi:[0,1]
	v_sub_f32_e32 v32, v40, v32
	s_mov_b32 s3, 0x7f800000
	v_add_f32_e32 v30, v30, v32
	s_mov_b32 s2, 0x33800000
	v_add_f32_e32 v30, v30, v31
	v_cmp_eq_f32_e64 s[64:65], s3, v46
	v_cmp_lt_f32_e64 s[68:69], |v46|, s2
	v_add_f32_e32 v30, v34, v30
	s_or_b64 s[64:65], s[64:65], s[68:69]
	v_cndmask_b32_e64 v30, v30, v46, s[64:65]
	v_add_f32_e32 v30, v29, v30
.LBB462_66:
	s_or_b64 exec, exec, s[0:1]
	v_bfe_u32 v29, v30, 16, 1
	v_add3_u32 v29, v30, v29, s66
	v_and_b32_e32 v29, 0xffff0000, v29
	v_cmp_o_f32_e64 s[64:65], v30, v30
	v_cndmask_b32_e64 v31, v27, v29, s[64:65]
	v_and_b32_e32 v10, 0xffff0000, v10
	v_max_f32_e32 v27, v31, v31
	v_max_f32_e32 v29, v10, v10
	v_min_f32_e32 v30, v27, v29
	v_cmp_u_f32_e64 s[66:67], v31, v31
	v_max_f32_e32 v27, v27, v29
	v_cndmask_b32_e64 v30, v30, v31, s[66:67]
	v_cmp_u_f32_e64 s[64:65], v10, v10
	v_cndmask_b32_e64 v27, v27, v31, s[66:67]
	v_cndmask_b32_e64 v30, v30, v10, s[64:65]
	;; [unrolled: 1-line block ×3, first 2 shown]
	v_cmp_neq_f32_e64 s[66:67], v30, v27
	v_cmp_class_f32_e64 s[0:1], v30, s33
	s_or_b64 s[66:67], s[66:67], s[0:1]
	s_and_saveexec_b64 s[0:1], s[66:67]
	s_cbranch_execz .LBB462_68
; %bb.67:
	v_sub_f32_e32 v30, v30, v27
	s_mov_b32 s2, 0x3fb8aa3b
	v_mul_f32_e32 v31, 0x3fb8aa3b, v30
	v_fma_f32 v32, v30, s2, -v31
	v_rndne_f32_e32 v33, v31
	v_fmac_f32_e32 v32, 0x32a5705f, v30
	v_sub_f32_e32 v31, v31, v33
	v_add_f32_e32 v31, v31, v32
	v_exp_f32_e32 v31, v31
	v_cvt_i32_f32_e32 v32, v33
	s_mov_b32 s2, 0xc2ce8ed0
	v_cmp_ngt_f32_e64 s[66:67], s2, v30
	s_mov_b32 s2, 0x42b17218
	v_ldexp_f32 v31, v31, v32
	v_cndmask_b32_e64 v31, 0, v31, s[66:67]
	v_mov_b32_e32 v32, 0x7f800000
	v_cmp_nlt_f32_e64 s[66:67], s2, v30
	v_cndmask_b32_e64 v46, v32, v31, s[66:67]
	v_add_f32_e32 v32, 1.0, v46
	v_add_f32_e32 v30, -1.0, v32
	v_sub_f32_e32 v31, v30, v32
	v_add_f32_e32 v31, 1.0, v31
	v_sub_f32_e32 v30, v46, v30
	v_add_f32_e32 v33, v30, v31
	v_frexp_mant_f32_e32 v34, v32
	s_mov_b32 s2, 0x3f2aaaab
	v_cvt_f64_f32_e32 v[30:31], v32
	v_frexp_exp_i32_f64_e32 v30, v[30:31]
	v_cmp_gt_f32_e64 s[66:67], s2, v34
	v_subbrev_co_u32_e64 v38, s[66:67], 0, v30, s[66:67]
	v_sub_u32_e32 v30, 0, v38
	v_ldexp_f32 v31, v32, v30
	v_add_f32_e32 v32, -1.0, v31
	v_add_f32_e32 v34, 1.0, v31
	v_ldexp_f32 v30, v33, v30
	v_add_f32_e32 v33, 1.0, v32
	v_add_f32_e32 v35, -1.0, v34
	v_sub_f32_e32 v33, v31, v33
	v_sub_f32_e32 v31, v31, v35
	v_add_f32_e32 v33, v30, v33
	v_add_f32_e32 v30, v30, v31
	;; [unrolled: 1-line block ×3, first 2 shown]
	v_rcp_f32_e32 v41, v39
	v_sub_f32_e32 v31, v34, v39
	v_add_f32_e32 v40, v30, v31
	v_add_f32_e32 v31, v32, v33
	v_mul_f32_e32 v43, v31, v41
	v_sub_f32_e32 v30, v32, v31
	v_mul_f32_e32 v32, v39, v43
	v_fma_f32 v34, v43, v39, -v32
	v_fmac_f32_e32 v34, v43, v40
	v_add_f32_e32 v42, v33, v30
	v_add_f32_e32 v30, v32, v34
	v_sub_f32_e32 v33, v31, v30
	v_pk_add_f32 v[36:37], v[30:31], v[32:33] neg_lo:[0,1] neg_hi:[0,1]
	v_mov_b32_e32 v35, v30
	v_pk_add_f32 v[30:31], v[36:37], v[34:35] neg_lo:[0,1] neg_hi:[0,1]
	v_add_f32_e32 v31, v42, v31
	v_add_f32_e32 v30, v30, v31
	;; [unrolled: 1-line block ×3, first 2 shown]
	v_mul_f32_e32 v42, v41, v31
	v_mul_f32_e32 v32, v39, v42
	v_fma_f32 v34, v42, v39, -v32
	v_fmac_f32_e32 v34, v42, v40
	v_sub_f32_e32 v33, v33, v31
	v_add_f32_e32 v39, v30, v33
	v_add_f32_e32 v30, v32, v34
	v_sub_f32_e32 v33, v31, v30
	v_pk_add_f32 v[36:37], v[30:31], v[32:33] neg_lo:[0,1] neg_hi:[0,1]
	v_mov_b32_e32 v35, v30
	v_pk_add_f32 v[30:31], v[36:37], v[34:35] neg_lo:[0,1] neg_hi:[0,1]
	v_add_f32_e32 v31, v39, v31
	v_add_f32_e32 v30, v30, v31
	;; [unrolled: 1-line block ×4, first 2 shown]
	v_sub_f32_e32 v31, v33, v43
	v_mul_f32_e32 v30, v41, v30
	v_sub_f32_e32 v31, v42, v31
	v_add_f32_e32 v30, v31, v30
	v_add_f32_e32 v34, v33, v30
	v_mul_f32_e32 v36, v34, v34
	v_mov_b32_e32 v32, 0x3ecc95a3
	v_fmac_f32_e32 v32, 0x3e9b6dac, v36
	v_mov_b32_e32 v31, 0x3f2aaada
	v_fmac_f32_e32 v31, v36, v32
	v_cvt_f32_i32_e32 v32, v38
	v_sub_f32_e32 v33, v34, v33
	v_sub_f32_e32 v30, v30, v33
	v_ldexp_f32 v37, v30, 1
	v_mul_f32_e32 v33, v34, v36
	v_mov_b32_e32 v30, 0x3f317218
	s_mov_b32 s2, 0x3f317218
	v_pk_mul_f32 v[30:31], v[32:33], v[30:31]
	v_ldexp_f32 v35, v34, 1
	v_fma_f32 v34, v32, s2, -v30
	v_fmac_f32_e32 v34, 0xb102e308, v32
	v_pk_add_f32 v[32:33], v[30:31], v[34:35]
	v_sub_f32_e32 v35, v33, v35
	v_sub_f32_e32 v35, v31, v35
	v_add_f32_e32 v37, v37, v35
	v_mov_b32_e32 v36, v30
	v_pk_add_f32 v[30:31], v[32:33], v[30:31] neg_lo:[0,1] neg_hi:[0,1]
	v_pk_add_f32 v[38:39], v[32:33], v[36:37]
	v_mov_b32_e32 v31, v39
	v_mov_b32_e32 v35, v32
	v_pk_add_f32 v[40:41], v[34:35], v[30:31] neg_lo:[0,1] neg_hi:[0,1]
	v_pk_add_f32 v[30:31], v[34:35], v[30:31]
	v_mov_b32_e32 v34, v31
	v_pk_add_f32 v[42:43], v[34:35], v[32:33] neg_lo:[0,1] neg_hi:[0,1]
	v_mov_b32_e32 v35, v42
	v_pk_add_f32 v[44:45], v[38:39], v[34:35] neg_lo:[0,1] neg_hi:[0,1]
	v_mov_b32_e32 v30, v39
	v_mov_b32_e32 v38, v33
	;; [unrolled: 1-line block ×4, first 2 shown]
	v_pk_add_f32 v[30:31], v[30:31], v[38:39] neg_lo:[0,1] neg_hi:[0,1]
	v_mov_b32_e32 v36, v37
	v_mov_b32_e32 v37, v32
	v_pk_add_f32 v[30:31], v[36:37], v[30:31] neg_lo:[0,1] neg_hi:[0,1]
	v_mov_b32_e32 v44, v40
	v_pk_add_f32 v[32:33], v[44:45], v[30:31]
	v_mov_b32_e32 v36, v33
	v_pk_add_f32 v[36:37], v[32:33], v[36:37]
	v_pk_add_f32 v[34:35], v[34:35], v[36:37]
	v_mov_b32_e32 v33, v34
	v_pk_add_f32 v[38:39], v[32:33], v[40:41] neg_lo:[0,1] neg_hi:[0,1]
	v_mov_b32_e32 v31, v36
	v_sub_f32_e32 v32, v32, v38
	v_pk_add_f32 v[30:31], v[30:31], v[38:39] neg_lo:[0,1] neg_hi:[0,1]
	v_sub_f32_e32 v32, v40, v32
	s_mov_b32 s3, 0x7f800000
	v_add_f32_e32 v30, v30, v32
	s_mov_b32 s2, 0x33800000
	v_add_f32_e32 v30, v30, v31
	v_cmp_eq_f32_e64 s[66:67], s3, v46
	v_cmp_lt_f32_e64 s[68:69], |v46|, s2
	v_add_f32_e32 v30, v34, v30
	s_or_b64 s[66:67], s[66:67], s[68:69]
	v_cndmask_b32_e64 v30, v30, v46, s[66:67]
	v_add_f32_e32 v31, v27, v30
.LBB462_68:
	s_or_b64 exec, exec, s[0:1]
	v_bfe_u32 v27, v31, 16, 1
	s_movk_i32 s70, 0x7fff
	v_add3_u32 v27, v31, v27, s70
	v_and_b32_e32 v27, 0xffff0000, v27
	v_mov_b32_e32 v30, 0x7fc00000
	v_cmp_o_f32_e64 s[66:67], v31, v31
	v_cndmask_b32_e64 v33, v30, v27, s[66:67]
	v_lshlrev_b32_e32 v27, 16, v11
	v_max_f32_e32 v32, v33, v33
	v_max_f32_e32 v31, v27, v27
	v_min_f32_e32 v34, v32, v31
	v_cmp_u_f32_e64 s[68:69], v33, v33
	v_max_f32_e32 v32, v32, v31
	v_cndmask_b32_e64 v34, v34, v33, s[68:69]
	v_cmp_u_f32_e64 s[66:67], v27, v27
	v_cndmask_b32_e64 v32, v32, v33, s[68:69]
	v_cndmask_b32_e64 v34, v34, v27, s[66:67]
	;; [unrolled: 1-line block ×3, first 2 shown]
	v_cmp_neq_f32_e64 s[68:69], v34, v32
	v_cmp_class_f32_e64 s[0:1], v34, s33
	s_or_b64 s[68:69], s[68:69], s[0:1]
	s_and_saveexec_b64 s[0:1], s[68:69]
	s_cbranch_execz .LBB462_70
; %bb.69:
	v_sub_f32_e32 v33, v34, v32
	s_mov_b32 s2, 0x3fb8aa3b
	v_mul_f32_e32 v34, 0x3fb8aa3b, v33
	v_fma_f32 v35, v33, s2, -v34
	v_rndne_f32_e32 v36, v34
	v_fmac_f32_e32 v35, 0x32a5705f, v33
	v_sub_f32_e32 v34, v34, v36
	v_add_f32_e32 v34, v34, v35
	v_exp_f32_e32 v34, v34
	v_cvt_i32_f32_e32 v35, v36
	s_mov_b32 s2, 0xc2ce8ed0
	v_cmp_ngt_f32_e64 s[68:69], s2, v33
	s_mov_b32 s2, 0x42b17218
	v_ldexp_f32 v34, v34, v35
	v_cndmask_b32_e64 v34, 0, v34, s[68:69]
	v_mov_b32_e32 v35, 0x7f800000
	v_cmp_nlt_f32_e64 s[68:69], s2, v33
	v_cndmask_b32_e64 v54, v35, v34, s[68:69]
	v_add_f32_e32 v33, 1.0, v54
	v_add_f32_e32 v34, -1.0, v33
	v_sub_f32_e32 v35, v34, v33
	v_add_f32_e32 v35, 1.0, v35
	v_sub_f32_e32 v34, v54, v34
	v_add_f32_e32 v36, v34, v35
	v_frexp_mant_f32_e32 v37, v33
	s_mov_b32 s2, 0x3f2aaaab
	v_cvt_f64_f32_e32 v[34:35], v33
	v_frexp_exp_i32_f64_e32 v34, v[34:35]
	v_cmp_gt_f32_e64 s[68:69], s2, v37
	v_subbrev_co_u32_e64 v42, s[68:69], 0, v34, s[68:69]
	v_sub_u32_e32 v34, 0, v42
	v_ldexp_f32 v33, v33, v34
	v_ldexp_f32 v34, v36, v34
	v_add_f32_e32 v36, -1.0, v33
	v_add_f32_e32 v35, 1.0, v36
	v_sub_f32_e32 v35, v33, v35
	v_add_f32_e32 v37, v34, v35
	v_add_f32_e32 v35, 1.0, v33
	v_add_f32_e32 v38, -1.0, v35
	v_sub_f32_e32 v33, v33, v38
	v_add_f32_e32 v33, v34, v33
	v_add_f32_e32 v43, v35, v33
	v_rcp_f32_e32 v44, v43
	v_sub_f32_e32 v34, v35, v43
	v_add_f32_e32 v35, v36, v37
	v_add_f32_e32 v33, v33, v34
	v_mul_f32_e32 v46, v35, v44
	v_sub_f32_e32 v34, v36, v35
	v_mul_f32_e32 v36, v43, v46
	v_fma_f32 v38, v46, v43, -v36
	v_fmac_f32_e32 v38, v46, v33
	v_add_f32_e32 v45, v37, v34
	v_add_f32_e32 v34, v36, v38
	v_sub_f32_e32 v37, v35, v34
	v_pk_add_f32 v[40:41], v[34:35], v[36:37] neg_lo:[0,1] neg_hi:[0,1]
	v_mov_b32_e32 v39, v34
	v_pk_add_f32 v[34:35], v[40:41], v[38:39] neg_lo:[0,1] neg_hi:[0,1]
	v_add_f32_e32 v35, v45, v35
	v_add_f32_e32 v34, v34, v35
	;; [unrolled: 1-line block ×3, first 2 shown]
	v_mul_f32_e32 v45, v44, v35
	v_mul_f32_e32 v36, v43, v45
	v_fma_f32 v38, v45, v43, -v36
	v_fmac_f32_e32 v38, v45, v33
	v_sub_f32_e32 v33, v37, v35
	v_add_f32_e32 v33, v34, v33
	v_add_f32_e32 v34, v36, v38
	v_sub_f32_e32 v37, v35, v34
	v_pk_add_f32 v[40:41], v[34:35], v[36:37] neg_lo:[0,1] neg_hi:[0,1]
	v_mov_b32_e32 v39, v34
	v_pk_add_f32 v[34:35], v[40:41], v[38:39] neg_lo:[0,1] neg_hi:[0,1]
	v_add_f32_e32 v33, v33, v35
	v_add_f32_e32 v33, v34, v33
	;; [unrolled: 1-line block ×4, first 2 shown]
	v_sub_f32_e32 v35, v34, v46
	v_mul_f32_e32 v33, v44, v33
	v_sub_f32_e32 v35, v45, v35
	v_add_f32_e32 v33, v35, v33
	v_add_f32_e32 v37, v34, v33
	v_mul_f32_e32 v38, v37, v37
	v_mov_b32_e32 v36, 0x3ecc95a3
	v_fmac_f32_e32 v36, 0x3e9b6dac, v38
	v_mov_b32_e32 v35, 0x3f2aaada
	v_fmac_f32_e32 v35, v38, v36
	v_cvt_f32_i32_e32 v36, v42
	v_sub_f32_e32 v34, v37, v34
	v_sub_f32_e32 v33, v33, v34
	v_ldexp_f32 v39, v37, 1
	v_mul_f32_e32 v37, v37, v38
	v_mov_b32_e32 v34, 0x3f317218
	s_mov_b32 s2, 0x3f317218
	v_pk_mul_f32 v[34:35], v[36:37], v[34:35]
	v_fma_f32 v38, v36, s2, -v34
	v_fmac_f32_e32 v38, 0xb102e308, v36
	v_pk_add_f32 v[36:37], v[34:35], v[38:39]
	v_sub_f32_e32 v39, v37, v39
	v_ldexp_f32 v33, v33, 1
	v_sub_f32_e32 v39, v35, v39
	v_add_f32_e32 v41, v33, v39
	v_mov_b32_e32 v40, v34
	v_pk_add_f32 v[34:35], v[36:37], v[34:35] neg_lo:[0,1] neg_hi:[0,1]
	v_pk_add_f32 v[42:43], v[36:37], v[40:41]
	v_mov_b32_e32 v35, v43
	v_mov_b32_e32 v39, v36
	v_pk_add_f32 v[44:45], v[38:39], v[34:35] neg_lo:[0,1] neg_hi:[0,1]
	v_pk_add_f32 v[34:35], v[38:39], v[34:35]
	v_mov_b32_e32 v38, v35
	v_pk_add_f32 v[46:47], v[38:39], v[36:37] neg_lo:[0,1] neg_hi:[0,1]
	v_mov_b32_e32 v33, v46
	v_pk_add_f32 v[48:49], v[42:43], v[32:33] neg_lo:[0,1] neg_hi:[0,1]
	v_mov_b32_e32 v34, v43
	v_mov_b32_e32 v42, v37
	;; [unrolled: 1-line block ×4, first 2 shown]
	v_pk_add_f32 v[34:35], v[34:35], v[42:43] neg_lo:[0,1] neg_hi:[0,1]
	v_mov_b32_e32 v40, v41
	v_mov_b32_e32 v41, v36
	v_pk_add_f32 v[34:35], v[40:41], v[34:35] neg_lo:[0,1] neg_hi:[0,1]
	v_mov_b32_e32 v48, v44
	v_pk_add_f32 v[36:37], v[48:49], v[34:35]
	v_mov_b32_e32 v40, v37
	v_pk_add_f32 v[40:41], v[36:37], v[40:41]
	v_pk_add_f32 v[38:39], v[38:39], v[40:41]
	v_mov_b32_e32 v37, v38
	v_pk_add_f32 v[42:43], v[36:37], v[44:45] neg_lo:[0,1] neg_hi:[0,1]
	v_mov_b32_e32 v35, v40
	v_sub_f32_e32 v33, v36, v42
	v_pk_add_f32 v[34:35], v[34:35], v[42:43] neg_lo:[0,1] neg_hi:[0,1]
	v_sub_f32_e32 v33, v44, v33
	s_mov_b32 s3, 0x7f800000
	v_add_f32_e32 v33, v34, v33
	s_mov_b32 s2, 0x33800000
	v_add_f32_e32 v33, v33, v35
	v_cmp_eq_f32_e64 s[68:69], s3, v54
	v_cmp_lt_f32_e64 s[72:73], |v54|, s2
	v_add_f32_e32 v33, v38, v33
	s_or_b64 s[68:69], s[68:69], s[72:73]
	v_cndmask_b32_e64 v33, v33, v54, s[68:69]
	v_add_f32_e32 v33, v32, v33
.LBB462_70:
	s_or_b64 exec, exec, s[0:1]
	v_bfe_u32 v32, v33, 16, 1
	v_add3_u32 v32, v33, v32, s70
	v_and_b32_e32 v32, 0xffff0000, v32
	v_cmp_o_f32_e64 s[68:69], v33, v33
	v_cndmask_b32_e64 v34, v30, v32, s[68:69]
	v_and_b32_e32 v11, 0xffff0000, v11
	v_max_f32_e32 v30, v34, v34
	v_max_f32_e32 v32, v11, v11
	v_min_f32_e32 v33, v30, v32
	v_cmp_u_f32_e64 s[70:71], v34, v34
	v_max_f32_e32 v30, v30, v32
	v_cndmask_b32_e64 v33, v33, v34, s[70:71]
	v_cmp_u_f32_e64 s[68:69], v11, v11
	v_cndmask_b32_e64 v30, v30, v34, s[70:71]
	v_cndmask_b32_e64 v33, v33, v11, s[68:69]
	;; [unrolled: 1-line block ×3, first 2 shown]
	v_cmp_neq_f32_e64 s[70:71], v33, v30
	v_cmp_class_f32_e64 s[0:1], v33, s33
	s_or_b64 s[70:71], s[70:71], s[0:1]
	s_and_saveexec_b64 s[0:1], s[70:71]
	s_cbranch_execz .LBB462_72
; %bb.71:
	v_sub_f32_e32 v33, v33, v30
	s_mov_b32 s2, 0x3fb8aa3b
	v_mul_f32_e32 v34, 0x3fb8aa3b, v33
	v_fma_f32 v35, v33, s2, -v34
	v_rndne_f32_e32 v36, v34
	v_fmac_f32_e32 v35, 0x32a5705f, v33
	v_sub_f32_e32 v34, v34, v36
	v_add_f32_e32 v34, v34, v35
	v_exp_f32_e32 v34, v34
	v_cvt_i32_f32_e32 v35, v36
	s_mov_b32 s2, 0xc2ce8ed0
	v_cmp_ngt_f32_e64 s[70:71], s2, v33
	s_mov_b32 s2, 0x42b17218
	v_ldexp_f32 v34, v34, v35
	v_cndmask_b32_e64 v34, 0, v34, s[70:71]
	v_mov_b32_e32 v35, 0x7f800000
	v_cmp_nlt_f32_e64 s[70:71], s2, v33
	v_cndmask_b32_e64 v54, v35, v34, s[70:71]
	v_add_f32_e32 v33, 1.0, v54
	v_add_f32_e32 v34, -1.0, v33
	v_sub_f32_e32 v35, v34, v33
	v_add_f32_e32 v35, 1.0, v35
	v_sub_f32_e32 v34, v54, v34
	v_add_f32_e32 v36, v34, v35
	v_frexp_mant_f32_e32 v37, v33
	s_mov_b32 s2, 0x3f2aaaab
	v_cvt_f64_f32_e32 v[34:35], v33
	v_frexp_exp_i32_f64_e32 v34, v[34:35]
	v_cmp_gt_f32_e64 s[70:71], s2, v37
	v_subbrev_co_u32_e64 v42, s[70:71], 0, v34, s[70:71]
	v_sub_u32_e32 v34, 0, v42
	v_ldexp_f32 v33, v33, v34
	v_ldexp_f32 v34, v36, v34
	v_add_f32_e32 v36, -1.0, v33
	v_add_f32_e32 v35, 1.0, v36
	v_sub_f32_e32 v35, v33, v35
	v_add_f32_e32 v37, v34, v35
	v_add_f32_e32 v35, 1.0, v33
	v_add_f32_e32 v38, -1.0, v35
	v_sub_f32_e32 v33, v33, v38
	v_add_f32_e32 v33, v34, v33
	v_add_f32_e32 v43, v35, v33
	v_rcp_f32_e32 v44, v43
	v_sub_f32_e32 v34, v35, v43
	v_add_f32_e32 v35, v36, v37
	v_add_f32_e32 v33, v33, v34
	v_mul_f32_e32 v46, v35, v44
	v_sub_f32_e32 v34, v36, v35
	v_mul_f32_e32 v36, v43, v46
	v_fma_f32 v38, v46, v43, -v36
	v_fmac_f32_e32 v38, v46, v33
	v_add_f32_e32 v45, v37, v34
	v_add_f32_e32 v34, v36, v38
	v_sub_f32_e32 v37, v35, v34
	v_pk_add_f32 v[40:41], v[34:35], v[36:37] neg_lo:[0,1] neg_hi:[0,1]
	v_mov_b32_e32 v39, v34
	v_pk_add_f32 v[34:35], v[40:41], v[38:39] neg_lo:[0,1] neg_hi:[0,1]
	v_add_f32_e32 v35, v45, v35
	v_add_f32_e32 v34, v34, v35
	;; [unrolled: 1-line block ×3, first 2 shown]
	v_mul_f32_e32 v45, v44, v35
	v_mul_f32_e32 v36, v43, v45
	v_fma_f32 v38, v45, v43, -v36
	v_fmac_f32_e32 v38, v45, v33
	v_sub_f32_e32 v33, v37, v35
	v_add_f32_e32 v33, v34, v33
	v_add_f32_e32 v34, v36, v38
	v_sub_f32_e32 v37, v35, v34
	v_pk_add_f32 v[40:41], v[34:35], v[36:37] neg_lo:[0,1] neg_hi:[0,1]
	v_mov_b32_e32 v39, v34
	v_pk_add_f32 v[34:35], v[40:41], v[38:39] neg_lo:[0,1] neg_hi:[0,1]
	v_add_f32_e32 v33, v33, v35
	v_add_f32_e32 v33, v34, v33
	;; [unrolled: 1-line block ×4, first 2 shown]
	v_sub_f32_e32 v35, v34, v46
	v_mul_f32_e32 v33, v44, v33
	v_sub_f32_e32 v35, v45, v35
	v_add_f32_e32 v33, v35, v33
	v_add_f32_e32 v37, v34, v33
	v_mul_f32_e32 v38, v37, v37
	v_mov_b32_e32 v36, 0x3ecc95a3
	v_fmac_f32_e32 v36, 0x3e9b6dac, v38
	v_mov_b32_e32 v35, 0x3f2aaada
	v_fmac_f32_e32 v35, v38, v36
	v_cvt_f32_i32_e32 v36, v42
	v_sub_f32_e32 v34, v37, v34
	v_sub_f32_e32 v33, v33, v34
	v_ldexp_f32 v39, v37, 1
	v_mul_f32_e32 v37, v37, v38
	v_mov_b32_e32 v34, 0x3f317218
	s_mov_b32 s2, 0x3f317218
	v_pk_mul_f32 v[34:35], v[36:37], v[34:35]
	v_fma_f32 v38, v36, s2, -v34
	v_fmac_f32_e32 v38, 0xb102e308, v36
	v_pk_add_f32 v[36:37], v[34:35], v[38:39]
	v_sub_f32_e32 v39, v37, v39
	v_ldexp_f32 v33, v33, 1
	v_sub_f32_e32 v39, v35, v39
	v_add_f32_e32 v41, v33, v39
	v_mov_b32_e32 v40, v34
	v_pk_add_f32 v[34:35], v[36:37], v[34:35] neg_lo:[0,1] neg_hi:[0,1]
	v_pk_add_f32 v[42:43], v[36:37], v[40:41]
	v_mov_b32_e32 v35, v43
	v_mov_b32_e32 v39, v36
	v_pk_add_f32 v[44:45], v[38:39], v[34:35] neg_lo:[0,1] neg_hi:[0,1]
	v_pk_add_f32 v[34:35], v[38:39], v[34:35]
	v_mov_b32_e32 v38, v35
	v_pk_add_f32 v[46:47], v[38:39], v[36:37] neg_lo:[0,1] neg_hi:[0,1]
	v_mov_b32_e32 v33, v46
	v_pk_add_f32 v[48:49], v[42:43], v[32:33] neg_lo:[0,1] neg_hi:[0,1]
	v_mov_b32_e32 v34, v43
	v_mov_b32_e32 v42, v37
	;; [unrolled: 1-line block ×4, first 2 shown]
	v_pk_add_f32 v[34:35], v[34:35], v[42:43] neg_lo:[0,1] neg_hi:[0,1]
	v_mov_b32_e32 v40, v41
	v_mov_b32_e32 v41, v36
	v_pk_add_f32 v[34:35], v[40:41], v[34:35] neg_lo:[0,1] neg_hi:[0,1]
	v_mov_b32_e32 v48, v44
	v_pk_add_f32 v[36:37], v[48:49], v[34:35]
	v_mov_b32_e32 v40, v37
	v_pk_add_f32 v[40:41], v[36:37], v[40:41]
	v_pk_add_f32 v[38:39], v[38:39], v[40:41]
	v_mov_b32_e32 v37, v38
	v_pk_add_f32 v[42:43], v[36:37], v[44:45] neg_lo:[0,1] neg_hi:[0,1]
	v_mov_b32_e32 v35, v40
	v_sub_f32_e32 v33, v36, v42
	v_pk_add_f32 v[34:35], v[34:35], v[42:43] neg_lo:[0,1] neg_hi:[0,1]
	v_sub_f32_e32 v33, v44, v33
	s_mov_b32 s3, 0x7f800000
	v_add_f32_e32 v33, v34, v33
	s_mov_b32 s2, 0x33800000
	v_add_f32_e32 v33, v33, v35
	v_cmp_eq_f32_e64 s[70:71], s3, v54
	v_cmp_lt_f32_e64 s[72:73], |v54|, s2
	v_add_f32_e32 v33, v38, v33
	s_or_b64 s[70:71], s[70:71], s[72:73]
	v_cndmask_b32_e64 v33, v33, v54, s[70:71]
	v_add_f32_e32 v34, v30, v33
.LBB462_72:
	s_or_b64 exec, exec, s[0:1]
	v_bfe_u32 v30, v34, 16, 1
	s_movk_i32 s74, 0x7fff
	v_add3_u32 v30, v34, v30, s74
	v_and_b32_e32 v30, 0xffff0000, v30
	v_mov_b32_e32 v33, 0x7fc00000
	v_cmp_o_f32_e64 s[70:71], v34, v34
	v_cndmask_b32_e64 v36, v33, v30, s[70:71]
	v_lshlrev_b32_e32 v30, 16, v12
	v_max_f32_e32 v35, v36, v36
	v_max_f32_e32 v34, v30, v30
	v_min_f32_e32 v37, v35, v34
	v_cmp_u_f32_e64 s[72:73], v36, v36
	v_max_f32_e32 v35, v35, v34
	v_cndmask_b32_e64 v37, v37, v36, s[72:73]
	v_cmp_u_f32_e64 s[70:71], v30, v30
	v_cndmask_b32_e64 v35, v35, v36, s[72:73]
	v_cndmask_b32_e64 v37, v37, v30, s[70:71]
	;; [unrolled: 1-line block ×3, first 2 shown]
	v_cmp_neq_f32_e64 s[72:73], v37, v35
	v_cmp_class_f32_e64 s[0:1], v37, s33
	s_or_b64 s[72:73], s[72:73], s[0:1]
	s_and_saveexec_b64 s[0:1], s[72:73]
	s_cbranch_execz .LBB462_74
; %bb.73:
	v_sub_f32_e32 v36, v37, v35
	s_mov_b32 s2, 0x3fb8aa3b
	v_mul_f32_e32 v37, 0x3fb8aa3b, v36
	v_fma_f32 v38, v36, s2, -v37
	v_rndne_f32_e32 v39, v37
	v_fmac_f32_e32 v38, 0x32a5705f, v36
	v_sub_f32_e32 v37, v37, v39
	v_add_f32_e32 v37, v37, v38
	v_exp_f32_e32 v37, v37
	v_cvt_i32_f32_e32 v38, v39
	s_mov_b32 s2, 0xc2ce8ed0
	v_cmp_ngt_f32_e64 s[72:73], s2, v36
	s_mov_b32 s2, 0x42b17218
	v_ldexp_f32 v37, v37, v38
	v_cndmask_b32_e64 v37, 0, v37, s[72:73]
	v_mov_b32_e32 v38, 0x7f800000
	v_cmp_nlt_f32_e64 s[72:73], s2, v36
	v_cndmask_b32_e64 v56, v38, v37, s[72:73]
	v_add_f32_e32 v38, 1.0, v56
	v_add_f32_e32 v36, -1.0, v38
	v_sub_f32_e32 v37, v36, v38
	v_add_f32_e32 v37, 1.0, v37
	v_sub_f32_e32 v36, v56, v36
	v_add_f32_e32 v39, v36, v37
	v_frexp_mant_f32_e32 v40, v38
	s_mov_b32 s2, 0x3f2aaaab
	v_cvt_f64_f32_e32 v[36:37], v38
	v_frexp_exp_i32_f64_e32 v36, v[36:37]
	v_cmp_gt_f32_e64 s[72:73], s2, v40
	v_subbrev_co_u32_e64 v44, s[72:73], 0, v36, s[72:73]
	v_sub_u32_e32 v36, 0, v44
	v_ldexp_f32 v37, v38, v36
	v_add_f32_e32 v38, -1.0, v37
	v_add_f32_e32 v40, 1.0, v37
	v_ldexp_f32 v36, v39, v36
	v_add_f32_e32 v39, 1.0, v38
	v_add_f32_e32 v41, -1.0, v40
	v_sub_f32_e32 v39, v37, v39
	v_sub_f32_e32 v37, v37, v41
	v_add_f32_e32 v39, v36, v39
	v_add_f32_e32 v36, v36, v37
	;; [unrolled: 1-line block ×3, first 2 shown]
	v_rcp_f32_e32 v47, v45
	v_sub_f32_e32 v37, v40, v45
	v_add_f32_e32 v46, v36, v37
	v_add_f32_e32 v37, v38, v39
	v_mul_f32_e32 v49, v37, v47
	v_sub_f32_e32 v36, v38, v37
	v_mul_f32_e32 v38, v45, v49
	v_fma_f32 v40, v49, v45, -v38
	v_fmac_f32_e32 v40, v49, v46
	v_add_f32_e32 v48, v39, v36
	v_add_f32_e32 v36, v38, v40
	v_sub_f32_e32 v39, v37, v36
	v_pk_add_f32 v[42:43], v[36:37], v[38:39] neg_lo:[0,1] neg_hi:[0,1]
	v_mov_b32_e32 v41, v36
	v_pk_add_f32 v[36:37], v[42:43], v[40:41] neg_lo:[0,1] neg_hi:[0,1]
	v_add_f32_e32 v37, v48, v37
	v_add_f32_e32 v36, v36, v37
	;; [unrolled: 1-line block ×3, first 2 shown]
	v_mul_f32_e32 v48, v47, v37
	v_mul_f32_e32 v38, v45, v48
	v_fma_f32 v40, v48, v45, -v38
	v_fmac_f32_e32 v40, v48, v46
	v_sub_f32_e32 v39, v39, v37
	v_add_f32_e32 v45, v36, v39
	v_add_f32_e32 v36, v38, v40
	v_sub_f32_e32 v39, v37, v36
	v_pk_add_f32 v[42:43], v[36:37], v[38:39] neg_lo:[0,1] neg_hi:[0,1]
	v_mov_b32_e32 v41, v36
	v_pk_add_f32 v[36:37], v[42:43], v[40:41] neg_lo:[0,1] neg_hi:[0,1]
	v_add_f32_e32 v37, v45, v37
	v_add_f32_e32 v36, v36, v37
	;; [unrolled: 1-line block ×4, first 2 shown]
	v_sub_f32_e32 v37, v39, v49
	v_mul_f32_e32 v36, v47, v36
	v_sub_f32_e32 v37, v48, v37
	v_add_f32_e32 v36, v37, v36
	v_add_f32_e32 v40, v39, v36
	v_mul_f32_e32 v42, v40, v40
	v_mov_b32_e32 v38, 0x3ecc95a3
	v_fmac_f32_e32 v38, 0x3e9b6dac, v42
	v_mov_b32_e32 v37, 0x3f2aaada
	v_fmac_f32_e32 v37, v42, v38
	v_cvt_f32_i32_e32 v38, v44
	v_sub_f32_e32 v39, v40, v39
	v_sub_f32_e32 v36, v36, v39
	v_ldexp_f32 v43, v36, 1
	v_mul_f32_e32 v39, v40, v42
	v_mov_b32_e32 v36, 0x3f317218
	s_mov_b32 s2, 0x3f317218
	v_pk_mul_f32 v[36:37], v[38:39], v[36:37]
	v_ldexp_f32 v41, v40, 1
	v_fma_f32 v40, v38, s2, -v36
	v_fmac_f32_e32 v40, 0xb102e308, v38
	v_pk_add_f32 v[38:39], v[36:37], v[40:41]
	v_sub_f32_e32 v41, v39, v41
	v_sub_f32_e32 v41, v37, v41
	v_add_f32_e32 v43, v43, v41
	v_mov_b32_e32 v42, v36
	v_pk_add_f32 v[36:37], v[38:39], v[36:37] neg_lo:[0,1] neg_hi:[0,1]
	v_pk_add_f32 v[44:45], v[38:39], v[42:43]
	v_mov_b32_e32 v37, v45
	v_mov_b32_e32 v41, v38
	v_pk_add_f32 v[46:47], v[40:41], v[36:37] neg_lo:[0,1] neg_hi:[0,1]
	v_pk_add_f32 v[36:37], v[40:41], v[36:37]
	v_mov_b32_e32 v40, v37
	v_pk_add_f32 v[48:49], v[40:41], v[38:39] neg_lo:[0,1] neg_hi:[0,1]
	v_mov_b32_e32 v41, v48
	v_pk_add_f32 v[54:55], v[44:45], v[40:41] neg_lo:[0,1] neg_hi:[0,1]
	v_mov_b32_e32 v36, v45
	v_mov_b32_e32 v44, v39
	;; [unrolled: 1-line block ×4, first 2 shown]
	v_pk_add_f32 v[36:37], v[36:37], v[44:45] neg_lo:[0,1] neg_hi:[0,1]
	v_mov_b32_e32 v42, v43
	v_mov_b32_e32 v43, v38
	v_pk_add_f32 v[36:37], v[42:43], v[36:37] neg_lo:[0,1] neg_hi:[0,1]
	v_mov_b32_e32 v54, v46
	v_pk_add_f32 v[38:39], v[54:55], v[36:37]
	v_mov_b32_e32 v42, v39
	v_pk_add_f32 v[42:43], v[38:39], v[42:43]
	v_pk_add_f32 v[40:41], v[40:41], v[42:43]
	v_mov_b32_e32 v39, v40
	v_pk_add_f32 v[44:45], v[38:39], v[46:47] neg_lo:[0,1] neg_hi:[0,1]
	v_mov_b32_e32 v37, v42
	v_sub_f32_e32 v38, v38, v44
	v_pk_add_f32 v[36:37], v[36:37], v[44:45] neg_lo:[0,1] neg_hi:[0,1]
	v_sub_f32_e32 v38, v46, v38
	s_mov_b32 s3, 0x7f800000
	v_add_f32_e32 v36, v36, v38
	s_mov_b32 s2, 0x33800000
	v_add_f32_e32 v36, v36, v37
	v_cmp_eq_f32_e64 s[72:73], s3, v56
	v_cmp_lt_f32_e64 s[76:77], |v56|, s2
	v_add_f32_e32 v36, v40, v36
	s_or_b64 s[72:73], s[72:73], s[76:77]
	v_cndmask_b32_e64 v36, v36, v56, s[72:73]
	v_add_f32_e32 v36, v35, v36
.LBB462_74:
	s_or_b64 exec, exec, s[0:1]
	v_bfe_u32 v35, v36, 16, 1
	v_add3_u32 v35, v36, v35, s74
	v_and_b32_e32 v35, 0xffff0000, v35
	v_cmp_o_f32_e64 s[72:73], v36, v36
	v_cndmask_b32_e64 v37, v33, v35, s[72:73]
	v_and_b32_e32 v12, 0xffff0000, v12
	v_max_f32_e32 v33, v37, v37
	v_max_f32_e32 v35, v12, v12
	v_min_f32_e32 v36, v33, v35
	v_cmp_u_f32_e64 s[74:75], v37, v37
	v_max_f32_e32 v33, v33, v35
	v_cndmask_b32_e64 v36, v36, v37, s[74:75]
	v_cmp_u_f32_e64 s[72:73], v12, v12
	v_cndmask_b32_e64 v33, v33, v37, s[74:75]
	v_cndmask_b32_e64 v36, v36, v12, s[72:73]
	;; [unrolled: 1-line block ×3, first 2 shown]
	v_cmp_neq_f32_e64 s[74:75], v36, v33
	v_cmp_class_f32_e64 s[0:1], v36, s33
	s_or_b64 s[74:75], s[74:75], s[0:1]
	s_and_saveexec_b64 s[0:1], s[74:75]
	s_cbranch_execz .LBB462_76
; %bb.75:
	v_sub_f32_e32 v36, v36, v33
	s_mov_b32 s2, 0x3fb8aa3b
	v_mul_f32_e32 v37, 0x3fb8aa3b, v36
	v_fma_f32 v38, v36, s2, -v37
	v_rndne_f32_e32 v39, v37
	v_fmac_f32_e32 v38, 0x32a5705f, v36
	v_sub_f32_e32 v37, v37, v39
	v_add_f32_e32 v37, v37, v38
	v_exp_f32_e32 v37, v37
	v_cvt_i32_f32_e32 v38, v39
	s_mov_b32 s2, 0xc2ce8ed0
	v_cmp_ngt_f32_e64 s[74:75], s2, v36
	s_mov_b32 s2, 0x42b17218
	v_ldexp_f32 v37, v37, v38
	v_cndmask_b32_e64 v37, 0, v37, s[74:75]
	v_mov_b32_e32 v38, 0x7f800000
	v_cmp_nlt_f32_e64 s[74:75], s2, v36
	v_cndmask_b32_e64 v56, v38, v37, s[74:75]
	v_add_f32_e32 v38, 1.0, v56
	v_add_f32_e32 v36, -1.0, v38
	v_sub_f32_e32 v37, v36, v38
	v_add_f32_e32 v37, 1.0, v37
	v_sub_f32_e32 v36, v56, v36
	v_add_f32_e32 v39, v36, v37
	v_frexp_mant_f32_e32 v40, v38
	s_mov_b32 s2, 0x3f2aaaab
	v_cvt_f64_f32_e32 v[36:37], v38
	v_frexp_exp_i32_f64_e32 v36, v[36:37]
	v_cmp_gt_f32_e64 s[74:75], s2, v40
	v_subbrev_co_u32_e64 v44, s[74:75], 0, v36, s[74:75]
	v_sub_u32_e32 v36, 0, v44
	v_ldexp_f32 v37, v38, v36
	v_add_f32_e32 v38, -1.0, v37
	v_add_f32_e32 v40, 1.0, v37
	v_ldexp_f32 v36, v39, v36
	v_add_f32_e32 v39, 1.0, v38
	v_add_f32_e32 v41, -1.0, v40
	v_sub_f32_e32 v39, v37, v39
	v_sub_f32_e32 v37, v37, v41
	v_add_f32_e32 v39, v36, v39
	v_add_f32_e32 v36, v36, v37
	;; [unrolled: 1-line block ×3, first 2 shown]
	v_rcp_f32_e32 v47, v45
	v_sub_f32_e32 v37, v40, v45
	v_add_f32_e32 v46, v36, v37
	v_add_f32_e32 v37, v38, v39
	v_mul_f32_e32 v49, v37, v47
	v_sub_f32_e32 v36, v38, v37
	v_mul_f32_e32 v38, v45, v49
	v_fma_f32 v40, v49, v45, -v38
	v_fmac_f32_e32 v40, v49, v46
	v_add_f32_e32 v48, v39, v36
	v_add_f32_e32 v36, v38, v40
	v_sub_f32_e32 v39, v37, v36
	v_pk_add_f32 v[42:43], v[36:37], v[38:39] neg_lo:[0,1] neg_hi:[0,1]
	v_mov_b32_e32 v41, v36
	v_pk_add_f32 v[36:37], v[42:43], v[40:41] neg_lo:[0,1] neg_hi:[0,1]
	v_add_f32_e32 v37, v48, v37
	v_add_f32_e32 v36, v36, v37
	;; [unrolled: 1-line block ×3, first 2 shown]
	v_mul_f32_e32 v48, v47, v37
	v_mul_f32_e32 v38, v45, v48
	v_fma_f32 v40, v48, v45, -v38
	v_fmac_f32_e32 v40, v48, v46
	v_sub_f32_e32 v39, v39, v37
	v_add_f32_e32 v45, v36, v39
	v_add_f32_e32 v36, v38, v40
	v_sub_f32_e32 v39, v37, v36
	v_pk_add_f32 v[42:43], v[36:37], v[38:39] neg_lo:[0,1] neg_hi:[0,1]
	v_mov_b32_e32 v41, v36
	v_pk_add_f32 v[36:37], v[42:43], v[40:41] neg_lo:[0,1] neg_hi:[0,1]
	v_add_f32_e32 v37, v45, v37
	v_add_f32_e32 v36, v36, v37
	;; [unrolled: 1-line block ×4, first 2 shown]
	v_sub_f32_e32 v37, v39, v49
	v_mul_f32_e32 v36, v47, v36
	v_sub_f32_e32 v37, v48, v37
	v_add_f32_e32 v36, v37, v36
	v_add_f32_e32 v40, v39, v36
	v_mul_f32_e32 v42, v40, v40
	v_mov_b32_e32 v38, 0x3ecc95a3
	v_fmac_f32_e32 v38, 0x3e9b6dac, v42
	v_mov_b32_e32 v37, 0x3f2aaada
	v_fmac_f32_e32 v37, v42, v38
	v_cvt_f32_i32_e32 v38, v44
	v_sub_f32_e32 v39, v40, v39
	v_sub_f32_e32 v36, v36, v39
	v_ldexp_f32 v43, v36, 1
	v_mul_f32_e32 v39, v40, v42
	v_mov_b32_e32 v36, 0x3f317218
	s_mov_b32 s2, 0x3f317218
	v_pk_mul_f32 v[36:37], v[38:39], v[36:37]
	v_ldexp_f32 v41, v40, 1
	v_fma_f32 v40, v38, s2, -v36
	v_fmac_f32_e32 v40, 0xb102e308, v38
	v_pk_add_f32 v[38:39], v[36:37], v[40:41]
	v_sub_f32_e32 v41, v39, v41
	v_sub_f32_e32 v41, v37, v41
	v_add_f32_e32 v43, v43, v41
	v_mov_b32_e32 v42, v36
	v_pk_add_f32 v[36:37], v[38:39], v[36:37] neg_lo:[0,1] neg_hi:[0,1]
	v_pk_add_f32 v[44:45], v[38:39], v[42:43]
	v_mov_b32_e32 v37, v45
	v_mov_b32_e32 v41, v38
	v_pk_add_f32 v[46:47], v[40:41], v[36:37] neg_lo:[0,1] neg_hi:[0,1]
	v_pk_add_f32 v[36:37], v[40:41], v[36:37]
	v_mov_b32_e32 v40, v37
	v_pk_add_f32 v[48:49], v[40:41], v[38:39] neg_lo:[0,1] neg_hi:[0,1]
	v_mov_b32_e32 v41, v48
	v_pk_add_f32 v[54:55], v[44:45], v[40:41] neg_lo:[0,1] neg_hi:[0,1]
	v_mov_b32_e32 v36, v45
	v_mov_b32_e32 v44, v39
	v_mov_b32_e32 v45, v48
	v_mov_b32_e32 v47, v37
	v_pk_add_f32 v[36:37], v[36:37], v[44:45] neg_lo:[0,1] neg_hi:[0,1]
	v_mov_b32_e32 v42, v43
	v_mov_b32_e32 v43, v38
	v_pk_add_f32 v[36:37], v[42:43], v[36:37] neg_lo:[0,1] neg_hi:[0,1]
	v_mov_b32_e32 v54, v46
	v_pk_add_f32 v[38:39], v[54:55], v[36:37]
	v_mov_b32_e32 v42, v39
	v_pk_add_f32 v[42:43], v[38:39], v[42:43]
	v_pk_add_f32 v[40:41], v[40:41], v[42:43]
	v_mov_b32_e32 v39, v40
	v_pk_add_f32 v[44:45], v[38:39], v[46:47] neg_lo:[0,1] neg_hi:[0,1]
	v_mov_b32_e32 v37, v42
	v_sub_f32_e32 v38, v38, v44
	v_pk_add_f32 v[36:37], v[36:37], v[44:45] neg_lo:[0,1] neg_hi:[0,1]
	v_sub_f32_e32 v38, v46, v38
	s_mov_b32 s3, 0x7f800000
	v_add_f32_e32 v36, v36, v38
	s_mov_b32 s2, 0x33800000
	v_add_f32_e32 v36, v36, v37
	v_cmp_eq_f32_e64 s[74:75], s3, v56
	v_cmp_lt_f32_e64 s[76:77], |v56|, s2
	v_add_f32_e32 v36, v40, v36
	s_or_b64 s[74:75], s[74:75], s[76:77]
	v_cndmask_b32_e64 v36, v36, v56, s[74:75]
	v_add_f32_e32 v37, v33, v36
.LBB462_76:
	s_or_b64 exec, exec, s[0:1]
	v_bfe_u32 v33, v37, 16, 1
	s_movk_i32 s78, 0x7fff
	v_add3_u32 v33, v37, v33, s78
	v_and_b32_e32 v33, 0xffff0000, v33
	v_mov_b32_e32 v36, 0x7fc00000
	v_cmp_o_f32_e64 s[74:75], v37, v37
	v_cndmask_b32_e64 v39, v36, v33, s[74:75]
	v_lshlrev_b32_e32 v33, 16, v13
	v_max_f32_e32 v38, v39, v39
	v_max_f32_e32 v37, v33, v33
	v_min_f32_e32 v40, v38, v37
	v_cmp_u_f32_e64 s[76:77], v39, v39
	v_max_f32_e32 v38, v38, v37
	v_cndmask_b32_e64 v40, v40, v39, s[76:77]
	v_cmp_u_f32_e64 s[74:75], v33, v33
	v_cndmask_b32_e64 v38, v38, v39, s[76:77]
	v_cndmask_b32_e64 v40, v40, v33, s[74:75]
	;; [unrolled: 1-line block ×3, first 2 shown]
	v_cmp_neq_f32_e64 s[76:77], v40, v38
	v_cmp_class_f32_e64 s[0:1], v40, s33
	s_or_b64 s[76:77], s[76:77], s[0:1]
	s_and_saveexec_b64 s[0:1], s[76:77]
	s_cbranch_execz .LBB462_78
; %bb.77:
	v_sub_f32_e32 v39, v40, v38
	s_mov_b32 s2, 0x3fb8aa3b
	v_mul_f32_e32 v40, 0x3fb8aa3b, v39
	v_fma_f32 v41, v39, s2, -v40
	v_rndne_f32_e32 v42, v40
	v_fmac_f32_e32 v41, 0x32a5705f, v39
	v_sub_f32_e32 v40, v40, v42
	v_add_f32_e32 v40, v40, v41
	v_exp_f32_e32 v40, v40
	v_cvt_i32_f32_e32 v41, v42
	s_mov_b32 s2, 0xc2ce8ed0
	v_cmp_ngt_f32_e64 s[76:77], s2, v39
	s_mov_b32 s2, 0x42b17218
	v_ldexp_f32 v40, v40, v41
	v_cndmask_b32_e64 v40, 0, v40, s[76:77]
	v_mov_b32_e32 v41, 0x7f800000
	v_cmp_nlt_f32_e64 s[76:77], s2, v39
	v_cndmask_b32_e64 v60, v41, v40, s[76:77]
	v_add_f32_e32 v39, 1.0, v60
	v_add_f32_e32 v40, -1.0, v39
	v_sub_f32_e32 v41, v40, v39
	v_add_f32_e32 v41, 1.0, v41
	v_sub_f32_e32 v40, v60, v40
	v_add_f32_e32 v42, v40, v41
	v_frexp_mant_f32_e32 v43, v39
	s_mov_b32 s2, 0x3f2aaaab
	v_cvt_f64_f32_e32 v[40:41], v39
	v_frexp_exp_i32_f64_e32 v40, v[40:41]
	v_cmp_gt_f32_e64 s[76:77], s2, v43
	v_subbrev_co_u32_e64 v48, s[76:77], 0, v40, s[76:77]
	v_sub_u32_e32 v40, 0, v48
	v_ldexp_f32 v39, v39, v40
	v_ldexp_f32 v40, v42, v40
	v_add_f32_e32 v42, -1.0, v39
	v_add_f32_e32 v41, 1.0, v42
	v_sub_f32_e32 v41, v39, v41
	v_add_f32_e32 v43, v40, v41
	v_add_f32_e32 v41, 1.0, v39
	v_add_f32_e32 v44, -1.0, v41
	v_sub_f32_e32 v39, v39, v44
	v_add_f32_e32 v39, v40, v39
	v_add_f32_e32 v49, v41, v39
	v_rcp_f32_e32 v54, v49
	v_sub_f32_e32 v40, v41, v49
	v_add_f32_e32 v41, v42, v43
	v_add_f32_e32 v39, v39, v40
	v_mul_f32_e32 v56, v41, v54
	v_sub_f32_e32 v40, v42, v41
	v_mul_f32_e32 v42, v49, v56
	v_fma_f32 v44, v56, v49, -v42
	v_fmac_f32_e32 v44, v56, v39
	v_add_f32_e32 v55, v43, v40
	v_add_f32_e32 v40, v42, v44
	v_sub_f32_e32 v43, v41, v40
	v_pk_add_f32 v[46:47], v[40:41], v[42:43] neg_lo:[0,1] neg_hi:[0,1]
	v_mov_b32_e32 v45, v40
	v_pk_add_f32 v[40:41], v[46:47], v[44:45] neg_lo:[0,1] neg_hi:[0,1]
	v_add_f32_e32 v41, v55, v41
	v_add_f32_e32 v40, v40, v41
	;; [unrolled: 1-line block ×3, first 2 shown]
	v_mul_f32_e32 v55, v54, v41
	v_mul_f32_e32 v42, v49, v55
	v_fma_f32 v44, v55, v49, -v42
	v_fmac_f32_e32 v44, v55, v39
	v_sub_f32_e32 v39, v43, v41
	v_add_f32_e32 v39, v40, v39
	v_add_f32_e32 v40, v42, v44
	v_sub_f32_e32 v43, v41, v40
	v_pk_add_f32 v[46:47], v[40:41], v[42:43] neg_lo:[0,1] neg_hi:[0,1]
	v_mov_b32_e32 v45, v40
	v_pk_add_f32 v[40:41], v[46:47], v[44:45] neg_lo:[0,1] neg_hi:[0,1]
	v_add_f32_e32 v39, v39, v41
	v_add_f32_e32 v39, v40, v39
	;; [unrolled: 1-line block ×4, first 2 shown]
	v_sub_f32_e32 v41, v40, v56
	v_mul_f32_e32 v39, v54, v39
	v_sub_f32_e32 v41, v55, v41
	v_add_f32_e32 v39, v41, v39
	v_add_f32_e32 v43, v40, v39
	v_mul_f32_e32 v44, v43, v43
	v_mov_b32_e32 v42, 0x3ecc95a3
	v_fmac_f32_e32 v42, 0x3e9b6dac, v44
	v_mov_b32_e32 v41, 0x3f2aaada
	v_fmac_f32_e32 v41, v44, v42
	v_cvt_f32_i32_e32 v42, v48
	v_sub_f32_e32 v40, v43, v40
	v_sub_f32_e32 v39, v39, v40
	v_ldexp_f32 v45, v43, 1
	v_mul_f32_e32 v43, v43, v44
	v_mov_b32_e32 v40, 0x3f317218
	s_mov_b32 s2, 0x3f317218
	v_pk_mul_f32 v[40:41], v[42:43], v[40:41]
	v_fma_f32 v44, v42, s2, -v40
	v_fmac_f32_e32 v44, 0xb102e308, v42
	v_pk_add_f32 v[42:43], v[40:41], v[44:45]
	v_sub_f32_e32 v45, v43, v45
	v_ldexp_f32 v39, v39, 1
	v_sub_f32_e32 v45, v41, v45
	v_add_f32_e32 v47, v39, v45
	v_mov_b32_e32 v46, v40
	v_pk_add_f32 v[40:41], v[42:43], v[40:41] neg_lo:[0,1] neg_hi:[0,1]
	v_pk_add_f32 v[48:49], v[42:43], v[46:47]
	v_mov_b32_e32 v41, v49
	v_mov_b32_e32 v45, v42
	v_pk_add_f32 v[54:55], v[44:45], v[40:41] neg_lo:[0,1] neg_hi:[0,1]
	v_pk_add_f32 v[40:41], v[44:45], v[40:41]
	v_mov_b32_e32 v44, v41
	v_pk_add_f32 v[56:57], v[44:45], v[42:43] neg_lo:[0,1] neg_hi:[0,1]
	v_mov_b32_e32 v39, v56
	v_pk_add_f32 v[58:59], v[48:49], v[38:39] neg_lo:[0,1] neg_hi:[0,1]
	v_mov_b32_e32 v40, v49
	v_mov_b32_e32 v48, v43
	;; [unrolled: 1-line block ×4, first 2 shown]
	v_pk_add_f32 v[40:41], v[40:41], v[48:49] neg_lo:[0,1] neg_hi:[0,1]
	v_mov_b32_e32 v46, v47
	v_mov_b32_e32 v47, v42
	v_pk_add_f32 v[40:41], v[46:47], v[40:41] neg_lo:[0,1] neg_hi:[0,1]
	v_mov_b32_e32 v58, v54
	v_pk_add_f32 v[42:43], v[58:59], v[40:41]
	v_mov_b32_e32 v46, v43
	v_pk_add_f32 v[46:47], v[42:43], v[46:47]
	v_pk_add_f32 v[44:45], v[44:45], v[46:47]
	v_mov_b32_e32 v43, v44
	v_pk_add_f32 v[48:49], v[42:43], v[54:55] neg_lo:[0,1] neg_hi:[0,1]
	v_mov_b32_e32 v41, v46
	v_sub_f32_e32 v39, v42, v48
	v_pk_add_f32 v[40:41], v[40:41], v[48:49] neg_lo:[0,1] neg_hi:[0,1]
	v_sub_f32_e32 v39, v54, v39
	s_mov_b32 s3, 0x7f800000
	v_add_f32_e32 v39, v40, v39
	s_mov_b32 s2, 0x33800000
	v_add_f32_e32 v39, v39, v41
	v_cmp_eq_f32_e64 s[76:77], s3, v60
	v_cmp_lt_f32_e64 s[80:81], |v60|, s2
	v_add_f32_e32 v39, v44, v39
	s_or_b64 s[76:77], s[76:77], s[80:81]
	v_cndmask_b32_e64 v39, v39, v60, s[76:77]
	v_add_f32_e32 v39, v38, v39
.LBB462_78:
	s_or_b64 exec, exec, s[0:1]
	v_bfe_u32 v38, v39, 16, 1
	v_add3_u32 v38, v39, v38, s78
	v_and_b32_e32 v38, 0xffff0000, v38
	v_cmp_o_f32_e64 s[76:77], v39, v39
	v_cndmask_b32_e64 v40, v36, v38, s[76:77]
	v_and_b32_e32 v13, 0xffff0000, v13
	v_max_f32_e32 v36, v40, v40
	v_max_f32_e32 v38, v13, v13
	v_min_f32_e32 v39, v36, v38
	v_cmp_u_f32_e64 s[78:79], v40, v40
	v_max_f32_e32 v36, v36, v38
	v_cndmask_b32_e64 v39, v39, v40, s[78:79]
	v_cmp_u_f32_e64 s[76:77], v13, v13
	v_cndmask_b32_e64 v36, v36, v40, s[78:79]
	v_cndmask_b32_e64 v39, v39, v13, s[76:77]
	;; [unrolled: 1-line block ×3, first 2 shown]
	v_cmp_neq_f32_e64 s[78:79], v39, v36
	v_cmp_class_f32_e64 s[0:1], v39, s33
	s_or_b64 s[78:79], s[78:79], s[0:1]
	s_and_saveexec_b64 s[0:1], s[78:79]
	s_cbranch_execz .LBB462_80
; %bb.79:
	v_sub_f32_e32 v39, v39, v36
	s_mov_b32 s2, 0x3fb8aa3b
	v_mul_f32_e32 v40, 0x3fb8aa3b, v39
	v_fma_f32 v41, v39, s2, -v40
	v_rndne_f32_e32 v42, v40
	v_fmac_f32_e32 v41, 0x32a5705f, v39
	v_sub_f32_e32 v40, v40, v42
	v_add_f32_e32 v40, v40, v41
	v_exp_f32_e32 v40, v40
	v_cvt_i32_f32_e32 v41, v42
	s_mov_b32 s2, 0xc2ce8ed0
	v_cmp_ngt_f32_e64 s[78:79], s2, v39
	s_mov_b32 s2, 0x42b17218
	v_ldexp_f32 v40, v40, v41
	v_cndmask_b32_e64 v40, 0, v40, s[78:79]
	v_mov_b32_e32 v41, 0x7f800000
	v_cmp_nlt_f32_e64 s[78:79], s2, v39
	v_cndmask_b32_e64 v60, v41, v40, s[78:79]
	v_add_f32_e32 v39, 1.0, v60
	v_add_f32_e32 v40, -1.0, v39
	v_sub_f32_e32 v41, v40, v39
	v_add_f32_e32 v41, 1.0, v41
	v_sub_f32_e32 v40, v60, v40
	v_add_f32_e32 v42, v40, v41
	v_frexp_mant_f32_e32 v43, v39
	s_mov_b32 s2, 0x3f2aaaab
	v_cvt_f64_f32_e32 v[40:41], v39
	v_frexp_exp_i32_f64_e32 v40, v[40:41]
	v_cmp_gt_f32_e64 s[78:79], s2, v43
	v_subbrev_co_u32_e64 v48, s[78:79], 0, v40, s[78:79]
	v_sub_u32_e32 v40, 0, v48
	v_ldexp_f32 v39, v39, v40
	v_ldexp_f32 v40, v42, v40
	v_add_f32_e32 v42, -1.0, v39
	v_add_f32_e32 v41, 1.0, v42
	v_sub_f32_e32 v41, v39, v41
	v_add_f32_e32 v43, v40, v41
	v_add_f32_e32 v41, 1.0, v39
	v_add_f32_e32 v44, -1.0, v41
	v_sub_f32_e32 v39, v39, v44
	v_add_f32_e32 v39, v40, v39
	v_add_f32_e32 v49, v41, v39
	v_rcp_f32_e32 v54, v49
	v_sub_f32_e32 v40, v41, v49
	v_add_f32_e32 v41, v42, v43
	v_add_f32_e32 v39, v39, v40
	v_mul_f32_e32 v56, v41, v54
	v_sub_f32_e32 v40, v42, v41
	v_mul_f32_e32 v42, v49, v56
	v_fma_f32 v44, v56, v49, -v42
	v_fmac_f32_e32 v44, v56, v39
	v_add_f32_e32 v55, v43, v40
	v_add_f32_e32 v40, v42, v44
	v_sub_f32_e32 v43, v41, v40
	v_pk_add_f32 v[46:47], v[40:41], v[42:43] neg_lo:[0,1] neg_hi:[0,1]
	v_mov_b32_e32 v45, v40
	v_pk_add_f32 v[40:41], v[46:47], v[44:45] neg_lo:[0,1] neg_hi:[0,1]
	v_add_f32_e32 v41, v55, v41
	v_add_f32_e32 v40, v40, v41
	;; [unrolled: 1-line block ×3, first 2 shown]
	v_mul_f32_e32 v55, v54, v41
	v_mul_f32_e32 v42, v49, v55
	v_fma_f32 v44, v55, v49, -v42
	v_fmac_f32_e32 v44, v55, v39
	v_sub_f32_e32 v39, v43, v41
	v_add_f32_e32 v39, v40, v39
	v_add_f32_e32 v40, v42, v44
	v_sub_f32_e32 v43, v41, v40
	v_pk_add_f32 v[46:47], v[40:41], v[42:43] neg_lo:[0,1] neg_hi:[0,1]
	v_mov_b32_e32 v45, v40
	v_pk_add_f32 v[40:41], v[46:47], v[44:45] neg_lo:[0,1] neg_hi:[0,1]
	v_add_f32_e32 v39, v39, v41
	v_add_f32_e32 v39, v40, v39
	;; [unrolled: 1-line block ×4, first 2 shown]
	v_sub_f32_e32 v41, v40, v56
	v_mul_f32_e32 v39, v54, v39
	v_sub_f32_e32 v41, v55, v41
	v_add_f32_e32 v39, v41, v39
	v_add_f32_e32 v43, v40, v39
	v_mul_f32_e32 v44, v43, v43
	v_mov_b32_e32 v42, 0x3ecc95a3
	v_fmac_f32_e32 v42, 0x3e9b6dac, v44
	v_mov_b32_e32 v41, 0x3f2aaada
	v_fmac_f32_e32 v41, v44, v42
	v_cvt_f32_i32_e32 v42, v48
	v_sub_f32_e32 v40, v43, v40
	v_sub_f32_e32 v39, v39, v40
	v_ldexp_f32 v45, v43, 1
	v_mul_f32_e32 v43, v43, v44
	v_mov_b32_e32 v40, 0x3f317218
	s_mov_b32 s2, 0x3f317218
	v_pk_mul_f32 v[40:41], v[42:43], v[40:41]
	v_fma_f32 v44, v42, s2, -v40
	v_fmac_f32_e32 v44, 0xb102e308, v42
	v_pk_add_f32 v[42:43], v[40:41], v[44:45]
	v_sub_f32_e32 v45, v43, v45
	v_ldexp_f32 v39, v39, 1
	v_sub_f32_e32 v45, v41, v45
	v_add_f32_e32 v47, v39, v45
	v_mov_b32_e32 v46, v40
	v_pk_add_f32 v[40:41], v[42:43], v[40:41] neg_lo:[0,1] neg_hi:[0,1]
	v_pk_add_f32 v[48:49], v[42:43], v[46:47]
	v_mov_b32_e32 v41, v49
	v_mov_b32_e32 v45, v42
	v_pk_add_f32 v[54:55], v[44:45], v[40:41] neg_lo:[0,1] neg_hi:[0,1]
	v_pk_add_f32 v[40:41], v[44:45], v[40:41]
	v_mov_b32_e32 v44, v41
	v_pk_add_f32 v[56:57], v[44:45], v[42:43] neg_lo:[0,1] neg_hi:[0,1]
	v_mov_b32_e32 v39, v56
	v_pk_add_f32 v[58:59], v[48:49], v[38:39] neg_lo:[0,1] neg_hi:[0,1]
	v_mov_b32_e32 v40, v49
	v_mov_b32_e32 v48, v43
	;; [unrolled: 1-line block ×4, first 2 shown]
	v_pk_add_f32 v[40:41], v[40:41], v[48:49] neg_lo:[0,1] neg_hi:[0,1]
	v_mov_b32_e32 v46, v47
	v_mov_b32_e32 v47, v42
	v_pk_add_f32 v[40:41], v[46:47], v[40:41] neg_lo:[0,1] neg_hi:[0,1]
	v_mov_b32_e32 v58, v54
	v_pk_add_f32 v[42:43], v[58:59], v[40:41]
	v_mov_b32_e32 v46, v43
	v_pk_add_f32 v[46:47], v[42:43], v[46:47]
	v_pk_add_f32 v[44:45], v[44:45], v[46:47]
	v_mov_b32_e32 v43, v44
	v_pk_add_f32 v[48:49], v[42:43], v[54:55] neg_lo:[0,1] neg_hi:[0,1]
	v_mov_b32_e32 v41, v46
	v_sub_f32_e32 v39, v42, v48
	v_pk_add_f32 v[40:41], v[40:41], v[48:49] neg_lo:[0,1] neg_hi:[0,1]
	v_sub_f32_e32 v39, v54, v39
	s_mov_b32 s3, 0x7f800000
	v_add_f32_e32 v39, v40, v39
	s_mov_b32 s2, 0x33800000
	v_add_f32_e32 v39, v39, v41
	v_cmp_eq_f32_e64 s[78:79], s3, v60
	v_cmp_lt_f32_e64 s[80:81], |v60|, s2
	v_add_f32_e32 v39, v44, v39
	s_or_b64 s[78:79], s[78:79], s[80:81]
	v_cndmask_b32_e64 v39, v39, v60, s[78:79]
	v_add_f32_e32 v40, v36, v39
.LBB462_80:
	s_or_b64 exec, exec, s[0:1]
	v_bfe_u32 v36, v40, 16, 1
	s_movk_i32 s82, 0x7fff
	v_add3_u32 v36, v40, v36, s82
	v_and_b32_e32 v36, 0xffff0000, v36
	v_mov_b32_e32 v39, 0x7fc00000
	v_cmp_o_f32_e64 s[78:79], v40, v40
	v_cndmask_b32_e64 v42, v39, v36, s[78:79]
	v_lshlrev_b32_e32 v36, 16, v6
	v_max_f32_e32 v41, v42, v42
	v_max_f32_e32 v40, v36, v36
	v_min_f32_e32 v43, v41, v40
	v_cmp_u_f32_e64 s[80:81], v42, v42
	v_max_f32_e32 v41, v41, v40
	v_cndmask_b32_e64 v43, v43, v42, s[80:81]
	v_cmp_u_f32_e64 s[78:79], v36, v36
	v_cndmask_b32_e64 v41, v41, v42, s[80:81]
	v_cndmask_b32_e64 v43, v43, v36, s[78:79]
	;; [unrolled: 1-line block ×3, first 2 shown]
	v_cmp_neq_f32_e64 s[80:81], v43, v41
	v_cmp_class_f32_e64 s[0:1], v43, s33
	s_or_b64 s[80:81], s[80:81], s[0:1]
	s_and_saveexec_b64 s[0:1], s[80:81]
	s_cbranch_execz .LBB462_82
; %bb.81:
	v_sub_f32_e32 v42, v43, v41
	s_mov_b32 s2, 0x3fb8aa3b
	v_mul_f32_e32 v43, 0x3fb8aa3b, v42
	v_fma_f32 v44, v42, s2, -v43
	v_rndne_f32_e32 v45, v43
	v_fmac_f32_e32 v44, 0x32a5705f, v42
	v_sub_f32_e32 v43, v43, v45
	v_add_f32_e32 v43, v43, v44
	v_exp_f32_e32 v43, v43
	v_cvt_i32_f32_e32 v44, v45
	s_mov_b32 s2, 0xc2ce8ed0
	v_cmp_ngt_f32_e64 s[80:81], s2, v42
	s_mov_b32 s2, 0x42b17218
	v_ldexp_f32 v43, v43, v44
	v_cndmask_b32_e64 v43, 0, v43, s[80:81]
	v_mov_b32_e32 v44, 0x7f800000
	v_cmp_nlt_f32_e64 s[80:81], s2, v42
	v_cndmask_b32_e64 v62, v44, v43, s[80:81]
	v_add_f32_e32 v44, 1.0, v62
	v_add_f32_e32 v42, -1.0, v44
	v_sub_f32_e32 v43, v42, v44
	v_add_f32_e32 v43, 1.0, v43
	v_sub_f32_e32 v42, v62, v42
	v_add_f32_e32 v45, v42, v43
	v_frexp_mant_f32_e32 v46, v44
	s_mov_b32 s2, 0x3f2aaaab
	v_cvt_f64_f32_e32 v[42:43], v44
	v_frexp_exp_i32_f64_e32 v42, v[42:43]
	v_cmp_gt_f32_e64 s[80:81], s2, v46
	v_subbrev_co_u32_e64 v54, s[80:81], 0, v42, s[80:81]
	v_sub_u32_e32 v42, 0, v54
	v_ldexp_f32 v43, v44, v42
	v_add_f32_e32 v44, -1.0, v43
	v_add_f32_e32 v46, 1.0, v43
	v_ldexp_f32 v42, v45, v42
	v_add_f32_e32 v45, 1.0, v44
	v_add_f32_e32 v47, -1.0, v46
	v_sub_f32_e32 v45, v43, v45
	v_sub_f32_e32 v43, v43, v47
	v_add_f32_e32 v45, v42, v45
	v_add_f32_e32 v42, v42, v43
	;; [unrolled: 1-line block ×3, first 2 shown]
	v_rcp_f32_e32 v57, v55
	v_sub_f32_e32 v43, v46, v55
	v_add_f32_e32 v56, v42, v43
	v_add_f32_e32 v43, v44, v45
	v_mul_f32_e32 v59, v43, v57
	v_sub_f32_e32 v42, v44, v43
	v_mul_f32_e32 v44, v55, v59
	v_fma_f32 v46, v59, v55, -v44
	v_fmac_f32_e32 v46, v59, v56
	v_add_f32_e32 v58, v45, v42
	v_add_f32_e32 v42, v44, v46
	v_sub_f32_e32 v45, v43, v42
	v_pk_add_f32 v[48:49], v[42:43], v[44:45] neg_lo:[0,1] neg_hi:[0,1]
	v_mov_b32_e32 v47, v42
	v_pk_add_f32 v[42:43], v[48:49], v[46:47] neg_lo:[0,1] neg_hi:[0,1]
	v_add_f32_e32 v43, v58, v43
	v_add_f32_e32 v42, v42, v43
	;; [unrolled: 1-line block ×3, first 2 shown]
	v_mul_f32_e32 v58, v57, v43
	v_mul_f32_e32 v44, v55, v58
	v_fma_f32 v46, v58, v55, -v44
	v_fmac_f32_e32 v46, v58, v56
	v_sub_f32_e32 v45, v45, v43
	v_add_f32_e32 v55, v42, v45
	v_add_f32_e32 v42, v44, v46
	v_sub_f32_e32 v45, v43, v42
	v_pk_add_f32 v[48:49], v[42:43], v[44:45] neg_lo:[0,1] neg_hi:[0,1]
	v_mov_b32_e32 v47, v42
	v_pk_add_f32 v[42:43], v[48:49], v[46:47] neg_lo:[0,1] neg_hi:[0,1]
	v_add_f32_e32 v43, v55, v43
	v_add_f32_e32 v42, v42, v43
	;; [unrolled: 1-line block ×4, first 2 shown]
	v_sub_f32_e32 v43, v45, v59
	v_mul_f32_e32 v42, v57, v42
	v_sub_f32_e32 v43, v58, v43
	v_add_f32_e32 v42, v43, v42
	v_add_f32_e32 v46, v45, v42
	v_mul_f32_e32 v48, v46, v46
	v_mov_b32_e32 v44, 0x3ecc95a3
	v_fmac_f32_e32 v44, 0x3e9b6dac, v48
	v_mov_b32_e32 v43, 0x3f2aaada
	v_fmac_f32_e32 v43, v48, v44
	v_cvt_f32_i32_e32 v44, v54
	v_sub_f32_e32 v45, v46, v45
	v_sub_f32_e32 v42, v42, v45
	v_ldexp_f32 v49, v42, 1
	v_mul_f32_e32 v45, v46, v48
	v_mov_b32_e32 v42, 0x3f317218
	s_mov_b32 s2, 0x3f317218
	v_pk_mul_f32 v[42:43], v[44:45], v[42:43]
	v_ldexp_f32 v47, v46, 1
	v_fma_f32 v46, v44, s2, -v42
	v_fmac_f32_e32 v46, 0xb102e308, v44
	v_pk_add_f32 v[44:45], v[42:43], v[46:47]
	v_sub_f32_e32 v47, v45, v47
	v_sub_f32_e32 v47, v43, v47
	v_add_f32_e32 v49, v49, v47
	v_mov_b32_e32 v48, v42
	v_pk_add_f32 v[42:43], v[44:45], v[42:43] neg_lo:[0,1] neg_hi:[0,1]
	v_pk_add_f32 v[54:55], v[44:45], v[48:49]
	v_mov_b32_e32 v43, v55
	v_mov_b32_e32 v47, v44
	v_pk_add_f32 v[56:57], v[46:47], v[42:43] neg_lo:[0,1] neg_hi:[0,1]
	v_pk_add_f32 v[42:43], v[46:47], v[42:43]
	v_mov_b32_e32 v46, v43
	v_pk_add_f32 v[58:59], v[46:47], v[44:45] neg_lo:[0,1] neg_hi:[0,1]
	v_mov_b32_e32 v47, v58
	v_pk_add_f32 v[60:61], v[54:55], v[46:47] neg_lo:[0,1] neg_hi:[0,1]
	v_mov_b32_e32 v42, v55
	v_mov_b32_e32 v54, v45
	;; [unrolled: 1-line block ×4, first 2 shown]
	v_pk_add_f32 v[42:43], v[42:43], v[54:55] neg_lo:[0,1] neg_hi:[0,1]
	v_mov_b32_e32 v48, v49
	v_mov_b32_e32 v49, v44
	v_pk_add_f32 v[42:43], v[48:49], v[42:43] neg_lo:[0,1] neg_hi:[0,1]
	v_mov_b32_e32 v60, v56
	v_pk_add_f32 v[44:45], v[60:61], v[42:43]
	v_mov_b32_e32 v48, v45
	v_pk_add_f32 v[48:49], v[44:45], v[48:49]
	v_pk_add_f32 v[46:47], v[46:47], v[48:49]
	v_mov_b32_e32 v45, v46
	v_pk_add_f32 v[54:55], v[44:45], v[56:57] neg_lo:[0,1] neg_hi:[0,1]
	v_mov_b32_e32 v43, v48
	v_sub_f32_e32 v44, v44, v54
	v_pk_add_f32 v[42:43], v[42:43], v[54:55] neg_lo:[0,1] neg_hi:[0,1]
	v_sub_f32_e32 v44, v56, v44
	s_mov_b32 s3, 0x7f800000
	v_add_f32_e32 v42, v42, v44
	s_mov_b32 s2, 0x33800000
	v_add_f32_e32 v42, v42, v43
	v_cmp_eq_f32_e64 s[80:81], s3, v62
	v_cmp_lt_f32_e64 s[84:85], |v62|, s2
	v_add_f32_e32 v42, v46, v42
	s_or_b64 s[80:81], s[80:81], s[84:85]
	v_cndmask_b32_e64 v42, v42, v62, s[80:81]
	v_add_f32_e32 v42, v41, v42
.LBB462_82:
	s_or_b64 exec, exec, s[0:1]
	v_bfe_u32 v41, v42, 16, 1
	v_add3_u32 v41, v42, v41, s82
	v_and_b32_e32 v41, 0xffff0000, v41
	v_cmp_o_f32_e64 s[80:81], v42, v42
	v_cndmask_b32_e64 v43, v39, v41, s[80:81]
	v_and_b32_e32 v6, 0xffff0000, v6
	v_max_f32_e32 v39, v43, v43
	v_max_f32_e32 v41, v6, v6
	v_min_f32_e32 v42, v39, v41
	v_cmp_u_f32_e64 s[82:83], v43, v43
	v_max_f32_e32 v39, v39, v41
	v_cndmask_b32_e64 v42, v42, v43, s[82:83]
	v_cmp_u_f32_e64 s[80:81], v6, v6
	v_cndmask_b32_e64 v39, v39, v43, s[82:83]
	v_cndmask_b32_e64 v42, v42, v6, s[80:81]
	;; [unrolled: 1-line block ×3, first 2 shown]
	v_cmp_neq_f32_e64 s[82:83], v42, v39
	v_cmp_class_f32_e64 s[0:1], v42, s33
	s_or_b64 s[82:83], s[82:83], s[0:1]
	s_and_saveexec_b64 s[0:1], s[82:83]
	s_cbranch_execz .LBB462_84
; %bb.83:
	v_sub_f32_e32 v42, v42, v39
	s_mov_b32 s2, 0x3fb8aa3b
	v_mul_f32_e32 v43, 0x3fb8aa3b, v42
	v_fma_f32 v44, v42, s2, -v43
	v_rndne_f32_e32 v45, v43
	v_fmac_f32_e32 v44, 0x32a5705f, v42
	v_sub_f32_e32 v43, v43, v45
	v_add_f32_e32 v43, v43, v44
	v_exp_f32_e32 v43, v43
	v_cvt_i32_f32_e32 v44, v45
	s_mov_b32 s2, 0xc2ce8ed0
	v_cmp_ngt_f32_e64 s[82:83], s2, v42
	s_mov_b32 s2, 0x42b17218
	v_ldexp_f32 v43, v43, v44
	v_cndmask_b32_e64 v43, 0, v43, s[82:83]
	v_mov_b32_e32 v44, 0x7f800000
	v_cmp_nlt_f32_e64 s[82:83], s2, v42
	v_cndmask_b32_e64 v62, v44, v43, s[82:83]
	v_add_f32_e32 v44, 1.0, v62
	v_add_f32_e32 v42, -1.0, v44
	v_sub_f32_e32 v43, v42, v44
	v_add_f32_e32 v43, 1.0, v43
	v_sub_f32_e32 v42, v62, v42
	v_add_f32_e32 v45, v42, v43
	v_frexp_mant_f32_e32 v46, v44
	s_mov_b32 s2, 0x3f2aaaab
	v_cvt_f64_f32_e32 v[42:43], v44
	v_frexp_exp_i32_f64_e32 v42, v[42:43]
	v_cmp_gt_f32_e64 s[82:83], s2, v46
	v_subbrev_co_u32_e64 v54, s[82:83], 0, v42, s[82:83]
	v_sub_u32_e32 v42, 0, v54
	v_ldexp_f32 v43, v44, v42
	v_add_f32_e32 v44, -1.0, v43
	v_add_f32_e32 v46, 1.0, v43
	v_ldexp_f32 v42, v45, v42
	v_add_f32_e32 v45, 1.0, v44
	v_add_f32_e32 v47, -1.0, v46
	v_sub_f32_e32 v45, v43, v45
	v_sub_f32_e32 v43, v43, v47
	v_add_f32_e32 v45, v42, v45
	v_add_f32_e32 v42, v42, v43
	;; [unrolled: 1-line block ×3, first 2 shown]
	v_rcp_f32_e32 v57, v55
	v_sub_f32_e32 v43, v46, v55
	v_add_f32_e32 v56, v42, v43
	v_add_f32_e32 v43, v44, v45
	v_mul_f32_e32 v59, v43, v57
	v_sub_f32_e32 v42, v44, v43
	v_mul_f32_e32 v44, v55, v59
	v_fma_f32 v46, v59, v55, -v44
	v_fmac_f32_e32 v46, v59, v56
	v_add_f32_e32 v58, v45, v42
	v_add_f32_e32 v42, v44, v46
	v_sub_f32_e32 v45, v43, v42
	v_pk_add_f32 v[48:49], v[42:43], v[44:45] neg_lo:[0,1] neg_hi:[0,1]
	v_mov_b32_e32 v47, v42
	v_pk_add_f32 v[42:43], v[48:49], v[46:47] neg_lo:[0,1] neg_hi:[0,1]
	v_add_f32_e32 v43, v58, v43
	v_add_f32_e32 v42, v42, v43
	;; [unrolled: 1-line block ×3, first 2 shown]
	v_mul_f32_e32 v58, v57, v43
	v_mul_f32_e32 v44, v55, v58
	v_fma_f32 v46, v58, v55, -v44
	v_fmac_f32_e32 v46, v58, v56
	v_sub_f32_e32 v45, v45, v43
	v_add_f32_e32 v55, v42, v45
	v_add_f32_e32 v42, v44, v46
	v_sub_f32_e32 v45, v43, v42
	v_pk_add_f32 v[48:49], v[42:43], v[44:45] neg_lo:[0,1] neg_hi:[0,1]
	v_mov_b32_e32 v47, v42
	v_pk_add_f32 v[42:43], v[48:49], v[46:47] neg_lo:[0,1] neg_hi:[0,1]
	v_add_f32_e32 v43, v55, v43
	v_add_f32_e32 v42, v42, v43
	;; [unrolled: 1-line block ×4, first 2 shown]
	v_sub_f32_e32 v43, v45, v59
	v_mul_f32_e32 v42, v57, v42
	v_sub_f32_e32 v43, v58, v43
	v_add_f32_e32 v42, v43, v42
	v_add_f32_e32 v46, v45, v42
	v_mul_f32_e32 v48, v46, v46
	v_mov_b32_e32 v44, 0x3ecc95a3
	v_fmac_f32_e32 v44, 0x3e9b6dac, v48
	v_mov_b32_e32 v43, 0x3f2aaada
	v_fmac_f32_e32 v43, v48, v44
	v_cvt_f32_i32_e32 v44, v54
	v_sub_f32_e32 v45, v46, v45
	v_sub_f32_e32 v42, v42, v45
	v_ldexp_f32 v49, v42, 1
	v_mul_f32_e32 v45, v46, v48
	v_mov_b32_e32 v42, 0x3f317218
	s_mov_b32 s2, 0x3f317218
	v_pk_mul_f32 v[42:43], v[44:45], v[42:43]
	v_ldexp_f32 v47, v46, 1
	v_fma_f32 v46, v44, s2, -v42
	v_fmac_f32_e32 v46, 0xb102e308, v44
	v_pk_add_f32 v[44:45], v[42:43], v[46:47]
	v_sub_f32_e32 v47, v45, v47
	v_sub_f32_e32 v47, v43, v47
	v_add_f32_e32 v49, v49, v47
	v_mov_b32_e32 v48, v42
	v_pk_add_f32 v[42:43], v[44:45], v[42:43] neg_lo:[0,1] neg_hi:[0,1]
	v_pk_add_f32 v[54:55], v[44:45], v[48:49]
	v_mov_b32_e32 v43, v55
	v_mov_b32_e32 v47, v44
	v_pk_add_f32 v[56:57], v[46:47], v[42:43] neg_lo:[0,1] neg_hi:[0,1]
	v_pk_add_f32 v[42:43], v[46:47], v[42:43]
	v_mov_b32_e32 v46, v43
	v_pk_add_f32 v[58:59], v[46:47], v[44:45] neg_lo:[0,1] neg_hi:[0,1]
	v_mov_b32_e32 v47, v58
	v_pk_add_f32 v[60:61], v[54:55], v[46:47] neg_lo:[0,1] neg_hi:[0,1]
	v_mov_b32_e32 v42, v55
	v_mov_b32_e32 v54, v45
	;; [unrolled: 1-line block ×4, first 2 shown]
	v_pk_add_f32 v[42:43], v[42:43], v[54:55] neg_lo:[0,1] neg_hi:[0,1]
	v_mov_b32_e32 v48, v49
	v_mov_b32_e32 v49, v44
	v_pk_add_f32 v[42:43], v[48:49], v[42:43] neg_lo:[0,1] neg_hi:[0,1]
	v_mov_b32_e32 v60, v56
	v_pk_add_f32 v[44:45], v[60:61], v[42:43]
	v_mov_b32_e32 v48, v45
	v_pk_add_f32 v[48:49], v[44:45], v[48:49]
	v_pk_add_f32 v[46:47], v[46:47], v[48:49]
	v_mov_b32_e32 v45, v46
	v_pk_add_f32 v[54:55], v[44:45], v[56:57] neg_lo:[0,1] neg_hi:[0,1]
	v_mov_b32_e32 v43, v48
	v_sub_f32_e32 v44, v44, v54
	v_pk_add_f32 v[42:43], v[42:43], v[54:55] neg_lo:[0,1] neg_hi:[0,1]
	v_sub_f32_e32 v44, v56, v44
	s_mov_b32 s3, 0x7f800000
	v_add_f32_e32 v42, v42, v44
	s_mov_b32 s2, 0x33800000
	v_add_f32_e32 v42, v42, v43
	v_cmp_eq_f32_e64 s[82:83], s3, v62
	v_cmp_lt_f32_e64 s[84:85], |v62|, s2
	v_add_f32_e32 v42, v46, v42
	s_or_b64 s[82:83], s[82:83], s[84:85]
	v_cndmask_b32_e64 v42, v42, v62, s[82:83]
	v_add_f32_e32 v43, v39, v42
.LBB462_84:
	s_or_b64 exec, exec, s[0:1]
	v_bfe_u32 v39, v43, 16, 1
	s_movk_i32 s86, 0x7fff
	v_add3_u32 v39, v43, v39, s86
	v_and_b32_e32 v39, 0xffff0000, v39
	v_mov_b32_e32 v42, 0x7fc00000
	v_cmp_o_f32_e64 s[82:83], v43, v43
	v_cndmask_b32_e64 v45, v42, v39, s[82:83]
	v_lshlrev_b32_e32 v39, 16, v7
	v_max_f32_e32 v44, v45, v45
	v_max_f32_e32 v43, v39, v39
	v_min_f32_e32 v46, v44, v43
	v_cmp_u_f32_e64 s[84:85], v45, v45
	v_max_f32_e32 v44, v44, v43
	v_cndmask_b32_e64 v46, v46, v45, s[84:85]
	v_cmp_u_f32_e64 s[82:83], v39, v39
	v_cndmask_b32_e64 v44, v44, v45, s[84:85]
	v_cndmask_b32_e64 v46, v46, v39, s[82:83]
	;; [unrolled: 1-line block ×3, first 2 shown]
	v_cmp_neq_f32_e64 s[84:85], v46, v44
	v_cmp_class_f32_e64 s[0:1], v46, s33
	s_or_b64 s[84:85], s[84:85], s[0:1]
	s_and_saveexec_b64 s[0:1], s[84:85]
	s_cbranch_execz .LBB462_86
; %bb.85:
	v_sub_f32_e32 v45, v46, v44
	s_mov_b32 s2, 0x3fb8aa3b
	v_mul_f32_e32 v46, 0x3fb8aa3b, v45
	v_fma_f32 v47, v45, s2, -v46
	v_rndne_f32_e32 v48, v46
	v_fmac_f32_e32 v47, 0x32a5705f, v45
	v_sub_f32_e32 v46, v46, v48
	v_add_f32_e32 v46, v46, v47
	v_exp_f32_e32 v46, v46
	v_cvt_i32_f32_e32 v47, v48
	s_mov_b32 s2, 0xc2ce8ed0
	v_cmp_ngt_f32_e64 s[84:85], s2, v45
	s_mov_b32 s2, 0x42b17218
	v_ldexp_f32 v46, v46, v47
	v_cndmask_b32_e64 v46, 0, v46, s[84:85]
	v_mov_b32_e32 v47, 0x7f800000
	v_cmp_nlt_f32_e64 s[84:85], s2, v45
	v_cndmask_b32_e64 v66, v47, v46, s[84:85]
	v_add_f32_e32 v45, 1.0, v66
	v_add_f32_e32 v46, -1.0, v45
	v_sub_f32_e32 v47, v46, v45
	v_add_f32_e32 v47, 1.0, v47
	v_sub_f32_e32 v46, v66, v46
	v_add_f32_e32 v48, v46, v47
	v_frexp_mant_f32_e32 v49, v45
	s_mov_b32 s2, 0x3f2aaaab
	v_cvt_f64_f32_e32 v[46:47], v45
	v_frexp_exp_i32_f64_e32 v46, v[46:47]
	v_cmp_gt_f32_e64 s[84:85], s2, v49
	v_subbrev_co_u32_e64 v58, s[84:85], 0, v46, s[84:85]
	v_sub_u32_e32 v46, 0, v58
	v_ldexp_f32 v45, v45, v46
	v_ldexp_f32 v46, v48, v46
	v_add_f32_e32 v48, -1.0, v45
	v_add_f32_e32 v47, 1.0, v48
	v_sub_f32_e32 v47, v45, v47
	v_add_f32_e32 v49, v46, v47
	v_add_f32_e32 v47, 1.0, v45
	v_add_f32_e32 v54, -1.0, v47
	v_sub_f32_e32 v45, v45, v54
	v_add_f32_e32 v45, v46, v45
	v_add_f32_e32 v59, v47, v45
	v_rcp_f32_e32 v60, v59
	v_sub_f32_e32 v46, v47, v59
	v_add_f32_e32 v47, v48, v49
	v_add_f32_e32 v45, v45, v46
	v_mul_f32_e32 v62, v47, v60
	v_sub_f32_e32 v46, v48, v47
	v_mul_f32_e32 v48, v59, v62
	v_fma_f32 v54, v62, v59, -v48
	v_fmac_f32_e32 v54, v62, v45
	v_add_f32_e32 v61, v49, v46
	v_add_f32_e32 v46, v48, v54
	v_sub_f32_e32 v49, v47, v46
	v_pk_add_f32 v[56:57], v[46:47], v[48:49] neg_lo:[0,1] neg_hi:[0,1]
	v_mov_b32_e32 v55, v46
	v_pk_add_f32 v[46:47], v[56:57], v[54:55] neg_lo:[0,1] neg_hi:[0,1]
	v_add_f32_e32 v47, v61, v47
	v_add_f32_e32 v46, v46, v47
	v_add_f32_e32 v47, v49, v46
	v_mul_f32_e32 v61, v60, v47
	v_mul_f32_e32 v48, v59, v61
	v_fma_f32 v54, v61, v59, -v48
	v_fmac_f32_e32 v54, v61, v45
	v_sub_f32_e32 v45, v49, v47
	v_add_f32_e32 v45, v46, v45
	v_add_f32_e32 v46, v48, v54
	v_sub_f32_e32 v49, v47, v46
	v_pk_add_f32 v[56:57], v[46:47], v[48:49] neg_lo:[0,1] neg_hi:[0,1]
	v_mov_b32_e32 v55, v46
	v_pk_add_f32 v[46:47], v[56:57], v[54:55] neg_lo:[0,1] neg_hi:[0,1]
	v_add_f32_e32 v45, v45, v47
	v_add_f32_e32 v45, v46, v45
	;; [unrolled: 1-line block ×4, first 2 shown]
	v_sub_f32_e32 v47, v46, v62
	v_mul_f32_e32 v45, v60, v45
	v_sub_f32_e32 v47, v61, v47
	v_add_f32_e32 v45, v47, v45
	v_add_f32_e32 v49, v46, v45
	v_mul_f32_e32 v54, v49, v49
	v_mov_b32_e32 v48, 0x3ecc95a3
	v_fmac_f32_e32 v48, 0x3e9b6dac, v54
	v_mov_b32_e32 v47, 0x3f2aaada
	v_fmac_f32_e32 v47, v54, v48
	v_cvt_f32_i32_e32 v48, v58
	v_sub_f32_e32 v46, v49, v46
	v_sub_f32_e32 v45, v45, v46
	v_ldexp_f32 v55, v49, 1
	v_mul_f32_e32 v49, v49, v54
	v_mov_b32_e32 v46, 0x3f317218
	s_mov_b32 s2, 0x3f317218
	v_pk_mul_f32 v[46:47], v[48:49], v[46:47]
	v_fma_f32 v54, v48, s2, -v46
	v_fmac_f32_e32 v54, 0xb102e308, v48
	v_pk_add_f32 v[48:49], v[46:47], v[54:55]
	v_sub_f32_e32 v55, v49, v55
	v_ldexp_f32 v45, v45, 1
	v_sub_f32_e32 v55, v47, v55
	v_add_f32_e32 v57, v45, v55
	v_mov_b32_e32 v56, v46
	v_pk_add_f32 v[46:47], v[48:49], v[46:47] neg_lo:[0,1] neg_hi:[0,1]
	v_pk_add_f32 v[58:59], v[48:49], v[56:57]
	v_mov_b32_e32 v47, v59
	v_mov_b32_e32 v55, v48
	v_pk_add_f32 v[60:61], v[54:55], v[46:47] neg_lo:[0,1] neg_hi:[0,1]
	v_pk_add_f32 v[46:47], v[54:55], v[46:47]
	v_mov_b32_e32 v54, v47
	v_pk_add_f32 v[62:63], v[54:55], v[48:49] neg_lo:[0,1] neg_hi:[0,1]
	v_mov_b32_e32 v45, v62
	v_pk_add_f32 v[64:65], v[58:59], v[44:45] neg_lo:[0,1] neg_hi:[0,1]
	v_mov_b32_e32 v46, v59
	v_mov_b32_e32 v58, v49
	;; [unrolled: 1-line block ×4, first 2 shown]
	v_pk_add_f32 v[46:47], v[46:47], v[58:59] neg_lo:[0,1] neg_hi:[0,1]
	v_mov_b32_e32 v56, v57
	v_mov_b32_e32 v57, v48
	v_pk_add_f32 v[46:47], v[56:57], v[46:47] neg_lo:[0,1] neg_hi:[0,1]
	v_mov_b32_e32 v64, v60
	v_pk_add_f32 v[48:49], v[64:65], v[46:47]
	v_mov_b32_e32 v56, v49
	v_pk_add_f32 v[56:57], v[48:49], v[56:57]
	v_pk_add_f32 v[54:55], v[54:55], v[56:57]
	v_mov_b32_e32 v49, v54
	v_pk_add_f32 v[58:59], v[48:49], v[60:61] neg_lo:[0,1] neg_hi:[0,1]
	v_mov_b32_e32 v47, v56
	v_sub_f32_e32 v45, v48, v58
	v_pk_add_f32 v[46:47], v[46:47], v[58:59] neg_lo:[0,1] neg_hi:[0,1]
	v_sub_f32_e32 v45, v60, v45
	s_mov_b32 s3, 0x7f800000
	v_add_f32_e32 v45, v46, v45
	s_mov_b32 s2, 0x33800000
	v_add_f32_e32 v45, v45, v47
	v_cmp_eq_f32_e64 s[84:85], s3, v66
	v_cmp_lt_f32_e64 s[88:89], |v66|, s2
	v_add_f32_e32 v45, v54, v45
	s_or_b64 s[84:85], s[84:85], s[88:89]
	v_cndmask_b32_e64 v45, v45, v66, s[84:85]
	v_add_f32_e32 v45, v44, v45
.LBB462_86:
	s_or_b64 exec, exec, s[0:1]
	v_bfe_u32 v44, v45, 16, 1
	v_add3_u32 v44, v45, v44, s86
	v_and_b32_e32 v44, 0xffff0000, v44
	v_cmp_o_f32_e64 s[84:85], v45, v45
	v_cndmask_b32_e64 v46, v42, v44, s[84:85]
	v_and_b32_e32 v7, 0xffff0000, v7
	v_max_f32_e32 v42, v46, v46
	v_max_f32_e32 v44, v7, v7
	v_min_f32_e32 v45, v42, v44
	v_cmp_u_f32_e64 s[86:87], v46, v46
	v_max_f32_e32 v42, v42, v44
	v_cndmask_b32_e64 v45, v45, v46, s[86:87]
	v_cmp_u_f32_e64 s[84:85], v7, v7
	v_cndmask_b32_e64 v42, v42, v46, s[86:87]
	v_cndmask_b32_e64 v45, v45, v7, s[84:85]
	;; [unrolled: 1-line block ×3, first 2 shown]
	v_cmp_neq_f32_e64 s[86:87], v45, v42
	v_cmp_class_f32_e64 s[0:1], v45, s33
	s_or_b64 s[86:87], s[86:87], s[0:1]
	s_and_saveexec_b64 s[0:1], s[86:87]
	s_cbranch_execz .LBB462_88
; %bb.87:
	v_sub_f32_e32 v45, v45, v42
	s_mov_b32 s2, 0x3fb8aa3b
	v_mul_f32_e32 v46, 0x3fb8aa3b, v45
	v_fma_f32 v47, v45, s2, -v46
	v_rndne_f32_e32 v48, v46
	v_fmac_f32_e32 v47, 0x32a5705f, v45
	v_sub_f32_e32 v46, v46, v48
	v_add_f32_e32 v46, v46, v47
	v_exp_f32_e32 v46, v46
	v_cvt_i32_f32_e32 v47, v48
	s_mov_b32 s2, 0xc2ce8ed0
	v_cmp_ngt_f32_e64 s[86:87], s2, v45
	s_mov_b32 s2, 0x42b17218
	v_ldexp_f32 v46, v46, v47
	v_cndmask_b32_e64 v46, 0, v46, s[86:87]
	v_mov_b32_e32 v47, 0x7f800000
	v_cmp_nlt_f32_e64 s[86:87], s2, v45
	v_cndmask_b32_e64 v66, v47, v46, s[86:87]
	v_add_f32_e32 v45, 1.0, v66
	v_add_f32_e32 v46, -1.0, v45
	v_sub_f32_e32 v47, v46, v45
	v_add_f32_e32 v47, 1.0, v47
	v_sub_f32_e32 v46, v66, v46
	v_add_f32_e32 v48, v46, v47
	v_frexp_mant_f32_e32 v49, v45
	s_mov_b32 s2, 0x3f2aaaab
	v_cvt_f64_f32_e32 v[46:47], v45
	v_frexp_exp_i32_f64_e32 v46, v[46:47]
	v_cmp_gt_f32_e64 s[86:87], s2, v49
	v_subbrev_co_u32_e64 v58, s[86:87], 0, v46, s[86:87]
	v_sub_u32_e32 v46, 0, v58
	v_ldexp_f32 v45, v45, v46
	v_ldexp_f32 v46, v48, v46
	v_add_f32_e32 v48, -1.0, v45
	v_add_f32_e32 v47, 1.0, v48
	v_sub_f32_e32 v47, v45, v47
	v_add_f32_e32 v49, v46, v47
	v_add_f32_e32 v47, 1.0, v45
	v_add_f32_e32 v54, -1.0, v47
	v_sub_f32_e32 v45, v45, v54
	v_add_f32_e32 v45, v46, v45
	v_add_f32_e32 v59, v47, v45
	v_rcp_f32_e32 v60, v59
	v_sub_f32_e32 v46, v47, v59
	v_add_f32_e32 v47, v48, v49
	v_add_f32_e32 v45, v45, v46
	v_mul_f32_e32 v62, v47, v60
	v_sub_f32_e32 v46, v48, v47
	v_mul_f32_e32 v48, v59, v62
	v_fma_f32 v54, v62, v59, -v48
	v_fmac_f32_e32 v54, v62, v45
	v_add_f32_e32 v61, v49, v46
	v_add_f32_e32 v46, v48, v54
	v_sub_f32_e32 v49, v47, v46
	v_pk_add_f32 v[56:57], v[46:47], v[48:49] neg_lo:[0,1] neg_hi:[0,1]
	v_mov_b32_e32 v55, v46
	v_pk_add_f32 v[46:47], v[56:57], v[54:55] neg_lo:[0,1] neg_hi:[0,1]
	v_add_f32_e32 v47, v61, v47
	v_add_f32_e32 v46, v46, v47
	;; [unrolled: 1-line block ×3, first 2 shown]
	v_mul_f32_e32 v61, v60, v47
	v_mul_f32_e32 v48, v59, v61
	v_fma_f32 v54, v61, v59, -v48
	v_fmac_f32_e32 v54, v61, v45
	v_sub_f32_e32 v45, v49, v47
	v_add_f32_e32 v45, v46, v45
	v_add_f32_e32 v46, v48, v54
	v_sub_f32_e32 v49, v47, v46
	v_pk_add_f32 v[56:57], v[46:47], v[48:49] neg_lo:[0,1] neg_hi:[0,1]
	v_mov_b32_e32 v55, v46
	v_pk_add_f32 v[46:47], v[56:57], v[54:55] neg_lo:[0,1] neg_hi:[0,1]
	v_add_f32_e32 v45, v45, v47
	v_add_f32_e32 v45, v46, v45
	v_add_f32_e32 v46, v62, v61
	v_add_f32_e32 v45, v49, v45
	v_sub_f32_e32 v47, v46, v62
	v_mul_f32_e32 v45, v60, v45
	v_sub_f32_e32 v47, v61, v47
	v_add_f32_e32 v45, v47, v45
	v_add_f32_e32 v49, v46, v45
	v_mul_f32_e32 v54, v49, v49
	v_mov_b32_e32 v48, 0x3ecc95a3
	v_fmac_f32_e32 v48, 0x3e9b6dac, v54
	v_mov_b32_e32 v47, 0x3f2aaada
	v_fmac_f32_e32 v47, v54, v48
	v_cvt_f32_i32_e32 v48, v58
	v_sub_f32_e32 v46, v49, v46
	v_sub_f32_e32 v45, v45, v46
	v_ldexp_f32 v55, v49, 1
	v_mul_f32_e32 v49, v49, v54
	v_mov_b32_e32 v46, 0x3f317218
	s_mov_b32 s2, 0x3f317218
	v_pk_mul_f32 v[46:47], v[48:49], v[46:47]
	v_fma_f32 v54, v48, s2, -v46
	v_fmac_f32_e32 v54, 0xb102e308, v48
	v_pk_add_f32 v[48:49], v[46:47], v[54:55]
	v_sub_f32_e32 v55, v49, v55
	v_ldexp_f32 v45, v45, 1
	v_sub_f32_e32 v55, v47, v55
	v_add_f32_e32 v57, v45, v55
	v_mov_b32_e32 v56, v46
	v_pk_add_f32 v[46:47], v[48:49], v[46:47] neg_lo:[0,1] neg_hi:[0,1]
	v_pk_add_f32 v[58:59], v[48:49], v[56:57]
	v_mov_b32_e32 v47, v59
	v_mov_b32_e32 v55, v48
	v_pk_add_f32 v[60:61], v[54:55], v[46:47] neg_lo:[0,1] neg_hi:[0,1]
	v_pk_add_f32 v[46:47], v[54:55], v[46:47]
	v_mov_b32_e32 v54, v47
	v_pk_add_f32 v[62:63], v[54:55], v[48:49] neg_lo:[0,1] neg_hi:[0,1]
	v_mov_b32_e32 v45, v62
	v_pk_add_f32 v[64:65], v[58:59], v[44:45] neg_lo:[0,1] neg_hi:[0,1]
	v_mov_b32_e32 v46, v59
	v_mov_b32_e32 v58, v49
	;; [unrolled: 1-line block ×4, first 2 shown]
	v_pk_add_f32 v[46:47], v[46:47], v[58:59] neg_lo:[0,1] neg_hi:[0,1]
	v_mov_b32_e32 v56, v57
	v_mov_b32_e32 v57, v48
	v_pk_add_f32 v[46:47], v[56:57], v[46:47] neg_lo:[0,1] neg_hi:[0,1]
	v_mov_b32_e32 v64, v60
	v_pk_add_f32 v[48:49], v[64:65], v[46:47]
	v_mov_b32_e32 v56, v49
	v_pk_add_f32 v[56:57], v[48:49], v[56:57]
	v_pk_add_f32 v[54:55], v[54:55], v[56:57]
	v_mov_b32_e32 v49, v54
	v_pk_add_f32 v[58:59], v[48:49], v[60:61] neg_lo:[0,1] neg_hi:[0,1]
	v_mov_b32_e32 v47, v56
	v_sub_f32_e32 v45, v48, v58
	v_pk_add_f32 v[46:47], v[46:47], v[58:59] neg_lo:[0,1] neg_hi:[0,1]
	v_sub_f32_e32 v45, v60, v45
	s_mov_b32 s3, 0x7f800000
	v_add_f32_e32 v45, v46, v45
	s_mov_b32 s2, 0x33800000
	v_add_f32_e32 v45, v45, v47
	v_cmp_eq_f32_e64 s[86:87], s3, v66
	v_cmp_lt_f32_e64 s[88:89], |v66|, s2
	v_add_f32_e32 v45, v54, v45
	s_or_b64 s[86:87], s[86:87], s[88:89]
	v_cndmask_b32_e64 v45, v45, v66, s[86:87]
	v_add_f32_e32 v46, v42, v45
.LBB462_88:
	s_or_b64 exec, exec, s[0:1]
	v_bfe_u32 v42, v46, 16, 1
	s_movk_i32 s90, 0x7fff
	v_add3_u32 v42, v46, v42, s90
	v_and_b32_e32 v42, 0xffff0000, v42
	v_mov_b32_e32 v45, 0x7fc00000
	v_cmp_o_f32_e64 s[86:87], v46, v46
	v_cndmask_b32_e64 v48, v45, v42, s[86:87]
	v_lshlrev_b32_e32 v42, 16, v8
	v_max_f32_e32 v47, v48, v48
	v_max_f32_e32 v46, v42, v42
	v_min_f32_e32 v49, v47, v46
	v_cmp_u_f32_e64 s[88:89], v48, v48
	v_max_f32_e32 v47, v47, v46
	v_cndmask_b32_e64 v49, v49, v48, s[88:89]
	v_cmp_u_f32_e64 s[86:87], v42, v42
	v_cndmask_b32_e64 v47, v47, v48, s[88:89]
	v_cndmask_b32_e64 v49, v49, v42, s[86:87]
	;; [unrolled: 1-line block ×3, first 2 shown]
	v_cmp_neq_f32_e64 s[88:89], v49, v47
	v_cmp_class_f32_e64 s[0:1], v49, s33
	s_or_b64 s[88:89], s[88:89], s[0:1]
	s_and_saveexec_b64 s[0:1], s[88:89]
	s_cbranch_execz .LBB462_90
; %bb.89:
	v_sub_f32_e32 v48, v49, v47
	s_mov_b32 s2, 0x3fb8aa3b
	v_mul_f32_e32 v49, 0x3fb8aa3b, v48
	v_fma_f32 v54, v48, s2, -v49
	v_rndne_f32_e32 v55, v49
	v_fmac_f32_e32 v54, 0x32a5705f, v48
	v_sub_f32_e32 v49, v49, v55
	v_add_f32_e32 v49, v49, v54
	v_exp_f32_e32 v49, v49
	v_cvt_i32_f32_e32 v54, v55
	s_mov_b32 s2, 0xc2ce8ed0
	v_cmp_ngt_f32_e64 s[88:89], s2, v48
	s_mov_b32 s2, 0x42b17218
	v_ldexp_f32 v49, v49, v54
	v_cndmask_b32_e64 v49, 0, v49, s[88:89]
	v_mov_b32_e32 v54, 0x7f800000
	v_cmp_nlt_f32_e64 s[88:89], s2, v48
	v_cndmask_b32_e64 v68, v54, v49, s[88:89]
	v_add_f32_e32 v54, 1.0, v68
	v_add_f32_e32 v48, -1.0, v54
	v_sub_f32_e32 v49, v48, v54
	v_add_f32_e32 v49, 1.0, v49
	v_sub_f32_e32 v48, v68, v48
	v_add_f32_e32 v55, v48, v49
	v_frexp_mant_f32_e32 v56, v54
	s_mov_b32 s2, 0x3f2aaaab
	v_cvt_f64_f32_e32 v[48:49], v54
	v_frexp_exp_i32_f64_e32 v48, v[48:49]
	v_cmp_gt_f32_e64 s[88:89], s2, v56
	v_subbrev_co_u32_e64 v60, s[88:89], 0, v48, s[88:89]
	v_sub_u32_e32 v48, 0, v60
	v_ldexp_f32 v49, v54, v48
	v_add_f32_e32 v54, -1.0, v49
	v_add_f32_e32 v56, 1.0, v49
	v_ldexp_f32 v48, v55, v48
	v_add_f32_e32 v55, 1.0, v54
	v_add_f32_e32 v57, -1.0, v56
	v_sub_f32_e32 v55, v49, v55
	v_sub_f32_e32 v49, v49, v57
	v_add_f32_e32 v55, v48, v55
	v_add_f32_e32 v48, v48, v49
	;; [unrolled: 1-line block ×3, first 2 shown]
	v_rcp_f32_e32 v63, v61
	v_sub_f32_e32 v49, v56, v61
	v_add_f32_e32 v62, v48, v49
	v_add_f32_e32 v49, v54, v55
	v_mul_f32_e32 v65, v49, v63
	v_sub_f32_e32 v48, v54, v49
	v_mul_f32_e32 v54, v61, v65
	v_fma_f32 v56, v65, v61, -v54
	v_fmac_f32_e32 v56, v65, v62
	v_add_f32_e32 v64, v55, v48
	v_add_f32_e32 v48, v54, v56
	v_sub_f32_e32 v55, v49, v48
	v_pk_add_f32 v[58:59], v[48:49], v[54:55] neg_lo:[0,1] neg_hi:[0,1]
	v_mov_b32_e32 v57, v48
	v_pk_add_f32 v[48:49], v[58:59], v[56:57] neg_lo:[0,1] neg_hi:[0,1]
	v_add_f32_e32 v49, v64, v49
	v_add_f32_e32 v48, v48, v49
	;; [unrolled: 1-line block ×3, first 2 shown]
	v_mul_f32_e32 v64, v63, v49
	v_mul_f32_e32 v54, v61, v64
	v_fma_f32 v56, v64, v61, -v54
	v_fmac_f32_e32 v56, v64, v62
	v_sub_f32_e32 v55, v55, v49
	v_add_f32_e32 v61, v48, v55
	v_add_f32_e32 v48, v54, v56
	v_sub_f32_e32 v55, v49, v48
	v_pk_add_f32 v[58:59], v[48:49], v[54:55] neg_lo:[0,1] neg_hi:[0,1]
	v_mov_b32_e32 v57, v48
	v_pk_add_f32 v[48:49], v[58:59], v[56:57] neg_lo:[0,1] neg_hi:[0,1]
	v_add_f32_e32 v49, v61, v49
	v_add_f32_e32 v48, v48, v49
	v_add_f32_e32 v48, v55, v48
	v_add_f32_e32 v55, v65, v64
	v_sub_f32_e32 v49, v55, v65
	v_mul_f32_e32 v48, v63, v48
	v_sub_f32_e32 v49, v64, v49
	v_add_f32_e32 v48, v49, v48
	v_add_f32_e32 v56, v55, v48
	v_mul_f32_e32 v58, v56, v56
	v_mov_b32_e32 v54, 0x3ecc95a3
	v_fmac_f32_e32 v54, 0x3e9b6dac, v58
	v_mov_b32_e32 v49, 0x3f2aaada
	v_fmac_f32_e32 v49, v58, v54
	v_cvt_f32_i32_e32 v54, v60
	v_sub_f32_e32 v55, v56, v55
	v_sub_f32_e32 v48, v48, v55
	v_ldexp_f32 v59, v48, 1
	v_mul_f32_e32 v55, v56, v58
	v_mov_b32_e32 v48, 0x3f317218
	s_mov_b32 s2, 0x3f317218
	v_pk_mul_f32 v[48:49], v[54:55], v[48:49]
	v_ldexp_f32 v57, v56, 1
	v_fma_f32 v56, v54, s2, -v48
	v_fmac_f32_e32 v56, 0xb102e308, v54
	v_pk_add_f32 v[54:55], v[48:49], v[56:57]
	v_sub_f32_e32 v57, v55, v57
	v_sub_f32_e32 v57, v49, v57
	v_add_f32_e32 v59, v59, v57
	v_mov_b32_e32 v58, v48
	v_pk_add_f32 v[48:49], v[54:55], v[48:49] neg_lo:[0,1] neg_hi:[0,1]
	v_pk_add_f32 v[60:61], v[54:55], v[58:59]
	v_mov_b32_e32 v49, v61
	v_mov_b32_e32 v57, v54
	v_pk_add_f32 v[62:63], v[56:57], v[48:49] neg_lo:[0,1] neg_hi:[0,1]
	v_pk_add_f32 v[48:49], v[56:57], v[48:49]
	v_mov_b32_e32 v56, v49
	v_pk_add_f32 v[64:65], v[56:57], v[54:55] neg_lo:[0,1] neg_hi:[0,1]
	v_mov_b32_e32 v57, v64
	v_pk_add_f32 v[66:67], v[60:61], v[56:57] neg_lo:[0,1] neg_hi:[0,1]
	v_mov_b32_e32 v48, v61
	v_mov_b32_e32 v60, v55
	;; [unrolled: 1-line block ×4, first 2 shown]
	v_pk_add_f32 v[48:49], v[48:49], v[60:61] neg_lo:[0,1] neg_hi:[0,1]
	v_mov_b32_e32 v58, v59
	v_mov_b32_e32 v59, v54
	v_pk_add_f32 v[48:49], v[58:59], v[48:49] neg_lo:[0,1] neg_hi:[0,1]
	v_mov_b32_e32 v66, v62
	v_pk_add_f32 v[54:55], v[66:67], v[48:49]
	v_mov_b32_e32 v58, v55
	v_pk_add_f32 v[58:59], v[54:55], v[58:59]
	v_pk_add_f32 v[56:57], v[56:57], v[58:59]
	v_mov_b32_e32 v55, v56
	v_pk_add_f32 v[60:61], v[54:55], v[62:63] neg_lo:[0,1] neg_hi:[0,1]
	v_mov_b32_e32 v49, v58
	v_sub_f32_e32 v54, v54, v60
	v_pk_add_f32 v[48:49], v[48:49], v[60:61] neg_lo:[0,1] neg_hi:[0,1]
	v_sub_f32_e32 v54, v62, v54
	s_mov_b32 s3, 0x7f800000
	v_add_f32_e32 v48, v48, v54
	s_mov_b32 s2, 0x33800000
	v_add_f32_e32 v48, v48, v49
	v_cmp_eq_f32_e64 s[88:89], s3, v68
	v_cmp_lt_f32_e64 s[92:93], |v68|, s2
	v_add_f32_e32 v48, v56, v48
	s_or_b64 s[88:89], s[88:89], s[92:93]
	v_cndmask_b32_e64 v48, v48, v68, s[88:89]
	v_add_f32_e32 v48, v47, v48
.LBB462_90:
	s_or_b64 exec, exec, s[0:1]
	v_bfe_u32 v47, v48, 16, 1
	v_add3_u32 v47, v48, v47, s90
	v_and_b32_e32 v47, 0xffff0000, v47
	v_cmp_o_f32_e64 s[88:89], v48, v48
	v_cndmask_b32_e64 v48, v45, v47, s[88:89]
	v_and_b32_e32 v8, 0xffff0000, v8
	v_max_f32_e32 v45, v48, v48
	v_max_f32_e32 v47, v8, v8
	v_min_f32_e32 v49, v45, v47
	v_cmp_u_f32_e64 s[90:91], v48, v48
	v_max_f32_e32 v45, v45, v47
	v_cndmask_b32_e64 v49, v49, v48, s[90:91]
	v_cmp_u_f32_e64 s[88:89], v8, v8
	v_cndmask_b32_e64 v45, v45, v48, s[90:91]
	v_cndmask_b32_e64 v49, v49, v8, s[88:89]
	v_cndmask_b32_e64 v45, v45, v8, s[88:89]
	v_cmp_neq_f32_e64 s[90:91], v49, v45
	v_cmp_class_f32_e64 s[0:1], v49, s33
	s_or_b64 s[90:91], s[90:91], s[0:1]
	s_and_saveexec_b64 s[0:1], s[90:91]
	s_cbranch_execz .LBB462_92
; %bb.91:
	v_sub_f32_e32 v48, v49, v45
	s_mov_b32 s2, 0x3fb8aa3b
	v_mul_f32_e32 v49, 0x3fb8aa3b, v48
	v_fma_f32 v54, v48, s2, -v49
	v_rndne_f32_e32 v55, v49
	v_fmac_f32_e32 v54, 0x32a5705f, v48
	v_sub_f32_e32 v49, v49, v55
	v_add_f32_e32 v49, v49, v54
	v_exp_f32_e32 v49, v49
	v_cvt_i32_f32_e32 v54, v55
	s_mov_b32 s2, 0xc2ce8ed0
	v_cmp_ngt_f32_e64 s[90:91], s2, v48
	s_mov_b32 s2, 0x42b17218
	v_ldexp_f32 v49, v49, v54
	v_cndmask_b32_e64 v49, 0, v49, s[90:91]
	v_mov_b32_e32 v54, 0x7f800000
	v_cmp_nlt_f32_e64 s[90:91], s2, v48
	v_cndmask_b32_e64 v68, v54, v49, s[90:91]
	v_add_f32_e32 v54, 1.0, v68
	v_add_f32_e32 v48, -1.0, v54
	v_sub_f32_e32 v49, v48, v54
	v_add_f32_e32 v49, 1.0, v49
	v_sub_f32_e32 v48, v68, v48
	v_add_f32_e32 v55, v48, v49
	v_frexp_mant_f32_e32 v56, v54
	s_mov_b32 s2, 0x3f2aaaab
	v_cvt_f64_f32_e32 v[48:49], v54
	v_frexp_exp_i32_f64_e32 v48, v[48:49]
	v_cmp_gt_f32_e64 s[90:91], s2, v56
	v_subbrev_co_u32_e64 v60, s[90:91], 0, v48, s[90:91]
	v_sub_u32_e32 v48, 0, v60
	v_ldexp_f32 v49, v54, v48
	v_add_f32_e32 v54, -1.0, v49
	v_add_f32_e32 v56, 1.0, v49
	v_ldexp_f32 v48, v55, v48
	v_add_f32_e32 v55, 1.0, v54
	v_add_f32_e32 v57, -1.0, v56
	v_sub_f32_e32 v55, v49, v55
	v_sub_f32_e32 v49, v49, v57
	v_add_f32_e32 v55, v48, v55
	v_add_f32_e32 v48, v48, v49
	;; [unrolled: 1-line block ×3, first 2 shown]
	v_rcp_f32_e32 v63, v61
	v_sub_f32_e32 v49, v56, v61
	v_add_f32_e32 v62, v48, v49
	v_add_f32_e32 v49, v54, v55
	v_mul_f32_e32 v65, v49, v63
	v_sub_f32_e32 v48, v54, v49
	v_mul_f32_e32 v54, v61, v65
	v_fma_f32 v56, v65, v61, -v54
	v_fmac_f32_e32 v56, v65, v62
	v_add_f32_e32 v64, v55, v48
	v_add_f32_e32 v48, v54, v56
	v_sub_f32_e32 v55, v49, v48
	v_pk_add_f32 v[58:59], v[48:49], v[54:55] neg_lo:[0,1] neg_hi:[0,1]
	v_mov_b32_e32 v57, v48
	v_pk_add_f32 v[48:49], v[58:59], v[56:57] neg_lo:[0,1] neg_hi:[0,1]
	v_add_f32_e32 v49, v64, v49
	v_add_f32_e32 v48, v48, v49
	v_add_f32_e32 v49, v55, v48
	v_mul_f32_e32 v64, v63, v49
	v_mul_f32_e32 v54, v61, v64
	v_fma_f32 v56, v64, v61, -v54
	v_fmac_f32_e32 v56, v64, v62
	v_sub_f32_e32 v55, v55, v49
	v_add_f32_e32 v61, v48, v55
	v_add_f32_e32 v48, v54, v56
	v_sub_f32_e32 v55, v49, v48
	v_pk_add_f32 v[58:59], v[48:49], v[54:55] neg_lo:[0,1] neg_hi:[0,1]
	v_mov_b32_e32 v57, v48
	v_pk_add_f32 v[48:49], v[58:59], v[56:57] neg_lo:[0,1] neg_hi:[0,1]
	v_add_f32_e32 v49, v61, v49
	v_add_f32_e32 v48, v48, v49
	;; [unrolled: 1-line block ×4, first 2 shown]
	v_sub_f32_e32 v49, v55, v65
	v_mul_f32_e32 v48, v63, v48
	v_sub_f32_e32 v49, v64, v49
	v_add_f32_e32 v48, v49, v48
	v_add_f32_e32 v56, v55, v48
	v_mul_f32_e32 v58, v56, v56
	v_mov_b32_e32 v54, 0x3ecc95a3
	v_fmac_f32_e32 v54, 0x3e9b6dac, v58
	v_mov_b32_e32 v49, 0x3f2aaada
	v_fmac_f32_e32 v49, v58, v54
	v_cvt_f32_i32_e32 v54, v60
	v_sub_f32_e32 v55, v56, v55
	v_sub_f32_e32 v48, v48, v55
	v_ldexp_f32 v59, v48, 1
	v_mul_f32_e32 v55, v56, v58
	v_mov_b32_e32 v48, 0x3f317218
	s_mov_b32 s2, 0x3f317218
	v_pk_mul_f32 v[48:49], v[54:55], v[48:49]
	v_ldexp_f32 v57, v56, 1
	v_fma_f32 v56, v54, s2, -v48
	v_fmac_f32_e32 v56, 0xb102e308, v54
	v_pk_add_f32 v[54:55], v[48:49], v[56:57]
	v_sub_f32_e32 v57, v55, v57
	v_sub_f32_e32 v57, v49, v57
	v_add_f32_e32 v59, v59, v57
	v_mov_b32_e32 v58, v48
	v_pk_add_f32 v[48:49], v[54:55], v[48:49] neg_lo:[0,1] neg_hi:[0,1]
	v_pk_add_f32 v[60:61], v[54:55], v[58:59]
	v_mov_b32_e32 v49, v61
	v_mov_b32_e32 v57, v54
	v_pk_add_f32 v[62:63], v[56:57], v[48:49] neg_lo:[0,1] neg_hi:[0,1]
	v_pk_add_f32 v[48:49], v[56:57], v[48:49]
	v_mov_b32_e32 v56, v49
	v_pk_add_f32 v[64:65], v[56:57], v[54:55] neg_lo:[0,1] neg_hi:[0,1]
	v_mov_b32_e32 v57, v64
	v_pk_add_f32 v[66:67], v[60:61], v[56:57] neg_lo:[0,1] neg_hi:[0,1]
	v_mov_b32_e32 v48, v61
	v_mov_b32_e32 v60, v55
	;; [unrolled: 1-line block ×4, first 2 shown]
	v_pk_add_f32 v[48:49], v[48:49], v[60:61] neg_lo:[0,1] neg_hi:[0,1]
	v_mov_b32_e32 v58, v59
	v_mov_b32_e32 v59, v54
	v_pk_add_f32 v[48:49], v[58:59], v[48:49] neg_lo:[0,1] neg_hi:[0,1]
	v_mov_b32_e32 v66, v62
	v_pk_add_f32 v[54:55], v[66:67], v[48:49]
	v_mov_b32_e32 v58, v55
	v_pk_add_f32 v[58:59], v[54:55], v[58:59]
	v_pk_add_f32 v[56:57], v[56:57], v[58:59]
	v_mov_b32_e32 v55, v56
	v_pk_add_f32 v[60:61], v[54:55], v[62:63] neg_lo:[0,1] neg_hi:[0,1]
	v_mov_b32_e32 v49, v58
	v_sub_f32_e32 v54, v54, v60
	v_pk_add_f32 v[48:49], v[48:49], v[60:61] neg_lo:[0,1] neg_hi:[0,1]
	v_sub_f32_e32 v54, v62, v54
	s_mov_b32 s3, 0x7f800000
	v_add_f32_e32 v48, v48, v54
	s_mov_b32 s2, 0x33800000
	v_add_f32_e32 v48, v48, v49
	v_cmp_eq_f32_e64 s[90:91], s3, v68
	v_cmp_lt_f32_e64 s[92:93], |v68|, s2
	v_add_f32_e32 v48, v56, v48
	s_or_b64 s[90:91], s[90:91], s[92:93]
	v_cndmask_b32_e64 v48, v48, v68, s[90:91]
	v_add_f32_e32 v48, v45, v48
.LBB462_92:
	s_or_b64 exec, exec, s[0:1]
	v_bfe_u32 v45, v48, 16, 1
	s_movk_i32 vcc_lo, 0x7fff
	v_add3_u32 v45, v48, v45, vcc_lo
	v_and_b32_e32 v45, 0xffff0000, v45
	v_mov_b32_e32 v49, 0x7fc00000
	v_cmp_o_f32_e64 s[90:91], v48, v48
	v_cndmask_b32_e64 v55, v49, v45, s[90:91]
	v_lshlrev_b32_e32 v45, 16, v9
	v_max_f32_e32 v54, v55, v55
	v_max_f32_e32 v48, v45, v45
	v_min_f32_e32 v56, v54, v48
	v_cmp_u_f32_e64 s[92:93], v55, v55
	v_max_f32_e32 v54, v54, v48
	v_cndmask_b32_e64 v56, v56, v55, s[92:93]
	v_cmp_u_f32_e64 s[90:91], v45, v45
	v_cndmask_b32_e64 v54, v54, v55, s[92:93]
	v_cndmask_b32_e64 v56, v56, v45, s[90:91]
	;; [unrolled: 1-line block ×3, first 2 shown]
	v_cmp_neq_f32_e64 s[92:93], v56, v54
	v_cmp_class_f32_e64 s[0:1], v56, s33
	s_or_b64 s[92:93], s[92:93], s[0:1]
	s_and_saveexec_b64 s[0:1], s[92:93]
	s_cbranch_execz .LBB462_94
; %bb.93:
	v_sub_f32_e32 v55, v56, v54
	s_mov_b32 s2, 0x3fb8aa3b
	v_mul_f32_e32 v56, 0x3fb8aa3b, v55
	v_fma_f32 v57, v55, s2, -v56
	v_rndne_f32_e32 v58, v56
	v_fmac_f32_e32 v57, 0x32a5705f, v55
	v_sub_f32_e32 v56, v56, v58
	v_add_f32_e32 v56, v56, v57
	v_exp_f32_e32 v56, v56
	v_cvt_i32_f32_e32 v57, v58
	s_mov_b32 s2, 0xc2ce8ed0
	v_cmp_ngt_f32_e64 s[92:93], s2, v55
	s_mov_b32 s2, 0x42b17218
	v_ldexp_f32 v56, v56, v57
	v_cndmask_b32_e64 v56, 0, v56, s[92:93]
	v_mov_b32_e32 v57, 0x7f800000
	v_cmp_nlt_f32_e64 s[92:93], s2, v55
	v_cndmask_b32_e64 v72, v57, v56, s[92:93]
	v_add_f32_e32 v55, 1.0, v72
	v_add_f32_e32 v56, -1.0, v55
	v_sub_f32_e32 v57, v56, v55
	v_add_f32_e32 v57, 1.0, v57
	v_sub_f32_e32 v56, v72, v56
	v_add_f32_e32 v58, v56, v57
	v_frexp_mant_f32_e32 v59, v55
	s_mov_b32 s2, 0x3f2aaaab
	v_cvt_f64_f32_e32 v[56:57], v55
	v_frexp_exp_i32_f64_e32 v56, v[56:57]
	v_cmp_gt_f32_e64 s[92:93], s2, v59
	v_subbrev_co_u32_e64 v64, s[92:93], 0, v56, s[92:93]
	v_sub_u32_e32 v56, 0, v64
	v_ldexp_f32 v55, v55, v56
	v_ldexp_f32 v56, v58, v56
	v_add_f32_e32 v58, -1.0, v55
	v_add_f32_e32 v57, 1.0, v58
	v_sub_f32_e32 v57, v55, v57
	v_add_f32_e32 v59, v56, v57
	v_add_f32_e32 v57, 1.0, v55
	v_add_f32_e32 v60, -1.0, v57
	v_sub_f32_e32 v55, v55, v60
	v_add_f32_e32 v55, v56, v55
	v_add_f32_e32 v65, v57, v55
	v_rcp_f32_e32 v66, v65
	v_sub_f32_e32 v56, v57, v65
	v_add_f32_e32 v57, v58, v59
	v_add_f32_e32 v55, v55, v56
	v_mul_f32_e32 v68, v57, v66
	v_sub_f32_e32 v56, v58, v57
	v_mul_f32_e32 v58, v65, v68
	v_fma_f32 v60, v68, v65, -v58
	v_fmac_f32_e32 v60, v68, v55
	v_add_f32_e32 v67, v59, v56
	v_add_f32_e32 v56, v58, v60
	v_sub_f32_e32 v59, v57, v56
	v_pk_add_f32 v[62:63], v[56:57], v[58:59] neg_lo:[0,1] neg_hi:[0,1]
	v_mov_b32_e32 v61, v56
	v_pk_add_f32 v[56:57], v[62:63], v[60:61] neg_lo:[0,1] neg_hi:[0,1]
	v_add_f32_e32 v57, v67, v57
	v_add_f32_e32 v56, v56, v57
	;; [unrolled: 1-line block ×3, first 2 shown]
	v_mul_f32_e32 v67, v66, v57
	v_mul_f32_e32 v58, v65, v67
	v_fma_f32 v60, v67, v65, -v58
	v_fmac_f32_e32 v60, v67, v55
	v_sub_f32_e32 v55, v59, v57
	v_add_f32_e32 v55, v56, v55
	v_add_f32_e32 v56, v58, v60
	v_sub_f32_e32 v59, v57, v56
	v_pk_add_f32 v[62:63], v[56:57], v[58:59] neg_lo:[0,1] neg_hi:[0,1]
	v_mov_b32_e32 v61, v56
	v_pk_add_f32 v[56:57], v[62:63], v[60:61] neg_lo:[0,1] neg_hi:[0,1]
	v_add_f32_e32 v55, v55, v57
	v_add_f32_e32 v55, v56, v55
	;; [unrolled: 1-line block ×4, first 2 shown]
	v_sub_f32_e32 v57, v56, v68
	v_mul_f32_e32 v55, v66, v55
	v_sub_f32_e32 v57, v67, v57
	v_add_f32_e32 v55, v57, v55
	v_add_f32_e32 v59, v56, v55
	v_mul_f32_e32 v60, v59, v59
	v_mov_b32_e32 v58, 0x3ecc95a3
	v_fmac_f32_e32 v58, 0x3e9b6dac, v60
	v_mov_b32_e32 v57, 0x3f2aaada
	v_fmac_f32_e32 v57, v60, v58
	v_cvt_f32_i32_e32 v58, v64
	v_sub_f32_e32 v56, v59, v56
	v_sub_f32_e32 v55, v55, v56
	v_ldexp_f32 v61, v59, 1
	v_mul_f32_e32 v59, v59, v60
	v_mov_b32_e32 v56, 0x3f317218
	s_mov_b32 s2, 0x3f317218
	v_pk_mul_f32 v[56:57], v[58:59], v[56:57]
	v_fma_f32 v60, v58, s2, -v56
	v_fmac_f32_e32 v60, 0xb102e308, v58
	v_pk_add_f32 v[58:59], v[56:57], v[60:61]
	v_sub_f32_e32 v61, v59, v61
	v_ldexp_f32 v55, v55, 1
	v_sub_f32_e32 v61, v57, v61
	v_add_f32_e32 v63, v55, v61
	v_mov_b32_e32 v62, v56
	v_pk_add_f32 v[56:57], v[58:59], v[56:57] neg_lo:[0,1] neg_hi:[0,1]
	v_pk_add_f32 v[64:65], v[58:59], v[62:63]
	v_mov_b32_e32 v57, v65
	v_mov_b32_e32 v61, v58
	v_pk_add_f32 v[66:67], v[60:61], v[56:57] neg_lo:[0,1] neg_hi:[0,1]
	v_pk_add_f32 v[56:57], v[60:61], v[56:57]
	v_mov_b32_e32 v60, v57
	v_pk_add_f32 v[68:69], v[60:61], v[58:59] neg_lo:[0,1] neg_hi:[0,1]
	v_mov_b32_e32 v55, v68
	v_pk_add_f32 v[70:71], v[64:65], v[54:55] neg_lo:[0,1] neg_hi:[0,1]
	v_mov_b32_e32 v56, v65
	v_mov_b32_e32 v64, v59
	;; [unrolled: 1-line block ×4, first 2 shown]
	v_pk_add_f32 v[56:57], v[56:57], v[64:65] neg_lo:[0,1] neg_hi:[0,1]
	v_mov_b32_e32 v62, v63
	v_mov_b32_e32 v63, v58
	v_pk_add_f32 v[56:57], v[62:63], v[56:57] neg_lo:[0,1] neg_hi:[0,1]
	v_mov_b32_e32 v70, v66
	v_pk_add_f32 v[58:59], v[70:71], v[56:57]
	v_mov_b32_e32 v62, v59
	v_pk_add_f32 v[62:63], v[58:59], v[62:63]
	v_pk_add_f32 v[60:61], v[60:61], v[62:63]
	v_mov_b32_e32 v59, v60
	v_pk_add_f32 v[64:65], v[58:59], v[66:67] neg_lo:[0,1] neg_hi:[0,1]
	v_mov_b32_e32 v57, v62
	v_sub_f32_e32 v55, v58, v64
	v_pk_add_f32 v[56:57], v[56:57], v[64:65] neg_lo:[0,1] neg_hi:[0,1]
	v_sub_f32_e32 v55, v66, v55
	s_mov_b32 s3, 0x7f800000
	v_add_f32_e32 v55, v56, v55
	s_mov_b32 s2, 0x33800000
	v_add_f32_e32 v55, v55, v57
	v_cmp_eq_f32_e64 s[92:93], s3, v72
	v_cmp_lt_f32_e64 s[2:3], |v72|, s2
	v_add_f32_e32 v55, v60, v55
	s_or_b64 s[92:93], s[92:93], s[2:3]
	v_cndmask_b32_e64 v55, v55, v72, s[92:93]
	v_add_f32_e32 v55, v54, v55
.LBB462_94:
	s_or_b64 exec, exec, s[0:1]
	v_bfe_u32 v54, v55, 16, 1
	v_add3_u32 v54, v55, v54, vcc_lo
	v_and_b32_e32 v54, 0xffff0000, v54
	v_cmp_o_f32_e64 s[92:93], v55, v55
	v_cndmask_b32_e64 v55, v49, v54, s[92:93]
	v_and_b32_e32 v9, 0xffff0000, v9
	v_max_f32_e32 v54, v55, v55
	v_max_f32_e32 v49, v9, v9
	v_min_f32_e32 v56, v54, v49
	v_cmp_u_f32_e32 vcc, v55, v55
	v_max_f32_e32 v54, v54, v49
	v_cndmask_b32_e32 v56, v56, v55, vcc
	v_cmp_u_f32_e64 s[92:93], v9, v9
	v_cndmask_b32_e32 v54, v54, v55, vcc
	v_cndmask_b32_e64 v56, v56, v9, s[92:93]
	v_cndmask_b32_e64 v54, v54, v9, s[92:93]
	s_movk_i32 s0, 0x1f8
	v_cmp_neq_f32_e32 vcc, v56, v54
	v_cmp_class_f32_e64 s[0:1], v56, s0
	s_or_b64 s[2:3], vcc, s[0:1]
	s_and_saveexec_b64 s[0:1], s[2:3]
	s_cbranch_execz .LBB462_96
; %bb.95:
	v_sub_f32_e32 v55, v56, v54
	s_mov_b32 s2, 0x3fb8aa3b
	v_mul_f32_e32 v56, 0x3fb8aa3b, v55
	v_fma_f32 v57, v55, s2, -v56
	v_rndne_f32_e32 v58, v56
	v_fmac_f32_e32 v57, 0x32a5705f, v55
	v_sub_f32_e32 v56, v56, v58
	v_add_f32_e32 v56, v56, v57
	v_exp_f32_e32 v56, v56
	v_cvt_i32_f32_e32 v57, v58
	s_mov_b32 s2, 0xc2ce8ed0
	v_cmp_ngt_f32_e32 vcc, s2, v55
	s_mov_b32 s2, 0x42b17218
	v_ldexp_f32 v56, v56, v57
	v_cndmask_b32_e32 v56, 0, v56, vcc
	v_mov_b32_e32 v57, 0x7f800000
	v_cmp_nlt_f32_e32 vcc, s2, v55
	v_cndmask_b32_e32 v72, v57, v56, vcc
	v_add_f32_e32 v55, 1.0, v72
	v_add_f32_e32 v56, -1.0, v55
	v_sub_f32_e32 v57, v56, v55
	v_add_f32_e32 v57, 1.0, v57
	v_sub_f32_e32 v56, v72, v56
	v_add_f32_e32 v58, v56, v57
	v_frexp_mant_f32_e32 v59, v55
	s_mov_b32 s2, 0x3f2aaaab
	v_cvt_f64_f32_e32 v[56:57], v55
	v_frexp_exp_i32_f64_e32 v56, v[56:57]
	v_cmp_gt_f32_e32 vcc, s2, v59
	v_subbrev_co_u32_e32 v64, vcc, 0, v56, vcc
	v_sub_u32_e32 v56, 0, v64
	v_ldexp_f32 v55, v55, v56
	v_ldexp_f32 v56, v58, v56
	v_add_f32_e32 v58, -1.0, v55
	v_add_f32_e32 v57, 1.0, v58
	v_sub_f32_e32 v57, v55, v57
	v_add_f32_e32 v59, v56, v57
	v_add_f32_e32 v57, 1.0, v55
	v_add_f32_e32 v60, -1.0, v57
	v_sub_f32_e32 v55, v55, v60
	v_add_f32_e32 v55, v56, v55
	v_add_f32_e32 v65, v57, v55
	v_rcp_f32_e32 v66, v65
	v_sub_f32_e32 v56, v57, v65
	v_add_f32_e32 v57, v58, v59
	v_add_f32_e32 v55, v55, v56
	v_mul_f32_e32 v68, v57, v66
	v_sub_f32_e32 v56, v58, v57
	v_mul_f32_e32 v58, v65, v68
	v_fma_f32 v60, v68, v65, -v58
	v_fmac_f32_e32 v60, v68, v55
	v_add_f32_e32 v67, v59, v56
	v_add_f32_e32 v56, v58, v60
	v_sub_f32_e32 v59, v57, v56
	v_pk_add_f32 v[62:63], v[56:57], v[58:59] neg_lo:[0,1] neg_hi:[0,1]
	v_mov_b32_e32 v61, v56
	v_pk_add_f32 v[56:57], v[62:63], v[60:61] neg_lo:[0,1] neg_hi:[0,1]
	v_add_f32_e32 v57, v67, v57
	v_add_f32_e32 v56, v56, v57
	;; [unrolled: 1-line block ×3, first 2 shown]
	v_mul_f32_e32 v67, v66, v57
	v_mul_f32_e32 v58, v65, v67
	v_fma_f32 v60, v67, v65, -v58
	v_fmac_f32_e32 v60, v67, v55
	v_sub_f32_e32 v55, v59, v57
	v_add_f32_e32 v55, v56, v55
	v_add_f32_e32 v56, v58, v60
	v_sub_f32_e32 v59, v57, v56
	v_pk_add_f32 v[62:63], v[56:57], v[58:59] neg_lo:[0,1] neg_hi:[0,1]
	v_mov_b32_e32 v61, v56
	v_pk_add_f32 v[56:57], v[62:63], v[60:61] neg_lo:[0,1] neg_hi:[0,1]
	v_add_f32_e32 v55, v55, v57
	v_add_f32_e32 v55, v56, v55
	;; [unrolled: 1-line block ×4, first 2 shown]
	v_sub_f32_e32 v57, v56, v68
	v_mul_f32_e32 v55, v66, v55
	v_sub_f32_e32 v57, v67, v57
	v_add_f32_e32 v55, v57, v55
	v_add_f32_e32 v59, v56, v55
	v_mul_f32_e32 v60, v59, v59
	v_mov_b32_e32 v58, 0x3ecc95a3
	v_fmac_f32_e32 v58, 0x3e9b6dac, v60
	v_mov_b32_e32 v57, 0x3f2aaada
	v_fmac_f32_e32 v57, v60, v58
	v_cvt_f32_i32_e32 v58, v64
	v_sub_f32_e32 v56, v59, v56
	v_sub_f32_e32 v55, v55, v56
	v_ldexp_f32 v61, v59, 1
	v_mul_f32_e32 v59, v59, v60
	v_mov_b32_e32 v56, 0x3f317218
	s_mov_b32 s2, 0x3f317218
	v_pk_mul_f32 v[56:57], v[58:59], v[56:57]
	v_fma_f32 v60, v58, s2, -v56
	v_fmac_f32_e32 v60, 0xb102e308, v58
	v_pk_add_f32 v[58:59], v[56:57], v[60:61]
	v_sub_f32_e32 v61, v59, v61
	v_ldexp_f32 v55, v55, 1
	v_sub_f32_e32 v61, v57, v61
	v_add_f32_e32 v63, v55, v61
	v_mov_b32_e32 v62, v56
	v_pk_add_f32 v[56:57], v[58:59], v[56:57] neg_lo:[0,1] neg_hi:[0,1]
	v_pk_add_f32 v[64:65], v[58:59], v[62:63]
	v_mov_b32_e32 v57, v65
	v_mov_b32_e32 v61, v58
	v_pk_add_f32 v[66:67], v[60:61], v[56:57] neg_lo:[0,1] neg_hi:[0,1]
	v_pk_add_f32 v[56:57], v[60:61], v[56:57]
	v_mov_b32_e32 v60, v57
	v_pk_add_f32 v[68:69], v[60:61], v[58:59] neg_lo:[0,1] neg_hi:[0,1]
	v_mov_b32_e32 v55, v68
	v_pk_add_f32 v[70:71], v[64:65], v[54:55] neg_lo:[0,1] neg_hi:[0,1]
	v_mov_b32_e32 v56, v65
	v_mov_b32_e32 v64, v59
	;; [unrolled: 1-line block ×4, first 2 shown]
	v_pk_add_f32 v[56:57], v[56:57], v[64:65] neg_lo:[0,1] neg_hi:[0,1]
	v_mov_b32_e32 v62, v63
	v_mov_b32_e32 v63, v58
	v_pk_add_f32 v[56:57], v[62:63], v[56:57] neg_lo:[0,1] neg_hi:[0,1]
	v_mov_b32_e32 v70, v66
	v_pk_add_f32 v[58:59], v[70:71], v[56:57]
	v_mov_b32_e32 v62, v59
	v_pk_add_f32 v[62:63], v[58:59], v[62:63]
	v_pk_add_f32 v[60:61], v[60:61], v[62:63]
	v_mov_b32_e32 v59, v60
	v_pk_add_f32 v[64:65], v[58:59], v[66:67] neg_lo:[0,1] neg_hi:[0,1]
	v_mov_b32_e32 v57, v62
	v_sub_f32_e32 v55, v58, v64
	v_pk_add_f32 v[56:57], v[56:57], v[64:65] neg_lo:[0,1] neg_hi:[0,1]
	v_sub_f32_e32 v55, v66, v55
	s_mov_b32 s3, 0x7f800000
	v_add_f32_e32 v55, v56, v55
	s_mov_b32 s2, 0x33800000
	v_add_f32_e32 v55, v55, v57
	v_cmp_eq_f32_e32 vcc, s3, v72
	v_cmp_lt_f32_e64 s[2:3], |v72|, s2
	v_add_f32_e32 v55, v60, v55
	s_or_b64 vcc, vcc, s[2:3]
	v_cndmask_b32_e32 v55, v55, v72, vcc
	v_add_f32_e32 v55, v54, v55
.LBB462_96:
	s_or_b64 exec, exec, s[0:1]
	s_load_dwordx2 s[0:1], s[4:5], 0x18
	v_bfe_u32 v54, v55, 16, 1
	v_mov_b32_e32 v56, 0x7fc0
	v_cmp_o_f32_e32 vcc, v55, v55
	s_waitcnt lgkmcnt(0)
	v_writelane_b32 v75, s0, 8
	v_writelane_b32 v75, s1, 9
	s_movk_i32 s0, 0x7fff
	v_add3_u32 v54, v55, v54, s0
	v_lshrrev_b32_e32 v54, 16, v54
	v_cndmask_b32_e32 v57, v56, v54, vcc
	v_mbcnt_lo_u32_b32 v54, -1, 0
	v_mbcnt_hi_u32_b32 v55, -1, v54
	v_and_b32_e32 v56, 15, v55
	v_and_b32_e32 v58, 0xffff, v57
	v_cmp_ne_u32_e32 vcc, 0, v56
	s_nop 0
	v_mov_b32_dpp v54, v58 row_shr:1 row_mask:0xf bank_mask:0xf
	s_and_saveexec_b64 s[0:1], vcc
	s_cbranch_execz .LBB462_100
; %bb.97:
	v_lshlrev_b32_e32 v57, 16, v54
	v_lshlrev_b32_e32 v54, 16, v58
	v_max_f32_e32 v59, v54, v54
	v_max_f32_e32 v60, v57, v57
	v_min_f32_e32 v58, v60, v59
	v_cmp_u_f32_e32 vcc, v57, v57
	v_max_f32_e32 v59, v60, v59
	v_cndmask_b32_e32 v58, v58, v57, vcc
	v_cmp_u_f32_e64 s[4:5], v54, v54
	v_cndmask_b32_e32 v59, v59, v57, vcc
	v_cndmask_b32_e64 v58, v58, v54, s[4:5]
	v_cndmask_b32_e64 v54, v59, v54, s[4:5]
	s_movk_i32 s2, 0x1f8
	v_cmp_neq_f32_e32 vcc, v58, v54
	v_cmp_class_f32_e64 s[2:3], v58, s2
	s_or_b64 s[2:3], vcc, s[2:3]
	s_and_saveexec_b64 s[4:5], s[2:3]
	s_cbranch_execz .LBB462_99
; %bb.98:
	v_sub_f32_e32 v57, v58, v54
	s_mov_b32 s2, 0x3fb8aa3b
	v_mul_f32_e32 v58, 0x3fb8aa3b, v57
	v_fma_f32 v59, v57, s2, -v58
	v_rndne_f32_e32 v60, v58
	v_fmac_f32_e32 v59, 0x32a5705f, v57
	v_sub_f32_e32 v58, v58, v60
	v_add_f32_e32 v58, v58, v59
	v_exp_f32_e32 v58, v58
	v_cvt_i32_f32_e32 v59, v60
	s_mov_b32 s2, 0xc2ce8ed0
	v_cmp_ngt_f32_e32 vcc, s2, v57
	s_mov_b32 s2, 0x42b17218
	v_ldexp_f32 v58, v58, v59
	v_cndmask_b32_e32 v58, 0, v58, vcc
	v_mov_b32_e32 v59, 0x7f800000
	v_cmp_nlt_f32_e32 vcc, s2, v57
	v_cndmask_b32_e32 v74, v59, v58, vcc
	v_add_f32_e32 v57, 1.0, v74
	v_add_f32_e32 v58, -1.0, v57
	v_sub_f32_e32 v59, v58, v57
	v_add_f32_e32 v59, 1.0, v59
	v_sub_f32_e32 v58, v74, v58
	v_add_f32_e32 v60, v58, v59
	v_frexp_mant_f32_e32 v61, v57
	s_mov_b32 s2, 0x3f2aaaab
	v_cvt_f64_f32_e32 v[58:59], v57
	v_frexp_exp_i32_f64_e32 v58, v[58:59]
	v_cmp_gt_f32_e32 vcc, s2, v61
	v_subbrev_co_u32_e32 v66, vcc, 0, v58, vcc
	v_sub_u32_e32 v58, 0, v66
	v_ldexp_f32 v57, v57, v58
	v_ldexp_f32 v58, v60, v58
	v_add_f32_e32 v60, -1.0, v57
	v_add_f32_e32 v59, 1.0, v60
	v_sub_f32_e32 v59, v57, v59
	v_add_f32_e32 v61, v58, v59
	v_add_f32_e32 v59, 1.0, v57
	v_add_f32_e32 v62, -1.0, v59
	v_sub_f32_e32 v57, v57, v62
	v_add_f32_e32 v57, v58, v57
	v_add_f32_e32 v67, v59, v57
	v_rcp_f32_e32 v68, v67
	v_sub_f32_e32 v58, v59, v67
	v_add_f32_e32 v59, v60, v61
	v_add_f32_e32 v57, v57, v58
	v_mul_f32_e32 v70, v59, v68
	v_sub_f32_e32 v58, v60, v59
	v_mul_f32_e32 v60, v67, v70
	v_fma_f32 v62, v70, v67, -v60
	v_fmac_f32_e32 v62, v70, v57
	v_add_f32_e32 v69, v61, v58
	v_add_f32_e32 v58, v60, v62
	v_sub_f32_e32 v61, v59, v58
	v_pk_add_f32 v[64:65], v[58:59], v[60:61] neg_lo:[0,1] neg_hi:[0,1]
	v_mov_b32_e32 v63, v58
	v_pk_add_f32 v[58:59], v[64:65], v[62:63] neg_lo:[0,1] neg_hi:[0,1]
	v_add_f32_e32 v59, v69, v59
	v_add_f32_e32 v58, v58, v59
	;; [unrolled: 1-line block ×3, first 2 shown]
	v_mul_f32_e32 v69, v68, v59
	v_mul_f32_e32 v60, v67, v69
	v_fma_f32 v62, v69, v67, -v60
	v_fmac_f32_e32 v62, v69, v57
	v_sub_f32_e32 v57, v61, v59
	v_add_f32_e32 v57, v58, v57
	v_add_f32_e32 v58, v60, v62
	v_sub_f32_e32 v61, v59, v58
	v_pk_add_f32 v[64:65], v[58:59], v[60:61] neg_lo:[0,1] neg_hi:[0,1]
	v_mov_b32_e32 v63, v58
	v_pk_add_f32 v[58:59], v[64:65], v[62:63] neg_lo:[0,1] neg_hi:[0,1]
	v_add_f32_e32 v57, v57, v59
	v_add_f32_e32 v57, v58, v57
	;; [unrolled: 1-line block ×4, first 2 shown]
	v_sub_f32_e32 v59, v58, v70
	v_mul_f32_e32 v57, v68, v57
	v_sub_f32_e32 v59, v69, v59
	v_add_f32_e32 v57, v59, v57
	v_add_f32_e32 v61, v58, v57
	v_mul_f32_e32 v62, v61, v61
	v_mov_b32_e32 v60, 0x3ecc95a3
	v_fmac_f32_e32 v60, 0x3e9b6dac, v62
	v_mov_b32_e32 v59, 0x3f2aaada
	v_fmac_f32_e32 v59, v62, v60
	v_cvt_f32_i32_e32 v60, v66
	v_sub_f32_e32 v58, v61, v58
	v_sub_f32_e32 v57, v57, v58
	v_ldexp_f32 v63, v61, 1
	v_mul_f32_e32 v61, v61, v62
	v_mov_b32_e32 v58, 0x3f317218
	s_mov_b32 s2, 0x3f317218
	v_pk_mul_f32 v[58:59], v[60:61], v[58:59]
	v_fma_f32 v62, v60, s2, -v58
	v_fmac_f32_e32 v62, 0xb102e308, v60
	v_pk_add_f32 v[60:61], v[58:59], v[62:63]
	v_sub_f32_e32 v63, v61, v63
	v_ldexp_f32 v57, v57, 1
	v_sub_f32_e32 v63, v59, v63
	v_add_f32_e32 v65, v57, v63
	v_mov_b32_e32 v64, v58
	v_pk_add_f32 v[58:59], v[60:61], v[58:59] neg_lo:[0,1] neg_hi:[0,1]
	v_pk_add_f32 v[66:67], v[60:61], v[64:65]
	v_mov_b32_e32 v59, v67
	v_mov_b32_e32 v63, v60
	v_pk_add_f32 v[68:69], v[62:63], v[58:59] neg_lo:[0,1] neg_hi:[0,1]
	v_pk_add_f32 v[58:59], v[62:63], v[58:59]
	v_mov_b32_e32 v62, v59
	v_pk_add_f32 v[70:71], v[62:63], v[60:61] neg_lo:[0,1] neg_hi:[0,1]
	v_mov_b32_e32 v57, v70
	v_pk_add_f32 v[72:73], v[66:67], v[56:57] neg_lo:[0,1] neg_hi:[0,1]
	v_mov_b32_e32 v58, v67
	v_mov_b32_e32 v66, v61
	;; [unrolled: 1-line block ×4, first 2 shown]
	v_pk_add_f32 v[58:59], v[58:59], v[66:67] neg_lo:[0,1] neg_hi:[0,1]
	v_mov_b32_e32 v64, v65
	v_mov_b32_e32 v65, v60
	v_pk_add_f32 v[58:59], v[64:65], v[58:59] neg_lo:[0,1] neg_hi:[0,1]
	v_mov_b32_e32 v72, v68
	v_pk_add_f32 v[60:61], v[72:73], v[58:59]
	v_mov_b32_e32 v64, v61
	v_pk_add_f32 v[64:65], v[60:61], v[64:65]
	v_pk_add_f32 v[62:63], v[62:63], v[64:65]
	v_mov_b32_e32 v61, v62
	v_pk_add_f32 v[66:67], v[60:61], v[68:69] neg_lo:[0,1] neg_hi:[0,1]
	v_mov_b32_e32 v59, v64
	v_sub_f32_e32 v57, v60, v66
	v_pk_add_f32 v[58:59], v[58:59], v[66:67] neg_lo:[0,1] neg_hi:[0,1]
	v_sub_f32_e32 v57, v68, v57
	s_mov_b32 s3, 0x7f800000
	v_add_f32_e32 v57, v58, v57
	s_mov_b32 s2, 0x33800000
	v_add_f32_e32 v57, v57, v59
	v_cmp_eq_f32_e32 vcc, s3, v74
	v_cmp_lt_f32_e64 s[2:3], |v74|, s2
	v_add_f32_e32 v57, v62, v57
	s_or_b64 vcc, vcc, s[2:3]
	v_cndmask_b32_e32 v57, v57, v74, vcc
	v_add_f32_e32 v57, v54, v57
.LBB462_99:
	s_or_b64 exec, exec, s[4:5]
	v_bfe_u32 v54, v57, 16, 1
	s_movk_i32 s2, 0x7fff
	v_add3_u32 v54, v57, v54, s2
	v_lshrrev_b32_e32 v54, 16, v54
	v_mov_b32_e32 v58, 0x7fc0
	v_cmp_o_f32_e32 vcc, v57, v57
	v_cndmask_b32_e32 v57, v58, v54, vcc
	v_and_b32_e32 v58, 0xffff, v57
.LBB462_100:
	s_or_b64 exec, exec, s[0:1]
	v_mul_u32_u24_e32 v54, 46, v0
	v_mov_b32_dpp v59, v58 row_shr:2 row_mask:0xf bank_mask:0xf
	v_cmp_lt_u32_e32 vcc, 1, v56
	s_and_saveexec_b64 s[0:1], vcc
	s_cbranch_execz .LBB462_104
; %bb.101:
	v_lshlrev_b32_e32 v59, 16, v59
	v_lshlrev_b32_e32 v57, 16, v58
	v_max_f32_e32 v60, v57, v57
	v_max_f32_e32 v61, v59, v59
	v_min_f32_e32 v58, v61, v60
	v_cmp_u_f32_e32 vcc, v59, v59
	v_max_f32_e32 v60, v61, v60
	v_cndmask_b32_e32 v58, v58, v59, vcc
	v_cmp_u_f32_e64 s[4:5], v57, v57
	v_cndmask_b32_e32 v60, v60, v59, vcc
	v_cndmask_b32_e64 v58, v58, v57, s[4:5]
	v_cndmask_b32_e64 v57, v60, v57, s[4:5]
	s_movk_i32 s2, 0x1f8
	v_cmp_neq_f32_e32 vcc, v58, v57
	v_cmp_class_f32_e64 s[2:3], v58, s2
	s_or_b64 s[2:3], vcc, s[2:3]
	s_and_saveexec_b64 s[4:5], s[2:3]
	s_cbranch_execz .LBB462_103
; %bb.102:
	v_sub_f32_e32 v58, v58, v57
	s_mov_b32 s2, 0x3fb8aa3b
	v_mul_f32_e32 v59, 0x3fb8aa3b, v58
	v_fma_f32 v60, v58, s2, -v59
	v_rndne_f32_e32 v61, v59
	v_fmac_f32_e32 v60, 0x32a5705f, v58
	v_sub_f32_e32 v59, v59, v61
	v_add_f32_e32 v59, v59, v60
	v_exp_f32_e32 v59, v59
	v_cvt_i32_f32_e32 v60, v61
	s_mov_b32 s2, 0xc2ce8ed0
	v_cmp_ngt_f32_e32 vcc, s2, v58
	s_mov_b32 s2, 0x42b17218
	v_ldexp_f32 v59, v59, v60
	v_cndmask_b32_e32 v59, 0, v59, vcc
	v_mov_b32_e32 v60, 0x7f800000
	v_cmp_nlt_f32_e32 vcc, s2, v58
	v_cndmask_b32_e32 v74, v60, v59, vcc
	v_add_f32_e32 v60, 1.0, v74
	v_add_f32_e32 v58, -1.0, v60
	v_sub_f32_e32 v59, v58, v60
	v_add_f32_e32 v59, 1.0, v59
	v_sub_f32_e32 v58, v74, v58
	v_add_f32_e32 v61, v58, v59
	v_frexp_mant_f32_e32 v62, v60
	s_mov_b32 s2, 0x3f2aaaab
	v_cvt_f64_f32_e32 v[58:59], v60
	v_frexp_exp_i32_f64_e32 v58, v[58:59]
	v_cmp_gt_f32_e32 vcc, s2, v62
	v_subbrev_co_u32_e32 v66, vcc, 0, v58, vcc
	v_sub_u32_e32 v58, 0, v66
	v_ldexp_f32 v59, v60, v58
	v_add_f32_e32 v60, -1.0, v59
	v_add_f32_e32 v62, 1.0, v59
	v_ldexp_f32 v58, v61, v58
	v_add_f32_e32 v61, 1.0, v60
	v_add_f32_e32 v63, -1.0, v62
	v_sub_f32_e32 v61, v59, v61
	v_sub_f32_e32 v59, v59, v63
	v_add_f32_e32 v61, v58, v61
	v_add_f32_e32 v58, v58, v59
	;; [unrolled: 1-line block ×3, first 2 shown]
	v_rcp_f32_e32 v69, v67
	v_sub_f32_e32 v59, v62, v67
	v_add_f32_e32 v68, v58, v59
	v_add_f32_e32 v59, v60, v61
	v_mul_f32_e32 v71, v59, v69
	v_sub_f32_e32 v58, v60, v59
	v_mul_f32_e32 v60, v67, v71
	v_fma_f32 v62, v71, v67, -v60
	v_fmac_f32_e32 v62, v71, v68
	v_add_f32_e32 v70, v61, v58
	v_add_f32_e32 v58, v60, v62
	v_sub_f32_e32 v61, v59, v58
	v_pk_add_f32 v[64:65], v[58:59], v[60:61] neg_lo:[0,1] neg_hi:[0,1]
	v_mov_b32_e32 v63, v58
	v_pk_add_f32 v[58:59], v[64:65], v[62:63] neg_lo:[0,1] neg_hi:[0,1]
	v_add_f32_e32 v59, v70, v59
	v_add_f32_e32 v58, v58, v59
	;; [unrolled: 1-line block ×3, first 2 shown]
	v_mul_f32_e32 v70, v69, v59
	v_mul_f32_e32 v60, v67, v70
	v_fma_f32 v62, v70, v67, -v60
	v_fmac_f32_e32 v62, v70, v68
	v_sub_f32_e32 v61, v61, v59
	v_add_f32_e32 v67, v58, v61
	v_add_f32_e32 v58, v60, v62
	v_sub_f32_e32 v61, v59, v58
	v_pk_add_f32 v[64:65], v[58:59], v[60:61] neg_lo:[0,1] neg_hi:[0,1]
	v_mov_b32_e32 v63, v58
	v_pk_add_f32 v[58:59], v[64:65], v[62:63] neg_lo:[0,1] neg_hi:[0,1]
	v_add_f32_e32 v59, v67, v59
	v_add_f32_e32 v58, v58, v59
	;; [unrolled: 1-line block ×4, first 2 shown]
	v_sub_f32_e32 v59, v61, v71
	v_mul_f32_e32 v58, v69, v58
	v_sub_f32_e32 v59, v70, v59
	v_add_f32_e32 v58, v59, v58
	v_add_f32_e32 v62, v61, v58
	v_mul_f32_e32 v64, v62, v62
	v_mov_b32_e32 v60, 0x3ecc95a3
	v_fmac_f32_e32 v60, 0x3e9b6dac, v64
	v_mov_b32_e32 v59, 0x3f2aaada
	v_fmac_f32_e32 v59, v64, v60
	v_cvt_f32_i32_e32 v60, v66
	v_sub_f32_e32 v61, v62, v61
	v_sub_f32_e32 v58, v58, v61
	v_ldexp_f32 v65, v58, 1
	v_mul_f32_e32 v61, v62, v64
	v_mov_b32_e32 v58, 0x3f317218
	s_mov_b32 s2, 0x3f317218
	v_pk_mul_f32 v[58:59], v[60:61], v[58:59]
	v_ldexp_f32 v63, v62, 1
	v_fma_f32 v62, v60, s2, -v58
	v_fmac_f32_e32 v62, 0xb102e308, v60
	v_pk_add_f32 v[60:61], v[58:59], v[62:63]
	v_sub_f32_e32 v63, v61, v63
	v_sub_f32_e32 v63, v59, v63
	v_add_f32_e32 v65, v65, v63
	v_mov_b32_e32 v64, v58
	v_pk_add_f32 v[58:59], v[60:61], v[58:59] neg_lo:[0,1] neg_hi:[0,1]
	v_pk_add_f32 v[66:67], v[60:61], v[64:65]
	v_mov_b32_e32 v59, v67
	v_mov_b32_e32 v63, v60
	v_pk_add_f32 v[68:69], v[62:63], v[58:59] neg_lo:[0,1] neg_hi:[0,1]
	v_pk_add_f32 v[58:59], v[62:63], v[58:59]
	v_mov_b32_e32 v62, v59
	v_pk_add_f32 v[70:71], v[62:63], v[60:61] neg_lo:[0,1] neg_hi:[0,1]
	v_mov_b32_e32 v63, v70
	v_pk_add_f32 v[72:73], v[66:67], v[62:63] neg_lo:[0,1] neg_hi:[0,1]
	v_mov_b32_e32 v58, v67
	v_mov_b32_e32 v66, v61
	;; [unrolled: 1-line block ×4, first 2 shown]
	v_pk_add_f32 v[58:59], v[58:59], v[66:67] neg_lo:[0,1] neg_hi:[0,1]
	v_mov_b32_e32 v64, v65
	v_mov_b32_e32 v65, v60
	v_pk_add_f32 v[58:59], v[64:65], v[58:59] neg_lo:[0,1] neg_hi:[0,1]
	v_mov_b32_e32 v72, v68
	v_pk_add_f32 v[60:61], v[72:73], v[58:59]
	v_mov_b32_e32 v64, v61
	v_pk_add_f32 v[64:65], v[60:61], v[64:65]
	v_pk_add_f32 v[62:63], v[62:63], v[64:65]
	v_mov_b32_e32 v61, v62
	v_pk_add_f32 v[66:67], v[60:61], v[68:69] neg_lo:[0,1] neg_hi:[0,1]
	v_mov_b32_e32 v59, v64
	v_sub_f32_e32 v60, v60, v66
	v_pk_add_f32 v[58:59], v[58:59], v[66:67] neg_lo:[0,1] neg_hi:[0,1]
	v_sub_f32_e32 v60, v68, v60
	s_mov_b32 s3, 0x7f800000
	v_add_f32_e32 v58, v58, v60
	s_mov_b32 s2, 0x33800000
	v_add_f32_e32 v58, v58, v59
	v_cmp_eq_f32_e32 vcc, s3, v74
	v_cmp_lt_f32_e64 s[2:3], |v74|, s2
	v_add_f32_e32 v58, v62, v58
	s_or_b64 vcc, vcc, s[2:3]
	v_cndmask_b32_e32 v58, v58, v74, vcc
	v_add_f32_e32 v59, v57, v58
.LBB462_103:
	s_or_b64 exec, exec, s[4:5]
	v_bfe_u32 v57, v59, 16, 1
	s_movk_i32 s2, 0x7fff
	v_add3_u32 v57, v59, v57, s2
	v_lshrrev_b32_e32 v57, 16, v57
	v_mov_b32_e32 v58, 0x7fc0
	v_cmp_o_f32_e32 vcc, v59, v59
	v_cndmask_b32_e32 v57, v58, v57, vcc
	v_and_b32_e32 v58, 0xffff, v57
.LBB462_104:
	s_or_b64 exec, exec, s[0:1]
	s_nop 0
	v_mov_b32_dpp v59, v58 row_shr:4 row_mask:0xf bank_mask:0xf
	v_cmp_lt_u32_e32 vcc, 3, v56
	s_and_saveexec_b64 s[0:1], vcc
	s_cbranch_execz .LBB462_108
; %bb.105:
	v_lshlrev_b32_e32 v59, 16, v59
	v_lshlrev_b32_e32 v57, 16, v58
	v_max_f32_e32 v60, v57, v57
	v_max_f32_e32 v61, v59, v59
	v_min_f32_e32 v58, v61, v60
	v_cmp_u_f32_e32 vcc, v59, v59
	v_max_f32_e32 v60, v61, v60
	v_cndmask_b32_e32 v58, v58, v59, vcc
	v_cmp_u_f32_e64 s[4:5], v57, v57
	v_cndmask_b32_e32 v60, v60, v59, vcc
	v_cndmask_b32_e64 v58, v58, v57, s[4:5]
	v_cndmask_b32_e64 v57, v60, v57, s[4:5]
	s_movk_i32 s2, 0x1f8
	v_cmp_neq_f32_e32 vcc, v58, v57
	v_cmp_class_f32_e64 s[2:3], v58, s2
	s_or_b64 s[2:3], vcc, s[2:3]
	s_and_saveexec_b64 s[4:5], s[2:3]
	s_cbranch_execz .LBB462_107
; %bb.106:
	v_sub_f32_e32 v58, v58, v57
	s_mov_b32 s2, 0x3fb8aa3b
	v_mul_f32_e32 v59, 0x3fb8aa3b, v58
	v_fma_f32 v60, v58, s2, -v59
	v_rndne_f32_e32 v61, v59
	v_fmac_f32_e32 v60, 0x32a5705f, v58
	v_sub_f32_e32 v59, v59, v61
	v_add_f32_e32 v59, v59, v60
	v_exp_f32_e32 v59, v59
	v_cvt_i32_f32_e32 v60, v61
	s_mov_b32 s2, 0xc2ce8ed0
	v_cmp_ngt_f32_e32 vcc, s2, v58
	s_mov_b32 s2, 0x42b17218
	v_ldexp_f32 v59, v59, v60
	v_cndmask_b32_e32 v59, 0, v59, vcc
	v_mov_b32_e32 v60, 0x7f800000
	v_cmp_nlt_f32_e32 vcc, s2, v58
	v_cndmask_b32_e32 v74, v60, v59, vcc
	v_add_f32_e32 v60, 1.0, v74
	v_add_f32_e32 v58, -1.0, v60
	v_sub_f32_e32 v59, v58, v60
	v_add_f32_e32 v59, 1.0, v59
	v_sub_f32_e32 v58, v74, v58
	v_add_f32_e32 v61, v58, v59
	v_frexp_mant_f32_e32 v62, v60
	s_mov_b32 s2, 0x3f2aaaab
	v_cvt_f64_f32_e32 v[58:59], v60
	v_frexp_exp_i32_f64_e32 v58, v[58:59]
	v_cmp_gt_f32_e32 vcc, s2, v62
	v_subbrev_co_u32_e32 v66, vcc, 0, v58, vcc
	v_sub_u32_e32 v58, 0, v66
	v_ldexp_f32 v59, v60, v58
	v_add_f32_e32 v60, -1.0, v59
	v_add_f32_e32 v62, 1.0, v59
	v_ldexp_f32 v58, v61, v58
	v_add_f32_e32 v61, 1.0, v60
	v_add_f32_e32 v63, -1.0, v62
	v_sub_f32_e32 v61, v59, v61
	v_sub_f32_e32 v59, v59, v63
	v_add_f32_e32 v61, v58, v61
	v_add_f32_e32 v58, v58, v59
	;; [unrolled: 1-line block ×3, first 2 shown]
	v_rcp_f32_e32 v69, v67
	v_sub_f32_e32 v59, v62, v67
	v_add_f32_e32 v68, v58, v59
	v_add_f32_e32 v59, v60, v61
	v_mul_f32_e32 v71, v59, v69
	v_sub_f32_e32 v58, v60, v59
	v_mul_f32_e32 v60, v67, v71
	v_fma_f32 v62, v71, v67, -v60
	v_fmac_f32_e32 v62, v71, v68
	v_add_f32_e32 v70, v61, v58
	v_add_f32_e32 v58, v60, v62
	v_sub_f32_e32 v61, v59, v58
	v_pk_add_f32 v[64:65], v[58:59], v[60:61] neg_lo:[0,1] neg_hi:[0,1]
	v_mov_b32_e32 v63, v58
	v_pk_add_f32 v[58:59], v[64:65], v[62:63] neg_lo:[0,1] neg_hi:[0,1]
	v_add_f32_e32 v59, v70, v59
	v_add_f32_e32 v58, v58, v59
	;; [unrolled: 1-line block ×3, first 2 shown]
	v_mul_f32_e32 v70, v69, v59
	v_mul_f32_e32 v60, v67, v70
	v_fma_f32 v62, v70, v67, -v60
	v_fmac_f32_e32 v62, v70, v68
	v_sub_f32_e32 v61, v61, v59
	v_add_f32_e32 v67, v58, v61
	v_add_f32_e32 v58, v60, v62
	v_sub_f32_e32 v61, v59, v58
	v_pk_add_f32 v[64:65], v[58:59], v[60:61] neg_lo:[0,1] neg_hi:[0,1]
	v_mov_b32_e32 v63, v58
	v_pk_add_f32 v[58:59], v[64:65], v[62:63] neg_lo:[0,1] neg_hi:[0,1]
	v_add_f32_e32 v59, v67, v59
	v_add_f32_e32 v58, v58, v59
	;; [unrolled: 1-line block ×4, first 2 shown]
	v_sub_f32_e32 v59, v61, v71
	v_mul_f32_e32 v58, v69, v58
	v_sub_f32_e32 v59, v70, v59
	v_add_f32_e32 v58, v59, v58
	v_add_f32_e32 v62, v61, v58
	v_mul_f32_e32 v64, v62, v62
	v_mov_b32_e32 v60, 0x3ecc95a3
	v_fmac_f32_e32 v60, 0x3e9b6dac, v64
	v_mov_b32_e32 v59, 0x3f2aaada
	v_fmac_f32_e32 v59, v64, v60
	v_cvt_f32_i32_e32 v60, v66
	v_sub_f32_e32 v61, v62, v61
	v_sub_f32_e32 v58, v58, v61
	v_ldexp_f32 v65, v58, 1
	v_mul_f32_e32 v61, v62, v64
	v_mov_b32_e32 v58, 0x3f317218
	s_mov_b32 s2, 0x3f317218
	v_pk_mul_f32 v[58:59], v[60:61], v[58:59]
	v_ldexp_f32 v63, v62, 1
	v_fma_f32 v62, v60, s2, -v58
	v_fmac_f32_e32 v62, 0xb102e308, v60
	v_pk_add_f32 v[60:61], v[58:59], v[62:63]
	v_sub_f32_e32 v63, v61, v63
	v_sub_f32_e32 v63, v59, v63
	v_add_f32_e32 v65, v65, v63
	v_mov_b32_e32 v64, v58
	v_pk_add_f32 v[58:59], v[60:61], v[58:59] neg_lo:[0,1] neg_hi:[0,1]
	v_pk_add_f32 v[66:67], v[60:61], v[64:65]
	v_mov_b32_e32 v59, v67
	v_mov_b32_e32 v63, v60
	v_pk_add_f32 v[68:69], v[62:63], v[58:59] neg_lo:[0,1] neg_hi:[0,1]
	v_pk_add_f32 v[58:59], v[62:63], v[58:59]
	v_mov_b32_e32 v62, v59
	v_pk_add_f32 v[70:71], v[62:63], v[60:61] neg_lo:[0,1] neg_hi:[0,1]
	v_mov_b32_e32 v63, v70
	v_pk_add_f32 v[72:73], v[66:67], v[62:63] neg_lo:[0,1] neg_hi:[0,1]
	v_mov_b32_e32 v58, v67
	v_mov_b32_e32 v66, v61
	;; [unrolled: 1-line block ×4, first 2 shown]
	v_pk_add_f32 v[58:59], v[58:59], v[66:67] neg_lo:[0,1] neg_hi:[0,1]
	v_mov_b32_e32 v64, v65
	v_mov_b32_e32 v65, v60
	v_pk_add_f32 v[58:59], v[64:65], v[58:59] neg_lo:[0,1] neg_hi:[0,1]
	v_mov_b32_e32 v72, v68
	v_pk_add_f32 v[60:61], v[72:73], v[58:59]
	v_mov_b32_e32 v64, v61
	v_pk_add_f32 v[64:65], v[60:61], v[64:65]
	v_pk_add_f32 v[62:63], v[62:63], v[64:65]
	v_mov_b32_e32 v61, v62
	v_pk_add_f32 v[66:67], v[60:61], v[68:69] neg_lo:[0,1] neg_hi:[0,1]
	v_mov_b32_e32 v59, v64
	v_sub_f32_e32 v60, v60, v66
	v_pk_add_f32 v[58:59], v[58:59], v[66:67] neg_lo:[0,1] neg_hi:[0,1]
	v_sub_f32_e32 v60, v68, v60
	s_mov_b32 s3, 0x7f800000
	v_add_f32_e32 v58, v58, v60
	s_mov_b32 s2, 0x33800000
	v_add_f32_e32 v58, v58, v59
	v_cmp_eq_f32_e32 vcc, s3, v74
	v_cmp_lt_f32_e64 s[2:3], |v74|, s2
	v_add_f32_e32 v58, v62, v58
	s_or_b64 vcc, vcc, s[2:3]
	v_cndmask_b32_e32 v58, v58, v74, vcc
	v_add_f32_e32 v59, v57, v58
.LBB462_107:
	s_or_b64 exec, exec, s[4:5]
	v_bfe_u32 v57, v59, 16, 1
	s_movk_i32 s2, 0x7fff
	v_add3_u32 v57, v59, v57, s2
	v_lshrrev_b32_e32 v57, 16, v57
	v_mov_b32_e32 v58, 0x7fc0
	v_cmp_o_f32_e32 vcc, v59, v59
	v_cndmask_b32_e32 v57, v58, v57, vcc
	v_and_b32_e32 v58, 0xffff, v57
.LBB462_108:
	s_or_b64 exec, exec, s[0:1]
	s_nop 0
	v_mov_b32_dpp v59, v58 row_shr:8 row_mask:0xf bank_mask:0xf
	v_cmp_lt_u32_e32 vcc, 7, v56
	s_and_saveexec_b64 s[0:1], vcc
	s_cbranch_execz .LBB462_112
; %bb.109:
	v_lshlrev_b32_e32 v57, 16, v59
	v_lshlrev_b32_e32 v56, 16, v58
	v_max_f32_e32 v59, v56, v56
	v_max_f32_e32 v60, v57, v57
	v_min_f32_e32 v58, v60, v59
	v_cmp_u_f32_e32 vcc, v57, v57
	v_max_f32_e32 v59, v60, v59
	v_cndmask_b32_e32 v58, v58, v57, vcc
	v_cmp_u_f32_e64 s[4:5], v56, v56
	v_cndmask_b32_e32 v59, v59, v57, vcc
	v_cndmask_b32_e64 v58, v58, v56, s[4:5]
	v_cndmask_b32_e64 v56, v59, v56, s[4:5]
	s_movk_i32 s2, 0x1f8
	v_cmp_neq_f32_e32 vcc, v58, v56
	v_cmp_class_f32_e64 s[2:3], v58, s2
	s_or_b64 s[2:3], vcc, s[2:3]
	s_and_saveexec_b64 s[4:5], s[2:3]
	s_cbranch_execz .LBB462_111
; %bb.110:
	v_sub_f32_e32 v57, v58, v56
	s_mov_b32 s2, 0x3fb8aa3b
	v_mul_f32_e32 v58, 0x3fb8aa3b, v57
	v_fma_f32 v59, v57, s2, -v58
	v_rndne_f32_e32 v60, v58
	v_fmac_f32_e32 v59, 0x32a5705f, v57
	v_sub_f32_e32 v58, v58, v60
	v_add_f32_e32 v58, v58, v59
	v_exp_f32_e32 v58, v58
	v_cvt_i32_f32_e32 v59, v60
	s_mov_b32 s2, 0xc2ce8ed0
	v_cmp_ngt_f32_e32 vcc, s2, v57
	s_mov_b32 s2, 0x42b17218
	v_ldexp_f32 v58, v58, v59
	v_cndmask_b32_e32 v58, 0, v58, vcc
	v_mov_b32_e32 v59, 0x7f800000
	v_cmp_nlt_f32_e32 vcc, s2, v57
	v_cndmask_b32_e32 v74, v59, v58, vcc
	v_add_f32_e32 v57, 1.0, v74
	v_add_f32_e32 v58, -1.0, v57
	v_sub_f32_e32 v59, v58, v57
	v_add_f32_e32 v59, 1.0, v59
	v_sub_f32_e32 v58, v74, v58
	v_add_f32_e32 v60, v58, v59
	v_frexp_mant_f32_e32 v61, v57
	s_mov_b32 s2, 0x3f2aaaab
	v_cvt_f64_f32_e32 v[58:59], v57
	v_frexp_exp_i32_f64_e32 v58, v[58:59]
	v_cmp_gt_f32_e32 vcc, s2, v61
	v_subbrev_co_u32_e32 v66, vcc, 0, v58, vcc
	v_sub_u32_e32 v58, 0, v66
	v_ldexp_f32 v57, v57, v58
	v_ldexp_f32 v58, v60, v58
	v_add_f32_e32 v60, -1.0, v57
	v_add_f32_e32 v59, 1.0, v60
	v_sub_f32_e32 v59, v57, v59
	v_add_f32_e32 v61, v58, v59
	v_add_f32_e32 v59, 1.0, v57
	v_add_f32_e32 v62, -1.0, v59
	v_sub_f32_e32 v57, v57, v62
	v_add_f32_e32 v57, v58, v57
	v_add_f32_e32 v67, v59, v57
	v_rcp_f32_e32 v68, v67
	v_sub_f32_e32 v58, v59, v67
	v_add_f32_e32 v59, v60, v61
	v_add_f32_e32 v57, v57, v58
	v_mul_f32_e32 v70, v59, v68
	v_sub_f32_e32 v58, v60, v59
	v_mul_f32_e32 v60, v67, v70
	v_fma_f32 v62, v70, v67, -v60
	v_fmac_f32_e32 v62, v70, v57
	v_add_f32_e32 v69, v61, v58
	v_add_f32_e32 v58, v60, v62
	v_sub_f32_e32 v61, v59, v58
	v_pk_add_f32 v[64:65], v[58:59], v[60:61] neg_lo:[0,1] neg_hi:[0,1]
	v_mov_b32_e32 v63, v58
	v_pk_add_f32 v[58:59], v[64:65], v[62:63] neg_lo:[0,1] neg_hi:[0,1]
	v_add_f32_e32 v59, v69, v59
	v_add_f32_e32 v58, v58, v59
	;; [unrolled: 1-line block ×3, first 2 shown]
	v_mul_f32_e32 v69, v68, v59
	v_mul_f32_e32 v60, v67, v69
	v_fma_f32 v62, v69, v67, -v60
	v_fmac_f32_e32 v62, v69, v57
	v_sub_f32_e32 v57, v61, v59
	v_add_f32_e32 v57, v58, v57
	v_add_f32_e32 v58, v60, v62
	v_sub_f32_e32 v61, v59, v58
	v_pk_add_f32 v[64:65], v[58:59], v[60:61] neg_lo:[0,1] neg_hi:[0,1]
	v_mov_b32_e32 v63, v58
	v_pk_add_f32 v[58:59], v[64:65], v[62:63] neg_lo:[0,1] neg_hi:[0,1]
	v_add_f32_e32 v57, v57, v59
	v_add_f32_e32 v57, v58, v57
	;; [unrolled: 1-line block ×4, first 2 shown]
	v_sub_f32_e32 v59, v58, v70
	v_mul_f32_e32 v57, v68, v57
	v_sub_f32_e32 v59, v69, v59
	v_add_f32_e32 v57, v59, v57
	v_add_f32_e32 v61, v58, v57
	v_mul_f32_e32 v62, v61, v61
	v_mov_b32_e32 v60, 0x3ecc95a3
	v_fmac_f32_e32 v60, 0x3e9b6dac, v62
	v_mov_b32_e32 v59, 0x3f2aaada
	v_fmac_f32_e32 v59, v62, v60
	v_cvt_f32_i32_e32 v60, v66
	v_sub_f32_e32 v58, v61, v58
	v_sub_f32_e32 v57, v57, v58
	v_ldexp_f32 v63, v61, 1
	v_mul_f32_e32 v61, v61, v62
	v_mov_b32_e32 v58, 0x3f317218
	s_mov_b32 s2, 0x3f317218
	v_pk_mul_f32 v[58:59], v[60:61], v[58:59]
	v_fma_f32 v62, v60, s2, -v58
	v_fmac_f32_e32 v62, 0xb102e308, v60
	v_pk_add_f32 v[60:61], v[58:59], v[62:63]
	v_sub_f32_e32 v63, v61, v63
	v_ldexp_f32 v57, v57, 1
	v_sub_f32_e32 v63, v59, v63
	v_add_f32_e32 v65, v57, v63
	v_mov_b32_e32 v64, v58
	v_pk_add_f32 v[58:59], v[60:61], v[58:59] neg_lo:[0,1] neg_hi:[0,1]
	v_pk_add_f32 v[66:67], v[60:61], v[64:65]
	v_mov_b32_e32 v59, v67
	v_mov_b32_e32 v63, v60
	v_pk_add_f32 v[68:69], v[62:63], v[58:59] neg_lo:[0,1] neg_hi:[0,1]
	v_pk_add_f32 v[58:59], v[62:63], v[58:59]
	v_mov_b32_e32 v62, v59
	v_pk_add_f32 v[70:71], v[62:63], v[60:61] neg_lo:[0,1] neg_hi:[0,1]
	v_mov_b32_e32 v57, v70
	v_pk_add_f32 v[72:73], v[66:67], v[56:57] neg_lo:[0,1] neg_hi:[0,1]
	v_mov_b32_e32 v58, v67
	v_mov_b32_e32 v66, v61
	;; [unrolled: 1-line block ×4, first 2 shown]
	v_pk_add_f32 v[58:59], v[58:59], v[66:67] neg_lo:[0,1] neg_hi:[0,1]
	v_mov_b32_e32 v64, v65
	v_mov_b32_e32 v65, v60
	v_pk_add_f32 v[58:59], v[64:65], v[58:59] neg_lo:[0,1] neg_hi:[0,1]
	v_mov_b32_e32 v72, v68
	v_pk_add_f32 v[60:61], v[72:73], v[58:59]
	v_mov_b32_e32 v64, v61
	v_pk_add_f32 v[64:65], v[60:61], v[64:65]
	v_pk_add_f32 v[62:63], v[62:63], v[64:65]
	v_mov_b32_e32 v61, v62
	v_pk_add_f32 v[66:67], v[60:61], v[68:69] neg_lo:[0,1] neg_hi:[0,1]
	v_mov_b32_e32 v59, v64
	v_sub_f32_e32 v57, v60, v66
	v_pk_add_f32 v[58:59], v[58:59], v[66:67] neg_lo:[0,1] neg_hi:[0,1]
	v_sub_f32_e32 v57, v68, v57
	s_mov_b32 s3, 0x7f800000
	v_add_f32_e32 v57, v58, v57
	s_mov_b32 s2, 0x33800000
	v_add_f32_e32 v57, v57, v59
	v_cmp_eq_f32_e32 vcc, s3, v74
	v_cmp_lt_f32_e64 s[2:3], |v74|, s2
	v_add_f32_e32 v57, v62, v57
	s_or_b64 vcc, vcc, s[2:3]
	v_cndmask_b32_e32 v57, v57, v74, vcc
	v_add_f32_e32 v57, v56, v57
.LBB462_111:
	s_or_b64 exec, exec, s[4:5]
	v_bfe_u32 v56, v57, 16, 1
	s_movk_i32 s2, 0x7fff
	v_add3_u32 v56, v57, v56, s2
	v_lshrrev_b32_e32 v56, 16, v56
	v_mov_b32_e32 v58, 0x7fc0
	v_cmp_o_f32_e32 vcc, v57, v57
	v_cndmask_b32_e32 v57, v58, v56, vcc
	v_and_b32_e32 v58, 0xffff, v57
.LBB462_112:
	s_or_b64 exec, exec, s[0:1]
	v_and_b32_e32 v59, 16, v55
	v_mov_b32_dpp v56, v58 row_bcast:15 row_mask:0xf bank_mask:0xf
	v_cmp_ne_u32_e32 vcc, 0, v59
	s_and_saveexec_b64 s[0:1], vcc
	s_cbranch_execz .LBB462_116
; %bb.113:
	v_lshlrev_b32_e32 v57, 16, v56
	v_lshlrev_b32_e32 v56, 16, v58
	v_max_f32_e32 v59, v56, v56
	v_max_f32_e32 v60, v57, v57
	v_min_f32_e32 v58, v60, v59
	v_cmp_u_f32_e32 vcc, v57, v57
	v_max_f32_e32 v59, v60, v59
	v_cndmask_b32_e32 v58, v58, v57, vcc
	v_cmp_u_f32_e64 s[4:5], v56, v56
	v_cndmask_b32_e32 v59, v59, v57, vcc
	v_cndmask_b32_e64 v58, v58, v56, s[4:5]
	v_cndmask_b32_e64 v56, v59, v56, s[4:5]
	s_movk_i32 s2, 0x1f8
	v_cmp_neq_f32_e32 vcc, v58, v56
	v_cmp_class_f32_e64 s[2:3], v58, s2
	s_or_b64 s[2:3], vcc, s[2:3]
	s_and_saveexec_b64 s[4:5], s[2:3]
	s_cbranch_execz .LBB462_115
; %bb.114:
	v_sub_f32_e32 v57, v58, v56
	s_mov_b32 s2, 0x3fb8aa3b
	v_mul_f32_e32 v58, 0x3fb8aa3b, v57
	v_fma_f32 v59, v57, s2, -v58
	v_rndne_f32_e32 v60, v58
	v_fmac_f32_e32 v59, 0x32a5705f, v57
	v_sub_f32_e32 v58, v58, v60
	v_add_f32_e32 v58, v58, v59
	v_exp_f32_e32 v58, v58
	v_cvt_i32_f32_e32 v59, v60
	s_mov_b32 s2, 0xc2ce8ed0
	v_cmp_ngt_f32_e32 vcc, s2, v57
	s_mov_b32 s2, 0x42b17218
	v_ldexp_f32 v58, v58, v59
	v_cndmask_b32_e32 v58, 0, v58, vcc
	v_mov_b32_e32 v59, 0x7f800000
	v_cmp_nlt_f32_e32 vcc, s2, v57
	v_cndmask_b32_e32 v74, v59, v58, vcc
	v_add_f32_e32 v57, 1.0, v74
	v_add_f32_e32 v58, -1.0, v57
	v_sub_f32_e32 v59, v58, v57
	v_add_f32_e32 v59, 1.0, v59
	v_sub_f32_e32 v58, v74, v58
	v_add_f32_e32 v60, v58, v59
	v_frexp_mant_f32_e32 v61, v57
	s_mov_b32 s2, 0x3f2aaaab
	v_cvt_f64_f32_e32 v[58:59], v57
	v_frexp_exp_i32_f64_e32 v58, v[58:59]
	v_cmp_gt_f32_e32 vcc, s2, v61
	v_subbrev_co_u32_e32 v66, vcc, 0, v58, vcc
	v_sub_u32_e32 v58, 0, v66
	v_ldexp_f32 v57, v57, v58
	v_ldexp_f32 v58, v60, v58
	v_add_f32_e32 v60, -1.0, v57
	v_add_f32_e32 v59, 1.0, v60
	v_sub_f32_e32 v59, v57, v59
	v_add_f32_e32 v61, v58, v59
	v_add_f32_e32 v59, 1.0, v57
	v_add_f32_e32 v62, -1.0, v59
	v_sub_f32_e32 v57, v57, v62
	v_add_f32_e32 v57, v58, v57
	v_add_f32_e32 v67, v59, v57
	v_rcp_f32_e32 v68, v67
	v_sub_f32_e32 v58, v59, v67
	v_add_f32_e32 v59, v60, v61
	v_add_f32_e32 v57, v57, v58
	v_mul_f32_e32 v70, v59, v68
	v_sub_f32_e32 v58, v60, v59
	v_mul_f32_e32 v60, v67, v70
	v_fma_f32 v62, v70, v67, -v60
	v_fmac_f32_e32 v62, v70, v57
	v_add_f32_e32 v69, v61, v58
	v_add_f32_e32 v58, v60, v62
	v_sub_f32_e32 v61, v59, v58
	v_pk_add_f32 v[64:65], v[58:59], v[60:61] neg_lo:[0,1] neg_hi:[0,1]
	v_mov_b32_e32 v63, v58
	v_pk_add_f32 v[58:59], v[64:65], v[62:63] neg_lo:[0,1] neg_hi:[0,1]
	v_add_f32_e32 v59, v69, v59
	v_add_f32_e32 v58, v58, v59
	;; [unrolled: 1-line block ×3, first 2 shown]
	v_mul_f32_e32 v69, v68, v59
	v_mul_f32_e32 v60, v67, v69
	v_fma_f32 v62, v69, v67, -v60
	v_fmac_f32_e32 v62, v69, v57
	v_sub_f32_e32 v57, v61, v59
	v_add_f32_e32 v57, v58, v57
	v_add_f32_e32 v58, v60, v62
	v_sub_f32_e32 v61, v59, v58
	v_pk_add_f32 v[64:65], v[58:59], v[60:61] neg_lo:[0,1] neg_hi:[0,1]
	v_mov_b32_e32 v63, v58
	v_pk_add_f32 v[58:59], v[64:65], v[62:63] neg_lo:[0,1] neg_hi:[0,1]
	v_add_f32_e32 v57, v57, v59
	v_add_f32_e32 v57, v58, v57
	;; [unrolled: 1-line block ×4, first 2 shown]
	v_sub_f32_e32 v59, v58, v70
	v_mul_f32_e32 v57, v68, v57
	v_sub_f32_e32 v59, v69, v59
	v_add_f32_e32 v57, v59, v57
	v_add_f32_e32 v61, v58, v57
	v_mul_f32_e32 v62, v61, v61
	v_mov_b32_e32 v60, 0x3ecc95a3
	v_fmac_f32_e32 v60, 0x3e9b6dac, v62
	v_mov_b32_e32 v59, 0x3f2aaada
	v_fmac_f32_e32 v59, v62, v60
	v_cvt_f32_i32_e32 v60, v66
	v_sub_f32_e32 v58, v61, v58
	v_sub_f32_e32 v57, v57, v58
	v_ldexp_f32 v63, v61, 1
	v_mul_f32_e32 v61, v61, v62
	v_mov_b32_e32 v58, 0x3f317218
	s_mov_b32 s2, 0x3f317218
	v_pk_mul_f32 v[58:59], v[60:61], v[58:59]
	v_fma_f32 v62, v60, s2, -v58
	v_fmac_f32_e32 v62, 0xb102e308, v60
	v_pk_add_f32 v[60:61], v[58:59], v[62:63]
	v_sub_f32_e32 v63, v61, v63
	v_ldexp_f32 v57, v57, 1
	v_sub_f32_e32 v63, v59, v63
	v_add_f32_e32 v65, v57, v63
	v_mov_b32_e32 v64, v58
	v_pk_add_f32 v[58:59], v[60:61], v[58:59] neg_lo:[0,1] neg_hi:[0,1]
	v_pk_add_f32 v[66:67], v[60:61], v[64:65]
	v_mov_b32_e32 v59, v67
	v_mov_b32_e32 v63, v60
	v_pk_add_f32 v[68:69], v[62:63], v[58:59] neg_lo:[0,1] neg_hi:[0,1]
	v_pk_add_f32 v[58:59], v[62:63], v[58:59]
	v_mov_b32_e32 v62, v59
	v_pk_add_f32 v[70:71], v[62:63], v[60:61] neg_lo:[0,1] neg_hi:[0,1]
	v_mov_b32_e32 v57, v70
	v_pk_add_f32 v[72:73], v[66:67], v[56:57] neg_lo:[0,1] neg_hi:[0,1]
	v_mov_b32_e32 v58, v67
	v_mov_b32_e32 v66, v61
	;; [unrolled: 1-line block ×4, first 2 shown]
	v_pk_add_f32 v[58:59], v[58:59], v[66:67] neg_lo:[0,1] neg_hi:[0,1]
	v_mov_b32_e32 v64, v65
	v_mov_b32_e32 v65, v60
	v_pk_add_f32 v[58:59], v[64:65], v[58:59] neg_lo:[0,1] neg_hi:[0,1]
	v_mov_b32_e32 v72, v68
	v_pk_add_f32 v[60:61], v[72:73], v[58:59]
	v_mov_b32_e32 v64, v61
	v_pk_add_f32 v[64:65], v[60:61], v[64:65]
	v_pk_add_f32 v[62:63], v[62:63], v[64:65]
	v_mov_b32_e32 v61, v62
	v_pk_add_f32 v[66:67], v[60:61], v[68:69] neg_lo:[0,1] neg_hi:[0,1]
	v_mov_b32_e32 v59, v64
	v_sub_f32_e32 v57, v60, v66
	v_pk_add_f32 v[58:59], v[58:59], v[66:67] neg_lo:[0,1] neg_hi:[0,1]
	v_sub_f32_e32 v57, v68, v57
	s_mov_b32 s3, 0x7f800000
	v_add_f32_e32 v57, v58, v57
	s_mov_b32 s2, 0x33800000
	v_add_f32_e32 v57, v57, v59
	v_cmp_eq_f32_e32 vcc, s3, v74
	v_cmp_lt_f32_e64 s[2:3], |v74|, s2
	v_add_f32_e32 v57, v62, v57
	s_or_b64 vcc, vcc, s[2:3]
	v_cndmask_b32_e32 v57, v57, v74, vcc
	v_add_f32_e32 v57, v56, v57
.LBB462_115:
	s_or_b64 exec, exec, s[4:5]
	v_bfe_u32 v56, v57, 16, 1
	s_movk_i32 s2, 0x7fff
	v_add3_u32 v56, v57, v56, s2
	v_lshrrev_b32_e32 v56, 16, v56
	v_mov_b32_e32 v58, 0x7fc0
	v_cmp_o_f32_e32 vcc, v57, v57
	v_cndmask_b32_e32 v57, v58, v56, vcc
	v_and_b32_e32 v58, 0xffff, v57
.LBB462_116:
	s_or_b64 exec, exec, s[0:1]
	s_nop 0
	v_mov_b32_dpp v56, v58 row_bcast:31 row_mask:0xf bank_mask:0xf
	v_cmp_lt_u32_e32 vcc, 31, v55
	s_and_saveexec_b64 s[0:1], vcc
	s_cbranch_execz .LBB462_120
; %bb.117:
	v_lshlrev_b32_e32 v57, 16, v56
	v_lshlrev_b32_e32 v56, 16, v58
	v_max_f32_e32 v59, v56, v56
	v_max_f32_e32 v60, v57, v57
	v_min_f32_e32 v58, v60, v59
	v_cmp_u_f32_e32 vcc, v57, v57
	v_max_f32_e32 v59, v60, v59
	v_cndmask_b32_e32 v58, v58, v57, vcc
	v_cmp_u_f32_e64 s[4:5], v56, v56
	v_cndmask_b32_e32 v59, v59, v57, vcc
	v_cndmask_b32_e64 v58, v58, v56, s[4:5]
	v_cndmask_b32_e64 v56, v59, v56, s[4:5]
	s_movk_i32 s2, 0x1f8
	v_cmp_neq_f32_e32 vcc, v58, v56
	v_cmp_class_f32_e64 s[2:3], v58, s2
	s_or_b64 s[2:3], vcc, s[2:3]
	s_and_saveexec_b64 s[4:5], s[2:3]
	s_cbranch_execz .LBB462_119
; %bb.118:
	v_sub_f32_e32 v57, v58, v56
	s_mov_b32 s2, 0x3fb8aa3b
	v_mul_f32_e32 v58, 0x3fb8aa3b, v57
	v_fma_f32 v59, v57, s2, -v58
	v_rndne_f32_e32 v60, v58
	v_fmac_f32_e32 v59, 0x32a5705f, v57
	v_sub_f32_e32 v58, v58, v60
	v_add_f32_e32 v58, v58, v59
	v_exp_f32_e32 v58, v58
	v_cvt_i32_f32_e32 v59, v60
	s_mov_b32 s2, 0xc2ce8ed0
	v_cmp_ngt_f32_e32 vcc, s2, v57
	s_mov_b32 s2, 0x42b17218
	v_ldexp_f32 v58, v58, v59
	v_cndmask_b32_e32 v58, 0, v58, vcc
	v_mov_b32_e32 v59, 0x7f800000
	v_cmp_nlt_f32_e32 vcc, s2, v57
	v_cndmask_b32_e32 v74, v59, v58, vcc
	v_add_f32_e32 v57, 1.0, v74
	v_add_f32_e32 v58, -1.0, v57
	v_sub_f32_e32 v59, v58, v57
	v_add_f32_e32 v59, 1.0, v59
	v_sub_f32_e32 v58, v74, v58
	v_add_f32_e32 v60, v58, v59
	v_frexp_mant_f32_e32 v61, v57
	s_mov_b32 s2, 0x3f2aaaab
	v_cvt_f64_f32_e32 v[58:59], v57
	v_frexp_exp_i32_f64_e32 v58, v[58:59]
	v_cmp_gt_f32_e32 vcc, s2, v61
	v_subbrev_co_u32_e32 v66, vcc, 0, v58, vcc
	v_sub_u32_e32 v58, 0, v66
	v_ldexp_f32 v57, v57, v58
	v_ldexp_f32 v58, v60, v58
	v_add_f32_e32 v60, -1.0, v57
	v_add_f32_e32 v59, 1.0, v60
	v_sub_f32_e32 v59, v57, v59
	v_add_f32_e32 v61, v58, v59
	v_add_f32_e32 v59, 1.0, v57
	v_add_f32_e32 v62, -1.0, v59
	v_sub_f32_e32 v57, v57, v62
	v_add_f32_e32 v57, v58, v57
	v_add_f32_e32 v67, v59, v57
	v_rcp_f32_e32 v68, v67
	v_sub_f32_e32 v58, v59, v67
	v_add_f32_e32 v59, v60, v61
	v_add_f32_e32 v57, v57, v58
	v_mul_f32_e32 v70, v59, v68
	v_sub_f32_e32 v58, v60, v59
	v_mul_f32_e32 v60, v67, v70
	v_fma_f32 v62, v70, v67, -v60
	v_fmac_f32_e32 v62, v70, v57
	v_add_f32_e32 v69, v61, v58
	v_add_f32_e32 v58, v60, v62
	v_sub_f32_e32 v61, v59, v58
	v_pk_add_f32 v[64:65], v[58:59], v[60:61] neg_lo:[0,1] neg_hi:[0,1]
	v_mov_b32_e32 v63, v58
	v_pk_add_f32 v[58:59], v[64:65], v[62:63] neg_lo:[0,1] neg_hi:[0,1]
	v_add_f32_e32 v59, v69, v59
	v_add_f32_e32 v58, v58, v59
	;; [unrolled: 1-line block ×3, first 2 shown]
	v_mul_f32_e32 v69, v68, v59
	v_mul_f32_e32 v60, v67, v69
	v_fma_f32 v62, v69, v67, -v60
	v_fmac_f32_e32 v62, v69, v57
	v_sub_f32_e32 v57, v61, v59
	v_add_f32_e32 v57, v58, v57
	v_add_f32_e32 v58, v60, v62
	v_sub_f32_e32 v61, v59, v58
	v_pk_add_f32 v[64:65], v[58:59], v[60:61] neg_lo:[0,1] neg_hi:[0,1]
	v_mov_b32_e32 v63, v58
	v_pk_add_f32 v[58:59], v[64:65], v[62:63] neg_lo:[0,1] neg_hi:[0,1]
	v_add_f32_e32 v57, v57, v59
	v_add_f32_e32 v57, v58, v57
	;; [unrolled: 1-line block ×4, first 2 shown]
	v_sub_f32_e32 v59, v58, v70
	v_mul_f32_e32 v57, v68, v57
	v_sub_f32_e32 v59, v69, v59
	v_add_f32_e32 v57, v59, v57
	v_add_f32_e32 v61, v58, v57
	v_mul_f32_e32 v62, v61, v61
	v_mov_b32_e32 v60, 0x3ecc95a3
	v_fmac_f32_e32 v60, 0x3e9b6dac, v62
	v_mov_b32_e32 v59, 0x3f2aaada
	v_fmac_f32_e32 v59, v62, v60
	v_cvt_f32_i32_e32 v60, v66
	v_sub_f32_e32 v58, v61, v58
	v_sub_f32_e32 v57, v57, v58
	v_ldexp_f32 v63, v61, 1
	v_mul_f32_e32 v61, v61, v62
	v_mov_b32_e32 v58, 0x3f317218
	s_mov_b32 s2, 0x3f317218
	v_pk_mul_f32 v[58:59], v[60:61], v[58:59]
	v_fma_f32 v62, v60, s2, -v58
	v_fmac_f32_e32 v62, 0xb102e308, v60
	v_pk_add_f32 v[60:61], v[58:59], v[62:63]
	v_sub_f32_e32 v63, v61, v63
	v_ldexp_f32 v57, v57, 1
	v_sub_f32_e32 v63, v59, v63
	v_add_f32_e32 v65, v57, v63
	v_mov_b32_e32 v64, v58
	v_pk_add_f32 v[58:59], v[60:61], v[58:59] neg_lo:[0,1] neg_hi:[0,1]
	v_pk_add_f32 v[66:67], v[60:61], v[64:65]
	v_mov_b32_e32 v59, v67
	v_mov_b32_e32 v63, v60
	v_pk_add_f32 v[68:69], v[62:63], v[58:59] neg_lo:[0,1] neg_hi:[0,1]
	v_pk_add_f32 v[58:59], v[62:63], v[58:59]
	v_mov_b32_e32 v62, v59
	v_pk_add_f32 v[70:71], v[62:63], v[60:61] neg_lo:[0,1] neg_hi:[0,1]
	v_mov_b32_e32 v57, v70
	v_pk_add_f32 v[72:73], v[66:67], v[56:57] neg_lo:[0,1] neg_hi:[0,1]
	v_mov_b32_e32 v58, v67
	v_mov_b32_e32 v66, v61
	;; [unrolled: 1-line block ×4, first 2 shown]
	v_pk_add_f32 v[58:59], v[58:59], v[66:67] neg_lo:[0,1] neg_hi:[0,1]
	v_mov_b32_e32 v64, v65
	v_mov_b32_e32 v65, v60
	v_pk_add_f32 v[58:59], v[64:65], v[58:59] neg_lo:[0,1] neg_hi:[0,1]
	v_mov_b32_e32 v72, v68
	v_pk_add_f32 v[60:61], v[72:73], v[58:59]
	v_mov_b32_e32 v64, v61
	v_pk_add_f32 v[64:65], v[60:61], v[64:65]
	v_pk_add_f32 v[62:63], v[62:63], v[64:65]
	v_mov_b32_e32 v61, v62
	v_pk_add_f32 v[66:67], v[60:61], v[68:69] neg_lo:[0,1] neg_hi:[0,1]
	v_mov_b32_e32 v59, v64
	v_sub_f32_e32 v57, v60, v66
	v_pk_add_f32 v[58:59], v[58:59], v[66:67] neg_lo:[0,1] neg_hi:[0,1]
	v_sub_f32_e32 v57, v68, v57
	s_mov_b32 s3, 0x7f800000
	v_add_f32_e32 v57, v58, v57
	s_mov_b32 s2, 0x33800000
	v_add_f32_e32 v57, v57, v59
	v_cmp_eq_f32_e32 vcc, s3, v74
	v_cmp_lt_f32_e64 s[2:3], |v74|, s2
	v_add_f32_e32 v57, v62, v57
	s_or_b64 vcc, vcc, s[2:3]
	v_cndmask_b32_e32 v57, v57, v74, vcc
	v_add_f32_e32 v57, v56, v57
.LBB462_119:
	s_or_b64 exec, exec, s[4:5]
	v_bfe_u32 v56, v57, 16, 1
	s_movk_i32 s2, 0x7fff
	v_add3_u32 v56, v57, v56, s2
	v_lshrrev_b32_e32 v56, 16, v56
	v_mov_b32_e32 v58, 0x7fc0
	v_cmp_o_f32_e32 vcc, v57, v57
	v_cndmask_b32_e32 v57, v58, v56, vcc
.LBB462_120:
	s_or_b64 exec, exec, s[0:1]
	v_cmp_eq_u32_e32 vcc, 63, v0
	s_and_saveexec_b64 s[0:1], vcc
	s_cbranch_execz .LBB462_122
; %bb.121:
	v_mov_b32_e32 v56, 0
	ds_write_b16 v56, v57
.LBB462_122:
	s_or_b64 exec, exec, s[0:1]
	v_and_b32_e32 v56, 0xffff, v57
	v_add_u32_e32 v57, -1, v55
	v_and_b32_e32 v58, 64, v55
	v_cmp_lt_i32_e32 vcc, v57, v58
	v_cndmask_b32_e32 v55, v57, v55, vcc
	v_lshlrev_b32_e32 v55, 2, v55
	ds_bpermute_b32 v55, v55, v56
	v_cmp_ne_u32_e32 vcc, 0, v0
	s_waitcnt lgkmcnt(0)
	; wave barrier
	s_waitcnt lgkmcnt(0)
	s_and_saveexec_b64 s[4:5], vcc
	s_cbranch_execz .LBB462_126
; %bb.123:
	v_lshlrev_b32_e32 v51, 16, v55
	v_max_f32_e32 v2, v51, v51
	v_min_f32_e32 v52, v2, v53
	v_cmp_u_f32_e32 vcc, v51, v51
	v_max_f32_e32 v2, v2, v53
	v_cndmask_b32_e32 v52, v52, v51, vcc
	v_cndmask_b32_e32 v2, v2, v51, vcc
	v_cndmask_b32_e64 v52, v52, v50, s[94:95]
	v_cndmask_b32_e64 v2, v2, v50, s[94:95]
	s_movk_i32 s0, 0x1f8
	v_cmp_neq_f32_e32 vcc, v52, v2
	v_cmp_class_f32_e64 s[0:1], v52, s0
	s_or_b64 s[2:3], vcc, s[0:1]
	s_and_saveexec_b64 s[0:1], s[2:3]
	s_cbranch_execz .LBB462_125
; %bb.124:
	v_sub_f32_e32 v50, v52, v2
	s_mov_b32 s2, 0x3fb8aa3b
	v_mul_f32_e32 v51, 0x3fb8aa3b, v50
	v_fma_f32 v52, v50, s2, -v51
	v_rndne_f32_e32 v53, v51
	v_fmac_f32_e32 v52, 0x32a5705f, v50
	v_sub_f32_e32 v51, v51, v53
	v_add_f32_e32 v51, v51, v52
	v_exp_f32_e32 v51, v51
	v_cvt_i32_f32_e32 v52, v53
	s_mov_b32 s2, 0xc2ce8ed0
	v_cmp_ngt_f32_e32 vcc, s2, v50
	s_mov_b32 s2, 0x42b17218
	v_ldexp_f32 v51, v51, v52
	v_cndmask_b32_e32 v51, 0, v51, vcc
	v_mov_b32_e32 v52, 0x7f800000
	v_cmp_nlt_f32_e32 vcc, s2, v50
	v_cndmask_b32_e32 v68, v52, v51, vcc
	v_add_f32_e32 v52, 1.0, v68
	v_add_f32_e32 v50, -1.0, v52
	v_sub_f32_e32 v51, v50, v52
	v_add_f32_e32 v51, 1.0, v51
	v_sub_f32_e32 v50, v68, v50
	v_add_f32_e32 v53, v50, v51
	v_frexp_mant_f32_e32 v55, v52
	s_mov_b32 s2, 0x3f2aaaab
	v_cvt_f64_f32_e32 v[50:51], v52
	v_frexp_exp_i32_f64_e32 v50, v[50:51]
	v_cmp_gt_f32_e32 vcc, s2, v55
	v_subbrev_co_u32_e32 v55, vcc, 0, v50, vcc
	v_sub_u32_e32 v50, 0, v55
	v_ldexp_f32 v51, v52, v50
	v_add_f32_e32 v52, -1.0, v51
	v_add_f32_e32 v56, 1.0, v51
	v_ldexp_f32 v50, v53, v50
	v_add_f32_e32 v53, 1.0, v52
	v_add_f32_e32 v57, -1.0, v56
	v_sub_f32_e32 v53, v51, v53
	v_sub_f32_e32 v51, v51, v57
	v_add_f32_e32 v53, v50, v53
	v_add_f32_e32 v50, v50, v51
	;; [unrolled: 1-line block ×3, first 2 shown]
	v_rcp_f32_e32 v62, v60
	v_sub_f32_e32 v51, v56, v60
	v_add_f32_e32 v61, v50, v51
	v_add_f32_e32 v51, v52, v53
	v_mul_f32_e32 v64, v51, v62
	v_sub_f32_e32 v50, v52, v51
	v_mul_f32_e32 v52, v60, v64
	v_fma_f32 v56, v64, v60, -v52
	v_fmac_f32_e32 v56, v64, v61
	v_add_f32_e32 v63, v53, v50
	v_add_f32_e32 v50, v52, v56
	v_sub_f32_e32 v53, v51, v50
	v_pk_add_f32 v[58:59], v[50:51], v[52:53] neg_lo:[0,1] neg_hi:[0,1]
	v_mov_b32_e32 v57, v50
	v_pk_add_f32 v[50:51], v[58:59], v[56:57] neg_lo:[0,1] neg_hi:[0,1]
	v_add_f32_e32 v51, v63, v51
	v_add_f32_e32 v50, v50, v51
	;; [unrolled: 1-line block ×3, first 2 shown]
	v_mul_f32_e32 v63, v62, v51
	v_mul_f32_e32 v52, v60, v63
	v_fma_f32 v56, v63, v60, -v52
	v_fmac_f32_e32 v56, v63, v61
	v_sub_f32_e32 v53, v53, v51
	v_add_f32_e32 v60, v50, v53
	v_add_f32_e32 v50, v52, v56
	v_sub_f32_e32 v53, v51, v50
	v_pk_add_f32 v[58:59], v[50:51], v[52:53] neg_lo:[0,1] neg_hi:[0,1]
	v_mov_b32_e32 v57, v50
	v_pk_add_f32 v[50:51], v[58:59], v[56:57] neg_lo:[0,1] neg_hi:[0,1]
	v_add_f32_e32 v51, v60, v51
	v_add_f32_e32 v50, v50, v51
	;; [unrolled: 1-line block ×4, first 2 shown]
	v_sub_f32_e32 v51, v53, v64
	v_mul_f32_e32 v50, v62, v50
	v_sub_f32_e32 v51, v63, v51
	v_add_f32_e32 v50, v51, v50
	v_add_f32_e32 v56, v53, v50
	v_mul_f32_e32 v58, v56, v56
	v_mov_b32_e32 v52, 0x3ecc95a3
	v_fmac_f32_e32 v52, 0x3e9b6dac, v58
	v_mov_b32_e32 v51, 0x3f2aaada
	v_fmac_f32_e32 v51, v58, v52
	v_cvt_f32_i32_e32 v52, v55
	v_sub_f32_e32 v53, v56, v53
	v_sub_f32_e32 v50, v50, v53
	v_ldexp_f32 v55, v50, 1
	v_mul_f32_e32 v53, v56, v58
	v_mov_b32_e32 v50, 0x3f317218
	s_mov_b32 s2, 0x3f317218
	v_pk_mul_f32 v[50:51], v[52:53], v[50:51]
	v_ldexp_f32 v57, v56, 1
	v_fma_f32 v56, v52, s2, -v50
	v_fmac_f32_e32 v56, 0xb102e308, v52
	v_pk_add_f32 v[52:53], v[50:51], v[56:57]
	v_sub_f32_e32 v57, v53, v57
	v_sub_f32_e32 v57, v51, v57
	v_add_f32_e32 v59, v55, v57
	v_mov_b32_e32 v58, v50
	v_pk_add_f32 v[50:51], v[52:53], v[50:51] neg_lo:[0,1] neg_hi:[0,1]
	v_pk_add_f32 v[60:61], v[52:53], v[58:59]
	v_mov_b32_e32 v51, v61
	v_mov_b32_e32 v57, v52
	v_pk_add_f32 v[62:63], v[56:57], v[50:51] neg_lo:[0,1] neg_hi:[0,1]
	v_pk_add_f32 v[50:51], v[56:57], v[50:51]
	v_mov_b32_e32 v56, v51
	v_pk_add_f32 v[64:65], v[56:57], v[52:53] neg_lo:[0,1] neg_hi:[0,1]
	v_mov_b32_e32 v55, v64
	v_pk_add_f32 v[66:67], v[60:61], v[54:55] neg_lo:[0,1] neg_hi:[0,1]
	v_mov_b32_e32 v50, v61
	v_mov_b32_e32 v60, v53
	;; [unrolled: 1-line block ×4, first 2 shown]
	v_pk_add_f32 v[50:51], v[50:51], v[60:61] neg_lo:[0,1] neg_hi:[0,1]
	v_mov_b32_e32 v58, v59
	v_mov_b32_e32 v59, v52
	v_pk_add_f32 v[50:51], v[58:59], v[50:51] neg_lo:[0,1] neg_hi:[0,1]
	v_mov_b32_e32 v66, v62
	v_pk_add_f32 v[52:53], v[66:67], v[50:51]
	v_mov_b32_e32 v58, v53
	v_pk_add_f32 v[58:59], v[52:53], v[58:59]
	v_pk_add_f32 v[56:57], v[56:57], v[58:59]
	v_mov_b32_e32 v53, v56
	v_pk_add_f32 v[60:61], v[52:53], v[62:63] neg_lo:[0,1] neg_hi:[0,1]
	v_mov_b32_e32 v51, v58
	v_sub_f32_e32 v52, v52, v60
	v_pk_add_f32 v[50:51], v[50:51], v[60:61] neg_lo:[0,1] neg_hi:[0,1]
	v_sub_f32_e32 v52, v62, v52
	s_mov_b32 s3, 0x7f800000
	v_add_f32_e32 v50, v50, v52
	s_mov_b32 s2, 0x33800000
	v_add_f32_e32 v50, v50, v51
	v_cmp_eq_f32_e32 vcc, s3, v68
	v_cmp_lt_f32_e64 s[2:3], |v68|, s2
	v_add_f32_e32 v50, v56, v50
	s_or_b64 vcc, vcc, s[2:3]
	v_cndmask_b32_e32 v50, v50, v68, vcc
	v_add_f32_e32 v51, v2, v50
.LBB462_125:
	s_or_b64 exec, exec, s[0:1]
	v_bfe_u32 v2, v51, 16, 1
	s_movk_i32 s0, 0x7fff
	v_add3_u32 v2, v51, v2, s0
	v_lshrrev_b32_e32 v2, 16, v2
	v_mov_b32_e32 v50, 0x7fc0
	v_cmp_o_f32_e32 vcc, v51, v51
	v_cndmask_b32_e32 v2, v50, v2, vcc
	v_lshlrev_b32_e32 v50, 16, v2
	v_max_f32_e32 v52, v50, v50
	v_min_f32_e32 v51, v52, v25
	v_max_f32_e32 v52, v52, v25
	;;#ASMSTART
	;;#ASMEND
.LBB462_126:
	s_or_b64 exec, exec, s[4:5]
	v_cmp_u_f32_e32 vcc, v50, v50
	v_cndmask_b32_e32 v25, v51, v50, vcc
	v_cndmask_b32_e32 v51, v52, v50, vcc
	v_cndmask_b32_e64 v25, v25, v15, s[48:49]
	v_cndmask_b32_e64 v15, v51, v15, s[48:49]
	s_movk_i32 s4, 0x1f8
	v_cmp_neq_f32_e32 vcc, v25, v15
	v_cmp_class_f32_e64 s[0:1], v25, s4
	s_or_b64 s[2:3], vcc, s[0:1]
	s_and_saveexec_b64 s[0:1], s[2:3]
	s_cbranch_execz .LBB462_128
; %bb.127:
	v_sub_f32_e32 v25, v25, v15
	s_mov_b32 s2, 0x3fb8aa3b
	v_mul_f32_e32 v50, 0x3fb8aa3b, v25
	v_fma_f32 v51, v25, s2, -v50
	v_rndne_f32_e32 v52, v50
	v_fmac_f32_e32 v51, 0x32a5705f, v25
	v_sub_f32_e32 v50, v50, v52
	v_add_f32_e32 v50, v50, v51
	v_exp_f32_e32 v50, v50
	v_cvt_i32_f32_e32 v51, v52
	s_mov_b32 s2, 0xc2ce8ed0
	v_cmp_ngt_f32_e32 vcc, s2, v25
	s_mov_b32 s2, 0x42b17218
	v_ldexp_f32 v50, v50, v51
	v_cndmask_b32_e32 v50, 0, v50, vcc
	v_mov_b32_e32 v51, 0x7f800000
	v_cmp_nlt_f32_e32 vcc, s2, v25
	v_cndmask_b32_e32 v55, v51, v50, vcc
	v_add_f32_e32 v25, 1.0, v55
	v_add_f32_e32 v50, -1.0, v25
	v_sub_f32_e32 v51, v50, v25
	v_add_f32_e32 v51, 1.0, v51
	v_sub_f32_e32 v50, v55, v50
	v_add_f32_e32 v52, v50, v51
	v_frexp_mant_f32_e32 v53, v25
	s_mov_b32 s2, 0x3f2aaaab
	v_cvt_f64_f32_e32 v[50:51], v25
	v_frexp_exp_i32_f64_e32 v50, v[50:51]
	v_cmp_gt_f32_e32 vcc, s2, v53
	v_subbrev_co_u32_e32 v60, vcc, 0, v50, vcc
	v_sub_u32_e32 v50, 0, v60
	v_ldexp_f32 v25, v25, v50
	v_ldexp_f32 v50, v52, v50
	v_add_f32_e32 v52, -1.0, v25
	v_add_f32_e32 v51, 1.0, v52
	v_sub_f32_e32 v51, v25, v51
	v_add_f32_e32 v53, v50, v51
	v_add_f32_e32 v51, 1.0, v25
	v_add_f32_e32 v56, -1.0, v51
	v_sub_f32_e32 v25, v25, v56
	v_add_f32_e32 v25, v50, v25
	v_add_f32_e32 v61, v51, v25
	v_rcp_f32_e32 v62, v61
	v_sub_f32_e32 v50, v51, v61
	v_add_f32_e32 v51, v52, v53
	v_add_f32_e32 v25, v25, v50
	v_mul_f32_e32 v64, v51, v62
	v_sub_f32_e32 v50, v52, v51
	v_mul_f32_e32 v52, v61, v64
	v_fma_f32 v56, v64, v61, -v52
	v_fmac_f32_e32 v56, v64, v25
	v_add_f32_e32 v63, v53, v50
	v_add_f32_e32 v50, v52, v56
	v_sub_f32_e32 v53, v51, v50
	v_pk_add_f32 v[58:59], v[50:51], v[52:53] neg_lo:[0,1] neg_hi:[0,1]
	v_mov_b32_e32 v57, v50
	v_pk_add_f32 v[50:51], v[58:59], v[56:57] neg_lo:[0,1] neg_hi:[0,1]
	v_add_f32_e32 v51, v63, v51
	v_add_f32_e32 v50, v50, v51
	;; [unrolled: 1-line block ×3, first 2 shown]
	v_mul_f32_e32 v63, v62, v51
	v_mul_f32_e32 v52, v61, v63
	v_fma_f32 v56, v63, v61, -v52
	v_fmac_f32_e32 v56, v63, v25
	v_sub_f32_e32 v25, v53, v51
	v_add_f32_e32 v25, v50, v25
	v_add_f32_e32 v50, v52, v56
	v_sub_f32_e32 v53, v51, v50
	v_pk_add_f32 v[58:59], v[50:51], v[52:53] neg_lo:[0,1] neg_hi:[0,1]
	v_mov_b32_e32 v57, v50
	v_pk_add_f32 v[50:51], v[58:59], v[56:57] neg_lo:[0,1] neg_hi:[0,1]
	v_add_f32_e32 v25, v25, v51
	v_add_f32_e32 v25, v50, v25
	;; [unrolled: 1-line block ×4, first 2 shown]
	v_sub_f32_e32 v51, v50, v64
	v_mul_f32_e32 v25, v62, v25
	v_sub_f32_e32 v51, v63, v51
	v_add_f32_e32 v25, v51, v25
	v_add_f32_e32 v53, v50, v25
	v_mul_f32_e32 v56, v53, v53
	v_mov_b32_e32 v52, 0x3ecc95a3
	v_fmac_f32_e32 v52, 0x3e9b6dac, v56
	v_mov_b32_e32 v51, 0x3f2aaada
	v_fmac_f32_e32 v51, v56, v52
	v_cvt_f32_i32_e32 v52, v60
	v_sub_f32_e32 v50, v53, v50
	v_sub_f32_e32 v25, v25, v50
	v_ldexp_f32 v57, v53, 1
	v_mul_f32_e32 v53, v53, v56
	v_mov_b32_e32 v50, 0x3f317218
	s_mov_b32 s2, 0x3f317218
	v_pk_mul_f32 v[50:51], v[52:53], v[50:51]
	v_fma_f32 v56, v52, s2, -v50
	v_fmac_f32_e32 v56, 0xb102e308, v52
	v_pk_add_f32 v[52:53], v[50:51], v[56:57]
	v_sub_f32_e32 v57, v53, v57
	v_ldexp_f32 v25, v25, 1
	v_sub_f32_e32 v57, v51, v57
	v_add_f32_e32 v59, v25, v57
	v_mov_b32_e32 v58, v50
	v_pk_add_f32 v[50:51], v[52:53], v[50:51] neg_lo:[0,1] neg_hi:[0,1]
	v_pk_add_f32 v[60:61], v[52:53], v[58:59]
	v_mov_b32_e32 v51, v61
	v_mov_b32_e32 v57, v52
	v_pk_add_f32 v[62:63], v[56:57], v[50:51] neg_lo:[0,1] neg_hi:[0,1]
	v_pk_add_f32 v[50:51], v[56:57], v[50:51]
	v_mov_b32_e32 v56, v51
	v_pk_add_f32 v[64:65], v[56:57], v[52:53] neg_lo:[0,1] neg_hi:[0,1]
	v_mov_b32_e32 v25, v64
	v_pk_add_f32 v[66:67], v[60:61], v[24:25] neg_lo:[0,1] neg_hi:[0,1]
	v_mov_b32_e32 v50, v61
	v_mov_b32_e32 v60, v53
	;; [unrolled: 1-line block ×4, first 2 shown]
	v_pk_add_f32 v[50:51], v[50:51], v[60:61] neg_lo:[0,1] neg_hi:[0,1]
	v_mov_b32_e32 v58, v59
	v_mov_b32_e32 v59, v52
	v_pk_add_f32 v[50:51], v[58:59], v[50:51] neg_lo:[0,1] neg_hi:[0,1]
	v_mov_b32_e32 v66, v62
	v_pk_add_f32 v[52:53], v[66:67], v[50:51]
	v_mov_b32_e32 v58, v53
	v_pk_add_f32 v[58:59], v[52:53], v[58:59]
	v_pk_add_f32 v[56:57], v[56:57], v[58:59]
	v_mov_b32_e32 v53, v56
	v_pk_add_f32 v[60:61], v[52:53], v[62:63] neg_lo:[0,1] neg_hi:[0,1]
	v_mov_b32_e32 v51, v58
	v_sub_f32_e32 v25, v52, v60
	v_pk_add_f32 v[50:51], v[50:51], v[60:61] neg_lo:[0,1] neg_hi:[0,1]
	v_sub_f32_e32 v25, v62, v25
	s_mov_b32 s3, 0x7f800000
	v_add_f32_e32 v25, v50, v25
	s_mov_b32 s2, 0x33800000
	v_add_f32_e32 v25, v25, v51
	v_cmp_eq_f32_e32 vcc, s3, v55
	v_cmp_lt_f32_e64 s[2:3], |v55|, s2
	v_add_f32_e32 v25, v56, v25
	s_or_b64 vcc, vcc, s[2:3]
	v_cndmask_b32_e32 v25, v25, v55, vcc
	v_add_f32_e32 v50, v15, v25
.LBB462_128:
	s_or_b64 exec, exec, s[0:1]
	v_bfe_u32 v15, v50, 16, 1
	s_movk_i32 s5, 0x7fff
	v_add3_u32 v15, v50, v15, s5
	v_lshrrev_b32_e32 v15, 16, v15
	v_mov_b32_e32 v25, 0x7fc0
	v_cmp_o_f32_e32 vcc, v50, v50
	v_cndmask_b32_e32 v15, v25, v15, vcc
	v_lshlrev_b32_e32 v50, 16, v15
	v_max_f32_e32 v52, v50, v50
	v_min_f32_e32 v51, v52, v18
	v_cmp_u_f32_e32 vcc, v50, v50
	v_max_f32_e32 v18, v52, v18
	v_cndmask_b32_e32 v51, v51, v50, vcc
	v_cndmask_b32_e32 v18, v18, v50, vcc
	v_cndmask_b32_e64 v51, v51, v16, s[50:51]
	v_cndmask_b32_e64 v16, v18, v16, s[50:51]
	v_cmp_neq_f32_e32 vcc, v51, v16
	v_cmp_class_f32_e64 s[0:1], v51, s4
	s_or_b64 s[2:3], vcc, s[0:1]
	s_and_saveexec_b64 s[0:1], s[2:3]
	s_cbranch_execz .LBB462_130
; %bb.129:
	v_sub_f32_e32 v18, v51, v16
	s_mov_b32 s2, 0x3fb8aa3b
	v_mul_f32_e32 v50, 0x3fb8aa3b, v18
	v_fma_f32 v51, v18, s2, -v50
	v_rndne_f32_e32 v52, v50
	v_fmac_f32_e32 v51, 0x32a5705f, v18
	v_sub_f32_e32 v50, v50, v52
	v_add_f32_e32 v50, v50, v51
	v_exp_f32_e32 v50, v50
	v_cvt_i32_f32_e32 v51, v52
	s_mov_b32 s2, 0xc2ce8ed0
	v_cmp_ngt_f32_e32 vcc, s2, v18
	s_mov_b32 s2, 0x42b17218
	v_ldexp_f32 v50, v50, v51
	v_cndmask_b32_e32 v50, 0, v50, vcc
	v_mov_b32_e32 v51, 0x7f800000
	v_cmp_nlt_f32_e32 vcc, s2, v18
	v_cndmask_b32_e32 v66, v51, v50, vcc
	v_add_f32_e32 v18, 1.0, v66
	v_add_f32_e32 v50, -1.0, v18
	v_sub_f32_e32 v51, v50, v18
	v_add_f32_e32 v51, 1.0, v51
	v_sub_f32_e32 v50, v66, v50
	v_add_f32_e32 v52, v50, v51
	v_frexp_mant_f32_e32 v53, v18
	s_mov_b32 s2, 0x3f2aaaab
	v_cvt_f64_f32_e32 v[50:51], v18
	v_frexp_exp_i32_f64_e32 v50, v[50:51]
	v_cmp_gt_f32_e32 vcc, s2, v53
	v_subbrev_co_u32_e32 v55, vcc, 0, v50, vcc
	v_sub_u32_e32 v50, 0, v55
	v_ldexp_f32 v18, v18, v50
	v_ldexp_f32 v50, v52, v50
	v_add_f32_e32 v52, -1.0, v18
	v_add_f32_e32 v51, 1.0, v52
	v_sub_f32_e32 v51, v18, v51
	v_add_f32_e32 v53, v50, v51
	v_add_f32_e32 v51, 1.0, v18
	v_add_f32_e32 v56, -1.0, v51
	v_sub_f32_e32 v18, v18, v56
	v_add_f32_e32 v18, v50, v18
	v_add_f32_e32 v60, v51, v18
	v_rcp_f32_e32 v61, v60
	v_sub_f32_e32 v50, v51, v60
	v_add_f32_e32 v51, v52, v53
	v_add_f32_e32 v18, v18, v50
	v_mul_f32_e32 v63, v51, v61
	v_sub_f32_e32 v50, v52, v51
	v_mul_f32_e32 v52, v60, v63
	v_fma_f32 v56, v63, v60, -v52
	v_fmac_f32_e32 v56, v63, v18
	v_add_f32_e32 v62, v53, v50
	v_add_f32_e32 v50, v52, v56
	v_sub_f32_e32 v53, v51, v50
	v_pk_add_f32 v[58:59], v[50:51], v[52:53] neg_lo:[0,1] neg_hi:[0,1]
	v_mov_b32_e32 v57, v50
	v_pk_add_f32 v[50:51], v[58:59], v[56:57] neg_lo:[0,1] neg_hi:[0,1]
	v_add_f32_e32 v51, v62, v51
	v_add_f32_e32 v50, v50, v51
	;; [unrolled: 1-line block ×3, first 2 shown]
	v_mul_f32_e32 v62, v61, v51
	v_mul_f32_e32 v52, v60, v62
	v_fma_f32 v56, v62, v60, -v52
	v_fmac_f32_e32 v56, v62, v18
	v_sub_f32_e32 v18, v53, v51
	v_add_f32_e32 v18, v50, v18
	v_add_f32_e32 v50, v52, v56
	v_sub_f32_e32 v53, v51, v50
	v_pk_add_f32 v[58:59], v[50:51], v[52:53] neg_lo:[0,1] neg_hi:[0,1]
	v_mov_b32_e32 v57, v50
	v_pk_add_f32 v[50:51], v[58:59], v[56:57] neg_lo:[0,1] neg_hi:[0,1]
	v_add_f32_e32 v18, v18, v51
	v_add_f32_e32 v18, v50, v18
	;; [unrolled: 1-line block ×4, first 2 shown]
	v_sub_f32_e32 v51, v50, v63
	v_mul_f32_e32 v18, v61, v18
	v_sub_f32_e32 v51, v62, v51
	v_add_f32_e32 v18, v51, v18
	v_add_f32_e32 v53, v50, v18
	v_mul_f32_e32 v56, v53, v53
	v_mov_b32_e32 v52, 0x3ecc95a3
	v_fmac_f32_e32 v52, 0x3e9b6dac, v56
	v_mov_b32_e32 v51, 0x3f2aaada
	v_fmac_f32_e32 v51, v56, v52
	v_cvt_f32_i32_e32 v52, v55
	v_sub_f32_e32 v50, v53, v50
	v_sub_f32_e32 v18, v18, v50
	v_ldexp_f32 v57, v53, 1
	v_mul_f32_e32 v53, v53, v56
	v_mov_b32_e32 v50, 0x3f317218
	s_mov_b32 s2, 0x3f317218
	v_pk_mul_f32 v[50:51], v[52:53], v[50:51]
	v_fma_f32 v56, v52, s2, -v50
	v_fmac_f32_e32 v56, 0xb102e308, v52
	v_pk_add_f32 v[52:53], v[50:51], v[56:57]
	v_sub_f32_e32 v55, v53, v57
	v_ldexp_f32 v18, v18, 1
	v_sub_f32_e32 v55, v51, v55
	v_add_f32_e32 v59, v18, v55
	v_mov_b32_e32 v58, v50
	v_pk_add_f32 v[50:51], v[52:53], v[50:51] neg_lo:[0,1] neg_hi:[0,1]
	v_pk_add_f32 v[60:61], v[52:53], v[58:59]
	v_mov_b32_e32 v51, v61
	v_mov_b32_e32 v57, v52
	v_pk_add_f32 v[62:63], v[56:57], v[50:51] neg_lo:[0,1] neg_hi:[0,1]
	v_pk_add_f32 v[50:51], v[56:57], v[50:51]
	v_mov_b32_e32 v18, v51
	v_pk_add_f32 v[56:57], v[18:19], v[52:53] neg_lo:[0,1] neg_hi:[0,1]
	v_mov_b32_e32 v55, v56
	v_pk_add_f32 v[64:65], v[60:61], v[54:55] neg_lo:[0,1] neg_hi:[0,1]
	v_mov_b32_e32 v50, v61
	v_mov_b32_e32 v60, v53
	;; [unrolled: 1-line block ×4, first 2 shown]
	v_pk_add_f32 v[50:51], v[50:51], v[60:61] neg_lo:[0,1] neg_hi:[0,1]
	v_mov_b32_e32 v56, v59
	v_mov_b32_e32 v57, v52
	v_pk_add_f32 v[50:51], v[56:57], v[50:51] neg_lo:[0,1] neg_hi:[0,1]
	v_mov_b32_e32 v64, v62
	v_pk_add_f32 v[52:53], v[64:65], v[50:51]
	v_mov_b32_e32 v56, v53
	v_pk_add_f32 v[56:57], v[52:53], v[56:57]
	v_pk_add_f32 v[58:59], v[18:19], v[56:57]
	v_mov_b32_e32 v53, v58
	v_pk_add_f32 v[60:61], v[52:53], v[62:63] neg_lo:[0,1] neg_hi:[0,1]
	v_mov_b32_e32 v51, v56
	v_sub_f32_e32 v18, v52, v60
	v_pk_add_f32 v[50:51], v[50:51], v[60:61] neg_lo:[0,1] neg_hi:[0,1]
	v_sub_f32_e32 v18, v62, v18
	s_mov_b32 s3, 0x7f800000
	v_add_f32_e32 v18, v50, v18
	s_mov_b32 s2, 0x33800000
	v_add_f32_e32 v18, v18, v51
	v_cmp_eq_f32_e32 vcc, s3, v66
	v_cmp_lt_f32_e64 s[2:3], |v66|, s2
	v_add_f32_e32 v18, v58, v18
	s_or_b64 vcc, vcc, s[2:3]
	v_cndmask_b32_e32 v18, v18, v66, vcc
	v_add_f32_e32 v50, v16, v18
.LBB462_130:
	s_or_b64 exec, exec, s[0:1]
	v_bfe_u32 v16, v50, 16, 1
	v_add3_u32 v16, v50, v16, s5
	v_lshrrev_b32_e32 v16, 16, v16
	v_cmp_o_f32_e32 vcc, v50, v50
	v_cndmask_b32_e32 v16, v25, v16, vcc
	v_lshlrev_b32_e32 v25, 16, v16
	v_max_f32_e32 v50, v25, v25
	v_min_f32_e32 v18, v50, v19
	v_cmp_u_f32_e32 vcc, v25, v25
	v_max_f32_e32 v19, v50, v19
	v_cndmask_b32_e32 v18, v18, v25, vcc
	v_cndmask_b32_e32 v19, v19, v25, vcc
	v_cndmask_b32_e64 v18, v18, v3, s[52:53]
	v_cndmask_b32_e64 v3, v19, v3, s[52:53]
	v_cmp_neq_f32_e32 vcc, v18, v3
	v_cmp_class_f32_e64 s[0:1], v18, s4
	s_or_b64 s[2:3], vcc, s[0:1]
	s_and_saveexec_b64 s[0:1], s[2:3]
	s_cbranch_execz .LBB462_132
; %bb.131:
	v_sub_f32_e32 v18, v18, v3
	s_mov_b32 s2, 0x3fb8aa3b
	v_mul_f32_e32 v19, 0x3fb8aa3b, v18
	v_fma_f32 v25, v18, s2, -v19
	v_rndne_f32_e32 v50, v19
	v_fmac_f32_e32 v25, 0x32a5705f, v18
	v_sub_f32_e32 v19, v19, v50
	v_add_f32_e32 v19, v19, v25
	v_exp_f32_e32 v19, v19
	v_cvt_i32_f32_e32 v25, v50
	s_mov_b32 s2, 0xc2ce8ed0
	v_cmp_ngt_f32_e32 vcc, s2, v18
	s_mov_b32 s2, 0x42b17218
	v_ldexp_f32 v19, v19, v25
	v_cndmask_b32_e32 v19, 0, v19, vcc
	v_mov_b32_e32 v25, 0x7f800000
	v_cmp_nlt_f32_e32 vcc, s2, v18
	v_cndmask_b32_e32 v55, v25, v19, vcc
	v_add_f32_e32 v25, 1.0, v55
	v_add_f32_e32 v18, -1.0, v25
	v_sub_f32_e32 v19, v18, v25
	v_add_f32_e32 v19, 1.0, v19
	v_sub_f32_e32 v18, v55, v18
	v_add_f32_e32 v50, v18, v19
	v_frexp_mant_f32_e32 v51, v25
	s_mov_b32 s2, 0x3f2aaaab
	v_cvt_f64_f32_e32 v[18:19], v25
	v_frexp_exp_i32_f64_e32 v18, v[18:19]
	v_cmp_gt_f32_e32 vcc, s2, v51
	v_subbrev_co_u32_e32 v58, vcc, 0, v18, vcc
	v_sub_u32_e32 v18, 0, v58
	v_ldexp_f32 v19, v25, v18
	v_add_f32_e32 v25, -1.0, v19
	v_add_f32_e32 v51, 1.0, v19
	v_ldexp_f32 v18, v50, v18
	v_add_f32_e32 v50, 1.0, v25
	v_add_f32_e32 v52, -1.0, v51
	v_sub_f32_e32 v50, v19, v50
	v_sub_f32_e32 v19, v19, v52
	v_add_f32_e32 v50, v18, v50
	v_add_f32_e32 v18, v18, v19
	;; [unrolled: 1-line block ×3, first 2 shown]
	v_rcp_f32_e32 v61, v59
	v_sub_f32_e32 v19, v51, v59
	v_add_f32_e32 v60, v18, v19
	v_add_f32_e32 v19, v25, v50
	v_sub_f32_e32 v18, v25, v19
	v_mul_f32_e32 v62, v19, v61
	v_add_f32_e32 v25, v50, v18
	v_mul_f32_e32 v50, v59, v62
	v_fma_f32 v52, v62, v59, -v50
	v_fmac_f32_e32 v52, v62, v60
	v_add_f32_e32 v18, v50, v52
	v_sub_f32_e32 v51, v19, v18
	v_pk_add_f32 v[56:57], v[18:19], v[50:51] neg_lo:[0,1] neg_hi:[0,1]
	v_mov_b32_e32 v53, v18
	v_pk_add_f32 v[18:19], v[56:57], v[52:53] neg_lo:[0,1] neg_hi:[0,1]
	v_add_f32_e32 v19, v25, v19
	v_add_f32_e32 v18, v18, v19
	;; [unrolled: 1-line block ×3, first 2 shown]
	v_mul_f32_e32 v25, v61, v19
	v_mul_f32_e32 v50, v59, v25
	v_fma_f32 v52, v25, v59, -v50
	v_fmac_f32_e32 v52, v25, v60
	v_sub_f32_e32 v51, v51, v19
	v_add_f32_e32 v59, v18, v51
	v_add_f32_e32 v18, v50, v52
	v_sub_f32_e32 v51, v19, v18
	v_pk_add_f32 v[56:57], v[18:19], v[50:51] neg_lo:[0,1] neg_hi:[0,1]
	v_mov_b32_e32 v53, v18
	v_pk_add_f32 v[18:19], v[56:57], v[52:53] neg_lo:[0,1] neg_hi:[0,1]
	v_add_f32_e32 v19, v59, v19
	v_add_f32_e32 v18, v18, v19
	;; [unrolled: 1-line block ×4, first 2 shown]
	v_sub_f32_e32 v19, v51, v62
	v_mul_f32_e32 v18, v61, v18
	v_sub_f32_e32 v19, v25, v19
	v_add_f32_e32 v18, v19, v18
	v_add_f32_e32 v25, v51, v18
	v_mul_f32_e32 v52, v25, v25
	v_mov_b32_e32 v50, 0x3ecc95a3
	v_fmac_f32_e32 v50, 0x3e9b6dac, v52
	v_mov_b32_e32 v19, 0x3f2aaada
	v_fmac_f32_e32 v19, v52, v50
	v_cvt_f32_i32_e32 v50, v58
	v_sub_f32_e32 v51, v25, v51
	v_sub_f32_e32 v18, v18, v51
	v_ldexp_f32 v56, v18, 1
	v_mul_f32_e32 v51, v25, v52
	v_mov_b32_e32 v18, 0x3f317218
	s_mov_b32 s2, 0x3f317218
	v_pk_mul_f32 v[18:19], v[50:51], v[18:19]
	v_fma_f32 v52, v50, s2, -v18
	v_ldexp_f32 v53, v25, 1
	v_fmac_f32_e32 v52, 0xb102e308, v50
	v_pk_add_f32 v[50:51], v[18:19], v[52:53]
	v_sub_f32_e32 v25, v51, v53
	v_sub_f32_e32 v25, v19, v25
	v_add_f32_e32 v57, v56, v25
	v_mov_b32_e32 v56, v18
	v_pk_add_f32 v[18:19], v[50:51], v[18:19] neg_lo:[0,1] neg_hi:[0,1]
	v_pk_add_f32 v[58:59], v[50:51], v[56:57]
	v_mov_b32_e32 v19, v59
	v_mov_b32_e32 v53, v50
	v_pk_add_f32 v[60:61], v[52:53], v[18:19] neg_lo:[0,1] neg_hi:[0,1]
	v_pk_add_f32 v[18:19], v[52:53], v[18:19]
	v_mov_b32_e32 v52, v19
	v_pk_add_f32 v[62:63], v[52:53], v[50:51] neg_lo:[0,1] neg_hi:[0,1]
	v_mov_b32_e32 v25, v62
	v_pk_add_f32 v[64:65], v[58:59], v[24:25] neg_lo:[0,1] neg_hi:[0,1]
	v_mov_b32_e32 v18, v59
	v_mov_b32_e32 v58, v51
	;; [unrolled: 1-line block ×4, first 2 shown]
	v_pk_add_f32 v[18:19], v[18:19], v[58:59] neg_lo:[0,1] neg_hi:[0,1]
	v_mov_b32_e32 v56, v57
	v_mov_b32_e32 v57, v50
	v_pk_add_f32 v[18:19], v[56:57], v[18:19] neg_lo:[0,1] neg_hi:[0,1]
	v_mov_b32_e32 v64, v60
	v_pk_add_f32 v[50:51], v[64:65], v[18:19]
	v_mov_b32_e32 v56, v51
	v_pk_add_f32 v[56:57], v[50:51], v[56:57]
	v_pk_add_f32 v[52:53], v[52:53], v[56:57]
	v_mov_b32_e32 v51, v52
	v_pk_add_f32 v[58:59], v[50:51], v[60:61] neg_lo:[0,1] neg_hi:[0,1]
	v_mov_b32_e32 v19, v56
	v_sub_f32_e32 v25, v50, v58
	v_pk_add_f32 v[18:19], v[18:19], v[58:59] neg_lo:[0,1] neg_hi:[0,1]
	v_sub_f32_e32 v25, v60, v25
	s_mov_b32 s3, 0x7f800000
	v_add_f32_e32 v18, v18, v25
	s_mov_b32 s2, 0x33800000
	v_add_f32_e32 v18, v18, v19
	v_cmp_eq_f32_e32 vcc, s3, v55
	v_cmp_lt_f32_e64 s[2:3], |v55|, s2
	v_add_f32_e32 v18, v52, v18
	s_or_b64 vcc, vcc, s[2:3]
	v_cndmask_b32_e32 v18, v18, v55, vcc
	v_add_f32_e32 v25, v3, v18
.LBB462_132:
	s_or_b64 exec, exec, s[0:1]
	v_bfe_u32 v3, v25, 16, 1
	v_add3_u32 v3, v25, v3, s5
	v_lshrrev_b32_e32 v3, 16, v3
	v_mov_b32_e32 v18, 0x7fc0
	v_cmp_o_f32_e32 vcc, v25, v25
	v_cndmask_b32_e32 v3, v18, v3, vcc
	v_lshlrev_b32_e32 v19, 16, v3
	v_max_f32_e32 v50, v19, v19
	v_min_f32_e32 v25, v50, v21
	v_cmp_u_f32_e32 vcc, v19, v19
	v_max_f32_e32 v21, v50, v21
	v_cndmask_b32_e32 v25, v25, v19, vcc
	v_cndmask_b32_e32 v21, v21, v19, vcc
	v_cndmask_b32_e64 v25, v25, v17, s[54:55]
	v_cndmask_b32_e64 v17, v21, v17, s[54:55]
	v_cmp_neq_f32_e32 vcc, v25, v17
	v_cmp_class_f32_e64 s[0:1], v25, s4
	s_or_b64 s[2:3], vcc, s[0:1]
	s_and_saveexec_b64 s[0:1], s[2:3]
	s_cbranch_execz .LBB462_134
; %bb.133:
	v_sub_f32_e32 v19, v25, v17
	s_mov_b32 s2, 0x3fb8aa3b
	v_mul_f32_e32 v21, 0x3fb8aa3b, v19
	v_fma_f32 v25, v19, s2, -v21
	v_rndne_f32_e32 v50, v21
	v_fmac_f32_e32 v25, 0x32a5705f, v19
	v_sub_f32_e32 v21, v21, v50
	v_add_f32_e32 v21, v21, v25
	v_exp_f32_e32 v21, v21
	v_cvt_i32_f32_e32 v25, v50
	s_mov_b32 s2, 0xc2ce8ed0
	v_cmp_ngt_f32_e32 vcc, s2, v19
	s_mov_b32 s2, 0x42b17218
	v_ldexp_f32 v21, v21, v25
	v_cndmask_b32_e32 v21, 0, v21, vcc
	v_mov_b32_e32 v25, 0x7f800000
	v_cmp_nlt_f32_e32 vcc, s2, v19
	v_cndmask_b32_e32 v21, v25, v21, vcc
	v_add_f32_e32 v19, 1.0, v21
	v_add_f32_e32 v25, -1.0, v19
	v_sub_f32_e32 v50, v25, v19
	v_add_f32_e32 v50, 1.0, v50
	v_sub_f32_e32 v25, v21, v25
	v_add_f32_e32 v25, v25, v50
	v_frexp_mant_f32_e32 v52, v19
	s_mov_b32 s2, 0x3f2aaaab
	v_cvt_f64_f32_e32 v[50:51], v19
	v_frexp_exp_i32_f64_e32 v50, v[50:51]
	v_cmp_gt_f32_e32 vcc, s2, v52
	v_subbrev_co_u32_e32 v55, vcc, 0, v50, vcc
	v_sub_u32_e32 v50, 0, v55
	v_ldexp_f32 v19, v19, v50
	v_ldexp_f32 v25, v25, v50
	v_add_f32_e32 v50, -1.0, v19
	v_add_f32_e32 v51, 1.0, v50
	v_sub_f32_e32 v51, v19, v51
	v_add_f32_e32 v52, v25, v51
	v_add_f32_e32 v51, 1.0, v19
	v_add_f32_e32 v53, -1.0, v51
	v_sub_f32_e32 v19, v19, v53
	v_add_f32_e32 v19, v25, v19
	v_add_f32_e32 v25, v51, v19
	v_rcp_f32_e32 v60, v25
	v_sub_f32_e32 v51, v51, v25
	v_add_f32_e32 v19, v19, v51
	v_add_f32_e32 v51, v50, v52
	v_sub_f32_e32 v50, v50, v51
	v_mul_f32_e32 v62, v51, v60
	v_add_f32_e32 v61, v52, v50
	v_mul_f32_e32 v52, v25, v62
	v_fma_f32 v56, v62, v25, -v52
	v_fmac_f32_e32 v56, v62, v19
	v_add_f32_e32 v50, v52, v56
	v_sub_f32_e32 v53, v51, v50
	v_pk_add_f32 v[58:59], v[50:51], v[52:53] neg_lo:[0,1] neg_hi:[0,1]
	v_mov_b32_e32 v57, v50
	v_pk_add_f32 v[50:51], v[58:59], v[56:57] neg_lo:[0,1] neg_hi:[0,1]
	v_add_f32_e32 v51, v61, v51
	v_add_f32_e32 v50, v50, v51
	;; [unrolled: 1-line block ×3, first 2 shown]
	v_mul_f32_e32 v61, v60, v51
	v_mul_f32_e32 v52, v25, v61
	v_fma_f32 v56, v61, v25, -v52
	v_fmac_f32_e32 v56, v61, v19
	v_sub_f32_e32 v19, v53, v51
	v_add_f32_e32 v19, v50, v19
	v_add_f32_e32 v50, v52, v56
	v_sub_f32_e32 v53, v51, v50
	v_pk_add_f32 v[58:59], v[50:51], v[52:53] neg_lo:[0,1] neg_hi:[0,1]
	v_mov_b32_e32 v57, v50
	v_pk_add_f32 v[50:51], v[58:59], v[56:57] neg_lo:[0,1] neg_hi:[0,1]
	v_add_f32_e32 v19, v19, v51
	v_add_f32_e32 v19, v50, v19
	v_add_f32_e32 v25, v62, v61
	v_add_f32_e32 v19, v53, v19
	v_sub_f32_e32 v50, v25, v62
	v_mul_f32_e32 v19, v60, v19
	v_sub_f32_e32 v50, v61, v50
	v_add_f32_e32 v19, v50, v19
	v_add_f32_e32 v50, v25, v19
	v_mul_f32_e32 v53, v50, v50
	v_mov_b32_e32 v52, 0x3ecc95a3
	v_fmac_f32_e32 v52, 0x3e9b6dac, v53
	v_mov_b32_e32 v51, 0x3f2aaada
	v_fmac_f32_e32 v51, v53, v52
	v_cvt_f32_i32_e32 v52, v55
	v_sub_f32_e32 v25, v50, v25
	v_ldexp_f32 v57, v50, 1
	v_mul_f32_e32 v53, v50, v53
	v_mov_b32_e32 v50, 0x3f317218
	s_mov_b32 s2, 0x3f317218
	v_pk_mul_f32 v[50:51], v[52:53], v[50:51]
	v_fma_f32 v56, v52, s2, -v50
	v_fmac_f32_e32 v56, 0xb102e308, v52
	v_pk_add_f32 v[52:53], v[50:51], v[56:57]
	v_sub_f32_e32 v19, v19, v25
	v_sub_f32_e32 v25, v53, v57
	v_ldexp_f32 v19, v19, 1
	v_sub_f32_e32 v25, v51, v25
	v_add_f32_e32 v59, v19, v25
	v_mov_b32_e32 v58, v50
	v_pk_add_f32 v[50:51], v[52:53], v[50:51] neg_lo:[0,1] neg_hi:[0,1]
	v_pk_add_f32 v[60:61], v[52:53], v[58:59]
	v_mov_b32_e32 v51, v61
	v_mov_b32_e32 v57, v52
	v_pk_add_f32 v[62:63], v[56:57], v[50:51] neg_lo:[0,1] neg_hi:[0,1]
	v_pk_add_f32 v[50:51], v[56:57], v[50:51]
	v_mov_b32_e32 v56, v51
	v_pk_add_f32 v[64:65], v[56:57], v[52:53] neg_lo:[0,1] neg_hi:[0,1]
	v_mov_b32_e32 v19, v64
	v_pk_add_f32 v[66:67], v[60:61], v[18:19] neg_lo:[0,1] neg_hi:[0,1]
	v_mov_b32_e32 v50, v61
	v_mov_b32_e32 v60, v53
	;; [unrolled: 1-line block ×4, first 2 shown]
	v_pk_add_f32 v[50:51], v[50:51], v[60:61] neg_lo:[0,1] neg_hi:[0,1]
	v_mov_b32_e32 v58, v59
	v_mov_b32_e32 v59, v52
	v_pk_add_f32 v[50:51], v[58:59], v[50:51] neg_lo:[0,1] neg_hi:[0,1]
	v_mov_b32_e32 v66, v62
	v_pk_add_f32 v[52:53], v[66:67], v[50:51]
	v_mov_b32_e32 v58, v53
	v_pk_add_f32 v[58:59], v[52:53], v[58:59]
	v_pk_add_f32 v[56:57], v[56:57], v[58:59]
	v_mov_b32_e32 v53, v56
	v_pk_add_f32 v[60:61], v[52:53], v[62:63] neg_lo:[0,1] neg_hi:[0,1]
	v_mov_b32_e32 v51, v58
	v_sub_f32_e32 v19, v52, v60
	v_pk_add_f32 v[50:51], v[50:51], v[60:61] neg_lo:[0,1] neg_hi:[0,1]
	v_sub_f32_e32 v19, v62, v19
	s_mov_b32 s3, 0x7f800000
	v_add_f32_e32 v19, v50, v19
	s_mov_b32 s2, 0x33800000
	v_add_f32_e32 v19, v19, v51
	v_cmp_eq_f32_e32 vcc, s3, v21
	v_cmp_lt_f32_e64 s[2:3], |v21|, s2
	v_add_f32_e32 v19, v56, v19
	s_or_b64 vcc, vcc, s[2:3]
	v_cndmask_b32_e32 v19, v19, v21, vcc
	v_add_f32_e32 v19, v17, v19
.LBB462_134:
	s_or_b64 exec, exec, s[0:1]
	v_bfe_u32 v17, v19, 16, 1
	v_add3_u32 v17, v19, v17, s5
	v_lshrrev_b32_e32 v17, 16, v17
	v_cmp_o_f32_e32 vcc, v19, v19
	v_cndmask_b32_e32 v17, v18, v17, vcc
	v_lshlrev_b32_e32 v19, 16, v17
	v_max_f32_e32 v21, v19, v19
	v_min_f32_e32 v18, v21, v22
	v_cmp_u_f32_e32 vcc, v19, v19
	v_max_f32_e32 v21, v21, v22
	v_cndmask_b32_e32 v18, v18, v19, vcc
	v_cndmask_b32_e32 v21, v21, v19, vcc
	v_cndmask_b32_e64 v18, v18, v4, s[56:57]
	v_cndmask_b32_e64 v4, v21, v4, s[56:57]
	v_cmp_neq_f32_e32 vcc, v18, v4
	v_cmp_class_f32_e64 s[0:1], v18, s4
	s_or_b64 s[2:3], vcc, s[0:1]
	s_and_saveexec_b64 s[0:1], s[2:3]
	s_cbranch_execz .LBB462_136
; %bb.135:
	v_sub_f32_e32 v18, v18, v4
	s_mov_b32 s2, 0x3fb8aa3b
	v_mul_f32_e32 v19, 0x3fb8aa3b, v18
	v_fma_f32 v21, v18, s2, -v19
	v_rndne_f32_e32 v22, v19
	v_fmac_f32_e32 v21, 0x32a5705f, v18
	v_sub_f32_e32 v19, v19, v22
	v_add_f32_e32 v19, v19, v21
	v_exp_f32_e32 v19, v19
	v_cvt_i32_f32_e32 v21, v22
	s_mov_b32 s2, 0xc2ce8ed0
	v_cmp_ngt_f32_e32 vcc, s2, v18
	s_mov_b32 s2, 0x42b17218
	v_ldexp_f32 v19, v19, v21
	v_cndmask_b32_e32 v19, 0, v19, vcc
	v_mov_b32_e32 v21, 0x7f800000
	v_cmp_nlt_f32_e32 vcc, s2, v18
	v_cndmask_b32_e32 v25, v21, v19, vcc
	v_add_f32_e32 v21, 1.0, v25
	v_add_f32_e32 v18, -1.0, v21
	v_sub_f32_e32 v19, v18, v21
	v_add_f32_e32 v19, 1.0, v19
	v_sub_f32_e32 v18, v25, v18
	v_add_f32_e32 v22, v18, v19
	v_frexp_mant_f32_e32 v50, v21
	s_mov_b32 s2, 0x3f2aaaab
	v_cvt_f64_f32_e32 v[18:19], v21
	v_frexp_exp_i32_f64_e32 v18, v[18:19]
	v_cmp_gt_f32_e32 vcc, s2, v50
	v_subbrev_co_u32_e32 v55, vcc, 0, v18, vcc
	v_sub_u32_e32 v18, 0, v55
	v_ldexp_f32 v19, v21, v18
	v_add_f32_e32 v21, -1.0, v19
	v_add_f32_e32 v50, 1.0, v19
	v_ldexp_f32 v18, v22, v18
	v_add_f32_e32 v22, 1.0, v21
	v_add_f32_e32 v51, -1.0, v50
	v_sub_f32_e32 v22, v19, v22
	v_sub_f32_e32 v19, v19, v51
	v_add_f32_e32 v22, v18, v22
	v_add_f32_e32 v18, v18, v19
	;; [unrolled: 1-line block ×3, first 2 shown]
	v_rcp_f32_e32 v60, v58
	v_sub_f32_e32 v19, v50, v58
	v_add_f32_e32 v59, v18, v19
	v_add_f32_e32 v19, v21, v22
	v_sub_f32_e32 v18, v21, v19
	v_add_f32_e32 v21, v22, v18
	v_mul_f32_e32 v22, v19, v60
	v_mul_f32_e32 v50, v58, v22
	v_fma_f32 v52, v22, v58, -v50
	v_fmac_f32_e32 v52, v22, v59
	v_add_f32_e32 v18, v50, v52
	v_sub_f32_e32 v51, v19, v18
	v_pk_add_f32 v[56:57], v[18:19], v[50:51] neg_lo:[0,1] neg_hi:[0,1]
	v_mov_b32_e32 v53, v18
	v_pk_add_f32 v[18:19], v[56:57], v[52:53] neg_lo:[0,1] neg_hi:[0,1]
	v_add_f32_e32 v19, v21, v19
	v_add_f32_e32 v18, v18, v19
	;; [unrolled: 1-line block ×3, first 2 shown]
	v_mul_f32_e32 v21, v60, v19
	v_mul_f32_e32 v50, v58, v21
	v_fma_f32 v52, v21, v58, -v50
	v_fmac_f32_e32 v52, v21, v59
	v_sub_f32_e32 v51, v51, v19
	v_add_f32_e32 v58, v18, v51
	v_add_f32_e32 v18, v50, v52
	v_sub_f32_e32 v51, v19, v18
	v_pk_add_f32 v[56:57], v[18:19], v[50:51] neg_lo:[0,1] neg_hi:[0,1]
	v_mov_b32_e32 v53, v18
	v_pk_add_f32 v[18:19], v[56:57], v[52:53] neg_lo:[0,1] neg_hi:[0,1]
	v_add_f32_e32 v19, v58, v19
	v_add_f32_e32 v18, v18, v19
	;; [unrolled: 1-line block ×4, first 2 shown]
	v_sub_f32_e32 v19, v51, v22
	v_mul_f32_e32 v18, v60, v18
	v_sub_f32_e32 v19, v21, v19
	v_add_f32_e32 v18, v19, v18
	v_add_f32_e32 v21, v51, v18
	v_mul_f32_e32 v22, v21, v21
	v_mov_b32_e32 v50, 0x3ecc95a3
	v_fmac_f32_e32 v50, 0x3e9b6dac, v22
	v_mov_b32_e32 v19, 0x3f2aaada
	v_fmac_f32_e32 v19, v22, v50
	v_cvt_f32_i32_e32 v50, v55
	v_sub_f32_e32 v51, v21, v51
	v_sub_f32_e32 v18, v18, v51
	v_ldexp_f32 v55, v18, 1
	v_mul_f32_e32 v51, v21, v22
	v_mov_b32_e32 v18, 0x3f317218
	s_mov_b32 s2, 0x3f317218
	v_pk_mul_f32 v[18:19], v[50:51], v[18:19]
	v_fma_f32 v52, v50, s2, -v18
	v_ldexp_f32 v53, v21, 1
	v_fmac_f32_e32 v52, 0xb102e308, v50
	v_pk_add_f32 v[50:51], v[18:19], v[52:53]
	v_sub_f32_e32 v21, v51, v53
	v_sub_f32_e32 v21, v19, v21
	v_add_f32_e32 v57, v55, v21
	v_mov_b32_e32 v56, v18
	v_pk_add_f32 v[18:19], v[50:51], v[18:19] neg_lo:[0,1] neg_hi:[0,1]
	v_pk_add_f32 v[58:59], v[50:51], v[56:57]
	v_mov_b32_e32 v19, v59
	v_mov_b32_e32 v53, v50
	v_pk_add_f32 v[60:61], v[52:53], v[18:19] neg_lo:[0,1] neg_hi:[0,1]
	v_pk_add_f32 v[18:19], v[52:53], v[18:19]
	v_mov_b32_e32 v22, v19
	v_pk_add_f32 v[52:53], v[22:23], v[50:51] neg_lo:[0,1] neg_hi:[0,1]
	v_mov_b32_e32 v21, v52
	v_pk_add_f32 v[62:63], v[58:59], v[20:21] neg_lo:[0,1] neg_hi:[0,1]
	v_mov_b32_e32 v18, v59
	v_mov_b32_e32 v58, v51
	;; [unrolled: 1-line block ×4, first 2 shown]
	v_pk_add_f32 v[18:19], v[18:19], v[58:59] neg_lo:[0,1] neg_hi:[0,1]
	v_mov_b32_e32 v52, v57
	v_mov_b32_e32 v53, v50
	v_pk_add_f32 v[18:19], v[52:53], v[18:19] neg_lo:[0,1] neg_hi:[0,1]
	v_mov_b32_e32 v62, v60
	v_pk_add_f32 v[50:51], v[62:63], v[18:19]
	v_mov_b32_e32 v52, v51
	v_pk_add_f32 v[52:53], v[50:51], v[52:53]
	v_pk_add_f32 v[56:57], v[22:23], v[52:53]
	v_mov_b32_e32 v51, v56
	v_pk_add_f32 v[58:59], v[50:51], v[60:61] neg_lo:[0,1] neg_hi:[0,1]
	v_mov_b32_e32 v19, v52
	v_sub_f32_e32 v21, v50, v58
	v_pk_add_f32 v[18:19], v[18:19], v[58:59] neg_lo:[0,1] neg_hi:[0,1]
	v_sub_f32_e32 v21, v60, v21
	s_mov_b32 s3, 0x7f800000
	v_add_f32_e32 v18, v18, v21
	s_mov_b32 s2, 0x33800000
	v_add_f32_e32 v18, v18, v19
	v_cmp_eq_f32_e32 vcc, s3, v25
	v_cmp_lt_f32_e64 s[2:3], |v25|, s2
	v_add_f32_e32 v18, v56, v18
	s_or_b64 vcc, vcc, s[2:3]
	v_cndmask_b32_e32 v18, v18, v25, vcc
	v_add_f32_e32 v19, v4, v18
.LBB462_136:
	s_or_b64 exec, exec, s[0:1]
	v_bfe_u32 v4, v19, 16, 1
	v_add3_u32 v4, v19, v4, s5
	v_lshrrev_b32_e32 v4, 16, v4
	v_mov_b32_e32 v18, 0x7fc0
	v_cmp_o_f32_e32 vcc, v19, v19
	v_cndmask_b32_e32 v4, v18, v4, vcc
	v_lshlrev_b32_e32 v21, 16, v4
	v_max_f32_e32 v19, v21, v21
	v_min_f32_e32 v22, v19, v24
	v_cmp_u_f32_e32 vcc, v21, v21
	v_max_f32_e32 v19, v19, v24
	v_cndmask_b32_e32 v22, v22, v21, vcc
	v_cndmask_b32_e32 v19, v19, v21, vcc
	v_cndmask_b32_e64 v22, v22, v20, s[58:59]
	v_cndmask_b32_e64 v19, v19, v20, s[58:59]
	v_cmp_neq_f32_e32 vcc, v22, v19
	v_cmp_class_f32_e64 s[0:1], v22, s4
	s_or_b64 s[2:3], vcc, s[0:1]
	s_and_saveexec_b64 s[0:1], s[2:3]
	s_cbranch_execz .LBB462_138
; %bb.137:
	v_sub_f32_e32 v20, v22, v19
	s_mov_b32 s2, 0x3fb8aa3b
	v_mul_f32_e32 v21, 0x3fb8aa3b, v20
	v_fma_f32 v22, v20, s2, -v21
	v_rndne_f32_e32 v24, v21
	v_fmac_f32_e32 v22, 0x32a5705f, v20
	v_sub_f32_e32 v21, v21, v24
	v_add_f32_e32 v21, v21, v22
	v_exp_f32_e32 v21, v21
	v_cvt_i32_f32_e32 v22, v24
	s_mov_b32 s2, 0xc2ce8ed0
	v_cmp_ngt_f32_e32 vcc, s2, v20
	s_mov_b32 s2, 0x42b17218
	v_ldexp_f32 v21, v21, v22
	v_cndmask_b32_e32 v21, 0, v21, vcc
	v_mov_b32_e32 v22, 0x7f800000
	v_cmp_nlt_f32_e32 vcc, s2, v20
	v_cndmask_b32_e32 v55, v22, v21, vcc
	v_add_f32_e32 v22, 1.0, v55
	v_add_f32_e32 v20, -1.0, v22
	v_sub_f32_e32 v21, v20, v22
	v_add_f32_e32 v21, 1.0, v21
	v_sub_f32_e32 v20, v55, v20
	v_add_f32_e32 v24, v20, v21
	v_frexp_mant_f32_e32 v25, v22
	s_mov_b32 s2, 0x3f2aaaab
	v_cvt_f64_f32_e32 v[20:21], v22
	v_frexp_exp_i32_f64_e32 v20, v[20:21]
	v_cmp_gt_f32_e32 vcc, s2, v25
	v_subbrev_co_u32_e32 v56, vcc, 0, v20, vcc
	v_sub_u32_e32 v20, 0, v56
	v_ldexp_f32 v21, v22, v20
	v_add_f32_e32 v22, -1.0, v21
	v_add_f32_e32 v25, 1.0, v21
	v_ldexp_f32 v20, v24, v20
	v_add_f32_e32 v24, 1.0, v22
	v_add_f32_e32 v50, -1.0, v25
	v_sub_f32_e32 v24, v21, v24
	v_sub_f32_e32 v21, v21, v50
	v_add_f32_e32 v24, v20, v24
	v_add_f32_e32 v20, v20, v21
	;; [unrolled: 1-line block ×3, first 2 shown]
	v_rcp_f32_e32 v59, v57
	v_sub_f32_e32 v21, v25, v57
	v_add_f32_e32 v58, v20, v21
	v_add_f32_e32 v21, v22, v24
	v_sub_f32_e32 v20, v22, v21
	v_mul_f32_e32 v60, v21, v59
	v_add_f32_e32 v22, v24, v20
	v_mul_f32_e32 v24, v57, v60
	v_fma_f32 v50, v60, v57, -v24
	v_fmac_f32_e32 v50, v60, v58
	v_add_f32_e32 v20, v24, v50
	v_sub_f32_e32 v25, v21, v20
	v_pk_add_f32 v[52:53], v[20:21], v[24:25] neg_lo:[0,1] neg_hi:[0,1]
	v_mov_b32_e32 v51, v20
	v_pk_add_f32 v[20:21], v[52:53], v[50:51] neg_lo:[0,1] neg_hi:[0,1]
	v_add_f32_e32 v21, v22, v21
	v_add_f32_e32 v20, v20, v21
	;; [unrolled: 1-line block ×3, first 2 shown]
	v_mul_f32_e32 v22, v59, v21
	v_mul_f32_e32 v24, v57, v22
	v_fma_f32 v50, v22, v57, -v24
	v_fmac_f32_e32 v50, v22, v58
	v_sub_f32_e32 v25, v25, v21
	v_add_f32_e32 v57, v20, v25
	v_add_f32_e32 v20, v24, v50
	v_sub_f32_e32 v25, v21, v20
	v_pk_add_f32 v[52:53], v[20:21], v[24:25] neg_lo:[0,1] neg_hi:[0,1]
	v_mov_b32_e32 v51, v20
	v_pk_add_f32 v[20:21], v[52:53], v[50:51] neg_lo:[0,1] neg_hi:[0,1]
	v_add_f32_e32 v21, v57, v21
	v_add_f32_e32 v20, v20, v21
	v_add_f32_e32 v20, v25, v20
	v_add_f32_e32 v25, v60, v22
	v_sub_f32_e32 v21, v25, v60
	v_mul_f32_e32 v20, v59, v20
	v_sub_f32_e32 v21, v22, v21
	v_add_f32_e32 v20, v21, v20
	v_add_f32_e32 v22, v25, v20
	v_mul_f32_e32 v50, v22, v22
	v_mov_b32_e32 v24, 0x3ecc95a3
	v_fmac_f32_e32 v24, 0x3e9b6dac, v50
	v_mov_b32_e32 v21, 0x3f2aaada
	v_fmac_f32_e32 v21, v50, v24
	v_cvt_f32_i32_e32 v24, v56
	v_sub_f32_e32 v25, v22, v25
	v_sub_f32_e32 v20, v20, v25
	v_ldexp_f32 v52, v20, 1
	v_mul_f32_e32 v25, v22, v50
	v_mov_b32_e32 v20, 0x3f317218
	s_mov_b32 s2, 0x3f317218
	v_pk_mul_f32 v[20:21], v[24:25], v[20:21]
	v_fma_f32 v50, v24, s2, -v20
	v_ldexp_f32 v51, v22, 1
	v_fmac_f32_e32 v50, 0xb102e308, v24
	v_pk_add_f32 v[24:25], v[20:21], v[50:51]
	v_sub_f32_e32 v22, v25, v51
	v_sub_f32_e32 v22, v21, v22
	v_add_f32_e32 v53, v52, v22
	v_mov_b32_e32 v52, v20
	v_pk_add_f32 v[20:21], v[24:25], v[20:21] neg_lo:[0,1] neg_hi:[0,1]
	v_pk_add_f32 v[56:57], v[24:25], v[52:53]
	v_mov_b32_e32 v21, v57
	v_mov_b32_e32 v51, v24
	v_pk_add_f32 v[58:59], v[50:51], v[20:21] neg_lo:[0,1] neg_hi:[0,1]
	v_pk_add_f32 v[20:21], v[50:51], v[20:21]
	v_mov_b32_e32 v22, v21
	v_pk_add_f32 v[50:51], v[22:23], v[24:25] neg_lo:[0,1] neg_hi:[0,1]
	v_mov_b32_e32 v51, v50
	v_pk_add_f32 v[60:61], v[56:57], v[50:51] neg_lo:[0,1] neg_hi:[0,1]
	v_mov_b32_e32 v20, v57
	v_mov_b32_e32 v56, v25
	;; [unrolled: 1-line block ×4, first 2 shown]
	v_pk_add_f32 v[20:21], v[20:21], v[56:57] neg_lo:[0,1] neg_hi:[0,1]
	v_mov_b32_e32 v50, v53
	v_mov_b32_e32 v51, v24
	v_pk_add_f32 v[20:21], v[50:51], v[20:21] neg_lo:[0,1] neg_hi:[0,1]
	v_mov_b32_e32 v60, v58
	v_pk_add_f32 v[24:25], v[60:61], v[20:21]
	v_mov_b32_e32 v50, v25
	v_pk_add_f32 v[50:51], v[24:25], v[50:51]
	v_pk_add_f32 v[52:53], v[22:23], v[50:51]
	v_mov_b32_e32 v25, v52
	v_pk_add_f32 v[56:57], v[24:25], v[58:59] neg_lo:[0,1] neg_hi:[0,1]
	v_mov_b32_e32 v21, v50
	v_sub_f32_e32 v22, v24, v56
	v_pk_add_f32 v[20:21], v[20:21], v[56:57] neg_lo:[0,1] neg_hi:[0,1]
	v_sub_f32_e32 v22, v58, v22
	s_mov_b32 s3, 0x7f800000
	v_add_f32_e32 v20, v20, v22
	s_mov_b32 s2, 0x33800000
	v_add_f32_e32 v20, v20, v21
	v_cmp_eq_f32_e32 vcc, s3, v55
	v_cmp_lt_f32_e64 s[2:3], |v55|, s2
	v_add_f32_e32 v20, v52, v20
	s_or_b64 vcc, vcc, s[2:3]
	v_cndmask_b32_e32 v20, v20, v55, vcc
	v_add_f32_e32 v21, v19, v20
.LBB462_138:
	s_or_b64 exec, exec, s[0:1]
	v_bfe_u32 v19, v21, 16, 1
	v_add3_u32 v19, v21, v19, s5
	v_lshrrev_b32_e32 v19, 16, v19
	v_cmp_o_f32_e32 vcc, v21, v21
	v_cndmask_b32_e32 v18, v18, v19, vcc
	v_lshlrev_b32_e32 v20, 16, v18
	v_max_f32_e32 v21, v20, v20
	v_min_f32_e32 v19, v21, v26
	v_cmp_u_f32_e32 vcc, v20, v20
	v_max_f32_e32 v21, v21, v26
	v_cndmask_b32_e32 v19, v19, v20, vcc
	v_cndmask_b32_e32 v21, v21, v20, vcc
	v_cndmask_b32_e64 v19, v19, v5, s[60:61]
	v_cndmask_b32_e64 v5, v21, v5, s[60:61]
	v_cmp_neq_f32_e32 vcc, v19, v5
	v_cmp_class_f32_e64 s[0:1], v19, s4
	s_or_b64 s[2:3], vcc, s[0:1]
	s_and_saveexec_b64 s[0:1], s[2:3]
	s_cbranch_execz .LBB462_140
; %bb.139:
	v_sub_f32_e32 v19, v19, v5
	s_mov_b32 s2, 0x3fb8aa3b
	v_mul_f32_e32 v20, 0x3fb8aa3b, v19
	v_fma_f32 v21, v19, s2, -v20
	v_rndne_f32_e32 v22, v20
	v_fmac_f32_e32 v21, 0x32a5705f, v19
	v_sub_f32_e32 v20, v20, v22
	v_add_f32_e32 v20, v20, v21
	v_exp_f32_e32 v20, v20
	v_cvt_i32_f32_e32 v21, v22
	s_mov_b32 s2, 0xc2ce8ed0
	v_cmp_ngt_f32_e32 vcc, s2, v19
	s_mov_b32 s2, 0x42b17218
	v_ldexp_f32 v20, v20, v21
	v_cndmask_b32_e32 v20, 0, v20, vcc
	v_mov_b32_e32 v21, 0x7f800000
	v_cmp_nlt_f32_e32 vcc, s2, v19
	v_cndmask_b32_e32 v55, v21, v20, vcc
	v_add_f32_e32 v19, 1.0, v55
	v_add_f32_e32 v20, -1.0, v19
	v_sub_f32_e32 v21, v20, v19
	v_add_f32_e32 v21, 1.0, v21
	v_sub_f32_e32 v20, v55, v20
	v_add_f32_e32 v22, v20, v21
	v_frexp_mant_f32_e32 v24, v19
	s_mov_b32 s2, 0x3f2aaaab
	v_cvt_f64_f32_e32 v[20:21], v19
	v_frexp_exp_i32_f64_e32 v20, v[20:21]
	v_cmp_gt_f32_e32 vcc, s2, v24
	v_subbrev_co_u32_e32 v26, vcc, 0, v20, vcc
	v_sub_u32_e32 v20, 0, v26
	v_ldexp_f32 v19, v19, v20
	v_ldexp_f32 v20, v22, v20
	v_add_f32_e32 v22, -1.0, v19
	v_add_f32_e32 v21, 1.0, v22
	v_sub_f32_e32 v21, v19, v21
	v_add_f32_e32 v24, v20, v21
	v_add_f32_e32 v21, 1.0, v19
	v_add_f32_e32 v25, -1.0, v21
	v_sub_f32_e32 v19, v19, v25
	v_add_f32_e32 v19, v20, v19
	v_add_f32_e32 v56, v21, v19
	v_rcp_f32_e32 v57, v56
	v_sub_f32_e32 v20, v21, v56
	v_add_f32_e32 v21, v22, v24
	v_add_f32_e32 v19, v19, v20
	v_sub_f32_e32 v20, v22, v21
	v_mul_f32_e32 v58, v21, v57
	v_add_f32_e32 v22, v24, v20
	v_mul_f32_e32 v24, v56, v58
	v_fma_f32 v50, v58, v56, -v24
	v_fmac_f32_e32 v50, v58, v19
	v_add_f32_e32 v20, v24, v50
	v_sub_f32_e32 v25, v21, v20
	v_pk_add_f32 v[52:53], v[20:21], v[24:25] neg_lo:[0,1] neg_hi:[0,1]
	v_mov_b32_e32 v51, v20
	v_pk_add_f32 v[20:21], v[52:53], v[50:51] neg_lo:[0,1] neg_hi:[0,1]
	v_add_f32_e32 v21, v22, v21
	v_add_f32_e32 v20, v20, v21
	;; [unrolled: 1-line block ×3, first 2 shown]
	v_mul_f32_e32 v22, v57, v21
	v_mul_f32_e32 v24, v56, v22
	v_fma_f32 v50, v22, v56, -v24
	v_fmac_f32_e32 v50, v22, v19
	v_sub_f32_e32 v19, v25, v21
	v_add_f32_e32 v19, v20, v19
	v_add_f32_e32 v20, v24, v50
	v_sub_f32_e32 v25, v21, v20
	v_pk_add_f32 v[52:53], v[20:21], v[24:25] neg_lo:[0,1] neg_hi:[0,1]
	v_mov_b32_e32 v51, v20
	v_pk_add_f32 v[20:21], v[52:53], v[50:51] neg_lo:[0,1] neg_hi:[0,1]
	v_add_f32_e32 v19, v19, v21
	v_add_f32_e32 v19, v20, v19
	;; [unrolled: 1-line block ×4, first 2 shown]
	v_sub_f32_e32 v21, v20, v58
	v_mul_f32_e32 v19, v57, v19
	v_sub_f32_e32 v21, v22, v21
	v_add_f32_e32 v19, v21, v19
	v_add_f32_e32 v22, v20, v19
	v_mul_f32_e32 v25, v22, v22
	v_mov_b32_e32 v24, 0x3ecc95a3
	v_fmac_f32_e32 v24, 0x3e9b6dac, v25
	v_mov_b32_e32 v21, 0x3f2aaada
	v_fmac_f32_e32 v21, v25, v24
	v_cvt_f32_i32_e32 v24, v26
	v_sub_f32_e32 v20, v22, v20
	v_sub_f32_e32 v19, v19, v20
	v_mul_f32_e32 v25, v22, v25
	v_mov_b32_e32 v20, 0x3f317218
	s_mov_b32 s2, 0x3f317218
	v_pk_mul_f32 v[20:21], v[24:25], v[20:21]
	v_fma_f32 v50, v24, s2, -v20
	v_ldexp_f32 v51, v22, 1
	v_fmac_f32_e32 v50, 0xb102e308, v24
	v_pk_add_f32 v[24:25], v[20:21], v[50:51]
	v_sub_f32_e32 v22, v25, v51
	v_ldexp_f32 v19, v19, 1
	v_sub_f32_e32 v22, v21, v22
	v_add_f32_e32 v53, v19, v22
	v_mov_b32_e32 v52, v20
	v_pk_add_f32 v[20:21], v[24:25], v[20:21] neg_lo:[0,1] neg_hi:[0,1]
	v_pk_add_f32 v[56:57], v[24:25], v[52:53]
	v_mov_b32_e32 v21, v57
	v_mov_b32_e32 v51, v24
	v_pk_add_f32 v[58:59], v[50:51], v[20:21] neg_lo:[0,1] neg_hi:[0,1]
	v_pk_add_f32 v[20:21], v[50:51], v[20:21]
	v_mov_b32_e32 v22, v21
	v_pk_add_f32 v[50:51], v[22:23], v[24:25] neg_lo:[0,1] neg_hi:[0,1]
	v_mov_b32_e32 v19, v50
	v_pk_add_f32 v[60:61], v[56:57], v[18:19] neg_lo:[0,1] neg_hi:[0,1]
	v_mov_b32_e32 v20, v57
	v_mov_b32_e32 v56, v25
	;; [unrolled: 1-line block ×4, first 2 shown]
	v_pk_add_f32 v[20:21], v[20:21], v[56:57] neg_lo:[0,1] neg_hi:[0,1]
	v_mov_b32_e32 v50, v53
	v_mov_b32_e32 v51, v24
	v_pk_add_f32 v[20:21], v[50:51], v[20:21] neg_lo:[0,1] neg_hi:[0,1]
	v_mov_b32_e32 v60, v58
	v_pk_add_f32 v[24:25], v[60:61], v[20:21]
	v_mov_b32_e32 v26, v25
	v_pk_add_f32 v[50:51], v[24:25], v[26:27]
	v_pk_add_f32 v[52:53], v[22:23], v[50:51]
	v_mov_b32_e32 v25, v52
	v_pk_add_f32 v[56:57], v[24:25], v[58:59] neg_lo:[0,1] neg_hi:[0,1]
	v_mov_b32_e32 v21, v50
	v_sub_f32_e32 v19, v24, v56
	v_pk_add_f32 v[20:21], v[20:21], v[56:57] neg_lo:[0,1] neg_hi:[0,1]
	v_sub_f32_e32 v19, v58, v19
	s_mov_b32 s3, 0x7f800000
	v_add_f32_e32 v19, v20, v19
	s_mov_b32 s2, 0x33800000
	v_add_f32_e32 v19, v19, v21
	v_cmp_eq_f32_e32 vcc, s3, v55
	v_cmp_lt_f32_e64 s[2:3], |v55|, s2
	v_add_f32_e32 v19, v52, v19
	s_or_b64 vcc, vcc, s[2:3]
	v_cndmask_b32_e32 v19, v19, v55, vcc
	v_add_f32_e32 v20, v5, v19
.LBB462_140:
	s_or_b64 exec, exec, s[0:1]
	v_bfe_u32 v5, v20, 16, 1
	v_add3_u32 v5, v20, v5, s5
	v_lshrrev_b32_e32 v5, 16, v5
	v_mov_b32_e32 v19, 0x7fc0
	v_cmp_o_f32_e32 vcc, v20, v20
	v_cndmask_b32_e32 v5, v19, v5, vcc
	v_lshlrev_b32_e32 v21, 16, v5
	v_max_f32_e32 v20, v21, v21
	v_min_f32_e32 v22, v20, v28
	v_cmp_u_f32_e32 vcc, v21, v21
	v_max_f32_e32 v20, v20, v28
	v_cndmask_b32_e32 v22, v22, v21, vcc
	v_cndmask_b32_e32 v20, v20, v21, vcc
	v_cndmask_b32_e64 v22, v22, v23, s[62:63]
	v_cndmask_b32_e64 v20, v20, v23, s[62:63]
	v_cmp_neq_f32_e32 vcc, v22, v20
	v_cmp_class_f32_e64 s[0:1], v22, s4
	s_or_b64 s[2:3], vcc, s[0:1]
	s_and_saveexec_b64 s[0:1], s[2:3]
	s_cbranch_execz .LBB462_142
; %bb.141:
	v_sub_f32_e32 v21, v22, v20
	s_mov_b32 s2, 0x3fb8aa3b
	v_mul_f32_e32 v22, 0x3fb8aa3b, v21
	v_fma_f32 v23, v21, s2, -v22
	v_rndne_f32_e32 v24, v22
	v_fmac_f32_e32 v23, 0x32a5705f, v21
	v_sub_f32_e32 v22, v22, v24
	v_add_f32_e32 v22, v22, v23
	v_exp_f32_e32 v22, v22
	v_cvt_i32_f32_e32 v23, v24
	s_mov_b32 s2, 0xc2ce8ed0
	v_cmp_ngt_f32_e32 vcc, s2, v21
	s_mov_b32 s2, 0x42b17218
	v_ldexp_f32 v22, v22, v23
	v_cndmask_b32_e32 v22, 0, v22, vcc
	v_mov_b32_e32 v23, 0x7f800000
	v_cmp_nlt_f32_e32 vcc, s2, v21
	v_cndmask_b32_e32 v55, v23, v22, vcc
	v_add_f32_e32 v21, 1.0, v55
	v_add_f32_e32 v22, -1.0, v21
	v_sub_f32_e32 v23, v22, v21
	v_add_f32_e32 v23, 1.0, v23
	v_sub_f32_e32 v22, v55, v22
	v_add_f32_e32 v24, v22, v23
	v_frexp_mant_f32_e32 v25, v21
	s_mov_b32 s2, 0x3f2aaaab
	v_cvt_f64_f32_e32 v[22:23], v21
	v_frexp_exp_i32_f64_e32 v22, v[22:23]
	v_cmp_gt_f32_e32 vcc, s2, v25
	v_subbrev_co_u32_e32 v26, vcc, 0, v22, vcc
	v_sub_u32_e32 v22, 0, v26
	v_ldexp_f32 v21, v21, v22
	v_ldexp_f32 v22, v24, v22
	v_add_f32_e32 v24, -1.0, v21
	v_add_f32_e32 v23, 1.0, v24
	v_sub_f32_e32 v23, v21, v23
	v_add_f32_e32 v25, v22, v23
	v_add_f32_e32 v23, 1.0, v21
	v_add_f32_e32 v28, -1.0, v23
	v_sub_f32_e32 v21, v21, v28
	v_add_f32_e32 v21, v22, v21
	v_add_f32_e32 v28, v23, v21
	v_rcp_f32_e32 v56, v28
	v_sub_f32_e32 v22, v23, v28
	v_add_f32_e32 v23, v24, v25
	v_add_f32_e32 v21, v21, v22
	v_mul_f32_e32 v58, v23, v56
	v_sub_f32_e32 v22, v24, v23
	v_mul_f32_e32 v24, v28, v58
	v_fma_f32 v50, v58, v28, -v24
	v_fmac_f32_e32 v50, v58, v21
	v_add_f32_e32 v57, v25, v22
	v_add_f32_e32 v22, v24, v50
	v_sub_f32_e32 v25, v23, v22
	v_pk_add_f32 v[52:53], v[22:23], v[24:25] neg_lo:[0,1] neg_hi:[0,1]
	v_mov_b32_e32 v51, v22
	v_pk_add_f32 v[22:23], v[52:53], v[50:51] neg_lo:[0,1] neg_hi:[0,1]
	v_add_f32_e32 v23, v57, v23
	v_add_f32_e32 v22, v22, v23
	;; [unrolled: 1-line block ×3, first 2 shown]
	v_mul_f32_e32 v57, v56, v23
	v_mul_f32_e32 v24, v28, v57
	v_fma_f32 v50, v57, v28, -v24
	v_fmac_f32_e32 v50, v57, v21
	v_sub_f32_e32 v21, v25, v23
	v_add_f32_e32 v21, v22, v21
	v_add_f32_e32 v22, v24, v50
	v_sub_f32_e32 v25, v23, v22
	v_pk_add_f32 v[52:53], v[22:23], v[24:25] neg_lo:[0,1] neg_hi:[0,1]
	v_mov_b32_e32 v51, v22
	v_pk_add_f32 v[22:23], v[52:53], v[50:51] neg_lo:[0,1] neg_hi:[0,1]
	v_add_f32_e32 v21, v21, v23
	v_add_f32_e32 v21, v22, v21
	;; [unrolled: 1-line block ×4, first 2 shown]
	v_sub_f32_e32 v23, v22, v58
	v_mul_f32_e32 v21, v56, v21
	v_sub_f32_e32 v23, v57, v23
	v_add_f32_e32 v21, v23, v21
	v_add_f32_e32 v25, v22, v21
	v_mul_f32_e32 v28, v25, v25
	v_mov_b32_e32 v24, 0x3ecc95a3
	v_fmac_f32_e32 v24, 0x3e9b6dac, v28
	v_mov_b32_e32 v23, 0x3f2aaada
	v_fmac_f32_e32 v23, v28, v24
	v_cvt_f32_i32_e32 v24, v26
	v_sub_f32_e32 v22, v25, v22
	v_sub_f32_e32 v21, v21, v22
	v_ldexp_f32 v51, v25, 1
	v_mul_f32_e32 v25, v25, v28
	v_mov_b32_e32 v22, 0x3f317218
	s_mov_b32 s2, 0x3f317218
	v_pk_mul_f32 v[22:23], v[24:25], v[22:23]
	v_fma_f32 v50, v24, s2, -v22
	v_fmac_f32_e32 v50, 0xb102e308, v24
	v_pk_add_f32 v[24:25], v[22:23], v[50:51]
	v_sub_f32_e32 v26, v25, v51
	v_ldexp_f32 v21, v21, 1
	v_sub_f32_e32 v26, v23, v26
	v_add_f32_e32 v53, v21, v26
	v_mov_b32_e32 v52, v22
	v_pk_add_f32 v[22:23], v[24:25], v[22:23] neg_lo:[0,1] neg_hi:[0,1]
	v_pk_add_f32 v[56:57], v[24:25], v[52:53]
	v_mov_b32_e32 v23, v57
	v_mov_b32_e32 v51, v24
	v_pk_add_f32 v[58:59], v[50:51], v[22:23] neg_lo:[0,1] neg_hi:[0,1]
	v_pk_add_f32 v[22:23], v[50:51], v[22:23]
	v_mov_b32_e32 v26, v23
	v_pk_add_f32 v[50:51], v[26:27], v[24:25] neg_lo:[0,1] neg_hi:[0,1]
	v_mov_b32_e32 v21, v50
	v_pk_add_f32 v[60:61], v[56:57], v[20:21] neg_lo:[0,1] neg_hi:[0,1]
	v_mov_b32_e32 v22, v57
	v_mov_b32_e32 v56, v25
	;; [unrolled: 1-line block ×4, first 2 shown]
	v_pk_add_f32 v[22:23], v[22:23], v[56:57] neg_lo:[0,1] neg_hi:[0,1]
	v_mov_b32_e32 v50, v53
	v_mov_b32_e32 v51, v24
	v_pk_add_f32 v[22:23], v[50:51], v[22:23] neg_lo:[0,1] neg_hi:[0,1]
	v_mov_b32_e32 v60, v58
	v_pk_add_f32 v[24:25], v[60:61], v[22:23]
	v_mov_b32_e32 v28, v25
	v_pk_add_f32 v[50:51], v[24:25], v[28:29]
	v_pk_add_f32 v[52:53], v[26:27], v[50:51]
	v_mov_b32_e32 v25, v52
	v_pk_add_f32 v[56:57], v[24:25], v[58:59] neg_lo:[0,1] neg_hi:[0,1]
	v_mov_b32_e32 v23, v50
	v_sub_f32_e32 v21, v24, v56
	v_pk_add_f32 v[22:23], v[22:23], v[56:57] neg_lo:[0,1] neg_hi:[0,1]
	v_sub_f32_e32 v21, v58, v21
	s_mov_b32 s3, 0x7f800000
	v_add_f32_e32 v21, v22, v21
	s_mov_b32 s2, 0x33800000
	v_add_f32_e32 v21, v21, v23
	v_cmp_eq_f32_e32 vcc, s3, v55
	v_cmp_lt_f32_e64 s[2:3], |v55|, s2
	v_add_f32_e32 v21, v52, v21
	s_or_b64 vcc, vcc, s[2:3]
	v_cndmask_b32_e32 v21, v21, v55, vcc
	v_add_f32_e32 v21, v20, v21
.LBB462_142:
	s_or_b64 exec, exec, s[0:1]
	v_bfe_u32 v20, v21, 16, 1
	v_add3_u32 v20, v21, v20, s5
	v_lshrrev_b32_e32 v20, 16, v20
	v_cmp_o_f32_e32 vcc, v21, v21
	v_cndmask_b32_e32 v19, v19, v20, vcc
	v_lshlrev_b32_e32 v21, 16, v19
	v_max_f32_e32 v22, v21, v21
	v_min_f32_e32 v20, v22, v29
	v_cmp_u_f32_e32 vcc, v21, v21
	v_max_f32_e32 v22, v22, v29
	v_cndmask_b32_e32 v20, v20, v21, vcc
	v_cndmask_b32_e32 v22, v22, v21, vcc
	v_cndmask_b32_e64 v20, v20, v10, s[64:65]
	v_cndmask_b32_e64 v10, v22, v10, s[64:65]
	v_cmp_neq_f32_e32 vcc, v20, v10
	v_cmp_class_f32_e64 s[0:1], v20, s4
	s_or_b64 s[2:3], vcc, s[0:1]
	s_and_saveexec_b64 s[0:1], s[2:3]
	s_cbranch_execz .LBB462_144
; %bb.143:
	v_sub_f32_e32 v20, v20, v10
	s_mov_b32 s2, 0x3fb8aa3b
	v_mul_f32_e32 v21, 0x3fb8aa3b, v20
	v_fma_f32 v22, v20, s2, -v21
	v_rndne_f32_e32 v23, v21
	v_fmac_f32_e32 v22, 0x32a5705f, v20
	v_sub_f32_e32 v21, v21, v23
	v_add_f32_e32 v21, v21, v22
	v_exp_f32_e32 v21, v21
	v_cvt_i32_f32_e32 v22, v23
	s_mov_b32 s2, 0xc2ce8ed0
	v_cmp_ngt_f32_e32 vcc, s2, v20
	s_mov_b32 s2, 0x42b17218
	v_ldexp_f32 v21, v21, v22
	v_cndmask_b32_e32 v21, 0, v21, vcc
	v_mov_b32_e32 v22, 0x7f800000
	v_cmp_nlt_f32_e32 vcc, s2, v20
	v_cndmask_b32_e32 v55, v22, v21, vcc
	v_add_f32_e32 v22, 1.0, v55
	v_add_f32_e32 v20, -1.0, v22
	v_sub_f32_e32 v21, v20, v22
	v_add_f32_e32 v21, 1.0, v21
	v_sub_f32_e32 v20, v55, v20
	v_add_f32_e32 v23, v20, v21
	v_frexp_mant_f32_e32 v24, v22
	s_mov_b32 s2, 0x3f2aaaab
	v_cvt_f64_f32_e32 v[20:21], v22
	v_frexp_exp_i32_f64_e32 v20, v[20:21]
	v_cmp_gt_f32_e32 vcc, s2, v24
	v_subbrev_co_u32_e32 v26, vcc, 0, v20, vcc
	v_sub_u32_e32 v20, 0, v26
	v_ldexp_f32 v21, v22, v20
	v_add_f32_e32 v22, -1.0, v21
	v_add_f32_e32 v24, 1.0, v21
	v_ldexp_f32 v20, v23, v20
	v_add_f32_e32 v23, 1.0, v22
	v_add_f32_e32 v25, -1.0, v24
	v_sub_f32_e32 v23, v21, v23
	v_sub_f32_e32 v21, v21, v25
	v_add_f32_e32 v23, v20, v23
	v_add_f32_e32 v20, v20, v21
	;; [unrolled: 1-line block ×3, first 2 shown]
	v_rcp_f32_e32 v52, v50
	v_sub_f32_e32 v21, v24, v50
	v_add_f32_e32 v51, v20, v21
	v_add_f32_e32 v21, v22, v23
	v_mul_f32_e32 v56, v21, v52
	v_sub_f32_e32 v20, v22, v21
	v_mul_f32_e32 v22, v50, v56
	v_fma_f32 v24, v56, v50, -v22
	v_fmac_f32_e32 v24, v56, v51
	v_add_f32_e32 v53, v23, v20
	v_add_f32_e32 v20, v22, v24
	v_sub_f32_e32 v23, v21, v20
	v_pk_add_f32 v[28:29], v[20:21], v[22:23] neg_lo:[0,1] neg_hi:[0,1]
	v_mov_b32_e32 v25, v20
	v_pk_add_f32 v[20:21], v[28:29], v[24:25] neg_lo:[0,1] neg_hi:[0,1]
	v_add_f32_e32 v21, v53, v21
	v_add_f32_e32 v20, v20, v21
	;; [unrolled: 1-line block ×3, first 2 shown]
	v_mul_f32_e32 v53, v52, v21
	v_mul_f32_e32 v22, v50, v53
	v_fma_f32 v24, v53, v50, -v22
	v_fmac_f32_e32 v24, v53, v51
	v_sub_f32_e32 v23, v23, v21
	v_add_f32_e32 v50, v20, v23
	v_add_f32_e32 v20, v22, v24
	v_sub_f32_e32 v23, v21, v20
	v_pk_add_f32 v[28:29], v[20:21], v[22:23] neg_lo:[0,1] neg_hi:[0,1]
	v_mov_b32_e32 v25, v20
	v_pk_add_f32 v[20:21], v[28:29], v[24:25] neg_lo:[0,1] neg_hi:[0,1]
	v_add_f32_e32 v21, v50, v21
	v_add_f32_e32 v20, v20, v21
	;; [unrolled: 1-line block ×4, first 2 shown]
	v_sub_f32_e32 v21, v23, v56
	v_mul_f32_e32 v20, v52, v20
	v_sub_f32_e32 v21, v53, v21
	v_add_f32_e32 v20, v21, v20
	v_add_f32_e32 v24, v23, v20
	v_mul_f32_e32 v28, v24, v24
	v_mov_b32_e32 v22, 0x3ecc95a3
	v_fmac_f32_e32 v22, 0x3e9b6dac, v28
	v_mov_b32_e32 v21, 0x3f2aaada
	v_fmac_f32_e32 v21, v28, v22
	v_cvt_f32_i32_e32 v22, v26
	v_sub_f32_e32 v23, v24, v23
	v_sub_f32_e32 v20, v20, v23
	v_ldexp_f32 v26, v20, 1
	v_mul_f32_e32 v23, v24, v28
	v_mov_b32_e32 v20, 0x3f317218
	s_mov_b32 s2, 0x3f317218
	v_pk_mul_f32 v[20:21], v[22:23], v[20:21]
	v_ldexp_f32 v25, v24, 1
	v_fma_f32 v24, v22, s2, -v20
	v_fmac_f32_e32 v24, 0xb102e308, v22
	v_pk_add_f32 v[22:23], v[20:21], v[24:25]
	v_sub_f32_e32 v25, v23, v25
	v_sub_f32_e32 v25, v21, v25
	v_add_f32_e32 v29, v26, v25
	v_mov_b32_e32 v28, v20
	v_pk_add_f32 v[20:21], v[22:23], v[20:21] neg_lo:[0,1] neg_hi:[0,1]
	v_pk_add_f32 v[50:51], v[22:23], v[28:29]
	v_mov_b32_e32 v21, v51
	v_mov_b32_e32 v25, v22
	v_pk_add_f32 v[52:53], v[24:25], v[20:21] neg_lo:[0,1] neg_hi:[0,1]
	v_pk_add_f32 v[20:21], v[24:25], v[20:21]
	v_mov_b32_e32 v24, v21
	v_pk_add_f32 v[56:57], v[24:25], v[22:23] neg_lo:[0,1] neg_hi:[0,1]
	v_mov_b32_e32 v25, v56
	v_pk_add_f32 v[58:59], v[50:51], v[24:25] neg_lo:[0,1] neg_hi:[0,1]
	v_mov_b32_e32 v20, v51
	v_mov_b32_e32 v50, v23
	;; [unrolled: 1-line block ×4, first 2 shown]
	v_pk_add_f32 v[20:21], v[20:21], v[50:51] neg_lo:[0,1] neg_hi:[0,1]
	v_mov_b32_e32 v28, v29
	v_mov_b32_e32 v29, v22
	v_pk_add_f32 v[20:21], v[28:29], v[20:21] neg_lo:[0,1] neg_hi:[0,1]
	v_mov_b32_e32 v58, v52
	v_pk_add_f32 v[22:23], v[58:59], v[20:21]
	v_mov_b32_e32 v26, v23
	v_pk_add_f32 v[28:29], v[22:23], v[26:27]
	v_pk_add_f32 v[24:25], v[24:25], v[28:29]
	v_mov_b32_e32 v23, v24
	v_pk_add_f32 v[50:51], v[22:23], v[52:53] neg_lo:[0,1] neg_hi:[0,1]
	v_mov_b32_e32 v21, v28
	v_sub_f32_e32 v22, v22, v50
	v_pk_add_f32 v[20:21], v[20:21], v[50:51] neg_lo:[0,1] neg_hi:[0,1]
	v_sub_f32_e32 v22, v52, v22
	s_mov_b32 s3, 0x7f800000
	v_add_f32_e32 v20, v20, v22
	s_mov_b32 s2, 0x33800000
	v_add_f32_e32 v20, v20, v21
	v_cmp_eq_f32_e32 vcc, s3, v55
	v_cmp_lt_f32_e64 s[2:3], |v55|, s2
	v_add_f32_e32 v20, v24, v20
	s_or_b64 vcc, vcc, s[2:3]
	v_cndmask_b32_e32 v20, v20, v55, vcc
	v_add_f32_e32 v21, v10, v20
.LBB462_144:
	s_or_b64 exec, exec, s[0:1]
	v_bfe_u32 v10, v21, 16, 1
	v_add3_u32 v10, v21, v10, s5
	v_lshrrev_b32_e32 v10, 16, v10
	v_mov_b32_e32 v20, 0x7fc0
	v_cmp_o_f32_e32 vcc, v21, v21
	v_cndmask_b32_e32 v10, v20, v10, vcc
	v_lshlrev_b32_e32 v22, 16, v10
	v_max_f32_e32 v21, v22, v22
	v_min_f32_e32 v23, v21, v31
	v_cmp_u_f32_e32 vcc, v22, v22
	v_max_f32_e32 v21, v21, v31
	v_cndmask_b32_e32 v23, v23, v22, vcc
	v_cndmask_b32_e32 v21, v21, v22, vcc
	v_cndmask_b32_e64 v23, v23, v27, s[66:67]
	v_cndmask_b32_e64 v21, v21, v27, s[66:67]
	v_cmp_neq_f32_e32 vcc, v23, v21
	v_cmp_class_f32_e64 s[0:1], v23, s4
	s_or_b64 s[2:3], vcc, s[0:1]
	s_and_saveexec_b64 s[0:1], s[2:3]
	s_cbranch_execz .LBB462_146
; %bb.145:
	v_sub_f32_e32 v22, v23, v21
	s_mov_b32 s2, 0x3fb8aa3b
	v_mul_f32_e32 v23, 0x3fb8aa3b, v22
	v_fma_f32 v24, v22, s2, -v23
	v_rndne_f32_e32 v25, v23
	v_fmac_f32_e32 v24, 0x32a5705f, v22
	v_sub_f32_e32 v23, v23, v25
	v_add_f32_e32 v23, v23, v24
	v_exp_f32_e32 v23, v23
	v_cvt_i32_f32_e32 v24, v25
	s_mov_b32 s2, 0xc2ce8ed0
	v_cmp_ngt_f32_e32 vcc, s2, v22
	s_mov_b32 s2, 0x42b17218
	v_ldexp_f32 v23, v23, v24
	v_cndmask_b32_e32 v23, 0, v23, vcc
	v_mov_b32_e32 v24, 0x7f800000
	v_cmp_nlt_f32_e32 vcc, s2, v22
	v_cndmask_b32_e32 v31, v24, v23, vcc
	v_add_f32_e32 v24, 1.0, v31
	v_add_f32_e32 v22, -1.0, v24
	v_sub_f32_e32 v23, v22, v24
	v_add_f32_e32 v23, 1.0, v23
	v_sub_f32_e32 v22, v31, v22
	v_add_f32_e32 v25, v22, v23
	v_frexp_mant_f32_e32 v26, v24
	s_mov_b32 s2, 0x3f2aaaab
	v_cvt_f64_f32_e32 v[22:23], v24
	v_frexp_exp_i32_f64_e32 v22, v[22:23]
	v_cmp_gt_f32_e32 vcc, s2, v26
	v_subbrev_co_u32_e32 v50, vcc, 0, v22, vcc
	v_sub_u32_e32 v22, 0, v50
	v_ldexp_f32 v23, v24, v22
	v_add_f32_e32 v24, -1.0, v23
	v_add_f32_e32 v26, 1.0, v23
	v_ldexp_f32 v22, v25, v22
	v_add_f32_e32 v25, 1.0, v24
	v_add_f32_e32 v27, -1.0, v26
	v_sub_f32_e32 v25, v23, v25
	v_sub_f32_e32 v23, v23, v27
	v_add_f32_e32 v25, v22, v25
	v_add_f32_e32 v22, v22, v23
	;; [unrolled: 1-line block ×3, first 2 shown]
	v_rcp_f32_e32 v53, v51
	v_sub_f32_e32 v23, v26, v51
	v_add_f32_e32 v52, v22, v23
	v_add_f32_e32 v23, v24, v25
	v_mul_f32_e32 v56, v23, v53
	v_sub_f32_e32 v22, v24, v23
	v_mul_f32_e32 v24, v51, v56
	v_fma_f32 v26, v56, v51, -v24
	v_fmac_f32_e32 v26, v56, v52
	v_add_f32_e32 v55, v25, v22
	v_add_f32_e32 v22, v24, v26
	v_sub_f32_e32 v25, v23, v22
	v_pk_add_f32 v[28:29], v[22:23], v[24:25] neg_lo:[0,1] neg_hi:[0,1]
	v_mov_b32_e32 v27, v22
	v_pk_add_f32 v[22:23], v[28:29], v[26:27] neg_lo:[0,1] neg_hi:[0,1]
	v_add_f32_e32 v23, v55, v23
	v_add_f32_e32 v22, v22, v23
	;; [unrolled: 1-line block ×3, first 2 shown]
	v_mul_f32_e32 v55, v53, v23
	v_mul_f32_e32 v24, v51, v55
	v_fma_f32 v26, v55, v51, -v24
	v_fmac_f32_e32 v26, v55, v52
	v_sub_f32_e32 v25, v25, v23
	v_add_f32_e32 v51, v22, v25
	v_add_f32_e32 v22, v24, v26
	v_sub_f32_e32 v25, v23, v22
	v_pk_add_f32 v[28:29], v[22:23], v[24:25] neg_lo:[0,1] neg_hi:[0,1]
	v_mov_b32_e32 v27, v22
	v_pk_add_f32 v[22:23], v[28:29], v[26:27] neg_lo:[0,1] neg_hi:[0,1]
	v_add_f32_e32 v23, v51, v23
	v_add_f32_e32 v22, v22, v23
	;; [unrolled: 1-line block ×4, first 2 shown]
	v_sub_f32_e32 v23, v25, v56
	v_mul_f32_e32 v22, v53, v22
	v_sub_f32_e32 v23, v55, v23
	v_add_f32_e32 v22, v23, v22
	v_add_f32_e32 v26, v25, v22
	v_mul_f32_e32 v28, v26, v26
	v_mov_b32_e32 v24, 0x3ecc95a3
	v_fmac_f32_e32 v24, 0x3e9b6dac, v28
	v_mov_b32_e32 v23, 0x3f2aaada
	v_fmac_f32_e32 v23, v28, v24
	v_cvt_f32_i32_e32 v24, v50
	v_sub_f32_e32 v25, v26, v25
	v_sub_f32_e32 v22, v22, v25
	v_ldexp_f32 v29, v22, 1
	v_mul_f32_e32 v25, v26, v28
	v_mov_b32_e32 v22, 0x3f317218
	s_mov_b32 s2, 0x3f317218
	v_pk_mul_f32 v[22:23], v[24:25], v[22:23]
	v_ldexp_f32 v27, v26, 1
	v_fma_f32 v26, v24, s2, -v22
	v_fmac_f32_e32 v26, 0xb102e308, v24
	v_pk_add_f32 v[24:25], v[22:23], v[26:27]
	v_sub_f32_e32 v27, v25, v27
	v_sub_f32_e32 v27, v23, v27
	v_add_f32_e32 v29, v29, v27
	v_mov_b32_e32 v28, v22
	v_pk_add_f32 v[22:23], v[24:25], v[22:23] neg_lo:[0,1] neg_hi:[0,1]
	v_pk_add_f32 v[50:51], v[24:25], v[28:29]
	v_mov_b32_e32 v23, v51
	v_mov_b32_e32 v27, v24
	v_pk_add_f32 v[52:53], v[26:27], v[22:23] neg_lo:[0,1] neg_hi:[0,1]
	v_pk_add_f32 v[22:23], v[26:27], v[22:23]
	v_mov_b32_e32 v26, v23
	v_pk_add_f32 v[56:57], v[26:27], v[24:25] neg_lo:[0,1] neg_hi:[0,1]
	v_mov_b32_e32 v27, v56
	v_pk_add_f32 v[58:59], v[50:51], v[26:27] neg_lo:[0,1] neg_hi:[0,1]
	v_mov_b32_e32 v22, v51
	v_mov_b32_e32 v50, v25
	;; [unrolled: 1-line block ×4, first 2 shown]
	v_pk_add_f32 v[22:23], v[22:23], v[50:51] neg_lo:[0,1] neg_hi:[0,1]
	v_mov_b32_e32 v28, v29
	v_mov_b32_e32 v29, v24
	v_pk_add_f32 v[22:23], v[28:29], v[22:23] neg_lo:[0,1] neg_hi:[0,1]
	v_mov_b32_e32 v58, v52
	v_pk_add_f32 v[24:25], v[58:59], v[22:23]
	v_mov_b32_e32 v28, v25
	v_pk_add_f32 v[28:29], v[24:25], v[28:29]
	v_pk_add_f32 v[26:27], v[26:27], v[28:29]
	v_mov_b32_e32 v25, v26
	v_pk_add_f32 v[50:51], v[24:25], v[52:53] neg_lo:[0,1] neg_hi:[0,1]
	v_mov_b32_e32 v23, v28
	v_sub_f32_e32 v24, v24, v50
	v_pk_add_f32 v[22:23], v[22:23], v[50:51] neg_lo:[0,1] neg_hi:[0,1]
	v_sub_f32_e32 v24, v52, v24
	s_mov_b32 s3, 0x7f800000
	v_add_f32_e32 v22, v22, v24
	s_mov_b32 s2, 0x33800000
	v_add_f32_e32 v22, v22, v23
	v_cmp_eq_f32_e32 vcc, s3, v31
	v_cmp_lt_f32_e64 s[2:3], |v31|, s2
	v_add_f32_e32 v22, v26, v22
	s_or_b64 vcc, vcc, s[2:3]
	v_cndmask_b32_e32 v22, v22, v31, vcc
	v_add_f32_e32 v22, v21, v22
.LBB462_146:
	s_or_b64 exec, exec, s[0:1]
	v_bfe_u32 v21, v22, 16, 1
	v_add3_u32 v21, v22, v21, s5
	v_lshrrev_b32_e32 v21, 16, v21
	v_cmp_o_f32_e32 vcc, v22, v22
	v_cndmask_b32_e32 v20, v20, v21, vcc
	v_lshlrev_b32_e32 v22, 16, v20
	v_max_f32_e32 v23, v22, v22
	v_min_f32_e32 v21, v23, v32
	v_cmp_u_f32_e32 vcc, v22, v22
	v_max_f32_e32 v23, v23, v32
	v_cndmask_b32_e32 v21, v21, v22, vcc
	v_cndmask_b32_e32 v23, v23, v22, vcc
	v_cndmask_b32_e64 v21, v21, v11, s[68:69]
	v_cndmask_b32_e64 v11, v23, v11, s[68:69]
	v_cmp_neq_f32_e32 vcc, v21, v11
	v_cmp_class_f32_e64 s[0:1], v21, s4
	s_or_b64 s[2:3], vcc, s[0:1]
	s_and_saveexec_b64 s[0:1], s[2:3]
	s_cbranch_execz .LBB462_148
; %bb.147:
	v_sub_f32_e32 v21, v21, v11
	s_mov_b32 s2, 0x3fb8aa3b
	v_mul_f32_e32 v22, 0x3fb8aa3b, v21
	v_fma_f32 v23, v21, s2, -v22
	v_rndne_f32_e32 v24, v22
	v_fmac_f32_e32 v23, 0x32a5705f, v21
	v_sub_f32_e32 v22, v22, v24
	v_add_f32_e32 v22, v22, v23
	v_exp_f32_e32 v22, v22
	v_cvt_i32_f32_e32 v23, v24
	s_mov_b32 s2, 0xc2ce8ed0
	v_cmp_ngt_f32_e32 vcc, s2, v21
	s_mov_b32 s2, 0x42b17218
	v_ldexp_f32 v22, v22, v23
	v_cndmask_b32_e32 v22, 0, v22, vcc
	v_mov_b32_e32 v23, 0x7f800000
	v_cmp_nlt_f32_e32 vcc, s2, v21
	v_cndmask_b32_e32 v31, v23, v22, vcc
	v_add_f32_e32 v21, 1.0, v31
	v_add_f32_e32 v22, -1.0, v21
	v_sub_f32_e32 v23, v22, v21
	v_add_f32_e32 v23, 1.0, v23
	v_sub_f32_e32 v22, v31, v22
	v_add_f32_e32 v24, v22, v23
	v_frexp_mant_f32_e32 v25, v21
	s_mov_b32 s2, 0x3f2aaaab
	v_cvt_f64_f32_e32 v[22:23], v21
	v_frexp_exp_i32_f64_e32 v22, v[22:23]
	v_cmp_gt_f32_e32 vcc, s2, v25
	v_subbrev_co_u32_e32 v32, vcc, 0, v22, vcc
	v_sub_u32_e32 v22, 0, v32
	v_ldexp_f32 v21, v21, v22
	v_ldexp_f32 v22, v24, v22
	v_add_f32_e32 v24, -1.0, v21
	v_add_f32_e32 v23, 1.0, v24
	v_sub_f32_e32 v23, v21, v23
	v_add_f32_e32 v25, v22, v23
	v_add_f32_e32 v23, 1.0, v21
	v_add_f32_e32 v26, -1.0, v23
	v_sub_f32_e32 v21, v21, v26
	v_add_f32_e32 v21, v22, v21
	v_add_f32_e32 v50, v23, v21
	v_rcp_f32_e32 v51, v50
	v_sub_f32_e32 v22, v23, v50
	v_add_f32_e32 v23, v24, v25
	v_add_f32_e32 v21, v21, v22
	v_mul_f32_e32 v53, v23, v51
	v_sub_f32_e32 v22, v24, v23
	v_mul_f32_e32 v24, v50, v53
	v_fma_f32 v26, v53, v50, -v24
	v_fmac_f32_e32 v26, v53, v21
	v_add_f32_e32 v52, v25, v22
	v_add_f32_e32 v22, v24, v26
	v_sub_f32_e32 v25, v23, v22
	v_pk_add_f32 v[28:29], v[22:23], v[24:25] neg_lo:[0,1] neg_hi:[0,1]
	v_mov_b32_e32 v27, v22
	v_pk_add_f32 v[22:23], v[28:29], v[26:27] neg_lo:[0,1] neg_hi:[0,1]
	v_add_f32_e32 v23, v52, v23
	v_add_f32_e32 v22, v22, v23
	;; [unrolled: 1-line block ×3, first 2 shown]
	v_mul_f32_e32 v52, v51, v23
	v_mul_f32_e32 v24, v50, v52
	v_fma_f32 v26, v52, v50, -v24
	v_fmac_f32_e32 v26, v52, v21
	v_sub_f32_e32 v21, v25, v23
	v_add_f32_e32 v21, v22, v21
	v_add_f32_e32 v22, v24, v26
	v_sub_f32_e32 v25, v23, v22
	v_pk_add_f32 v[28:29], v[22:23], v[24:25] neg_lo:[0,1] neg_hi:[0,1]
	v_mov_b32_e32 v27, v22
	v_pk_add_f32 v[22:23], v[28:29], v[26:27] neg_lo:[0,1] neg_hi:[0,1]
	v_add_f32_e32 v21, v21, v23
	v_add_f32_e32 v21, v22, v21
	;; [unrolled: 1-line block ×4, first 2 shown]
	v_sub_f32_e32 v23, v22, v53
	v_mul_f32_e32 v21, v51, v21
	v_sub_f32_e32 v23, v52, v23
	v_add_f32_e32 v21, v23, v21
	v_add_f32_e32 v25, v22, v21
	v_mul_f32_e32 v26, v25, v25
	v_mov_b32_e32 v24, 0x3ecc95a3
	v_fmac_f32_e32 v24, 0x3e9b6dac, v26
	v_mov_b32_e32 v23, 0x3f2aaada
	v_fmac_f32_e32 v23, v26, v24
	v_cvt_f32_i32_e32 v24, v32
	v_sub_f32_e32 v22, v25, v22
	v_sub_f32_e32 v21, v21, v22
	v_ldexp_f32 v27, v25, 1
	v_mul_f32_e32 v25, v25, v26
	v_mov_b32_e32 v22, 0x3f317218
	s_mov_b32 s2, 0x3f317218
	v_pk_mul_f32 v[22:23], v[24:25], v[22:23]
	v_fma_f32 v26, v24, s2, -v22
	v_fmac_f32_e32 v26, 0xb102e308, v24
	v_pk_add_f32 v[24:25], v[22:23], v[26:27]
	v_sub_f32_e32 v27, v25, v27
	v_ldexp_f32 v21, v21, 1
	v_sub_f32_e32 v27, v23, v27
	v_add_f32_e32 v29, v21, v27
	v_mov_b32_e32 v28, v22
	v_pk_add_f32 v[22:23], v[24:25], v[22:23] neg_lo:[0,1] neg_hi:[0,1]
	v_pk_add_f32 v[50:51], v[24:25], v[28:29]
	v_mov_b32_e32 v23, v51
	v_mov_b32_e32 v27, v24
	v_pk_add_f32 v[52:53], v[26:27], v[22:23] neg_lo:[0,1] neg_hi:[0,1]
	v_pk_add_f32 v[22:23], v[26:27], v[22:23]
	v_mov_b32_e32 v26, v23
	v_pk_add_f32 v[56:57], v[26:27], v[24:25] neg_lo:[0,1] neg_hi:[0,1]
	v_mov_b32_e32 v21, v56
	v_pk_add_f32 v[58:59], v[50:51], v[20:21] neg_lo:[0,1] neg_hi:[0,1]
	v_mov_b32_e32 v22, v51
	v_mov_b32_e32 v50, v25
	;; [unrolled: 1-line block ×4, first 2 shown]
	v_pk_add_f32 v[22:23], v[22:23], v[50:51] neg_lo:[0,1] neg_hi:[0,1]
	v_mov_b32_e32 v28, v29
	v_mov_b32_e32 v29, v24
	v_pk_add_f32 v[22:23], v[28:29], v[22:23] neg_lo:[0,1] neg_hi:[0,1]
	v_mov_b32_e32 v58, v52
	v_pk_add_f32 v[24:25], v[58:59], v[22:23]
	v_mov_b32_e32 v28, v25
	v_pk_add_f32 v[28:29], v[24:25], v[28:29]
	v_pk_add_f32 v[26:27], v[26:27], v[28:29]
	v_mov_b32_e32 v25, v26
	v_pk_add_f32 v[50:51], v[24:25], v[52:53] neg_lo:[0,1] neg_hi:[0,1]
	v_mov_b32_e32 v23, v28
	v_sub_f32_e32 v21, v24, v50
	v_pk_add_f32 v[22:23], v[22:23], v[50:51] neg_lo:[0,1] neg_hi:[0,1]
	v_sub_f32_e32 v21, v52, v21
	s_mov_b32 s3, 0x7f800000
	v_add_f32_e32 v21, v22, v21
	s_mov_b32 s2, 0x33800000
	v_add_f32_e32 v21, v21, v23
	v_cmp_eq_f32_e32 vcc, s3, v31
	v_cmp_lt_f32_e64 s[2:3], |v31|, s2
	v_add_f32_e32 v21, v26, v21
	s_or_b64 vcc, vcc, s[2:3]
	v_cndmask_b32_e32 v21, v21, v31, vcc
	v_add_f32_e32 v22, v11, v21
.LBB462_148:
	s_or_b64 exec, exec, s[0:1]
	v_bfe_u32 v11, v22, 16, 1
	v_add3_u32 v11, v22, v11, s5
	v_lshrrev_b32_e32 v11, 16, v11
	v_mov_b32_e32 v21, 0x7fc0
	v_cmp_o_f32_e32 vcc, v22, v22
	v_cndmask_b32_e32 v11, v21, v11, vcc
	v_lshlrev_b32_e32 v23, 16, v11
	v_max_f32_e32 v22, v23, v23
	v_min_f32_e32 v24, v22, v34
	v_cmp_u_f32_e32 vcc, v23, v23
	v_max_f32_e32 v22, v22, v34
	v_cndmask_b32_e32 v24, v24, v23, vcc
	v_cndmask_b32_e32 v22, v22, v23, vcc
	v_cndmask_b32_e64 v24, v24, v30, s[70:71]
	v_cndmask_b32_e64 v22, v22, v30, s[70:71]
	v_cmp_neq_f32_e32 vcc, v24, v22
	v_cmp_class_f32_e64 s[0:1], v24, s4
	s_or_b64 s[2:3], vcc, s[0:1]
	s_and_saveexec_b64 s[0:1], s[2:3]
	s_cbranch_execz .LBB462_150
; %bb.149:
	v_sub_f32_e32 v23, v24, v22
	s_mov_b32 s2, 0x3fb8aa3b
	v_mul_f32_e32 v24, 0x3fb8aa3b, v23
	v_fma_f32 v25, v23, s2, -v24
	v_rndne_f32_e32 v26, v24
	v_fmac_f32_e32 v25, 0x32a5705f, v23
	v_sub_f32_e32 v24, v24, v26
	v_add_f32_e32 v24, v24, v25
	v_exp_f32_e32 v24, v24
	v_cvt_i32_f32_e32 v25, v26
	s_mov_b32 s2, 0xc2ce8ed0
	v_cmp_ngt_f32_e32 vcc, s2, v23
	s_mov_b32 s2, 0x42b17218
	v_ldexp_f32 v24, v24, v25
	v_cndmask_b32_e32 v24, 0, v24, vcc
	v_mov_b32_e32 v25, 0x7f800000
	v_cmp_nlt_f32_e32 vcc, s2, v23
	v_cndmask_b32_e32 v32, v25, v24, vcc
	v_add_f32_e32 v23, 1.0, v32
	v_add_f32_e32 v24, -1.0, v23
	v_sub_f32_e32 v25, v24, v23
	v_add_f32_e32 v25, 1.0, v25
	v_sub_f32_e32 v24, v32, v24
	v_add_f32_e32 v26, v24, v25
	v_frexp_mant_f32_e32 v27, v23
	s_mov_b32 s2, 0x3f2aaaab
	v_cvt_f64_f32_e32 v[24:25], v23
	v_frexp_exp_i32_f64_e32 v24, v[24:25]
	v_cmp_gt_f32_e32 vcc, s2, v27
	v_subbrev_co_u32_e32 v34, vcc, 0, v24, vcc
	v_sub_u32_e32 v24, 0, v34
	v_ldexp_f32 v23, v23, v24
	v_ldexp_f32 v24, v26, v24
	v_add_f32_e32 v26, -1.0, v23
	v_add_f32_e32 v25, 1.0, v26
	v_sub_f32_e32 v25, v23, v25
	v_add_f32_e32 v27, v24, v25
	v_add_f32_e32 v25, 1.0, v23
	v_add_f32_e32 v28, -1.0, v25
	v_sub_f32_e32 v23, v23, v28
	v_add_f32_e32 v23, v24, v23
	v_add_f32_e32 v50, v25, v23
	v_rcp_f32_e32 v51, v50
	v_sub_f32_e32 v24, v25, v50
	v_add_f32_e32 v25, v26, v27
	v_add_f32_e32 v23, v23, v24
	v_mul_f32_e32 v53, v25, v51
	v_sub_f32_e32 v24, v26, v25
	v_mul_f32_e32 v26, v50, v53
	v_fma_f32 v28, v53, v50, -v26
	v_fmac_f32_e32 v28, v53, v23
	v_add_f32_e32 v52, v27, v24
	v_add_f32_e32 v24, v26, v28
	v_sub_f32_e32 v27, v25, v24
	v_pk_add_f32 v[30:31], v[24:25], v[26:27] neg_lo:[0,1] neg_hi:[0,1]
	v_mov_b32_e32 v29, v24
	v_pk_add_f32 v[24:25], v[30:31], v[28:29] neg_lo:[0,1] neg_hi:[0,1]
	v_add_f32_e32 v25, v52, v25
	v_add_f32_e32 v24, v24, v25
	;; [unrolled: 1-line block ×3, first 2 shown]
	v_mul_f32_e32 v52, v51, v25
	v_mul_f32_e32 v26, v50, v52
	v_fma_f32 v28, v52, v50, -v26
	v_fmac_f32_e32 v28, v52, v23
	v_sub_f32_e32 v23, v27, v25
	v_add_f32_e32 v23, v24, v23
	v_add_f32_e32 v24, v26, v28
	v_sub_f32_e32 v27, v25, v24
	v_pk_add_f32 v[30:31], v[24:25], v[26:27] neg_lo:[0,1] neg_hi:[0,1]
	v_mov_b32_e32 v29, v24
	v_pk_add_f32 v[24:25], v[30:31], v[28:29] neg_lo:[0,1] neg_hi:[0,1]
	v_add_f32_e32 v23, v23, v25
	v_add_f32_e32 v23, v24, v23
	;; [unrolled: 1-line block ×4, first 2 shown]
	v_sub_f32_e32 v25, v24, v53
	v_mul_f32_e32 v23, v51, v23
	v_sub_f32_e32 v25, v52, v25
	v_add_f32_e32 v23, v25, v23
	v_add_f32_e32 v27, v24, v23
	v_mul_f32_e32 v28, v27, v27
	v_mov_b32_e32 v26, 0x3ecc95a3
	v_fmac_f32_e32 v26, 0x3e9b6dac, v28
	v_mov_b32_e32 v25, 0x3f2aaada
	v_fmac_f32_e32 v25, v28, v26
	v_cvt_f32_i32_e32 v26, v34
	v_sub_f32_e32 v24, v27, v24
	v_sub_f32_e32 v23, v23, v24
	v_ldexp_f32 v29, v27, 1
	v_mul_f32_e32 v27, v27, v28
	v_mov_b32_e32 v24, 0x3f317218
	s_mov_b32 s2, 0x3f317218
	v_pk_mul_f32 v[24:25], v[26:27], v[24:25]
	v_fma_f32 v28, v26, s2, -v24
	v_fmac_f32_e32 v28, 0xb102e308, v26
	v_pk_add_f32 v[26:27], v[24:25], v[28:29]
	v_sub_f32_e32 v29, v27, v29
	v_ldexp_f32 v23, v23, 1
	v_sub_f32_e32 v29, v25, v29
	v_add_f32_e32 v31, v23, v29
	v_mov_b32_e32 v30, v24
	v_pk_add_f32 v[24:25], v[26:27], v[24:25] neg_lo:[0,1] neg_hi:[0,1]
	v_pk_add_f32 v[50:51], v[26:27], v[30:31]
	v_mov_b32_e32 v25, v51
	v_mov_b32_e32 v29, v26
	v_pk_add_f32 v[52:53], v[28:29], v[24:25] neg_lo:[0,1] neg_hi:[0,1]
	v_pk_add_f32 v[24:25], v[28:29], v[24:25]
	v_mov_b32_e32 v28, v25
	v_pk_add_f32 v[56:57], v[28:29], v[26:27] neg_lo:[0,1] neg_hi:[0,1]
	v_mov_b32_e32 v23, v56
	v_pk_add_f32 v[58:59], v[50:51], v[22:23] neg_lo:[0,1] neg_hi:[0,1]
	v_mov_b32_e32 v24, v51
	v_mov_b32_e32 v50, v27
	;; [unrolled: 1-line block ×4, first 2 shown]
	v_pk_add_f32 v[24:25], v[24:25], v[50:51] neg_lo:[0,1] neg_hi:[0,1]
	v_mov_b32_e32 v30, v31
	v_mov_b32_e32 v31, v26
	v_pk_add_f32 v[24:25], v[30:31], v[24:25] neg_lo:[0,1] neg_hi:[0,1]
	v_mov_b32_e32 v58, v52
	v_pk_add_f32 v[26:27], v[58:59], v[24:25]
	v_mov_b32_e32 v30, v27
	v_pk_add_f32 v[30:31], v[26:27], v[30:31]
	v_pk_add_f32 v[28:29], v[28:29], v[30:31]
	v_mov_b32_e32 v27, v28
	v_pk_add_f32 v[50:51], v[26:27], v[52:53] neg_lo:[0,1] neg_hi:[0,1]
	v_mov_b32_e32 v25, v30
	v_sub_f32_e32 v23, v26, v50
	v_pk_add_f32 v[24:25], v[24:25], v[50:51] neg_lo:[0,1] neg_hi:[0,1]
	v_sub_f32_e32 v23, v52, v23
	s_mov_b32 s3, 0x7f800000
	v_add_f32_e32 v23, v24, v23
	s_mov_b32 s2, 0x33800000
	v_add_f32_e32 v23, v23, v25
	v_cmp_eq_f32_e32 vcc, s3, v32
	v_cmp_lt_f32_e64 s[2:3], |v32|, s2
	v_add_f32_e32 v23, v28, v23
	s_or_b64 vcc, vcc, s[2:3]
	v_cndmask_b32_e32 v23, v23, v32, vcc
	v_add_f32_e32 v23, v22, v23
.LBB462_150:
	s_or_b64 exec, exec, s[0:1]
	v_bfe_u32 v22, v23, 16, 1
	v_add3_u32 v22, v23, v22, s5
	v_lshrrev_b32_e32 v22, 16, v22
	v_cmp_o_f32_e32 vcc, v23, v23
	v_cndmask_b32_e32 v21, v21, v22, vcc
	v_lshlrev_b32_e32 v23, 16, v21
	v_max_f32_e32 v24, v23, v23
	v_min_f32_e32 v22, v24, v35
	v_cmp_u_f32_e32 vcc, v23, v23
	v_max_f32_e32 v24, v24, v35
	v_cndmask_b32_e32 v22, v22, v23, vcc
	v_cndmask_b32_e32 v24, v24, v23, vcc
	v_cndmask_b32_e64 v22, v22, v12, s[72:73]
	v_cndmask_b32_e64 v12, v24, v12, s[72:73]
	v_cmp_neq_f32_e32 vcc, v22, v12
	v_cmp_class_f32_e64 s[0:1], v22, s4
	s_or_b64 s[2:3], vcc, s[0:1]
	s_and_saveexec_b64 s[0:1], s[2:3]
	s_cbranch_execz .LBB462_152
; %bb.151:
	v_sub_f32_e32 v22, v22, v12
	s_mov_b32 s2, 0x3fb8aa3b
	v_mul_f32_e32 v23, 0x3fb8aa3b, v22
	v_fma_f32 v24, v22, s2, -v23
	v_rndne_f32_e32 v25, v23
	v_fmac_f32_e32 v24, 0x32a5705f, v22
	v_sub_f32_e32 v23, v23, v25
	v_add_f32_e32 v23, v23, v24
	v_exp_f32_e32 v23, v23
	v_cvt_i32_f32_e32 v24, v25
	s_mov_b32 s2, 0xc2ce8ed0
	v_cmp_ngt_f32_e32 vcc, s2, v22
	s_mov_b32 s2, 0x42b17218
	v_ldexp_f32 v23, v23, v24
	v_cndmask_b32_e32 v23, 0, v23, vcc
	v_mov_b32_e32 v24, 0x7f800000
	v_cmp_nlt_f32_e32 vcc, s2, v22
	v_cndmask_b32_e32 v32, v24, v23, vcc
	v_add_f32_e32 v24, 1.0, v32
	v_add_f32_e32 v22, -1.0, v24
	v_sub_f32_e32 v23, v22, v24
	v_add_f32_e32 v23, 1.0, v23
	v_sub_f32_e32 v22, v32, v22
	v_add_f32_e32 v25, v22, v23
	v_frexp_mant_f32_e32 v26, v24
	s_mov_b32 s2, 0x3f2aaaab
	v_cvt_f64_f32_e32 v[22:23], v24
	v_frexp_exp_i32_f64_e32 v22, v[22:23]
	v_cmp_gt_f32_e32 vcc, s2, v26
	v_subbrev_co_u32_e32 v30, vcc, 0, v22, vcc
	v_sub_u32_e32 v22, 0, v30
	v_ldexp_f32 v23, v24, v22
	v_add_f32_e32 v24, -1.0, v23
	v_add_f32_e32 v26, 1.0, v23
	v_ldexp_f32 v22, v25, v22
	v_add_f32_e32 v25, 1.0, v24
	v_add_f32_e32 v27, -1.0, v26
	v_sub_f32_e32 v25, v23, v25
	v_sub_f32_e32 v23, v23, v27
	v_add_f32_e32 v25, v22, v25
	v_add_f32_e32 v22, v22, v23
	;; [unrolled: 1-line block ×3, first 2 shown]
	v_rcp_f32_e32 v35, v31
	v_sub_f32_e32 v23, v26, v31
	v_add_f32_e32 v34, v22, v23
	v_add_f32_e32 v23, v24, v25
	v_mul_f32_e32 v51, v23, v35
	v_sub_f32_e32 v22, v24, v23
	v_mul_f32_e32 v24, v31, v51
	v_fma_f32 v26, v51, v31, -v24
	v_fmac_f32_e32 v26, v51, v34
	v_add_f32_e32 v50, v25, v22
	v_add_f32_e32 v22, v24, v26
	v_sub_f32_e32 v25, v23, v22
	v_pk_add_f32 v[28:29], v[22:23], v[24:25] neg_lo:[0,1] neg_hi:[0,1]
	v_mov_b32_e32 v27, v22
	v_pk_add_f32 v[22:23], v[28:29], v[26:27] neg_lo:[0,1] neg_hi:[0,1]
	v_add_f32_e32 v23, v50, v23
	v_add_f32_e32 v22, v22, v23
	;; [unrolled: 1-line block ×3, first 2 shown]
	v_mul_f32_e32 v50, v35, v23
	v_mul_f32_e32 v24, v31, v50
	v_fma_f32 v26, v50, v31, -v24
	v_fmac_f32_e32 v26, v50, v34
	v_sub_f32_e32 v25, v25, v23
	v_add_f32_e32 v31, v22, v25
	v_add_f32_e32 v22, v24, v26
	v_sub_f32_e32 v25, v23, v22
	v_pk_add_f32 v[28:29], v[22:23], v[24:25] neg_lo:[0,1] neg_hi:[0,1]
	v_mov_b32_e32 v27, v22
	v_pk_add_f32 v[22:23], v[28:29], v[26:27] neg_lo:[0,1] neg_hi:[0,1]
	v_add_f32_e32 v23, v31, v23
	v_add_f32_e32 v22, v22, v23
	;; [unrolled: 1-line block ×4, first 2 shown]
	v_sub_f32_e32 v23, v25, v51
	v_mul_f32_e32 v22, v35, v22
	v_sub_f32_e32 v23, v50, v23
	v_add_f32_e32 v22, v23, v22
	v_add_f32_e32 v26, v25, v22
	v_mul_f32_e32 v28, v26, v26
	v_mov_b32_e32 v24, 0x3ecc95a3
	v_fmac_f32_e32 v24, 0x3e9b6dac, v28
	v_mov_b32_e32 v23, 0x3f2aaada
	v_fmac_f32_e32 v23, v28, v24
	v_cvt_f32_i32_e32 v24, v30
	v_sub_f32_e32 v25, v26, v25
	v_sub_f32_e32 v22, v22, v25
	v_ldexp_f32 v29, v22, 1
	v_mul_f32_e32 v25, v26, v28
	v_mov_b32_e32 v22, 0x3f317218
	s_mov_b32 s2, 0x3f317218
	v_pk_mul_f32 v[22:23], v[24:25], v[22:23]
	v_ldexp_f32 v27, v26, 1
	v_fma_f32 v26, v24, s2, -v22
	v_fmac_f32_e32 v26, 0xb102e308, v24
	v_pk_add_f32 v[24:25], v[22:23], v[26:27]
	v_sub_f32_e32 v27, v25, v27
	v_sub_f32_e32 v27, v23, v27
	v_add_f32_e32 v29, v29, v27
	v_mov_b32_e32 v28, v22
	v_pk_add_f32 v[22:23], v[24:25], v[22:23] neg_lo:[0,1] neg_hi:[0,1]
	v_pk_add_f32 v[30:31], v[24:25], v[28:29]
	v_mov_b32_e32 v23, v31
	v_mov_b32_e32 v27, v24
	v_pk_add_f32 v[34:35], v[26:27], v[22:23] neg_lo:[0,1] neg_hi:[0,1]
	v_pk_add_f32 v[22:23], v[26:27], v[22:23]
	v_mov_b32_e32 v26, v23
	v_pk_add_f32 v[50:51], v[26:27], v[24:25] neg_lo:[0,1] neg_hi:[0,1]
	v_mov_b32_e32 v27, v50
	v_pk_add_f32 v[52:53], v[30:31], v[26:27] neg_lo:[0,1] neg_hi:[0,1]
	v_mov_b32_e32 v22, v31
	v_mov_b32_e32 v30, v25
	;; [unrolled: 1-line block ×4, first 2 shown]
	v_pk_add_f32 v[22:23], v[22:23], v[30:31] neg_lo:[0,1] neg_hi:[0,1]
	v_mov_b32_e32 v28, v29
	v_mov_b32_e32 v29, v24
	v_pk_add_f32 v[22:23], v[28:29], v[22:23] neg_lo:[0,1] neg_hi:[0,1]
	v_mov_b32_e32 v52, v34
	v_pk_add_f32 v[24:25], v[52:53], v[22:23]
	v_mov_b32_e32 v28, v25
	v_pk_add_f32 v[28:29], v[24:25], v[28:29]
	v_pk_add_f32 v[26:27], v[26:27], v[28:29]
	v_mov_b32_e32 v25, v26
	v_pk_add_f32 v[30:31], v[24:25], v[34:35] neg_lo:[0,1] neg_hi:[0,1]
	v_mov_b32_e32 v23, v28
	v_sub_f32_e32 v24, v24, v30
	v_pk_add_f32 v[22:23], v[22:23], v[30:31] neg_lo:[0,1] neg_hi:[0,1]
	v_sub_f32_e32 v24, v34, v24
	s_mov_b32 s3, 0x7f800000
	v_add_f32_e32 v22, v22, v24
	s_mov_b32 s2, 0x33800000
	v_add_f32_e32 v22, v22, v23
	v_cmp_eq_f32_e32 vcc, s3, v32
	v_cmp_lt_f32_e64 s[2:3], |v32|, s2
	v_add_f32_e32 v22, v26, v22
	s_or_b64 vcc, vcc, s[2:3]
	v_cndmask_b32_e32 v22, v22, v32, vcc
	v_add_f32_e32 v23, v12, v22
.LBB462_152:
	s_or_b64 exec, exec, s[0:1]
	v_bfe_u32 v12, v23, 16, 1
	v_add3_u32 v12, v23, v12, s5
	v_lshrrev_b32_e32 v12, 16, v12
	v_mov_b32_e32 v22, 0x7fc0
	v_cmp_o_f32_e32 vcc, v23, v23
	v_cndmask_b32_e32 v12, v22, v12, vcc
	v_lshlrev_b32_e32 v24, 16, v12
	v_max_f32_e32 v23, v24, v24
	v_min_f32_e32 v25, v23, v37
	v_cmp_u_f32_e32 vcc, v24, v24
	v_max_f32_e32 v23, v23, v37
	v_cndmask_b32_e32 v25, v25, v24, vcc
	v_cndmask_b32_e32 v23, v23, v24, vcc
	v_cndmask_b32_e64 v25, v25, v33, s[74:75]
	v_cndmask_b32_e64 v23, v23, v33, s[74:75]
	v_cmp_neq_f32_e32 vcc, v25, v23
	v_cmp_class_f32_e64 s[0:1], v25, s4
	s_or_b64 s[2:3], vcc, s[0:1]
	s_and_saveexec_b64 s[0:1], s[2:3]
	s_cbranch_execz .LBB462_154
; %bb.153:
	v_sub_f32_e32 v24, v25, v23
	s_mov_b32 s2, 0x3fb8aa3b
	v_mul_f32_e32 v25, 0x3fb8aa3b, v24
	v_fma_f32 v26, v24, s2, -v25
	v_rndne_f32_e32 v27, v25
	v_fmac_f32_e32 v26, 0x32a5705f, v24
	v_sub_f32_e32 v25, v25, v27
	v_add_f32_e32 v25, v25, v26
	v_exp_f32_e32 v25, v25
	v_cvt_i32_f32_e32 v26, v27
	s_mov_b32 s2, 0xc2ce8ed0
	v_cmp_ngt_f32_e32 vcc, s2, v24
	s_mov_b32 s2, 0x42b17218
	v_ldexp_f32 v25, v25, v26
	v_cndmask_b32_e32 v25, 0, v25, vcc
	v_mov_b32_e32 v26, 0x7f800000
	v_cmp_nlt_f32_e32 vcc, s2, v24
	v_cndmask_b32_e32 v37, v26, v25, vcc
	v_add_f32_e32 v26, 1.0, v37
	v_add_f32_e32 v24, -1.0, v26
	v_sub_f32_e32 v25, v24, v26
	v_add_f32_e32 v25, 1.0, v25
	v_sub_f32_e32 v24, v37, v24
	v_add_f32_e32 v27, v24, v25
	v_frexp_mant_f32_e32 v28, v26
	s_mov_b32 s2, 0x3f2aaaab
	v_cvt_f64_f32_e32 v[24:25], v26
	v_frexp_exp_i32_f64_e32 v24, v[24:25]
	v_cmp_gt_f32_e32 vcc, s2, v28
	v_subbrev_co_u32_e32 v32, vcc, 0, v24, vcc
	v_sub_u32_e32 v24, 0, v32
	v_ldexp_f32 v25, v26, v24
	v_add_f32_e32 v26, -1.0, v25
	v_add_f32_e32 v28, 1.0, v25
	v_ldexp_f32 v24, v27, v24
	v_add_f32_e32 v27, 1.0, v26
	v_add_f32_e32 v29, -1.0, v28
	v_sub_f32_e32 v27, v25, v27
	v_sub_f32_e32 v25, v25, v29
	v_add_f32_e32 v27, v24, v27
	v_add_f32_e32 v24, v24, v25
	;; [unrolled: 1-line block ×3, first 2 shown]
	v_rcp_f32_e32 v35, v33
	v_sub_f32_e32 v25, v28, v33
	v_add_f32_e32 v34, v24, v25
	v_add_f32_e32 v25, v26, v27
	v_mul_f32_e32 v51, v25, v35
	v_sub_f32_e32 v24, v26, v25
	v_mul_f32_e32 v26, v33, v51
	v_fma_f32 v28, v51, v33, -v26
	v_fmac_f32_e32 v28, v51, v34
	v_add_f32_e32 v50, v27, v24
	v_add_f32_e32 v24, v26, v28
	v_sub_f32_e32 v27, v25, v24
	v_pk_add_f32 v[30:31], v[24:25], v[26:27] neg_lo:[0,1] neg_hi:[0,1]
	v_mov_b32_e32 v29, v24
	v_pk_add_f32 v[24:25], v[30:31], v[28:29] neg_lo:[0,1] neg_hi:[0,1]
	v_add_f32_e32 v25, v50, v25
	v_add_f32_e32 v24, v24, v25
	;; [unrolled: 1-line block ×3, first 2 shown]
	v_mul_f32_e32 v50, v35, v25
	v_mul_f32_e32 v26, v33, v50
	v_fma_f32 v28, v50, v33, -v26
	v_fmac_f32_e32 v28, v50, v34
	v_sub_f32_e32 v27, v27, v25
	v_add_f32_e32 v33, v24, v27
	v_add_f32_e32 v24, v26, v28
	v_sub_f32_e32 v27, v25, v24
	v_pk_add_f32 v[30:31], v[24:25], v[26:27] neg_lo:[0,1] neg_hi:[0,1]
	v_mov_b32_e32 v29, v24
	v_pk_add_f32 v[24:25], v[30:31], v[28:29] neg_lo:[0,1] neg_hi:[0,1]
	v_add_f32_e32 v25, v33, v25
	v_add_f32_e32 v24, v24, v25
	;; [unrolled: 1-line block ×4, first 2 shown]
	v_sub_f32_e32 v25, v27, v51
	v_mul_f32_e32 v24, v35, v24
	v_sub_f32_e32 v25, v50, v25
	v_add_f32_e32 v24, v25, v24
	v_add_f32_e32 v28, v27, v24
	v_mul_f32_e32 v30, v28, v28
	v_mov_b32_e32 v26, 0x3ecc95a3
	v_fmac_f32_e32 v26, 0x3e9b6dac, v30
	v_mov_b32_e32 v25, 0x3f2aaada
	v_fmac_f32_e32 v25, v30, v26
	v_cvt_f32_i32_e32 v26, v32
	v_sub_f32_e32 v27, v28, v27
	v_sub_f32_e32 v24, v24, v27
	v_ldexp_f32 v31, v24, 1
	v_mul_f32_e32 v27, v28, v30
	v_mov_b32_e32 v24, 0x3f317218
	s_mov_b32 s2, 0x3f317218
	v_pk_mul_f32 v[24:25], v[26:27], v[24:25]
	v_ldexp_f32 v29, v28, 1
	v_fma_f32 v28, v26, s2, -v24
	v_fmac_f32_e32 v28, 0xb102e308, v26
	v_pk_add_f32 v[26:27], v[24:25], v[28:29]
	v_sub_f32_e32 v29, v27, v29
	v_sub_f32_e32 v29, v25, v29
	v_add_f32_e32 v31, v31, v29
	v_mov_b32_e32 v30, v24
	v_pk_add_f32 v[24:25], v[26:27], v[24:25] neg_lo:[0,1] neg_hi:[0,1]
	v_pk_add_f32 v[32:33], v[26:27], v[30:31]
	v_mov_b32_e32 v25, v33
	v_mov_b32_e32 v29, v26
	v_pk_add_f32 v[34:35], v[28:29], v[24:25] neg_lo:[0,1] neg_hi:[0,1]
	v_pk_add_f32 v[24:25], v[28:29], v[24:25]
	v_mov_b32_e32 v28, v25
	v_pk_add_f32 v[50:51], v[28:29], v[26:27] neg_lo:[0,1] neg_hi:[0,1]
	v_mov_b32_e32 v29, v50
	v_pk_add_f32 v[52:53], v[32:33], v[28:29] neg_lo:[0,1] neg_hi:[0,1]
	v_mov_b32_e32 v24, v33
	v_mov_b32_e32 v32, v27
	;; [unrolled: 1-line block ×4, first 2 shown]
	v_pk_add_f32 v[24:25], v[24:25], v[32:33] neg_lo:[0,1] neg_hi:[0,1]
	v_mov_b32_e32 v30, v31
	v_mov_b32_e32 v31, v26
	v_pk_add_f32 v[24:25], v[30:31], v[24:25] neg_lo:[0,1] neg_hi:[0,1]
	v_mov_b32_e32 v52, v34
	v_pk_add_f32 v[26:27], v[52:53], v[24:25]
	v_mov_b32_e32 v30, v27
	v_pk_add_f32 v[30:31], v[26:27], v[30:31]
	v_pk_add_f32 v[28:29], v[28:29], v[30:31]
	v_mov_b32_e32 v27, v28
	v_pk_add_f32 v[32:33], v[26:27], v[34:35] neg_lo:[0,1] neg_hi:[0,1]
	v_mov_b32_e32 v25, v30
	v_sub_f32_e32 v26, v26, v32
	v_pk_add_f32 v[24:25], v[24:25], v[32:33] neg_lo:[0,1] neg_hi:[0,1]
	v_sub_f32_e32 v26, v34, v26
	s_mov_b32 s3, 0x7f800000
	v_add_f32_e32 v24, v24, v26
	s_mov_b32 s2, 0x33800000
	v_add_f32_e32 v24, v24, v25
	v_cmp_eq_f32_e32 vcc, s3, v37
	v_cmp_lt_f32_e64 s[2:3], |v37|, s2
	v_add_f32_e32 v24, v28, v24
	s_or_b64 vcc, vcc, s[2:3]
	v_cndmask_b32_e32 v24, v24, v37, vcc
	v_add_f32_e32 v24, v23, v24
.LBB462_154:
	s_or_b64 exec, exec, s[0:1]
	v_bfe_u32 v23, v24, 16, 1
	v_add3_u32 v23, v24, v23, s5
	v_lshrrev_b32_e32 v23, 16, v23
	v_cmp_o_f32_e32 vcc, v24, v24
	v_cndmask_b32_e32 v22, v22, v23, vcc
	v_lshlrev_b32_e32 v24, 16, v22
	v_max_f32_e32 v25, v24, v24
	v_min_f32_e32 v23, v25, v38
	v_cmp_u_f32_e32 vcc, v24, v24
	v_max_f32_e32 v25, v25, v38
	v_cndmask_b32_e32 v23, v23, v24, vcc
	v_cndmask_b32_e32 v25, v25, v24, vcc
	v_cndmask_b32_e64 v23, v23, v13, s[76:77]
	v_cndmask_b32_e64 v13, v25, v13, s[76:77]
	v_cmp_neq_f32_e32 vcc, v23, v13
	v_cmp_class_f32_e64 s[0:1], v23, s4
	s_or_b64 s[2:3], vcc, s[0:1]
	s_and_saveexec_b64 s[0:1], s[2:3]
	s_cbranch_execz .LBB462_156
; %bb.155:
	v_sub_f32_e32 v23, v23, v13
	s_mov_b32 s2, 0x3fb8aa3b
	v_mul_f32_e32 v24, 0x3fb8aa3b, v23
	v_fma_f32 v25, v23, s2, -v24
	v_rndne_f32_e32 v26, v24
	v_fmac_f32_e32 v25, 0x32a5705f, v23
	v_sub_f32_e32 v24, v24, v26
	v_add_f32_e32 v24, v24, v25
	v_exp_f32_e32 v24, v24
	v_cvt_i32_f32_e32 v25, v26
	s_mov_b32 s2, 0xc2ce8ed0
	v_cmp_ngt_f32_e32 vcc, s2, v23
	s_mov_b32 s2, 0x42b17218
	v_ldexp_f32 v24, v24, v25
	v_cndmask_b32_e32 v24, 0, v24, vcc
	v_mov_b32_e32 v25, 0x7f800000
	v_cmp_nlt_f32_e32 vcc, s2, v23
	v_cndmask_b32_e32 v37, v25, v24, vcc
	v_add_f32_e32 v23, 1.0, v37
	v_add_f32_e32 v24, -1.0, v23
	v_sub_f32_e32 v25, v24, v23
	v_add_f32_e32 v25, 1.0, v25
	v_sub_f32_e32 v24, v37, v24
	v_add_f32_e32 v26, v24, v25
	v_frexp_mant_f32_e32 v27, v23
	s_mov_b32 s2, 0x3f2aaaab
	v_cvt_f64_f32_e32 v[24:25], v23
	v_frexp_exp_i32_f64_e32 v24, v[24:25]
	v_cmp_gt_f32_e32 vcc, s2, v27
	v_subbrev_co_u32_e32 v32, vcc, 0, v24, vcc
	v_sub_u32_e32 v24, 0, v32
	v_ldexp_f32 v23, v23, v24
	v_ldexp_f32 v24, v26, v24
	v_add_f32_e32 v26, -1.0, v23
	v_add_f32_e32 v25, 1.0, v26
	v_sub_f32_e32 v25, v23, v25
	v_add_f32_e32 v27, v24, v25
	v_add_f32_e32 v25, 1.0, v23
	v_add_f32_e32 v28, -1.0, v25
	v_sub_f32_e32 v23, v23, v28
	v_add_f32_e32 v23, v24, v23
	v_add_f32_e32 v33, v25, v23
	v_rcp_f32_e32 v34, v33
	v_sub_f32_e32 v24, v25, v33
	v_add_f32_e32 v25, v26, v27
	v_add_f32_e32 v23, v23, v24
	v_mul_f32_e32 v38, v25, v34
	v_sub_f32_e32 v24, v26, v25
	v_mul_f32_e32 v26, v33, v38
	v_fma_f32 v28, v38, v33, -v26
	v_fmac_f32_e32 v28, v38, v23
	v_add_f32_e32 v35, v27, v24
	v_add_f32_e32 v24, v26, v28
	v_sub_f32_e32 v27, v25, v24
	v_pk_add_f32 v[30:31], v[24:25], v[26:27] neg_lo:[0,1] neg_hi:[0,1]
	v_mov_b32_e32 v29, v24
	v_pk_add_f32 v[24:25], v[30:31], v[28:29] neg_lo:[0,1] neg_hi:[0,1]
	v_add_f32_e32 v25, v35, v25
	v_add_f32_e32 v24, v24, v25
	;; [unrolled: 1-line block ×3, first 2 shown]
	v_mul_f32_e32 v35, v34, v25
	v_mul_f32_e32 v26, v33, v35
	v_fma_f32 v28, v35, v33, -v26
	v_fmac_f32_e32 v28, v35, v23
	v_sub_f32_e32 v23, v27, v25
	v_add_f32_e32 v23, v24, v23
	v_add_f32_e32 v24, v26, v28
	v_sub_f32_e32 v27, v25, v24
	v_pk_add_f32 v[30:31], v[24:25], v[26:27] neg_lo:[0,1] neg_hi:[0,1]
	v_mov_b32_e32 v29, v24
	v_pk_add_f32 v[24:25], v[30:31], v[28:29] neg_lo:[0,1] neg_hi:[0,1]
	v_add_f32_e32 v23, v23, v25
	v_add_f32_e32 v23, v24, v23
	;; [unrolled: 1-line block ×4, first 2 shown]
	v_sub_f32_e32 v25, v24, v38
	v_mul_f32_e32 v23, v34, v23
	v_sub_f32_e32 v25, v35, v25
	v_add_f32_e32 v23, v25, v23
	v_add_f32_e32 v27, v24, v23
	v_mul_f32_e32 v28, v27, v27
	v_mov_b32_e32 v26, 0x3ecc95a3
	v_fmac_f32_e32 v26, 0x3e9b6dac, v28
	v_mov_b32_e32 v25, 0x3f2aaada
	v_fmac_f32_e32 v25, v28, v26
	v_cvt_f32_i32_e32 v26, v32
	v_sub_f32_e32 v24, v27, v24
	v_sub_f32_e32 v23, v23, v24
	v_ldexp_f32 v29, v27, 1
	v_mul_f32_e32 v27, v27, v28
	v_mov_b32_e32 v24, 0x3f317218
	s_mov_b32 s2, 0x3f317218
	v_pk_mul_f32 v[24:25], v[26:27], v[24:25]
	v_fma_f32 v28, v26, s2, -v24
	v_fmac_f32_e32 v28, 0xb102e308, v26
	v_pk_add_f32 v[26:27], v[24:25], v[28:29]
	v_sub_f32_e32 v29, v27, v29
	v_ldexp_f32 v23, v23, 1
	v_sub_f32_e32 v29, v25, v29
	v_add_f32_e32 v31, v23, v29
	v_mov_b32_e32 v30, v24
	v_pk_add_f32 v[24:25], v[26:27], v[24:25] neg_lo:[0,1] neg_hi:[0,1]
	v_pk_add_f32 v[32:33], v[26:27], v[30:31]
	v_mov_b32_e32 v25, v33
	v_mov_b32_e32 v29, v26
	v_pk_add_f32 v[34:35], v[28:29], v[24:25] neg_lo:[0,1] neg_hi:[0,1]
	v_pk_add_f32 v[24:25], v[28:29], v[24:25]
	v_mov_b32_e32 v28, v25
	v_pk_add_f32 v[50:51], v[28:29], v[26:27] neg_lo:[0,1] neg_hi:[0,1]
	v_mov_b32_e32 v23, v50
	v_pk_add_f32 v[52:53], v[32:33], v[22:23] neg_lo:[0,1] neg_hi:[0,1]
	v_mov_b32_e32 v24, v33
	v_mov_b32_e32 v32, v27
	;; [unrolled: 1-line block ×4, first 2 shown]
	v_pk_add_f32 v[24:25], v[24:25], v[32:33] neg_lo:[0,1] neg_hi:[0,1]
	v_mov_b32_e32 v30, v31
	v_mov_b32_e32 v31, v26
	v_pk_add_f32 v[24:25], v[30:31], v[24:25] neg_lo:[0,1] neg_hi:[0,1]
	v_mov_b32_e32 v52, v34
	v_pk_add_f32 v[26:27], v[52:53], v[24:25]
	v_mov_b32_e32 v30, v27
	v_pk_add_f32 v[30:31], v[26:27], v[30:31]
	v_pk_add_f32 v[28:29], v[28:29], v[30:31]
	v_mov_b32_e32 v27, v28
	v_pk_add_f32 v[32:33], v[26:27], v[34:35] neg_lo:[0,1] neg_hi:[0,1]
	v_mov_b32_e32 v25, v30
	v_sub_f32_e32 v23, v26, v32
	v_pk_add_f32 v[24:25], v[24:25], v[32:33] neg_lo:[0,1] neg_hi:[0,1]
	v_sub_f32_e32 v23, v34, v23
	s_mov_b32 s3, 0x7f800000
	v_add_f32_e32 v23, v24, v23
	s_mov_b32 s2, 0x33800000
	v_add_f32_e32 v23, v23, v25
	v_cmp_eq_f32_e32 vcc, s3, v37
	v_cmp_lt_f32_e64 s[2:3], |v37|, s2
	v_add_f32_e32 v23, v28, v23
	s_or_b64 vcc, vcc, s[2:3]
	v_cndmask_b32_e32 v23, v23, v37, vcc
	v_add_f32_e32 v24, v13, v23
.LBB462_156:
	s_or_b64 exec, exec, s[0:1]
	v_bfe_u32 v13, v24, 16, 1
	v_add3_u32 v13, v24, v13, s5
	v_lshrrev_b32_e32 v13, 16, v13
	v_mov_b32_e32 v23, 0x7fc0
	v_cmp_o_f32_e32 vcc, v24, v24
	v_cndmask_b32_e32 v13, v23, v13, vcc
	v_lshlrev_b32_e32 v25, 16, v13
	v_max_f32_e32 v24, v25, v25
	v_min_f32_e32 v26, v24, v40
	v_cmp_u_f32_e32 vcc, v25, v25
	v_max_f32_e32 v24, v24, v40
	v_cndmask_b32_e32 v26, v26, v25, vcc
	v_cndmask_b32_e32 v24, v24, v25, vcc
	v_cndmask_b32_e64 v26, v26, v36, s[78:79]
	v_cndmask_b32_e64 v24, v24, v36, s[78:79]
	v_cmp_neq_f32_e32 vcc, v26, v24
	v_cmp_class_f32_e64 s[0:1], v26, s4
	s_or_b64 s[2:3], vcc, s[0:1]
	s_and_saveexec_b64 s[0:1], s[2:3]
	s_cbranch_execz .LBB462_158
; %bb.157:
	v_sub_f32_e32 v25, v26, v24
	s_mov_b32 s2, 0x3fb8aa3b
	v_mul_f32_e32 v26, 0x3fb8aa3b, v25
	v_fma_f32 v27, v25, s2, -v26
	v_rndne_f32_e32 v28, v26
	v_fmac_f32_e32 v27, 0x32a5705f, v25
	v_sub_f32_e32 v26, v26, v28
	v_add_f32_e32 v26, v26, v27
	v_exp_f32_e32 v26, v26
	v_cvt_i32_f32_e32 v27, v28
	s_mov_b32 s2, 0xc2ce8ed0
	v_cmp_ngt_f32_e32 vcc, s2, v25
	s_mov_b32 s2, 0x42b17218
	v_ldexp_f32 v26, v26, v27
	v_cndmask_b32_e32 v26, 0, v26, vcc
	v_mov_b32_e32 v27, 0x7f800000
	v_cmp_nlt_f32_e32 vcc, s2, v25
	v_cndmask_b32_e32 v38, v27, v26, vcc
	v_add_f32_e32 v25, 1.0, v38
	v_add_f32_e32 v26, -1.0, v25
	v_sub_f32_e32 v27, v26, v25
	v_add_f32_e32 v27, 1.0, v27
	v_sub_f32_e32 v26, v38, v26
	v_add_f32_e32 v28, v26, v27
	v_frexp_mant_f32_e32 v29, v25
	s_mov_b32 s2, 0x3f2aaaab
	v_cvt_f64_f32_e32 v[26:27], v25
	v_frexp_exp_i32_f64_e32 v26, v[26:27]
	v_cmp_gt_f32_e32 vcc, s2, v29
	v_subbrev_co_u32_e32 v34, vcc, 0, v26, vcc
	v_sub_u32_e32 v26, 0, v34
	v_ldexp_f32 v25, v25, v26
	v_ldexp_f32 v26, v28, v26
	v_add_f32_e32 v28, -1.0, v25
	v_add_f32_e32 v27, 1.0, v28
	v_sub_f32_e32 v27, v25, v27
	v_add_f32_e32 v29, v26, v27
	v_add_f32_e32 v27, 1.0, v25
	v_add_f32_e32 v30, -1.0, v27
	v_sub_f32_e32 v25, v25, v30
	v_add_f32_e32 v25, v26, v25
	v_add_f32_e32 v35, v27, v25
	v_rcp_f32_e32 v36, v35
	v_sub_f32_e32 v26, v27, v35
	v_add_f32_e32 v27, v28, v29
	v_add_f32_e32 v25, v25, v26
	v_mul_f32_e32 v40, v27, v36
	v_sub_f32_e32 v26, v28, v27
	v_mul_f32_e32 v28, v35, v40
	v_fma_f32 v30, v40, v35, -v28
	v_fmac_f32_e32 v30, v40, v25
	v_add_f32_e32 v37, v29, v26
	v_add_f32_e32 v26, v28, v30
	v_sub_f32_e32 v29, v27, v26
	v_pk_add_f32 v[32:33], v[26:27], v[28:29] neg_lo:[0,1] neg_hi:[0,1]
	v_mov_b32_e32 v31, v26
	v_pk_add_f32 v[26:27], v[32:33], v[30:31] neg_lo:[0,1] neg_hi:[0,1]
	v_add_f32_e32 v27, v37, v27
	v_add_f32_e32 v26, v26, v27
	;; [unrolled: 1-line block ×3, first 2 shown]
	v_mul_f32_e32 v37, v36, v27
	v_mul_f32_e32 v28, v35, v37
	v_fma_f32 v30, v37, v35, -v28
	v_fmac_f32_e32 v30, v37, v25
	v_sub_f32_e32 v25, v29, v27
	v_add_f32_e32 v25, v26, v25
	v_add_f32_e32 v26, v28, v30
	v_sub_f32_e32 v29, v27, v26
	v_pk_add_f32 v[32:33], v[26:27], v[28:29] neg_lo:[0,1] neg_hi:[0,1]
	v_mov_b32_e32 v31, v26
	v_pk_add_f32 v[26:27], v[32:33], v[30:31] neg_lo:[0,1] neg_hi:[0,1]
	v_add_f32_e32 v25, v25, v27
	v_add_f32_e32 v25, v26, v25
	;; [unrolled: 1-line block ×4, first 2 shown]
	v_sub_f32_e32 v27, v26, v40
	v_mul_f32_e32 v25, v36, v25
	v_sub_f32_e32 v27, v37, v27
	v_add_f32_e32 v25, v27, v25
	v_add_f32_e32 v29, v26, v25
	v_mul_f32_e32 v30, v29, v29
	v_mov_b32_e32 v28, 0x3ecc95a3
	v_fmac_f32_e32 v28, 0x3e9b6dac, v30
	v_mov_b32_e32 v27, 0x3f2aaada
	v_fmac_f32_e32 v27, v30, v28
	v_cvt_f32_i32_e32 v28, v34
	v_sub_f32_e32 v26, v29, v26
	v_sub_f32_e32 v25, v25, v26
	v_ldexp_f32 v31, v29, 1
	v_mul_f32_e32 v29, v29, v30
	v_mov_b32_e32 v26, 0x3f317218
	s_mov_b32 s2, 0x3f317218
	v_pk_mul_f32 v[26:27], v[28:29], v[26:27]
	v_fma_f32 v30, v28, s2, -v26
	v_fmac_f32_e32 v30, 0xb102e308, v28
	v_pk_add_f32 v[28:29], v[26:27], v[30:31]
	v_sub_f32_e32 v31, v29, v31
	v_ldexp_f32 v25, v25, 1
	v_sub_f32_e32 v31, v27, v31
	v_add_f32_e32 v33, v25, v31
	v_mov_b32_e32 v32, v26
	v_pk_add_f32 v[26:27], v[28:29], v[26:27] neg_lo:[0,1] neg_hi:[0,1]
	v_pk_add_f32 v[34:35], v[28:29], v[32:33]
	v_mov_b32_e32 v27, v35
	v_mov_b32_e32 v31, v28
	v_pk_add_f32 v[36:37], v[30:31], v[26:27] neg_lo:[0,1] neg_hi:[0,1]
	v_pk_add_f32 v[26:27], v[30:31], v[26:27]
	v_mov_b32_e32 v30, v27
	v_pk_add_f32 v[50:51], v[30:31], v[28:29] neg_lo:[0,1] neg_hi:[0,1]
	v_mov_b32_e32 v25, v50
	v_pk_add_f32 v[52:53], v[34:35], v[24:25] neg_lo:[0,1] neg_hi:[0,1]
	v_mov_b32_e32 v26, v35
	v_mov_b32_e32 v34, v29
	;; [unrolled: 1-line block ×4, first 2 shown]
	v_pk_add_f32 v[26:27], v[26:27], v[34:35] neg_lo:[0,1] neg_hi:[0,1]
	v_mov_b32_e32 v32, v33
	v_mov_b32_e32 v33, v28
	v_pk_add_f32 v[26:27], v[32:33], v[26:27] neg_lo:[0,1] neg_hi:[0,1]
	v_mov_b32_e32 v52, v36
	v_pk_add_f32 v[28:29], v[52:53], v[26:27]
	v_mov_b32_e32 v32, v29
	v_pk_add_f32 v[32:33], v[28:29], v[32:33]
	v_pk_add_f32 v[30:31], v[30:31], v[32:33]
	v_mov_b32_e32 v29, v30
	v_pk_add_f32 v[34:35], v[28:29], v[36:37] neg_lo:[0,1] neg_hi:[0,1]
	v_mov_b32_e32 v27, v32
	v_sub_f32_e32 v25, v28, v34
	v_pk_add_f32 v[26:27], v[26:27], v[34:35] neg_lo:[0,1] neg_hi:[0,1]
	v_sub_f32_e32 v25, v36, v25
	s_mov_b32 s3, 0x7f800000
	v_add_f32_e32 v25, v26, v25
	s_mov_b32 s2, 0x33800000
	v_add_f32_e32 v25, v25, v27
	v_cmp_eq_f32_e32 vcc, s3, v38
	v_cmp_lt_f32_e64 s[2:3], |v38|, s2
	v_add_f32_e32 v25, v30, v25
	s_or_b64 vcc, vcc, s[2:3]
	v_cndmask_b32_e32 v25, v25, v38, vcc
	v_add_f32_e32 v25, v24, v25
.LBB462_158:
	s_or_b64 exec, exec, s[0:1]
	v_bfe_u32 v24, v25, 16, 1
	v_add3_u32 v24, v25, v24, s5
	v_lshrrev_b32_e32 v24, 16, v24
	v_cmp_o_f32_e32 vcc, v25, v25
	v_cndmask_b32_e32 v23, v23, v24, vcc
	v_lshlrev_b32_e32 v25, 16, v23
	v_max_f32_e32 v26, v25, v25
	v_min_f32_e32 v24, v26, v41
	v_cmp_u_f32_e32 vcc, v25, v25
	v_max_f32_e32 v26, v26, v41
	v_cndmask_b32_e32 v24, v24, v25, vcc
	v_cndmask_b32_e32 v26, v26, v25, vcc
	v_cndmask_b32_e64 v24, v24, v6, s[80:81]
	v_cndmask_b32_e64 v6, v26, v6, s[80:81]
	v_cmp_neq_f32_e32 vcc, v24, v6
	v_cmp_class_f32_e64 s[0:1], v24, s4
	s_or_b64 s[2:3], vcc, s[0:1]
	s_and_saveexec_b64 s[0:1], s[2:3]
	s_cbranch_execz .LBB462_160
; %bb.159:
	v_sub_f32_e32 v24, v24, v6
	s_mov_b32 s2, 0x3fb8aa3b
	v_mul_f32_e32 v25, 0x3fb8aa3b, v24
	v_fma_f32 v26, v24, s2, -v25
	v_rndne_f32_e32 v27, v25
	v_fmac_f32_e32 v26, 0x32a5705f, v24
	v_sub_f32_e32 v25, v25, v27
	v_add_f32_e32 v25, v25, v26
	v_exp_f32_e32 v25, v25
	v_cvt_i32_f32_e32 v26, v27
	s_mov_b32 s2, 0xc2ce8ed0
	v_cmp_ngt_f32_e32 vcc, s2, v24
	s_mov_b32 s2, 0x42b17218
	v_ldexp_f32 v25, v25, v26
	v_cndmask_b32_e32 v25, 0, v25, vcc
	v_mov_b32_e32 v26, 0x7f800000
	v_cmp_nlt_f32_e32 vcc, s2, v24
	v_cndmask_b32_e32 v38, v26, v25, vcc
	v_add_f32_e32 v26, 1.0, v38
	v_add_f32_e32 v24, -1.0, v26
	v_sub_f32_e32 v25, v24, v26
	v_add_f32_e32 v25, 1.0, v25
	v_sub_f32_e32 v24, v38, v24
	v_add_f32_e32 v27, v24, v25
	v_frexp_mant_f32_e32 v28, v26
	s_mov_b32 s2, 0x3f2aaaab
	v_cvt_f64_f32_e32 v[24:25], v26
	v_frexp_exp_i32_f64_e32 v24, v[24:25]
	v_cmp_gt_f32_e32 vcc, s2, v28
	v_subbrev_co_u32_e32 v32, vcc, 0, v24, vcc
	v_sub_u32_e32 v24, 0, v32
	v_ldexp_f32 v25, v26, v24
	v_add_f32_e32 v26, -1.0, v25
	v_add_f32_e32 v28, 1.0, v25
	v_ldexp_f32 v24, v27, v24
	v_add_f32_e32 v27, 1.0, v26
	v_add_f32_e32 v29, -1.0, v28
	v_sub_f32_e32 v27, v25, v27
	v_sub_f32_e32 v25, v25, v29
	v_add_f32_e32 v27, v24, v27
	v_add_f32_e32 v24, v24, v25
	;; [unrolled: 1-line block ×3, first 2 shown]
	v_rcp_f32_e32 v35, v33
	v_sub_f32_e32 v25, v28, v33
	v_add_f32_e32 v34, v24, v25
	v_add_f32_e32 v25, v26, v27
	v_mul_f32_e32 v37, v25, v35
	v_sub_f32_e32 v24, v26, v25
	v_mul_f32_e32 v26, v33, v37
	v_fma_f32 v28, v37, v33, -v26
	v_fmac_f32_e32 v28, v37, v34
	v_add_f32_e32 v36, v27, v24
	v_add_f32_e32 v24, v26, v28
	v_sub_f32_e32 v27, v25, v24
	v_pk_add_f32 v[30:31], v[24:25], v[26:27] neg_lo:[0,1] neg_hi:[0,1]
	v_mov_b32_e32 v29, v24
	v_pk_add_f32 v[24:25], v[30:31], v[28:29] neg_lo:[0,1] neg_hi:[0,1]
	v_add_f32_e32 v25, v36, v25
	v_add_f32_e32 v24, v24, v25
	;; [unrolled: 1-line block ×3, first 2 shown]
	v_mul_f32_e32 v36, v35, v25
	v_mul_f32_e32 v26, v33, v36
	v_fma_f32 v28, v36, v33, -v26
	v_fmac_f32_e32 v28, v36, v34
	v_sub_f32_e32 v27, v27, v25
	v_add_f32_e32 v33, v24, v27
	v_add_f32_e32 v24, v26, v28
	v_sub_f32_e32 v27, v25, v24
	v_pk_add_f32 v[30:31], v[24:25], v[26:27] neg_lo:[0,1] neg_hi:[0,1]
	v_mov_b32_e32 v29, v24
	v_pk_add_f32 v[24:25], v[30:31], v[28:29] neg_lo:[0,1] neg_hi:[0,1]
	v_add_f32_e32 v25, v33, v25
	v_add_f32_e32 v24, v24, v25
	;; [unrolled: 1-line block ×4, first 2 shown]
	v_sub_f32_e32 v25, v27, v37
	v_mul_f32_e32 v24, v35, v24
	v_sub_f32_e32 v25, v36, v25
	v_add_f32_e32 v24, v25, v24
	v_add_f32_e32 v28, v27, v24
	v_mul_f32_e32 v30, v28, v28
	v_mov_b32_e32 v26, 0x3ecc95a3
	v_fmac_f32_e32 v26, 0x3e9b6dac, v30
	v_mov_b32_e32 v25, 0x3f2aaada
	v_fmac_f32_e32 v25, v30, v26
	v_cvt_f32_i32_e32 v26, v32
	v_sub_f32_e32 v27, v28, v27
	v_sub_f32_e32 v24, v24, v27
	v_ldexp_f32 v31, v24, 1
	v_mul_f32_e32 v27, v28, v30
	v_mov_b32_e32 v24, 0x3f317218
	s_mov_b32 s2, 0x3f317218
	v_pk_mul_f32 v[24:25], v[26:27], v[24:25]
	v_ldexp_f32 v29, v28, 1
	v_fma_f32 v28, v26, s2, -v24
	v_fmac_f32_e32 v28, 0xb102e308, v26
	v_pk_add_f32 v[26:27], v[24:25], v[28:29]
	v_sub_f32_e32 v29, v27, v29
	v_sub_f32_e32 v29, v25, v29
	v_add_f32_e32 v31, v31, v29
	v_mov_b32_e32 v30, v24
	v_pk_add_f32 v[24:25], v[26:27], v[24:25] neg_lo:[0,1] neg_hi:[0,1]
	v_pk_add_f32 v[32:33], v[26:27], v[30:31]
	v_mov_b32_e32 v25, v33
	v_mov_b32_e32 v29, v26
	v_pk_add_f32 v[34:35], v[28:29], v[24:25] neg_lo:[0,1] neg_hi:[0,1]
	v_pk_add_f32 v[24:25], v[28:29], v[24:25]
	v_mov_b32_e32 v28, v25
	v_pk_add_f32 v[36:37], v[28:29], v[26:27] neg_lo:[0,1] neg_hi:[0,1]
	v_mov_b32_e32 v29, v36
	v_pk_add_f32 v[40:41], v[32:33], v[28:29] neg_lo:[0,1] neg_hi:[0,1]
	v_mov_b32_e32 v24, v33
	v_mov_b32_e32 v32, v27
	;; [unrolled: 1-line block ×4, first 2 shown]
	v_pk_add_f32 v[24:25], v[24:25], v[32:33] neg_lo:[0,1] neg_hi:[0,1]
	v_mov_b32_e32 v30, v31
	v_mov_b32_e32 v31, v26
	v_pk_add_f32 v[24:25], v[30:31], v[24:25] neg_lo:[0,1] neg_hi:[0,1]
	v_mov_b32_e32 v40, v34
	v_pk_add_f32 v[26:27], v[40:41], v[24:25]
	v_mov_b32_e32 v30, v27
	v_pk_add_f32 v[30:31], v[26:27], v[30:31]
	v_pk_add_f32 v[28:29], v[28:29], v[30:31]
	v_mov_b32_e32 v27, v28
	v_pk_add_f32 v[32:33], v[26:27], v[34:35] neg_lo:[0,1] neg_hi:[0,1]
	v_mov_b32_e32 v25, v30
	v_sub_f32_e32 v26, v26, v32
	v_pk_add_f32 v[24:25], v[24:25], v[32:33] neg_lo:[0,1] neg_hi:[0,1]
	v_sub_f32_e32 v26, v34, v26
	s_mov_b32 s3, 0x7f800000
	v_add_f32_e32 v24, v24, v26
	s_mov_b32 s2, 0x33800000
	v_add_f32_e32 v24, v24, v25
	v_cmp_eq_f32_e32 vcc, s3, v38
	v_cmp_lt_f32_e64 s[2:3], |v38|, s2
	v_add_f32_e32 v24, v28, v24
	s_or_b64 vcc, vcc, s[2:3]
	v_cndmask_b32_e32 v24, v24, v38, vcc
	v_add_f32_e32 v25, v6, v24
.LBB462_160:
	s_or_b64 exec, exec, s[0:1]
	v_bfe_u32 v6, v25, 16, 1
	v_add3_u32 v6, v25, v6, s5
	v_lshrrev_b32_e32 v6, 16, v6
	v_mov_b32_e32 v24, 0x7fc0
	v_cmp_o_f32_e32 vcc, v25, v25
	v_cndmask_b32_e32 v6, v24, v6, vcc
	v_lshlrev_b32_e32 v26, 16, v6
	v_max_f32_e32 v25, v26, v26
	v_min_f32_e32 v27, v25, v43
	v_cmp_u_f32_e32 vcc, v26, v26
	v_max_f32_e32 v25, v25, v43
	v_cndmask_b32_e32 v27, v27, v26, vcc
	v_cndmask_b32_e32 v25, v25, v26, vcc
	v_cndmask_b32_e64 v27, v27, v39, s[82:83]
	v_cndmask_b32_e64 v25, v25, v39, s[82:83]
	v_cmp_neq_f32_e32 vcc, v27, v25
	v_cmp_class_f32_e64 s[0:1], v27, s4
	s_or_b64 s[2:3], vcc, s[0:1]
	s_and_saveexec_b64 s[0:1], s[2:3]
	s_cbranch_execz .LBB462_162
; %bb.161:
	v_sub_f32_e32 v26, v27, v25
	s_mov_b32 s2, 0x3fb8aa3b
	v_mul_f32_e32 v27, 0x3fb8aa3b, v26
	v_fma_f32 v28, v26, s2, -v27
	v_rndne_f32_e32 v29, v27
	v_fmac_f32_e32 v28, 0x32a5705f, v26
	v_sub_f32_e32 v27, v27, v29
	v_add_f32_e32 v27, v27, v28
	v_exp_f32_e32 v27, v27
	v_cvt_i32_f32_e32 v28, v29
	s_mov_b32 s2, 0xc2ce8ed0
	v_cmp_ngt_f32_e32 vcc, s2, v26
	s_mov_b32 s2, 0x42b17218
	v_ldexp_f32 v27, v27, v28
	v_cndmask_b32_e32 v27, 0, v27, vcc
	v_mov_b32_e32 v28, 0x7f800000
	v_cmp_nlt_f32_e32 vcc, s2, v26
	v_cndmask_b32_e32 v43, v28, v27, vcc
	v_add_f32_e32 v28, 1.0, v43
	v_add_f32_e32 v26, -1.0, v28
	v_sub_f32_e32 v27, v26, v28
	v_add_f32_e32 v27, 1.0, v27
	v_sub_f32_e32 v26, v43, v26
	v_add_f32_e32 v29, v26, v27
	v_frexp_mant_f32_e32 v30, v28
	s_mov_b32 s2, 0x3f2aaaab
	v_cvt_f64_f32_e32 v[26:27], v28
	v_frexp_exp_i32_f64_e32 v26, v[26:27]
	v_cmp_gt_f32_e32 vcc, s2, v30
	v_subbrev_co_u32_e32 v34, vcc, 0, v26, vcc
	v_sub_u32_e32 v26, 0, v34
	v_ldexp_f32 v27, v28, v26
	v_add_f32_e32 v28, -1.0, v27
	v_add_f32_e32 v30, 1.0, v27
	v_ldexp_f32 v26, v29, v26
	v_add_f32_e32 v29, 1.0, v28
	v_add_f32_e32 v31, -1.0, v30
	v_sub_f32_e32 v29, v27, v29
	v_sub_f32_e32 v27, v27, v31
	v_add_f32_e32 v29, v26, v29
	v_add_f32_e32 v26, v26, v27
	;; [unrolled: 1-line block ×3, first 2 shown]
	v_rcp_f32_e32 v37, v35
	v_sub_f32_e32 v27, v30, v35
	v_add_f32_e32 v36, v26, v27
	v_add_f32_e32 v27, v28, v29
	v_mul_f32_e32 v39, v27, v37
	v_sub_f32_e32 v26, v28, v27
	v_mul_f32_e32 v28, v35, v39
	v_fma_f32 v30, v39, v35, -v28
	v_fmac_f32_e32 v30, v39, v36
	v_add_f32_e32 v38, v29, v26
	v_add_f32_e32 v26, v28, v30
	v_sub_f32_e32 v29, v27, v26
	v_pk_add_f32 v[32:33], v[26:27], v[28:29] neg_lo:[0,1] neg_hi:[0,1]
	v_mov_b32_e32 v31, v26
	v_pk_add_f32 v[26:27], v[32:33], v[30:31] neg_lo:[0,1] neg_hi:[0,1]
	v_add_f32_e32 v27, v38, v27
	v_add_f32_e32 v26, v26, v27
	v_add_f32_e32 v27, v29, v26
	v_mul_f32_e32 v38, v37, v27
	v_mul_f32_e32 v28, v35, v38
	v_fma_f32 v30, v38, v35, -v28
	v_fmac_f32_e32 v30, v38, v36
	v_sub_f32_e32 v29, v29, v27
	v_add_f32_e32 v35, v26, v29
	v_add_f32_e32 v26, v28, v30
	v_sub_f32_e32 v29, v27, v26
	v_pk_add_f32 v[32:33], v[26:27], v[28:29] neg_lo:[0,1] neg_hi:[0,1]
	v_mov_b32_e32 v31, v26
	v_pk_add_f32 v[26:27], v[32:33], v[30:31] neg_lo:[0,1] neg_hi:[0,1]
	v_add_f32_e32 v27, v35, v27
	v_add_f32_e32 v26, v26, v27
	;; [unrolled: 1-line block ×4, first 2 shown]
	v_sub_f32_e32 v27, v29, v39
	v_mul_f32_e32 v26, v37, v26
	v_sub_f32_e32 v27, v38, v27
	v_add_f32_e32 v26, v27, v26
	v_add_f32_e32 v30, v29, v26
	v_mul_f32_e32 v32, v30, v30
	v_mov_b32_e32 v28, 0x3ecc95a3
	v_fmac_f32_e32 v28, 0x3e9b6dac, v32
	v_mov_b32_e32 v27, 0x3f2aaada
	v_fmac_f32_e32 v27, v32, v28
	v_cvt_f32_i32_e32 v28, v34
	v_sub_f32_e32 v29, v30, v29
	v_sub_f32_e32 v26, v26, v29
	v_ldexp_f32 v33, v26, 1
	v_mul_f32_e32 v29, v30, v32
	v_mov_b32_e32 v26, 0x3f317218
	s_mov_b32 s2, 0x3f317218
	v_pk_mul_f32 v[26:27], v[28:29], v[26:27]
	v_ldexp_f32 v31, v30, 1
	v_fma_f32 v30, v28, s2, -v26
	v_fmac_f32_e32 v30, 0xb102e308, v28
	v_pk_add_f32 v[28:29], v[26:27], v[30:31]
	v_sub_f32_e32 v31, v29, v31
	v_sub_f32_e32 v31, v27, v31
	v_add_f32_e32 v33, v33, v31
	v_mov_b32_e32 v32, v26
	v_pk_add_f32 v[26:27], v[28:29], v[26:27] neg_lo:[0,1] neg_hi:[0,1]
	v_pk_add_f32 v[34:35], v[28:29], v[32:33]
	v_mov_b32_e32 v27, v35
	v_mov_b32_e32 v31, v28
	v_pk_add_f32 v[36:37], v[30:31], v[26:27] neg_lo:[0,1] neg_hi:[0,1]
	v_pk_add_f32 v[26:27], v[30:31], v[26:27]
	v_mov_b32_e32 v30, v27
	v_pk_add_f32 v[38:39], v[30:31], v[28:29] neg_lo:[0,1] neg_hi:[0,1]
	v_mov_b32_e32 v31, v38
	v_pk_add_f32 v[40:41], v[34:35], v[30:31] neg_lo:[0,1] neg_hi:[0,1]
	v_mov_b32_e32 v26, v35
	v_mov_b32_e32 v34, v29
	;; [unrolled: 1-line block ×4, first 2 shown]
	v_pk_add_f32 v[26:27], v[26:27], v[34:35] neg_lo:[0,1] neg_hi:[0,1]
	v_mov_b32_e32 v32, v33
	v_mov_b32_e32 v33, v28
	v_pk_add_f32 v[26:27], v[32:33], v[26:27] neg_lo:[0,1] neg_hi:[0,1]
	v_mov_b32_e32 v40, v36
	v_pk_add_f32 v[28:29], v[40:41], v[26:27]
	v_mov_b32_e32 v32, v29
	v_pk_add_f32 v[32:33], v[28:29], v[32:33]
	v_pk_add_f32 v[30:31], v[30:31], v[32:33]
	v_mov_b32_e32 v29, v30
	v_pk_add_f32 v[34:35], v[28:29], v[36:37] neg_lo:[0,1] neg_hi:[0,1]
	v_mov_b32_e32 v27, v32
	v_sub_f32_e32 v28, v28, v34
	v_pk_add_f32 v[26:27], v[26:27], v[34:35] neg_lo:[0,1] neg_hi:[0,1]
	v_sub_f32_e32 v28, v36, v28
	s_mov_b32 s3, 0x7f800000
	v_add_f32_e32 v26, v26, v28
	s_mov_b32 s2, 0x33800000
	v_add_f32_e32 v26, v26, v27
	v_cmp_eq_f32_e32 vcc, s3, v43
	v_cmp_lt_f32_e64 s[2:3], |v43|, s2
	v_add_f32_e32 v26, v30, v26
	s_or_b64 vcc, vcc, s[2:3]
	v_cndmask_b32_e32 v26, v26, v43, vcc
	v_add_f32_e32 v26, v25, v26
.LBB462_162:
	s_or_b64 exec, exec, s[0:1]
	v_bfe_u32 v25, v26, 16, 1
	v_add3_u32 v25, v26, v25, s5
	v_lshrrev_b32_e32 v25, 16, v25
	v_cmp_o_f32_e32 vcc, v26, v26
	v_cndmask_b32_e32 v24, v24, v25, vcc
	v_lshlrev_b32_e32 v26, 16, v24
	v_max_f32_e32 v27, v26, v26
	v_min_f32_e32 v25, v27, v44
	v_cmp_u_f32_e32 vcc, v26, v26
	v_max_f32_e32 v27, v27, v44
	v_cndmask_b32_e32 v25, v25, v26, vcc
	v_cndmask_b32_e32 v27, v27, v26, vcc
	v_cndmask_b32_e64 v25, v25, v7, s[84:85]
	v_cndmask_b32_e64 v7, v27, v7, s[84:85]
	v_cmp_neq_f32_e32 vcc, v25, v7
	v_cmp_class_f32_e64 s[0:1], v25, s4
	s_or_b64 s[2:3], vcc, s[0:1]
	s_and_saveexec_b64 s[0:1], s[2:3]
	s_cbranch_execz .LBB462_164
; %bb.163:
	v_sub_f32_e32 v25, v25, v7
	s_mov_b32 s2, 0x3fb8aa3b
	v_mul_f32_e32 v26, 0x3fb8aa3b, v25
	v_fma_f32 v27, v25, s2, -v26
	v_rndne_f32_e32 v28, v26
	v_fmac_f32_e32 v27, 0x32a5705f, v25
	v_sub_f32_e32 v26, v26, v28
	v_add_f32_e32 v26, v26, v27
	v_exp_f32_e32 v26, v26
	v_cvt_i32_f32_e32 v27, v28
	s_mov_b32 s2, 0xc2ce8ed0
	v_cmp_ngt_f32_e32 vcc, s2, v25
	s_mov_b32 s2, 0x42b17218
	v_ldexp_f32 v26, v26, v27
	v_cndmask_b32_e32 v26, 0, v26, vcc
	v_mov_b32_e32 v27, 0x7f800000
	v_cmp_nlt_f32_e32 vcc, s2, v25
	v_cndmask_b32_e32 v43, v27, v26, vcc
	v_add_f32_e32 v25, 1.0, v43
	v_add_f32_e32 v26, -1.0, v25
	v_sub_f32_e32 v27, v26, v25
	v_add_f32_e32 v27, 1.0, v27
	v_sub_f32_e32 v26, v43, v26
	v_add_f32_e32 v28, v26, v27
	v_frexp_mant_f32_e32 v29, v25
	s_mov_b32 s2, 0x3f2aaaab
	v_cvt_f64_f32_e32 v[26:27], v25
	v_frexp_exp_i32_f64_e32 v26, v[26:27]
	v_cmp_gt_f32_e32 vcc, s2, v29
	v_subbrev_co_u32_e32 v34, vcc, 0, v26, vcc
	v_sub_u32_e32 v26, 0, v34
	v_ldexp_f32 v25, v25, v26
	v_ldexp_f32 v26, v28, v26
	v_add_f32_e32 v28, -1.0, v25
	v_add_f32_e32 v27, 1.0, v28
	v_sub_f32_e32 v27, v25, v27
	v_add_f32_e32 v29, v26, v27
	v_add_f32_e32 v27, 1.0, v25
	v_add_f32_e32 v30, -1.0, v27
	v_sub_f32_e32 v25, v25, v30
	v_add_f32_e32 v25, v26, v25
	v_add_f32_e32 v35, v27, v25
	v_rcp_f32_e32 v36, v35
	v_sub_f32_e32 v26, v27, v35
	v_add_f32_e32 v27, v28, v29
	v_add_f32_e32 v25, v25, v26
	v_mul_f32_e32 v38, v27, v36
	v_sub_f32_e32 v26, v28, v27
	v_mul_f32_e32 v28, v35, v38
	v_fma_f32 v30, v38, v35, -v28
	v_fmac_f32_e32 v30, v38, v25
	v_add_f32_e32 v37, v29, v26
	v_add_f32_e32 v26, v28, v30
	v_sub_f32_e32 v29, v27, v26
	v_pk_add_f32 v[32:33], v[26:27], v[28:29] neg_lo:[0,1] neg_hi:[0,1]
	v_mov_b32_e32 v31, v26
	v_pk_add_f32 v[26:27], v[32:33], v[30:31] neg_lo:[0,1] neg_hi:[0,1]
	v_add_f32_e32 v27, v37, v27
	v_add_f32_e32 v26, v26, v27
	v_add_f32_e32 v27, v29, v26
	v_mul_f32_e32 v37, v36, v27
	v_mul_f32_e32 v28, v35, v37
	v_fma_f32 v30, v37, v35, -v28
	v_fmac_f32_e32 v30, v37, v25
	v_sub_f32_e32 v25, v29, v27
	v_add_f32_e32 v25, v26, v25
	v_add_f32_e32 v26, v28, v30
	v_sub_f32_e32 v29, v27, v26
	v_pk_add_f32 v[32:33], v[26:27], v[28:29] neg_lo:[0,1] neg_hi:[0,1]
	v_mov_b32_e32 v31, v26
	v_pk_add_f32 v[26:27], v[32:33], v[30:31] neg_lo:[0,1] neg_hi:[0,1]
	v_add_f32_e32 v25, v25, v27
	v_add_f32_e32 v25, v26, v25
	;; [unrolled: 1-line block ×4, first 2 shown]
	v_sub_f32_e32 v27, v26, v38
	v_mul_f32_e32 v25, v36, v25
	v_sub_f32_e32 v27, v37, v27
	v_add_f32_e32 v25, v27, v25
	v_add_f32_e32 v29, v26, v25
	v_mul_f32_e32 v30, v29, v29
	v_mov_b32_e32 v28, 0x3ecc95a3
	v_fmac_f32_e32 v28, 0x3e9b6dac, v30
	v_mov_b32_e32 v27, 0x3f2aaada
	v_fmac_f32_e32 v27, v30, v28
	v_cvt_f32_i32_e32 v28, v34
	v_sub_f32_e32 v26, v29, v26
	v_sub_f32_e32 v25, v25, v26
	v_ldexp_f32 v31, v29, 1
	v_mul_f32_e32 v29, v29, v30
	v_mov_b32_e32 v26, 0x3f317218
	s_mov_b32 s2, 0x3f317218
	v_pk_mul_f32 v[26:27], v[28:29], v[26:27]
	v_fma_f32 v30, v28, s2, -v26
	v_fmac_f32_e32 v30, 0xb102e308, v28
	v_pk_add_f32 v[28:29], v[26:27], v[30:31]
	v_sub_f32_e32 v31, v29, v31
	v_ldexp_f32 v25, v25, 1
	v_sub_f32_e32 v31, v27, v31
	v_add_f32_e32 v33, v25, v31
	v_mov_b32_e32 v32, v26
	v_pk_add_f32 v[26:27], v[28:29], v[26:27] neg_lo:[0,1] neg_hi:[0,1]
	v_pk_add_f32 v[34:35], v[28:29], v[32:33]
	v_mov_b32_e32 v27, v35
	v_mov_b32_e32 v31, v28
	v_pk_add_f32 v[36:37], v[30:31], v[26:27] neg_lo:[0,1] neg_hi:[0,1]
	v_pk_add_f32 v[26:27], v[30:31], v[26:27]
	v_mov_b32_e32 v30, v27
	v_pk_add_f32 v[38:39], v[30:31], v[28:29] neg_lo:[0,1] neg_hi:[0,1]
	v_mov_b32_e32 v25, v38
	v_pk_add_f32 v[40:41], v[34:35], v[24:25] neg_lo:[0,1] neg_hi:[0,1]
	v_mov_b32_e32 v26, v35
	v_mov_b32_e32 v34, v29
	;; [unrolled: 1-line block ×4, first 2 shown]
	v_pk_add_f32 v[26:27], v[26:27], v[34:35] neg_lo:[0,1] neg_hi:[0,1]
	v_mov_b32_e32 v32, v33
	v_mov_b32_e32 v33, v28
	v_pk_add_f32 v[26:27], v[32:33], v[26:27] neg_lo:[0,1] neg_hi:[0,1]
	v_mov_b32_e32 v40, v36
	v_pk_add_f32 v[28:29], v[40:41], v[26:27]
	v_mov_b32_e32 v32, v29
	v_pk_add_f32 v[32:33], v[28:29], v[32:33]
	v_pk_add_f32 v[30:31], v[30:31], v[32:33]
	v_mov_b32_e32 v29, v30
	v_pk_add_f32 v[34:35], v[28:29], v[36:37] neg_lo:[0,1] neg_hi:[0,1]
	v_mov_b32_e32 v27, v32
	v_sub_f32_e32 v25, v28, v34
	v_pk_add_f32 v[26:27], v[26:27], v[34:35] neg_lo:[0,1] neg_hi:[0,1]
	v_sub_f32_e32 v25, v36, v25
	s_mov_b32 s3, 0x7f800000
	v_add_f32_e32 v25, v26, v25
	s_mov_b32 s2, 0x33800000
	v_add_f32_e32 v25, v25, v27
	v_cmp_eq_f32_e32 vcc, s3, v43
	v_cmp_lt_f32_e64 s[2:3], |v43|, s2
	v_add_f32_e32 v25, v30, v25
	s_or_b64 vcc, vcc, s[2:3]
	v_cndmask_b32_e32 v25, v25, v43, vcc
	v_add_f32_e32 v26, v7, v25
.LBB462_164:
	s_or_b64 exec, exec, s[0:1]
	v_bfe_u32 v7, v26, 16, 1
	v_add3_u32 v7, v26, v7, s5
	v_lshrrev_b32_e32 v7, 16, v7
	v_mov_b32_e32 v25, 0x7fc0
	v_cmp_o_f32_e32 vcc, v26, v26
	v_cndmask_b32_e32 v7, v25, v7, vcc
	v_lshlrev_b32_e32 v27, 16, v7
	v_max_f32_e32 v26, v27, v27
	v_min_f32_e32 v28, v26, v46
	v_cmp_u_f32_e32 vcc, v27, v27
	v_max_f32_e32 v26, v26, v46
	v_cndmask_b32_e32 v28, v28, v27, vcc
	v_cndmask_b32_e32 v26, v26, v27, vcc
	v_cndmask_b32_e64 v28, v28, v42, s[86:87]
	v_cndmask_b32_e64 v26, v26, v42, s[86:87]
	v_cmp_neq_f32_e32 vcc, v28, v26
	v_cmp_class_f32_e64 s[0:1], v28, s4
	s_or_b64 s[2:3], vcc, s[0:1]
	s_and_saveexec_b64 s[0:1], s[2:3]
	s_cbranch_execz .LBB462_166
; %bb.165:
	v_sub_f32_e32 v27, v28, v26
	s_mov_b32 s2, 0x3fb8aa3b
	v_mul_f32_e32 v28, 0x3fb8aa3b, v27
	v_fma_f32 v29, v27, s2, -v28
	v_rndne_f32_e32 v30, v28
	v_fmac_f32_e32 v29, 0x32a5705f, v27
	v_sub_f32_e32 v28, v28, v30
	v_add_f32_e32 v28, v28, v29
	v_exp_f32_e32 v28, v28
	v_cvt_i32_f32_e32 v29, v30
	s_mov_b32 s2, 0xc2ce8ed0
	v_cmp_ngt_f32_e32 vcc, s2, v27
	s_mov_b32 s2, 0x42b17218
	v_ldexp_f32 v28, v28, v29
	v_cndmask_b32_e32 v28, 0, v28, vcc
	v_mov_b32_e32 v29, 0x7f800000
	v_cmp_nlt_f32_e32 vcc, s2, v27
	v_cndmask_b32_e32 v44, v29, v28, vcc
	v_add_f32_e32 v27, 1.0, v44
	v_add_f32_e32 v28, -1.0, v27
	v_sub_f32_e32 v29, v28, v27
	v_add_f32_e32 v29, 1.0, v29
	v_sub_f32_e32 v28, v44, v28
	v_add_f32_e32 v30, v28, v29
	v_frexp_mant_f32_e32 v31, v27
	s_mov_b32 s2, 0x3f2aaaab
	v_cvt_f64_f32_e32 v[28:29], v27
	v_frexp_exp_i32_f64_e32 v28, v[28:29]
	v_cmp_gt_f32_e32 vcc, s2, v31
	v_subbrev_co_u32_e32 v36, vcc, 0, v28, vcc
	v_sub_u32_e32 v28, 0, v36
	v_ldexp_f32 v27, v27, v28
	v_ldexp_f32 v28, v30, v28
	v_add_f32_e32 v30, -1.0, v27
	v_add_f32_e32 v29, 1.0, v30
	v_sub_f32_e32 v29, v27, v29
	v_add_f32_e32 v31, v28, v29
	v_add_f32_e32 v29, 1.0, v27
	v_add_f32_e32 v32, -1.0, v29
	v_sub_f32_e32 v27, v27, v32
	v_add_f32_e32 v27, v28, v27
	v_add_f32_e32 v37, v29, v27
	v_rcp_f32_e32 v38, v37
	v_sub_f32_e32 v28, v29, v37
	v_add_f32_e32 v29, v30, v31
	v_add_f32_e32 v27, v27, v28
	v_mul_f32_e32 v40, v29, v38
	v_sub_f32_e32 v28, v30, v29
	v_mul_f32_e32 v30, v37, v40
	v_fma_f32 v32, v40, v37, -v30
	v_fmac_f32_e32 v32, v40, v27
	v_add_f32_e32 v39, v31, v28
	v_add_f32_e32 v28, v30, v32
	v_sub_f32_e32 v31, v29, v28
	v_pk_add_f32 v[34:35], v[28:29], v[30:31] neg_lo:[0,1] neg_hi:[0,1]
	v_mov_b32_e32 v33, v28
	v_pk_add_f32 v[28:29], v[34:35], v[32:33] neg_lo:[0,1] neg_hi:[0,1]
	v_add_f32_e32 v29, v39, v29
	v_add_f32_e32 v28, v28, v29
	;; [unrolled: 1-line block ×3, first 2 shown]
	v_mul_f32_e32 v39, v38, v29
	v_mul_f32_e32 v30, v37, v39
	v_fma_f32 v32, v39, v37, -v30
	v_fmac_f32_e32 v32, v39, v27
	v_sub_f32_e32 v27, v31, v29
	v_add_f32_e32 v27, v28, v27
	v_add_f32_e32 v28, v30, v32
	v_sub_f32_e32 v31, v29, v28
	v_pk_add_f32 v[34:35], v[28:29], v[30:31] neg_lo:[0,1] neg_hi:[0,1]
	v_mov_b32_e32 v33, v28
	v_pk_add_f32 v[28:29], v[34:35], v[32:33] neg_lo:[0,1] neg_hi:[0,1]
	v_add_f32_e32 v27, v27, v29
	v_add_f32_e32 v27, v28, v27
	;; [unrolled: 1-line block ×4, first 2 shown]
	v_sub_f32_e32 v29, v28, v40
	v_mul_f32_e32 v27, v38, v27
	v_sub_f32_e32 v29, v39, v29
	v_add_f32_e32 v27, v29, v27
	v_add_f32_e32 v31, v28, v27
	v_mul_f32_e32 v32, v31, v31
	v_mov_b32_e32 v30, 0x3ecc95a3
	v_fmac_f32_e32 v30, 0x3e9b6dac, v32
	v_mov_b32_e32 v29, 0x3f2aaada
	v_fmac_f32_e32 v29, v32, v30
	v_cvt_f32_i32_e32 v30, v36
	v_sub_f32_e32 v28, v31, v28
	v_sub_f32_e32 v27, v27, v28
	v_ldexp_f32 v33, v31, 1
	v_mul_f32_e32 v31, v31, v32
	v_mov_b32_e32 v28, 0x3f317218
	s_mov_b32 s2, 0x3f317218
	v_pk_mul_f32 v[28:29], v[30:31], v[28:29]
	v_fma_f32 v32, v30, s2, -v28
	v_fmac_f32_e32 v32, 0xb102e308, v30
	v_pk_add_f32 v[30:31], v[28:29], v[32:33]
	v_sub_f32_e32 v33, v31, v33
	v_ldexp_f32 v27, v27, 1
	v_sub_f32_e32 v33, v29, v33
	v_add_f32_e32 v35, v27, v33
	v_mov_b32_e32 v34, v28
	v_pk_add_f32 v[28:29], v[30:31], v[28:29] neg_lo:[0,1] neg_hi:[0,1]
	v_pk_add_f32 v[36:37], v[30:31], v[34:35]
	v_mov_b32_e32 v29, v37
	v_mov_b32_e32 v33, v30
	v_pk_add_f32 v[38:39], v[32:33], v[28:29] neg_lo:[0,1] neg_hi:[0,1]
	v_pk_add_f32 v[28:29], v[32:33], v[28:29]
	v_mov_b32_e32 v32, v29
	v_pk_add_f32 v[40:41], v[32:33], v[30:31] neg_lo:[0,1] neg_hi:[0,1]
	v_mov_b32_e32 v27, v40
	v_pk_add_f32 v[42:43], v[36:37], v[26:27] neg_lo:[0,1] neg_hi:[0,1]
	v_mov_b32_e32 v28, v37
	v_mov_b32_e32 v36, v31
	v_mov_b32_e32 v37, v40
	v_mov_b32_e32 v39, v29
	v_pk_add_f32 v[28:29], v[28:29], v[36:37] neg_lo:[0,1] neg_hi:[0,1]
	v_mov_b32_e32 v34, v35
	v_mov_b32_e32 v35, v30
	v_pk_add_f32 v[28:29], v[34:35], v[28:29] neg_lo:[0,1] neg_hi:[0,1]
	v_mov_b32_e32 v42, v38
	v_pk_add_f32 v[30:31], v[42:43], v[28:29]
	v_mov_b32_e32 v34, v31
	v_pk_add_f32 v[34:35], v[30:31], v[34:35]
	v_pk_add_f32 v[32:33], v[32:33], v[34:35]
	v_mov_b32_e32 v31, v32
	v_pk_add_f32 v[36:37], v[30:31], v[38:39] neg_lo:[0,1] neg_hi:[0,1]
	v_mov_b32_e32 v29, v34
	v_sub_f32_e32 v27, v30, v36
	v_pk_add_f32 v[28:29], v[28:29], v[36:37] neg_lo:[0,1] neg_hi:[0,1]
	v_sub_f32_e32 v27, v38, v27
	s_mov_b32 s3, 0x7f800000
	v_add_f32_e32 v27, v28, v27
	s_mov_b32 s2, 0x33800000
	v_add_f32_e32 v27, v27, v29
	v_cmp_eq_f32_e32 vcc, s3, v44
	v_cmp_lt_f32_e64 s[2:3], |v44|, s2
	v_add_f32_e32 v27, v32, v27
	s_or_b64 vcc, vcc, s[2:3]
	v_cndmask_b32_e32 v27, v27, v44, vcc
	v_add_f32_e32 v27, v26, v27
.LBB462_166:
	s_or_b64 exec, exec, s[0:1]
	v_bfe_u32 v26, v27, 16, 1
	v_add3_u32 v26, v27, v26, s5
	v_lshrrev_b32_e32 v26, 16, v26
	v_cmp_o_f32_e32 vcc, v27, v27
	v_cndmask_b32_e32 v25, v25, v26, vcc
	v_lshlrev_b32_e32 v27, 16, v25
	v_max_f32_e32 v28, v27, v27
	v_min_f32_e32 v26, v28, v47
	v_cmp_u_f32_e32 vcc, v27, v27
	v_max_f32_e32 v28, v28, v47
	v_cndmask_b32_e32 v26, v26, v27, vcc
	v_cndmask_b32_e32 v28, v28, v27, vcc
	v_cndmask_b32_e64 v26, v26, v8, s[88:89]
	v_cndmask_b32_e64 v8, v28, v8, s[88:89]
	v_cmp_neq_f32_e32 vcc, v26, v8
	v_cmp_class_f32_e64 s[0:1], v26, s4
	s_or_b64 s[2:3], vcc, s[0:1]
	s_and_saveexec_b64 s[0:1], s[2:3]
	s_cbranch_execz .LBB462_168
; %bb.167:
	v_sub_f32_e32 v26, v26, v8
	s_mov_b32 s2, 0x3fb8aa3b
	v_mul_f32_e32 v27, 0x3fb8aa3b, v26
	v_fma_f32 v28, v26, s2, -v27
	v_rndne_f32_e32 v29, v27
	v_fmac_f32_e32 v28, 0x32a5705f, v26
	v_sub_f32_e32 v27, v27, v29
	v_add_f32_e32 v27, v27, v28
	v_exp_f32_e32 v27, v27
	v_cvt_i32_f32_e32 v28, v29
	s_mov_b32 s2, 0xc2ce8ed0
	v_cmp_ngt_f32_e32 vcc, s2, v26
	s_mov_b32 s2, 0x42b17218
	v_ldexp_f32 v27, v27, v28
	v_cndmask_b32_e32 v27, 0, v27, vcc
	v_mov_b32_e32 v28, 0x7f800000
	v_cmp_nlt_f32_e32 vcc, s2, v26
	v_cndmask_b32_e32 v42, v28, v27, vcc
	v_add_f32_e32 v28, 1.0, v42
	v_add_f32_e32 v26, -1.0, v28
	v_sub_f32_e32 v27, v26, v28
	v_add_f32_e32 v27, 1.0, v27
	v_sub_f32_e32 v26, v42, v26
	v_add_f32_e32 v29, v26, v27
	v_frexp_mant_f32_e32 v30, v28
	s_mov_b32 s2, 0x3f2aaaab
	v_cvt_f64_f32_e32 v[26:27], v28
	v_frexp_exp_i32_f64_e32 v26, v[26:27]
	v_cmp_gt_f32_e32 vcc, s2, v30
	v_subbrev_co_u32_e32 v34, vcc, 0, v26, vcc
	v_sub_u32_e32 v26, 0, v34
	v_ldexp_f32 v27, v28, v26
	v_add_f32_e32 v28, -1.0, v27
	v_add_f32_e32 v30, 1.0, v27
	v_ldexp_f32 v26, v29, v26
	v_add_f32_e32 v29, 1.0, v28
	v_add_f32_e32 v31, -1.0, v30
	v_sub_f32_e32 v29, v27, v29
	v_sub_f32_e32 v27, v27, v31
	v_add_f32_e32 v29, v26, v29
	v_add_f32_e32 v26, v26, v27
	;; [unrolled: 1-line block ×3, first 2 shown]
	v_rcp_f32_e32 v37, v35
	v_sub_f32_e32 v27, v30, v35
	v_add_f32_e32 v36, v26, v27
	v_add_f32_e32 v27, v28, v29
	v_mul_f32_e32 v39, v27, v37
	v_sub_f32_e32 v26, v28, v27
	v_mul_f32_e32 v28, v35, v39
	v_fma_f32 v30, v39, v35, -v28
	v_fmac_f32_e32 v30, v39, v36
	v_add_f32_e32 v38, v29, v26
	v_add_f32_e32 v26, v28, v30
	v_sub_f32_e32 v29, v27, v26
	v_pk_add_f32 v[32:33], v[26:27], v[28:29] neg_lo:[0,1] neg_hi:[0,1]
	v_mov_b32_e32 v31, v26
	v_pk_add_f32 v[26:27], v[32:33], v[30:31] neg_lo:[0,1] neg_hi:[0,1]
	v_add_f32_e32 v27, v38, v27
	v_add_f32_e32 v26, v26, v27
	;; [unrolled: 1-line block ×3, first 2 shown]
	v_mul_f32_e32 v38, v37, v27
	v_mul_f32_e32 v28, v35, v38
	v_fma_f32 v30, v38, v35, -v28
	v_fmac_f32_e32 v30, v38, v36
	v_sub_f32_e32 v29, v29, v27
	v_add_f32_e32 v35, v26, v29
	v_add_f32_e32 v26, v28, v30
	v_sub_f32_e32 v29, v27, v26
	v_pk_add_f32 v[32:33], v[26:27], v[28:29] neg_lo:[0,1] neg_hi:[0,1]
	v_mov_b32_e32 v31, v26
	v_pk_add_f32 v[26:27], v[32:33], v[30:31] neg_lo:[0,1] neg_hi:[0,1]
	v_add_f32_e32 v27, v35, v27
	v_add_f32_e32 v26, v26, v27
	;; [unrolled: 1-line block ×4, first 2 shown]
	v_sub_f32_e32 v27, v29, v39
	v_mul_f32_e32 v26, v37, v26
	v_sub_f32_e32 v27, v38, v27
	v_add_f32_e32 v26, v27, v26
	v_add_f32_e32 v30, v29, v26
	v_mul_f32_e32 v32, v30, v30
	v_mov_b32_e32 v28, 0x3ecc95a3
	v_fmac_f32_e32 v28, 0x3e9b6dac, v32
	v_mov_b32_e32 v27, 0x3f2aaada
	v_fmac_f32_e32 v27, v32, v28
	v_cvt_f32_i32_e32 v28, v34
	v_sub_f32_e32 v29, v30, v29
	v_sub_f32_e32 v26, v26, v29
	v_ldexp_f32 v33, v26, 1
	v_mul_f32_e32 v29, v30, v32
	v_mov_b32_e32 v26, 0x3f317218
	s_mov_b32 s2, 0x3f317218
	v_pk_mul_f32 v[26:27], v[28:29], v[26:27]
	v_ldexp_f32 v31, v30, 1
	v_fma_f32 v30, v28, s2, -v26
	v_fmac_f32_e32 v30, 0xb102e308, v28
	v_pk_add_f32 v[28:29], v[26:27], v[30:31]
	v_sub_f32_e32 v31, v29, v31
	v_sub_f32_e32 v31, v27, v31
	v_add_f32_e32 v33, v33, v31
	v_mov_b32_e32 v32, v26
	v_pk_add_f32 v[26:27], v[28:29], v[26:27] neg_lo:[0,1] neg_hi:[0,1]
	v_pk_add_f32 v[34:35], v[28:29], v[32:33]
	v_mov_b32_e32 v27, v35
	v_mov_b32_e32 v31, v28
	v_pk_add_f32 v[36:37], v[30:31], v[26:27] neg_lo:[0,1] neg_hi:[0,1]
	v_pk_add_f32 v[26:27], v[30:31], v[26:27]
	v_mov_b32_e32 v30, v27
	v_pk_add_f32 v[38:39], v[30:31], v[28:29] neg_lo:[0,1] neg_hi:[0,1]
	v_mov_b32_e32 v31, v38
	v_pk_add_f32 v[40:41], v[34:35], v[30:31] neg_lo:[0,1] neg_hi:[0,1]
	v_mov_b32_e32 v26, v35
	v_mov_b32_e32 v34, v29
	;; [unrolled: 1-line block ×4, first 2 shown]
	v_pk_add_f32 v[26:27], v[26:27], v[34:35] neg_lo:[0,1] neg_hi:[0,1]
	v_mov_b32_e32 v32, v33
	v_mov_b32_e32 v33, v28
	v_pk_add_f32 v[26:27], v[32:33], v[26:27] neg_lo:[0,1] neg_hi:[0,1]
	v_mov_b32_e32 v40, v36
	v_pk_add_f32 v[28:29], v[40:41], v[26:27]
	v_mov_b32_e32 v32, v29
	v_pk_add_f32 v[32:33], v[28:29], v[32:33]
	v_pk_add_f32 v[30:31], v[30:31], v[32:33]
	v_mov_b32_e32 v29, v30
	v_pk_add_f32 v[34:35], v[28:29], v[36:37] neg_lo:[0,1] neg_hi:[0,1]
	v_mov_b32_e32 v27, v32
	v_sub_f32_e32 v28, v28, v34
	v_pk_add_f32 v[26:27], v[26:27], v[34:35] neg_lo:[0,1] neg_hi:[0,1]
	v_sub_f32_e32 v28, v36, v28
	s_mov_b32 s3, 0x7f800000
	v_add_f32_e32 v26, v26, v28
	s_mov_b32 s2, 0x33800000
	v_add_f32_e32 v26, v26, v27
	v_cmp_eq_f32_e32 vcc, s3, v42
	v_cmp_lt_f32_e64 s[2:3], |v42|, s2
	v_add_f32_e32 v26, v30, v26
	s_or_b64 vcc, vcc, s[2:3]
	v_cndmask_b32_e32 v26, v26, v42, vcc
	v_add_f32_e32 v27, v8, v26
.LBB462_168:
	s_or_b64 exec, exec, s[0:1]
	v_bfe_u32 v8, v27, 16, 1
	v_add3_u32 v8, v27, v8, s5
	v_lshrrev_b32_e32 v8, 16, v8
	v_mov_b32_e32 v26, 0x7fc0
	v_cmp_o_f32_e32 vcc, v27, v27
	v_cndmask_b32_e32 v8, v26, v8, vcc
	v_lshlrev_b32_e32 v28, 16, v8
	v_max_f32_e32 v27, v28, v28
	v_min_f32_e32 v29, v27, v48
	v_cmp_u_f32_e32 vcc, v28, v28
	v_max_f32_e32 v27, v27, v48
	v_cndmask_b32_e32 v29, v29, v28, vcc
	v_cndmask_b32_e32 v27, v27, v28, vcc
	v_cndmask_b32_e64 v29, v29, v45, s[90:91]
	v_cndmask_b32_e64 v27, v27, v45, s[90:91]
	v_cmp_neq_f32_e32 vcc, v29, v27
	v_cmp_class_f32_e64 s[0:1], v29, s4
	s_or_b64 s[2:3], vcc, s[0:1]
	s_and_saveexec_b64 s[0:1], s[2:3]
	s_cbranch_execz .LBB462_170
; %bb.169:
	v_sub_f32_e32 v28, v29, v27
	s_mov_b32 s2, 0x3fb8aa3b
	v_mul_f32_e32 v29, 0x3fb8aa3b, v28
	v_fma_f32 v30, v28, s2, -v29
	v_rndne_f32_e32 v31, v29
	v_fmac_f32_e32 v30, 0x32a5705f, v28
	v_sub_f32_e32 v29, v29, v31
	v_add_f32_e32 v29, v29, v30
	v_exp_f32_e32 v29, v29
	v_cvt_i32_f32_e32 v30, v31
	s_mov_b32 s2, 0xc2ce8ed0
	v_cmp_ngt_f32_e32 vcc, s2, v28
	s_mov_b32 s2, 0x42b17218
	v_ldexp_f32 v29, v29, v30
	v_cndmask_b32_e32 v29, 0, v29, vcc
	v_mov_b32_e32 v30, 0x7f800000
	v_cmp_nlt_f32_e32 vcc, s2, v28
	v_cndmask_b32_e32 v44, v30, v29, vcc
	v_add_f32_e32 v30, 1.0, v44
	v_add_f32_e32 v28, -1.0, v30
	v_sub_f32_e32 v29, v28, v30
	v_add_f32_e32 v29, 1.0, v29
	v_sub_f32_e32 v28, v44, v28
	v_add_f32_e32 v31, v28, v29
	v_frexp_mant_f32_e32 v32, v30
	s_mov_b32 s2, 0x3f2aaaab
	v_cvt_f64_f32_e32 v[28:29], v30
	v_frexp_exp_i32_f64_e32 v28, v[28:29]
	v_cmp_gt_f32_e32 vcc, s2, v32
	v_subbrev_co_u32_e32 v36, vcc, 0, v28, vcc
	v_sub_u32_e32 v28, 0, v36
	v_ldexp_f32 v29, v30, v28
	v_add_f32_e32 v30, -1.0, v29
	v_add_f32_e32 v32, 1.0, v29
	v_ldexp_f32 v28, v31, v28
	v_add_f32_e32 v31, 1.0, v30
	v_add_f32_e32 v33, -1.0, v32
	v_sub_f32_e32 v31, v29, v31
	v_sub_f32_e32 v29, v29, v33
	v_add_f32_e32 v31, v28, v31
	v_add_f32_e32 v28, v28, v29
	;; [unrolled: 1-line block ×3, first 2 shown]
	v_rcp_f32_e32 v39, v37
	v_sub_f32_e32 v29, v32, v37
	v_add_f32_e32 v38, v28, v29
	v_add_f32_e32 v29, v30, v31
	v_mul_f32_e32 v41, v29, v39
	v_sub_f32_e32 v28, v30, v29
	v_mul_f32_e32 v30, v37, v41
	v_fma_f32 v32, v41, v37, -v30
	v_fmac_f32_e32 v32, v41, v38
	v_add_f32_e32 v40, v31, v28
	v_add_f32_e32 v28, v30, v32
	v_sub_f32_e32 v31, v29, v28
	v_pk_add_f32 v[34:35], v[28:29], v[30:31] neg_lo:[0,1] neg_hi:[0,1]
	v_mov_b32_e32 v33, v28
	v_pk_add_f32 v[28:29], v[34:35], v[32:33] neg_lo:[0,1] neg_hi:[0,1]
	v_add_f32_e32 v29, v40, v29
	v_add_f32_e32 v28, v28, v29
	;; [unrolled: 1-line block ×3, first 2 shown]
	v_mul_f32_e32 v40, v39, v29
	v_mul_f32_e32 v30, v37, v40
	v_fma_f32 v32, v40, v37, -v30
	v_fmac_f32_e32 v32, v40, v38
	v_sub_f32_e32 v31, v31, v29
	v_add_f32_e32 v37, v28, v31
	v_add_f32_e32 v28, v30, v32
	v_sub_f32_e32 v31, v29, v28
	v_pk_add_f32 v[34:35], v[28:29], v[30:31] neg_lo:[0,1] neg_hi:[0,1]
	v_mov_b32_e32 v33, v28
	v_pk_add_f32 v[28:29], v[34:35], v[32:33] neg_lo:[0,1] neg_hi:[0,1]
	v_add_f32_e32 v29, v37, v29
	v_add_f32_e32 v28, v28, v29
	;; [unrolled: 1-line block ×4, first 2 shown]
	v_sub_f32_e32 v29, v31, v41
	v_mul_f32_e32 v28, v39, v28
	v_sub_f32_e32 v29, v40, v29
	v_add_f32_e32 v28, v29, v28
	v_add_f32_e32 v32, v31, v28
	v_mul_f32_e32 v34, v32, v32
	v_mov_b32_e32 v30, 0x3ecc95a3
	v_fmac_f32_e32 v30, 0x3e9b6dac, v34
	v_mov_b32_e32 v29, 0x3f2aaada
	v_fmac_f32_e32 v29, v34, v30
	v_cvt_f32_i32_e32 v30, v36
	v_sub_f32_e32 v31, v32, v31
	v_sub_f32_e32 v28, v28, v31
	v_ldexp_f32 v35, v28, 1
	v_mul_f32_e32 v31, v32, v34
	v_mov_b32_e32 v28, 0x3f317218
	s_mov_b32 s2, 0x3f317218
	v_pk_mul_f32 v[28:29], v[30:31], v[28:29]
	v_ldexp_f32 v33, v32, 1
	v_fma_f32 v32, v30, s2, -v28
	v_fmac_f32_e32 v32, 0xb102e308, v30
	v_pk_add_f32 v[30:31], v[28:29], v[32:33]
	v_sub_f32_e32 v33, v31, v33
	v_sub_f32_e32 v33, v29, v33
	v_add_f32_e32 v35, v35, v33
	v_mov_b32_e32 v34, v28
	v_pk_add_f32 v[28:29], v[30:31], v[28:29] neg_lo:[0,1] neg_hi:[0,1]
	v_pk_add_f32 v[36:37], v[30:31], v[34:35]
	v_mov_b32_e32 v29, v37
	v_mov_b32_e32 v33, v30
	v_pk_add_f32 v[38:39], v[32:33], v[28:29] neg_lo:[0,1] neg_hi:[0,1]
	v_pk_add_f32 v[28:29], v[32:33], v[28:29]
	v_mov_b32_e32 v32, v29
	v_pk_add_f32 v[40:41], v[32:33], v[30:31] neg_lo:[0,1] neg_hi:[0,1]
	v_mov_b32_e32 v33, v40
	v_pk_add_f32 v[42:43], v[36:37], v[32:33] neg_lo:[0,1] neg_hi:[0,1]
	v_mov_b32_e32 v28, v37
	v_mov_b32_e32 v36, v31
	;; [unrolled: 1-line block ×4, first 2 shown]
	v_pk_add_f32 v[28:29], v[28:29], v[36:37] neg_lo:[0,1] neg_hi:[0,1]
	v_mov_b32_e32 v34, v35
	v_mov_b32_e32 v35, v30
	v_pk_add_f32 v[28:29], v[34:35], v[28:29] neg_lo:[0,1] neg_hi:[0,1]
	v_mov_b32_e32 v42, v38
	v_pk_add_f32 v[30:31], v[42:43], v[28:29]
	v_mov_b32_e32 v34, v31
	v_pk_add_f32 v[34:35], v[30:31], v[34:35]
	v_pk_add_f32 v[32:33], v[32:33], v[34:35]
	v_mov_b32_e32 v31, v32
	v_pk_add_f32 v[36:37], v[30:31], v[38:39] neg_lo:[0,1] neg_hi:[0,1]
	v_mov_b32_e32 v29, v34
	v_sub_f32_e32 v30, v30, v36
	v_pk_add_f32 v[28:29], v[28:29], v[36:37] neg_lo:[0,1] neg_hi:[0,1]
	v_sub_f32_e32 v30, v38, v30
	s_mov_b32 s3, 0x7f800000
	v_add_f32_e32 v28, v28, v30
	s_mov_b32 s2, 0x33800000
	v_add_f32_e32 v28, v28, v29
	v_cmp_eq_f32_e32 vcc, s3, v44
	v_cmp_lt_f32_e64 s[2:3], |v44|, s2
	v_add_f32_e32 v28, v32, v28
	s_or_b64 vcc, vcc, s[2:3]
	v_cndmask_b32_e32 v28, v28, v44, vcc
	v_add_f32_e32 v28, v27, v28
.LBB462_170:
	s_or_b64 exec, exec, s[0:1]
	v_bfe_u32 v27, v28, 16, 1
	v_add3_u32 v27, v28, v27, s5
	v_lshrrev_b32_e32 v27, 16, v27
	v_cmp_o_f32_e32 vcc, v28, v28
	v_cndmask_b32_e32 v26, v26, v27, vcc
	v_lshlrev_b32_e32 v27, 16, v26
	v_max_f32_e32 v29, v27, v27
	v_min_f32_e32 v28, v29, v49
	v_cmp_u_f32_e32 vcc, v27, v27
	v_max_f32_e32 v29, v29, v49
	v_cndmask_b32_e32 v28, v28, v27, vcc
	v_cndmask_b32_e32 v29, v29, v27, vcc
	v_cndmask_b32_e64 v28, v28, v9, s[92:93]
	v_cndmask_b32_e64 v9, v29, v9, s[92:93]
	s_movk_i32 s0, 0x1f8
	v_cmp_neq_f32_e32 vcc, v28, v9
	v_cmp_class_f32_e64 s[0:1], v28, s0
	s_or_b64 s[2:3], vcc, s[0:1]
	s_and_saveexec_b64 s[0:1], s[2:3]
	s_cbranch_execz .LBB462_172
; %bb.171:
	v_sub_f32_e32 v27, v28, v9
	s_mov_b32 s2, 0x3fb8aa3b
	v_mul_f32_e32 v28, 0x3fb8aa3b, v27
	v_fma_f32 v29, v27, s2, -v28
	v_rndne_f32_e32 v30, v28
	v_fmac_f32_e32 v29, 0x32a5705f, v27
	v_sub_f32_e32 v28, v28, v30
	v_add_f32_e32 v28, v28, v29
	v_exp_f32_e32 v28, v28
	v_cvt_i32_f32_e32 v29, v30
	s_mov_b32 s2, 0xc2ce8ed0
	v_cmp_ngt_f32_e32 vcc, s2, v27
	s_mov_b32 s2, 0x42b17218
	v_ldexp_f32 v28, v28, v29
	v_cndmask_b32_e32 v28, 0, v28, vcc
	v_mov_b32_e32 v29, 0x7f800000
	v_cmp_nlt_f32_e32 vcc, s2, v27
	v_cndmask_b32_e32 v44, v29, v28, vcc
	v_add_f32_e32 v27, 1.0, v44
	v_add_f32_e32 v28, -1.0, v27
	v_sub_f32_e32 v29, v28, v27
	v_add_f32_e32 v29, 1.0, v29
	v_sub_f32_e32 v28, v44, v28
	v_add_f32_e32 v30, v28, v29
	v_frexp_mant_f32_e32 v31, v27
	s_mov_b32 s2, 0x3f2aaaab
	v_cvt_f64_f32_e32 v[28:29], v27
	v_frexp_exp_i32_f64_e32 v28, v[28:29]
	v_cmp_gt_f32_e32 vcc, s2, v31
	v_subbrev_co_u32_e32 v36, vcc, 0, v28, vcc
	v_sub_u32_e32 v28, 0, v36
	v_ldexp_f32 v27, v27, v28
	v_ldexp_f32 v28, v30, v28
	v_add_f32_e32 v30, -1.0, v27
	v_add_f32_e32 v29, 1.0, v30
	v_sub_f32_e32 v29, v27, v29
	v_add_f32_e32 v31, v28, v29
	v_add_f32_e32 v29, 1.0, v27
	v_add_f32_e32 v32, -1.0, v29
	v_sub_f32_e32 v27, v27, v32
	v_add_f32_e32 v27, v28, v27
	v_add_f32_e32 v37, v29, v27
	v_rcp_f32_e32 v38, v37
	v_sub_f32_e32 v28, v29, v37
	v_add_f32_e32 v29, v30, v31
	v_add_f32_e32 v27, v27, v28
	v_mul_f32_e32 v40, v29, v38
	v_sub_f32_e32 v28, v30, v29
	v_mul_f32_e32 v30, v37, v40
	v_fma_f32 v32, v40, v37, -v30
	v_fmac_f32_e32 v32, v40, v27
	v_add_f32_e32 v39, v31, v28
	v_add_f32_e32 v28, v30, v32
	v_sub_f32_e32 v31, v29, v28
	v_pk_add_f32 v[34:35], v[28:29], v[30:31] neg_lo:[0,1] neg_hi:[0,1]
	v_mov_b32_e32 v33, v28
	v_pk_add_f32 v[28:29], v[34:35], v[32:33] neg_lo:[0,1] neg_hi:[0,1]
	v_add_f32_e32 v29, v39, v29
	v_add_f32_e32 v28, v28, v29
	;; [unrolled: 1-line block ×3, first 2 shown]
	v_mul_f32_e32 v39, v38, v29
	v_mul_f32_e32 v30, v37, v39
	v_fma_f32 v32, v39, v37, -v30
	v_fmac_f32_e32 v32, v39, v27
	v_sub_f32_e32 v27, v31, v29
	v_add_f32_e32 v27, v28, v27
	v_add_f32_e32 v28, v30, v32
	v_sub_f32_e32 v31, v29, v28
	v_pk_add_f32 v[34:35], v[28:29], v[30:31] neg_lo:[0,1] neg_hi:[0,1]
	v_mov_b32_e32 v33, v28
	v_pk_add_f32 v[28:29], v[34:35], v[32:33] neg_lo:[0,1] neg_hi:[0,1]
	v_add_f32_e32 v27, v27, v29
	v_add_f32_e32 v27, v28, v27
	;; [unrolled: 1-line block ×4, first 2 shown]
	v_sub_f32_e32 v29, v28, v40
	v_mul_f32_e32 v27, v38, v27
	v_sub_f32_e32 v29, v39, v29
	v_add_f32_e32 v27, v29, v27
	v_add_f32_e32 v31, v28, v27
	v_mul_f32_e32 v32, v31, v31
	v_mov_b32_e32 v30, 0x3ecc95a3
	v_fmac_f32_e32 v30, 0x3e9b6dac, v32
	v_mov_b32_e32 v29, 0x3f2aaada
	v_fmac_f32_e32 v29, v32, v30
	v_cvt_f32_i32_e32 v30, v36
	v_sub_f32_e32 v28, v31, v28
	v_sub_f32_e32 v27, v27, v28
	v_ldexp_f32 v33, v31, 1
	v_mul_f32_e32 v31, v31, v32
	v_mov_b32_e32 v28, 0x3f317218
	s_mov_b32 s2, 0x3f317218
	v_pk_mul_f32 v[28:29], v[30:31], v[28:29]
	v_fma_f32 v32, v30, s2, -v28
	v_fmac_f32_e32 v32, 0xb102e308, v30
	v_pk_add_f32 v[30:31], v[28:29], v[32:33]
	v_sub_f32_e32 v33, v31, v33
	v_ldexp_f32 v27, v27, 1
	v_sub_f32_e32 v33, v29, v33
	v_add_f32_e32 v35, v27, v33
	v_mov_b32_e32 v34, v28
	v_pk_add_f32 v[28:29], v[30:31], v[28:29] neg_lo:[0,1] neg_hi:[0,1]
	v_pk_add_f32 v[36:37], v[30:31], v[34:35]
	v_mov_b32_e32 v29, v37
	v_mov_b32_e32 v33, v30
	v_pk_add_f32 v[38:39], v[32:33], v[28:29] neg_lo:[0,1] neg_hi:[0,1]
	v_pk_add_f32 v[28:29], v[32:33], v[28:29]
	v_mov_b32_e32 v32, v29
	v_pk_add_f32 v[40:41], v[32:33], v[30:31] neg_lo:[0,1] neg_hi:[0,1]
	v_mov_b32_e32 v27, v40
	v_pk_add_f32 v[42:43], v[36:37], v[26:27] neg_lo:[0,1] neg_hi:[0,1]
	v_mov_b32_e32 v28, v37
	v_mov_b32_e32 v36, v31
	;; [unrolled: 1-line block ×4, first 2 shown]
	v_pk_add_f32 v[28:29], v[28:29], v[36:37] neg_lo:[0,1] neg_hi:[0,1]
	v_mov_b32_e32 v34, v35
	v_mov_b32_e32 v35, v30
	v_pk_add_f32 v[28:29], v[34:35], v[28:29] neg_lo:[0,1] neg_hi:[0,1]
	v_mov_b32_e32 v42, v38
	v_pk_add_f32 v[30:31], v[42:43], v[28:29]
	v_mov_b32_e32 v34, v31
	v_pk_add_f32 v[34:35], v[30:31], v[34:35]
	v_pk_add_f32 v[32:33], v[32:33], v[34:35]
	v_mov_b32_e32 v31, v32
	v_pk_add_f32 v[36:37], v[30:31], v[38:39] neg_lo:[0,1] neg_hi:[0,1]
	v_mov_b32_e32 v29, v34
	v_sub_f32_e32 v27, v30, v36
	v_pk_add_f32 v[28:29], v[28:29], v[36:37] neg_lo:[0,1] neg_hi:[0,1]
	v_sub_f32_e32 v27, v38, v27
	s_mov_b32 s3, 0x7f800000
	v_add_f32_e32 v27, v28, v27
	s_mov_b32 s2, 0x33800000
	v_add_f32_e32 v27, v27, v29
	v_cmp_eq_f32_e32 vcc, s3, v44
	v_cmp_lt_f32_e64 s[2:3], |v44|, s2
	v_add_f32_e32 v27, v32, v27
	s_or_b64 vcc, vcc, s[2:3]
	v_cndmask_b32_e32 v27, v27, v44, vcc
	v_add_f32_e32 v27, v9, v27
.LBB462_172:
	s_or_b64 exec, exec, s[0:1]
	v_bfe_u32 v9, v27, 16, 1
	s_movk_i32 s0, 0x7fff
	v_add3_u32 v9, v27, v9, s0
	s_mov_b32 s0, 0x5040100
	v_lshrrev_b32_e32 v9, 16, v9
	v_mov_b32_e32 v28, 0x7fc0
	v_cmp_o_f32_e32 vcc, v27, v27
	v_add_u32_e32 v27, v14, v54
	v_perm_b32 v5, v5, v18, s0
	v_perm_b32 v4, v4, v17, s0
	;; [unrolled: 1-line block ×4, first 2 shown]
	v_cndmask_b32_e32 v9, v28, v9, vcc
	s_waitcnt lgkmcnt(0)
	; wave barrier
	ds_write_b128 v27, v[2:5]
	v_perm_b32 v5, v13, v22, s0
	v_perm_b32 v4, v12, v21, s0
	;; [unrolled: 1-line block ×4, first 2 shown]
	ds_write_b128 v27, v[2:5] offset:16
	v_perm_b32 v4, v8, v25, s0
	v_perm_b32 v3, v7, v24, s0
	;; [unrolled: 1-line block ×4, first 2 shown]
	ds_write_b128 v27, v[2:5] offset:32
	s_waitcnt lgkmcnt(0)
	; wave barrier
	s_waitcnt lgkmcnt(0)
	ds_read_u16 v25, v14 offset:128
	ds_read_u16 v24, v14 offset:256
	;; [unrolled: 1-line block ×23, first 2 shown]
	v_readlane_b32 s0, v75, 8
	v_lshlrev_b64 v[0:1], 1, v[0:1]
	v_readlane_b32 s1, v75, 9
	v_mov_b32_e32 v26, s1
	v_add_co_u32_e32 v0, vcc, s0, v0
	v_addc_co_u32_e32 v1, vcc, v26, v1, vcc
	s_mov_b64 s[0:1], exec
	v_readlane_b32 s2, v75, 0
	v_readlane_b32 s3, v75, 1
	s_and_b64 s[2:3], s[0:1], s[2:3]
	s_mov_b64 exec, s[2:3]
	s_cbranch_execz .LBB462_174
; %bb.173:
	ds_read_u16 v14, v14
	s_waitcnt lgkmcnt(0)
	global_store_short v[0:1], v14, off
.LBB462_174:
	s_or_b64 exec, exec, s[0:1]
	s_mov_b64 s[0:1], exec
	v_readlane_b32 s2, v75, 2
	v_readlane_b32 s3, v75, 3
	s_and_b64 s[2:3], s[0:1], s[2:3]
	s_mov_b64 exec, s[2:3]
	s_cbranch_execz .LBB462_176
; %bb.175:
	s_waitcnt lgkmcnt(14)
	global_store_short v[0:1], v25, off offset:128
.LBB462_176:
	s_or_b64 exec, exec, s[0:1]
	s_mov_b64 s[0:1], exec
	v_readlane_b32 s2, v75, 4
	v_readlane_b32 s3, v75, 5
	s_and_b64 s[2:3], s[0:1], s[2:3]
	s_mov_b64 exec, s[2:3]
	s_cbranch_execnz .LBB462_201
; %bb.177:
	s_or_b64 exec, exec, s[0:1]
	s_and_saveexec_b64 s[0:1], s[46:47]
	s_cbranch_execnz .LBB462_202
.LBB462_178:
	s_or_b64 exec, exec, s[0:1]
	s_and_saveexec_b64 s[0:1], s[6:7]
	s_cbranch_execnz .LBB462_203
.LBB462_179:
	s_or_b64 exec, exec, s[0:1]
	s_and_saveexec_b64 s[0:1], s[8:9]
	s_cbranch_execnz .LBB462_204
.LBB462_180:
	s_or_b64 exec, exec, s[0:1]
	s_and_saveexec_b64 s[0:1], s[10:11]
	s_cbranch_execnz .LBB462_205
.LBB462_181:
	s_or_b64 exec, exec, s[0:1]
	s_and_saveexec_b64 s[0:1], s[12:13]
	s_cbranch_execnz .LBB462_206
.LBB462_182:
	s_or_b64 exec, exec, s[0:1]
	s_and_saveexec_b64 s[0:1], s[14:15]
	s_cbranch_execnz .LBB462_207
.LBB462_183:
	s_or_b64 exec, exec, s[0:1]
	s_and_saveexec_b64 s[0:1], s[16:17]
	s_cbranch_execnz .LBB462_208
.LBB462_184:
	s_or_b64 exec, exec, s[0:1]
	s_and_saveexec_b64 s[0:1], s[18:19]
	s_cbranch_execnz .LBB462_209
.LBB462_185:
	s_or_b64 exec, exec, s[0:1]
	s_and_saveexec_b64 s[0:1], s[20:21]
	s_cbranch_execnz .LBB462_210
.LBB462_186:
	s_or_b64 exec, exec, s[0:1]
	s_and_saveexec_b64 s[0:1], s[22:23]
	s_cbranch_execnz .LBB462_211
.LBB462_187:
	s_or_b64 exec, exec, s[0:1]
	s_and_saveexec_b64 s[0:1], s[24:25]
	s_cbranch_execnz .LBB462_212
.LBB462_188:
	s_or_b64 exec, exec, s[0:1]
	s_and_saveexec_b64 s[0:1], s[26:27]
	s_cbranch_execnz .LBB462_213
.LBB462_189:
	s_or_b64 exec, exec, s[0:1]
	s_and_saveexec_b64 s[0:1], s[28:29]
	s_cbranch_execnz .LBB462_214
.LBB462_190:
	s_or_b64 exec, exec, s[0:1]
	s_and_saveexec_b64 s[0:1], s[30:31]
	s_cbranch_execnz .LBB462_215
.LBB462_191:
	s_or_b64 exec, exec, s[0:1]
	s_and_saveexec_b64 s[0:1], s[34:35]
	s_cbranch_execnz .LBB462_216
.LBB462_192:
	s_or_b64 exec, exec, s[0:1]
	s_and_saveexec_b64 s[0:1], s[36:37]
	s_cbranch_execnz .LBB462_217
.LBB462_193:
	s_or_b64 exec, exec, s[0:1]
	s_and_saveexec_b64 s[0:1], s[38:39]
	s_cbranch_execnz .LBB462_218
.LBB462_194:
	s_or_b64 exec, exec, s[0:1]
	s_and_saveexec_b64 s[0:1], s[40:41]
	s_cbranch_execnz .LBB462_219
.LBB462_195:
	s_or_b64 exec, exec, s[0:1]
	s_and_saveexec_b64 s[0:1], s[42:43]
	s_cbranch_execnz .LBB462_220
.LBB462_196:
	s_or_b64 exec, exec, s[0:1]
	s_and_saveexec_b64 s[0:1], s[44:45]
	s_cbranch_execz .LBB462_198
.LBB462_197:
	s_waitcnt lgkmcnt(1)
	global_store_short v[0:1], v3, off offset:2816
.LBB462_198:
	s_or_b64 exec, exec, s[0:1]
	v_readlane_b32 s2, v75, 6
	v_readlane_b32 s3, v75, 7
	s_and_saveexec_b64 s[0:1], s[2:3]
	s_cbranch_execz .LBB462_200
; %bb.199:
	s_waitcnt lgkmcnt(0)
	global_store_short v[0:1], v2, off offset:2944
.LBB462_200:
	s_endpgm
.LBB462_201:
	s_waitcnt lgkmcnt(14)
	global_store_short v[0:1], v24, off offset:256
	s_or_b64 exec, exec, s[0:1]
	s_and_saveexec_b64 s[0:1], s[46:47]
	s_cbranch_execz .LBB462_178
.LBB462_202:
	s_waitcnt lgkmcnt(14)
	global_store_short v[0:1], v23, off offset:384
	s_or_b64 exec, exec, s[0:1]
	s_and_saveexec_b64 s[0:1], s[6:7]
	s_cbranch_execz .LBB462_179
.LBB462_203:
	s_waitcnt lgkmcnt(14)
	global_store_short v[0:1], v22, off offset:512
	s_or_b64 exec, exec, s[0:1]
	s_and_saveexec_b64 s[0:1], s[8:9]
	s_cbranch_execz .LBB462_180
.LBB462_204:
	s_waitcnt lgkmcnt(14)
	global_store_short v[0:1], v21, off offset:640
	s_or_b64 exec, exec, s[0:1]
	s_and_saveexec_b64 s[0:1], s[10:11]
	s_cbranch_execz .LBB462_181
.LBB462_205:
	s_waitcnt lgkmcnt(14)
	global_store_short v[0:1], v20, off offset:768
	s_or_b64 exec, exec, s[0:1]
	s_and_saveexec_b64 s[0:1], s[12:13]
	s_cbranch_execz .LBB462_182
.LBB462_206:
	s_waitcnt lgkmcnt(14)
	global_store_short v[0:1], v19, off offset:896
	s_or_b64 exec, exec, s[0:1]
	s_and_saveexec_b64 s[0:1], s[14:15]
	s_cbranch_execz .LBB462_183
.LBB462_207:
	s_waitcnt lgkmcnt(14)
	global_store_short v[0:1], v18, off offset:1024
	s_or_b64 exec, exec, s[0:1]
	s_and_saveexec_b64 s[0:1], s[16:17]
	s_cbranch_execz .LBB462_184
.LBB462_208:
	s_waitcnt lgkmcnt(14)
	global_store_short v[0:1], v17, off offset:1152
	s_or_b64 exec, exec, s[0:1]
	s_and_saveexec_b64 s[0:1], s[18:19]
	s_cbranch_execz .LBB462_185
.LBB462_209:
	s_waitcnt lgkmcnt(13)
	global_store_short v[0:1], v16, off offset:1280
	s_or_b64 exec, exec, s[0:1]
	s_and_saveexec_b64 s[0:1], s[20:21]
	s_cbranch_execz .LBB462_186
.LBB462_210:
	s_waitcnt lgkmcnt(12)
	global_store_short v[0:1], v15, off offset:1408
	s_or_b64 exec, exec, s[0:1]
	s_and_saveexec_b64 s[0:1], s[22:23]
	s_cbranch_execz .LBB462_187
.LBB462_211:
	s_waitcnt lgkmcnt(11)
	global_store_short v[0:1], v13, off offset:1536
	s_or_b64 exec, exec, s[0:1]
	s_and_saveexec_b64 s[0:1], s[24:25]
	s_cbranch_execz .LBB462_188
.LBB462_212:
	s_waitcnt lgkmcnt(10)
	global_store_short v[0:1], v12, off offset:1664
	s_or_b64 exec, exec, s[0:1]
	s_and_saveexec_b64 s[0:1], s[26:27]
	s_cbranch_execz .LBB462_189
.LBB462_213:
	s_waitcnt lgkmcnt(9)
	global_store_short v[0:1], v11, off offset:1792
	s_or_b64 exec, exec, s[0:1]
	s_and_saveexec_b64 s[0:1], s[28:29]
	s_cbranch_execz .LBB462_190
.LBB462_214:
	s_waitcnt lgkmcnt(8)
	global_store_short v[0:1], v10, off offset:1920
	s_or_b64 exec, exec, s[0:1]
	s_and_saveexec_b64 s[0:1], s[30:31]
	s_cbranch_execz .LBB462_191
.LBB462_215:
	s_waitcnt lgkmcnt(7)
	global_store_short v[0:1], v9, off offset:2048
	s_or_b64 exec, exec, s[0:1]
	s_and_saveexec_b64 s[0:1], s[34:35]
	s_cbranch_execz .LBB462_192
.LBB462_216:
	s_waitcnt lgkmcnt(6)
	global_store_short v[0:1], v8, off offset:2176
	s_or_b64 exec, exec, s[0:1]
	s_and_saveexec_b64 s[0:1], s[36:37]
	s_cbranch_execz .LBB462_193
.LBB462_217:
	s_waitcnt lgkmcnt(5)
	global_store_short v[0:1], v7, off offset:2304
	s_or_b64 exec, exec, s[0:1]
	s_and_saveexec_b64 s[0:1], s[38:39]
	s_cbranch_execz .LBB462_194
.LBB462_218:
	s_waitcnt lgkmcnt(4)
	global_store_short v[0:1], v6, off offset:2432
	s_or_b64 exec, exec, s[0:1]
	s_and_saveexec_b64 s[0:1], s[40:41]
	s_cbranch_execz .LBB462_195
.LBB462_219:
	s_waitcnt lgkmcnt(3)
	global_store_short v[0:1], v5, off offset:2560
	s_or_b64 exec, exec, s[0:1]
	s_and_saveexec_b64 s[0:1], s[42:43]
	s_cbranch_execz .LBB462_196
.LBB462_220:
	s_waitcnt lgkmcnt(2)
	global_store_short v[0:1], v4, off offset:2688
	s_or_b64 exec, exec, s[0:1]
	s_and_saveexec_b64 s[0:1], s[44:45]
	s_cbranch_execnz .LBB462_197
	s_branch .LBB462_198
	.section	.rodata,"a",@progbits
	.p2align	6, 0x0
	.amdhsa_kernel _ZN7rocprim17ROCPRIM_400000_NS6detail17trampoline_kernelINS0_14default_configENS1_20scan_config_selectorIN3c108BFloat16EEEZZNS1_9scan_implILNS1_25lookback_scan_determinismE0ELb0ELb0ES3_PKS6_PS6_S6_ZZZN2at6native31launch_logcumsumexp_cuda_kernelERKNSD_10TensorBaseESH_lENKUlvE_clEvENKUlvE4_clEvEUlS6_S6_E_S6_EEDaPvRmT3_T4_T5_mT6_P12ihipStream_tbENKUlT_T0_E_clISt17integral_constantIbLb0EESY_EEDaST_SU_EUlST_E0_NS1_11comp_targetILNS1_3genE4ELNS1_11target_archE910ELNS1_3gpuE8ELNS1_3repE0EEENS1_30default_config_static_selectorELNS0_4arch9wavefront6targetE1EEEvT1_
		.amdhsa_group_segment_fixed_size 3072
		.amdhsa_private_segment_fixed_size 0
		.amdhsa_kernarg_size 32
		.amdhsa_user_sgpr_count 6
		.amdhsa_user_sgpr_private_segment_buffer 1
		.amdhsa_user_sgpr_dispatch_ptr 0
		.amdhsa_user_sgpr_queue_ptr 0
		.amdhsa_user_sgpr_kernarg_segment_ptr 1
		.amdhsa_user_sgpr_dispatch_id 0
		.amdhsa_user_sgpr_flat_scratch_init 0
		.amdhsa_user_sgpr_kernarg_preload_length 0
		.amdhsa_user_sgpr_kernarg_preload_offset 0
		.amdhsa_user_sgpr_private_segment_size 0
		.amdhsa_uses_dynamic_stack 0
		.amdhsa_system_sgpr_private_segment_wavefront_offset 0
		.amdhsa_system_sgpr_workgroup_id_x 1
		.amdhsa_system_sgpr_workgroup_id_y 0
		.amdhsa_system_sgpr_workgroup_id_z 0
		.amdhsa_system_sgpr_workgroup_info 0
		.amdhsa_system_vgpr_workitem_id 0
		.amdhsa_next_free_vgpr 76
		.amdhsa_next_free_sgpr 96
		.amdhsa_accum_offset 76
		.amdhsa_reserve_vcc 1
		.amdhsa_reserve_flat_scratch 0
		.amdhsa_float_round_mode_32 0
		.amdhsa_float_round_mode_16_64 0
		.amdhsa_float_denorm_mode_32 3
		.amdhsa_float_denorm_mode_16_64 3
		.amdhsa_dx10_clamp 1
		.amdhsa_ieee_mode 1
		.amdhsa_fp16_overflow 0
		.amdhsa_tg_split 0
		.amdhsa_exception_fp_ieee_invalid_op 0
		.amdhsa_exception_fp_denorm_src 0
		.amdhsa_exception_fp_ieee_div_zero 0
		.amdhsa_exception_fp_ieee_overflow 0
		.amdhsa_exception_fp_ieee_underflow 0
		.amdhsa_exception_fp_ieee_inexact 0
		.amdhsa_exception_int_div_zero 0
	.end_amdhsa_kernel
	.section	.text._ZN7rocprim17ROCPRIM_400000_NS6detail17trampoline_kernelINS0_14default_configENS1_20scan_config_selectorIN3c108BFloat16EEEZZNS1_9scan_implILNS1_25lookback_scan_determinismE0ELb0ELb0ES3_PKS6_PS6_S6_ZZZN2at6native31launch_logcumsumexp_cuda_kernelERKNSD_10TensorBaseESH_lENKUlvE_clEvENKUlvE4_clEvEUlS6_S6_E_S6_EEDaPvRmT3_T4_T5_mT6_P12ihipStream_tbENKUlT_T0_E_clISt17integral_constantIbLb0EESY_EEDaST_SU_EUlST_E0_NS1_11comp_targetILNS1_3genE4ELNS1_11target_archE910ELNS1_3gpuE8ELNS1_3repE0EEENS1_30default_config_static_selectorELNS0_4arch9wavefront6targetE1EEEvT1_,"axG",@progbits,_ZN7rocprim17ROCPRIM_400000_NS6detail17trampoline_kernelINS0_14default_configENS1_20scan_config_selectorIN3c108BFloat16EEEZZNS1_9scan_implILNS1_25lookback_scan_determinismE0ELb0ELb0ES3_PKS6_PS6_S6_ZZZN2at6native31launch_logcumsumexp_cuda_kernelERKNSD_10TensorBaseESH_lENKUlvE_clEvENKUlvE4_clEvEUlS6_S6_E_S6_EEDaPvRmT3_T4_T5_mT6_P12ihipStream_tbENKUlT_T0_E_clISt17integral_constantIbLb0EESY_EEDaST_SU_EUlST_E0_NS1_11comp_targetILNS1_3genE4ELNS1_11target_archE910ELNS1_3gpuE8ELNS1_3repE0EEENS1_30default_config_static_selectorELNS0_4arch9wavefront6targetE1EEEvT1_,comdat
.Lfunc_end462:
	.size	_ZN7rocprim17ROCPRIM_400000_NS6detail17trampoline_kernelINS0_14default_configENS1_20scan_config_selectorIN3c108BFloat16EEEZZNS1_9scan_implILNS1_25lookback_scan_determinismE0ELb0ELb0ES3_PKS6_PS6_S6_ZZZN2at6native31launch_logcumsumexp_cuda_kernelERKNSD_10TensorBaseESH_lENKUlvE_clEvENKUlvE4_clEvEUlS6_S6_E_S6_EEDaPvRmT3_T4_T5_mT6_P12ihipStream_tbENKUlT_T0_E_clISt17integral_constantIbLb0EESY_EEDaST_SU_EUlST_E0_NS1_11comp_targetILNS1_3genE4ELNS1_11target_archE910ELNS1_3gpuE8ELNS1_3repE0EEENS1_30default_config_static_selectorELNS0_4arch9wavefront6targetE1EEEvT1_, .Lfunc_end462-_ZN7rocprim17ROCPRIM_400000_NS6detail17trampoline_kernelINS0_14default_configENS1_20scan_config_selectorIN3c108BFloat16EEEZZNS1_9scan_implILNS1_25lookback_scan_determinismE0ELb0ELb0ES3_PKS6_PS6_S6_ZZZN2at6native31launch_logcumsumexp_cuda_kernelERKNSD_10TensorBaseESH_lENKUlvE_clEvENKUlvE4_clEvEUlS6_S6_E_S6_EEDaPvRmT3_T4_T5_mT6_P12ihipStream_tbENKUlT_T0_E_clISt17integral_constantIbLb0EESY_EEDaST_SU_EUlST_E0_NS1_11comp_targetILNS1_3genE4ELNS1_11target_archE910ELNS1_3gpuE8ELNS1_3repE0EEENS1_30default_config_static_selectorELNS0_4arch9wavefront6targetE1EEEvT1_
                                        ; -- End function
	.section	.AMDGPU.csdata,"",@progbits
; Kernel info:
; codeLenInByte = 49384
; NumSgprs: 100
; NumVgprs: 76
; NumAgprs: 0
; TotalNumVgprs: 76
; ScratchSize: 0
; MemoryBound: 0
; FloatMode: 240
; IeeeMode: 1
; LDSByteSize: 3072 bytes/workgroup (compile time only)
; SGPRBlocks: 12
; VGPRBlocks: 9
; NumSGPRsForWavesPerEU: 100
; NumVGPRsForWavesPerEU: 76
; AccumOffset: 76
; Occupancy: 6
; WaveLimiterHint : 0
; COMPUTE_PGM_RSRC2:SCRATCH_EN: 0
; COMPUTE_PGM_RSRC2:USER_SGPR: 6
; COMPUTE_PGM_RSRC2:TRAP_HANDLER: 0
; COMPUTE_PGM_RSRC2:TGID_X_EN: 1
; COMPUTE_PGM_RSRC2:TGID_Y_EN: 0
; COMPUTE_PGM_RSRC2:TGID_Z_EN: 0
; COMPUTE_PGM_RSRC2:TIDIG_COMP_CNT: 0
; COMPUTE_PGM_RSRC3_GFX90A:ACCUM_OFFSET: 18
; COMPUTE_PGM_RSRC3_GFX90A:TG_SPLIT: 0
	.section	.text._ZN7rocprim17ROCPRIM_400000_NS6detail17trampoline_kernelINS0_14default_configENS1_20scan_config_selectorIN3c108BFloat16EEEZZNS1_9scan_implILNS1_25lookback_scan_determinismE0ELb0ELb0ES3_PKS6_PS6_S6_ZZZN2at6native31launch_logcumsumexp_cuda_kernelERKNSD_10TensorBaseESH_lENKUlvE_clEvENKUlvE4_clEvEUlS6_S6_E_S6_EEDaPvRmT3_T4_T5_mT6_P12ihipStream_tbENKUlT_T0_E_clISt17integral_constantIbLb0EESY_EEDaST_SU_EUlST_E0_NS1_11comp_targetILNS1_3genE3ELNS1_11target_archE908ELNS1_3gpuE7ELNS1_3repE0EEENS1_30default_config_static_selectorELNS0_4arch9wavefront6targetE1EEEvT1_,"axG",@progbits,_ZN7rocprim17ROCPRIM_400000_NS6detail17trampoline_kernelINS0_14default_configENS1_20scan_config_selectorIN3c108BFloat16EEEZZNS1_9scan_implILNS1_25lookback_scan_determinismE0ELb0ELb0ES3_PKS6_PS6_S6_ZZZN2at6native31launch_logcumsumexp_cuda_kernelERKNSD_10TensorBaseESH_lENKUlvE_clEvENKUlvE4_clEvEUlS6_S6_E_S6_EEDaPvRmT3_T4_T5_mT6_P12ihipStream_tbENKUlT_T0_E_clISt17integral_constantIbLb0EESY_EEDaST_SU_EUlST_E0_NS1_11comp_targetILNS1_3genE3ELNS1_11target_archE908ELNS1_3gpuE7ELNS1_3repE0EEENS1_30default_config_static_selectorELNS0_4arch9wavefront6targetE1EEEvT1_,comdat
	.globl	_ZN7rocprim17ROCPRIM_400000_NS6detail17trampoline_kernelINS0_14default_configENS1_20scan_config_selectorIN3c108BFloat16EEEZZNS1_9scan_implILNS1_25lookback_scan_determinismE0ELb0ELb0ES3_PKS6_PS6_S6_ZZZN2at6native31launch_logcumsumexp_cuda_kernelERKNSD_10TensorBaseESH_lENKUlvE_clEvENKUlvE4_clEvEUlS6_S6_E_S6_EEDaPvRmT3_T4_T5_mT6_P12ihipStream_tbENKUlT_T0_E_clISt17integral_constantIbLb0EESY_EEDaST_SU_EUlST_E0_NS1_11comp_targetILNS1_3genE3ELNS1_11target_archE908ELNS1_3gpuE7ELNS1_3repE0EEENS1_30default_config_static_selectorELNS0_4arch9wavefront6targetE1EEEvT1_ ; -- Begin function _ZN7rocprim17ROCPRIM_400000_NS6detail17trampoline_kernelINS0_14default_configENS1_20scan_config_selectorIN3c108BFloat16EEEZZNS1_9scan_implILNS1_25lookback_scan_determinismE0ELb0ELb0ES3_PKS6_PS6_S6_ZZZN2at6native31launch_logcumsumexp_cuda_kernelERKNSD_10TensorBaseESH_lENKUlvE_clEvENKUlvE4_clEvEUlS6_S6_E_S6_EEDaPvRmT3_T4_T5_mT6_P12ihipStream_tbENKUlT_T0_E_clISt17integral_constantIbLb0EESY_EEDaST_SU_EUlST_E0_NS1_11comp_targetILNS1_3genE3ELNS1_11target_archE908ELNS1_3gpuE7ELNS1_3repE0EEENS1_30default_config_static_selectorELNS0_4arch9wavefront6targetE1EEEvT1_
	.p2align	8
	.type	_ZN7rocprim17ROCPRIM_400000_NS6detail17trampoline_kernelINS0_14default_configENS1_20scan_config_selectorIN3c108BFloat16EEEZZNS1_9scan_implILNS1_25lookback_scan_determinismE0ELb0ELb0ES3_PKS6_PS6_S6_ZZZN2at6native31launch_logcumsumexp_cuda_kernelERKNSD_10TensorBaseESH_lENKUlvE_clEvENKUlvE4_clEvEUlS6_S6_E_S6_EEDaPvRmT3_T4_T5_mT6_P12ihipStream_tbENKUlT_T0_E_clISt17integral_constantIbLb0EESY_EEDaST_SU_EUlST_E0_NS1_11comp_targetILNS1_3genE3ELNS1_11target_archE908ELNS1_3gpuE7ELNS1_3repE0EEENS1_30default_config_static_selectorELNS0_4arch9wavefront6targetE1EEEvT1_,@function
_ZN7rocprim17ROCPRIM_400000_NS6detail17trampoline_kernelINS0_14default_configENS1_20scan_config_selectorIN3c108BFloat16EEEZZNS1_9scan_implILNS1_25lookback_scan_determinismE0ELb0ELb0ES3_PKS6_PS6_S6_ZZZN2at6native31launch_logcumsumexp_cuda_kernelERKNSD_10TensorBaseESH_lENKUlvE_clEvENKUlvE4_clEvEUlS6_S6_E_S6_EEDaPvRmT3_T4_T5_mT6_P12ihipStream_tbENKUlT_T0_E_clISt17integral_constantIbLb0EESY_EEDaST_SU_EUlST_E0_NS1_11comp_targetILNS1_3genE3ELNS1_11target_archE908ELNS1_3gpuE7ELNS1_3repE0EEENS1_30default_config_static_selectorELNS0_4arch9wavefront6targetE1EEEvT1_: ; @_ZN7rocprim17ROCPRIM_400000_NS6detail17trampoline_kernelINS0_14default_configENS1_20scan_config_selectorIN3c108BFloat16EEEZZNS1_9scan_implILNS1_25lookback_scan_determinismE0ELb0ELb0ES3_PKS6_PS6_S6_ZZZN2at6native31launch_logcumsumexp_cuda_kernelERKNSD_10TensorBaseESH_lENKUlvE_clEvENKUlvE4_clEvEUlS6_S6_E_S6_EEDaPvRmT3_T4_T5_mT6_P12ihipStream_tbENKUlT_T0_E_clISt17integral_constantIbLb0EESY_EEDaST_SU_EUlST_E0_NS1_11comp_targetILNS1_3genE3ELNS1_11target_archE908ELNS1_3gpuE7ELNS1_3repE0EEENS1_30default_config_static_selectorELNS0_4arch9wavefront6targetE1EEEvT1_
; %bb.0:
	.section	.rodata,"a",@progbits
	.p2align	6, 0x0
	.amdhsa_kernel _ZN7rocprim17ROCPRIM_400000_NS6detail17trampoline_kernelINS0_14default_configENS1_20scan_config_selectorIN3c108BFloat16EEEZZNS1_9scan_implILNS1_25lookback_scan_determinismE0ELb0ELb0ES3_PKS6_PS6_S6_ZZZN2at6native31launch_logcumsumexp_cuda_kernelERKNSD_10TensorBaseESH_lENKUlvE_clEvENKUlvE4_clEvEUlS6_S6_E_S6_EEDaPvRmT3_T4_T5_mT6_P12ihipStream_tbENKUlT_T0_E_clISt17integral_constantIbLb0EESY_EEDaST_SU_EUlST_E0_NS1_11comp_targetILNS1_3genE3ELNS1_11target_archE908ELNS1_3gpuE7ELNS1_3repE0EEENS1_30default_config_static_selectorELNS0_4arch9wavefront6targetE1EEEvT1_
		.amdhsa_group_segment_fixed_size 0
		.amdhsa_private_segment_fixed_size 0
		.amdhsa_kernarg_size 32
		.amdhsa_user_sgpr_count 6
		.amdhsa_user_sgpr_private_segment_buffer 1
		.amdhsa_user_sgpr_dispatch_ptr 0
		.amdhsa_user_sgpr_queue_ptr 0
		.amdhsa_user_sgpr_kernarg_segment_ptr 1
		.amdhsa_user_sgpr_dispatch_id 0
		.amdhsa_user_sgpr_flat_scratch_init 0
		.amdhsa_user_sgpr_kernarg_preload_length 0
		.amdhsa_user_sgpr_kernarg_preload_offset 0
		.amdhsa_user_sgpr_private_segment_size 0
		.amdhsa_uses_dynamic_stack 0
		.amdhsa_system_sgpr_private_segment_wavefront_offset 0
		.amdhsa_system_sgpr_workgroup_id_x 1
		.amdhsa_system_sgpr_workgroup_id_y 0
		.amdhsa_system_sgpr_workgroup_id_z 0
		.amdhsa_system_sgpr_workgroup_info 0
		.amdhsa_system_vgpr_workitem_id 0
		.amdhsa_next_free_vgpr 1
		.amdhsa_next_free_sgpr 0
		.amdhsa_accum_offset 4
		.amdhsa_reserve_vcc 0
		.amdhsa_reserve_flat_scratch 0
		.amdhsa_float_round_mode_32 0
		.amdhsa_float_round_mode_16_64 0
		.amdhsa_float_denorm_mode_32 3
		.amdhsa_float_denorm_mode_16_64 3
		.amdhsa_dx10_clamp 1
		.amdhsa_ieee_mode 1
		.amdhsa_fp16_overflow 0
		.amdhsa_tg_split 0
		.amdhsa_exception_fp_ieee_invalid_op 0
		.amdhsa_exception_fp_denorm_src 0
		.amdhsa_exception_fp_ieee_div_zero 0
		.amdhsa_exception_fp_ieee_overflow 0
		.amdhsa_exception_fp_ieee_underflow 0
		.amdhsa_exception_fp_ieee_inexact 0
		.amdhsa_exception_int_div_zero 0
	.end_amdhsa_kernel
	.section	.text._ZN7rocprim17ROCPRIM_400000_NS6detail17trampoline_kernelINS0_14default_configENS1_20scan_config_selectorIN3c108BFloat16EEEZZNS1_9scan_implILNS1_25lookback_scan_determinismE0ELb0ELb0ES3_PKS6_PS6_S6_ZZZN2at6native31launch_logcumsumexp_cuda_kernelERKNSD_10TensorBaseESH_lENKUlvE_clEvENKUlvE4_clEvEUlS6_S6_E_S6_EEDaPvRmT3_T4_T5_mT6_P12ihipStream_tbENKUlT_T0_E_clISt17integral_constantIbLb0EESY_EEDaST_SU_EUlST_E0_NS1_11comp_targetILNS1_3genE3ELNS1_11target_archE908ELNS1_3gpuE7ELNS1_3repE0EEENS1_30default_config_static_selectorELNS0_4arch9wavefront6targetE1EEEvT1_,"axG",@progbits,_ZN7rocprim17ROCPRIM_400000_NS6detail17trampoline_kernelINS0_14default_configENS1_20scan_config_selectorIN3c108BFloat16EEEZZNS1_9scan_implILNS1_25lookback_scan_determinismE0ELb0ELb0ES3_PKS6_PS6_S6_ZZZN2at6native31launch_logcumsumexp_cuda_kernelERKNSD_10TensorBaseESH_lENKUlvE_clEvENKUlvE4_clEvEUlS6_S6_E_S6_EEDaPvRmT3_T4_T5_mT6_P12ihipStream_tbENKUlT_T0_E_clISt17integral_constantIbLb0EESY_EEDaST_SU_EUlST_E0_NS1_11comp_targetILNS1_3genE3ELNS1_11target_archE908ELNS1_3gpuE7ELNS1_3repE0EEENS1_30default_config_static_selectorELNS0_4arch9wavefront6targetE1EEEvT1_,comdat
.Lfunc_end463:
	.size	_ZN7rocprim17ROCPRIM_400000_NS6detail17trampoline_kernelINS0_14default_configENS1_20scan_config_selectorIN3c108BFloat16EEEZZNS1_9scan_implILNS1_25lookback_scan_determinismE0ELb0ELb0ES3_PKS6_PS6_S6_ZZZN2at6native31launch_logcumsumexp_cuda_kernelERKNSD_10TensorBaseESH_lENKUlvE_clEvENKUlvE4_clEvEUlS6_S6_E_S6_EEDaPvRmT3_T4_T5_mT6_P12ihipStream_tbENKUlT_T0_E_clISt17integral_constantIbLb0EESY_EEDaST_SU_EUlST_E0_NS1_11comp_targetILNS1_3genE3ELNS1_11target_archE908ELNS1_3gpuE7ELNS1_3repE0EEENS1_30default_config_static_selectorELNS0_4arch9wavefront6targetE1EEEvT1_, .Lfunc_end463-_ZN7rocprim17ROCPRIM_400000_NS6detail17trampoline_kernelINS0_14default_configENS1_20scan_config_selectorIN3c108BFloat16EEEZZNS1_9scan_implILNS1_25lookback_scan_determinismE0ELb0ELb0ES3_PKS6_PS6_S6_ZZZN2at6native31launch_logcumsumexp_cuda_kernelERKNSD_10TensorBaseESH_lENKUlvE_clEvENKUlvE4_clEvEUlS6_S6_E_S6_EEDaPvRmT3_T4_T5_mT6_P12ihipStream_tbENKUlT_T0_E_clISt17integral_constantIbLb0EESY_EEDaST_SU_EUlST_E0_NS1_11comp_targetILNS1_3genE3ELNS1_11target_archE908ELNS1_3gpuE7ELNS1_3repE0EEENS1_30default_config_static_selectorELNS0_4arch9wavefront6targetE1EEEvT1_
                                        ; -- End function
	.section	.AMDGPU.csdata,"",@progbits
; Kernel info:
; codeLenInByte = 0
; NumSgprs: 4
; NumVgprs: 0
; NumAgprs: 0
; TotalNumVgprs: 0
; ScratchSize: 0
; MemoryBound: 0
; FloatMode: 240
; IeeeMode: 1
; LDSByteSize: 0 bytes/workgroup (compile time only)
; SGPRBlocks: 0
; VGPRBlocks: 0
; NumSGPRsForWavesPerEU: 4
; NumVGPRsForWavesPerEU: 1
; AccumOffset: 4
; Occupancy: 8
; WaveLimiterHint : 0
; COMPUTE_PGM_RSRC2:SCRATCH_EN: 0
; COMPUTE_PGM_RSRC2:USER_SGPR: 6
; COMPUTE_PGM_RSRC2:TRAP_HANDLER: 0
; COMPUTE_PGM_RSRC2:TGID_X_EN: 1
; COMPUTE_PGM_RSRC2:TGID_Y_EN: 0
; COMPUTE_PGM_RSRC2:TGID_Z_EN: 0
; COMPUTE_PGM_RSRC2:TIDIG_COMP_CNT: 0
; COMPUTE_PGM_RSRC3_GFX90A:ACCUM_OFFSET: 0
; COMPUTE_PGM_RSRC3_GFX90A:TG_SPLIT: 0
	.section	.text._ZN7rocprim17ROCPRIM_400000_NS6detail17trampoline_kernelINS0_14default_configENS1_20scan_config_selectorIN3c108BFloat16EEEZZNS1_9scan_implILNS1_25lookback_scan_determinismE0ELb0ELb0ES3_PKS6_PS6_S6_ZZZN2at6native31launch_logcumsumexp_cuda_kernelERKNSD_10TensorBaseESH_lENKUlvE_clEvENKUlvE4_clEvEUlS6_S6_E_S6_EEDaPvRmT3_T4_T5_mT6_P12ihipStream_tbENKUlT_T0_E_clISt17integral_constantIbLb0EESY_EEDaST_SU_EUlST_E0_NS1_11comp_targetILNS1_3genE2ELNS1_11target_archE906ELNS1_3gpuE6ELNS1_3repE0EEENS1_30default_config_static_selectorELNS0_4arch9wavefront6targetE1EEEvT1_,"axG",@progbits,_ZN7rocprim17ROCPRIM_400000_NS6detail17trampoline_kernelINS0_14default_configENS1_20scan_config_selectorIN3c108BFloat16EEEZZNS1_9scan_implILNS1_25lookback_scan_determinismE0ELb0ELb0ES3_PKS6_PS6_S6_ZZZN2at6native31launch_logcumsumexp_cuda_kernelERKNSD_10TensorBaseESH_lENKUlvE_clEvENKUlvE4_clEvEUlS6_S6_E_S6_EEDaPvRmT3_T4_T5_mT6_P12ihipStream_tbENKUlT_T0_E_clISt17integral_constantIbLb0EESY_EEDaST_SU_EUlST_E0_NS1_11comp_targetILNS1_3genE2ELNS1_11target_archE906ELNS1_3gpuE6ELNS1_3repE0EEENS1_30default_config_static_selectorELNS0_4arch9wavefront6targetE1EEEvT1_,comdat
	.globl	_ZN7rocprim17ROCPRIM_400000_NS6detail17trampoline_kernelINS0_14default_configENS1_20scan_config_selectorIN3c108BFloat16EEEZZNS1_9scan_implILNS1_25lookback_scan_determinismE0ELb0ELb0ES3_PKS6_PS6_S6_ZZZN2at6native31launch_logcumsumexp_cuda_kernelERKNSD_10TensorBaseESH_lENKUlvE_clEvENKUlvE4_clEvEUlS6_S6_E_S6_EEDaPvRmT3_T4_T5_mT6_P12ihipStream_tbENKUlT_T0_E_clISt17integral_constantIbLb0EESY_EEDaST_SU_EUlST_E0_NS1_11comp_targetILNS1_3genE2ELNS1_11target_archE906ELNS1_3gpuE6ELNS1_3repE0EEENS1_30default_config_static_selectorELNS0_4arch9wavefront6targetE1EEEvT1_ ; -- Begin function _ZN7rocprim17ROCPRIM_400000_NS6detail17trampoline_kernelINS0_14default_configENS1_20scan_config_selectorIN3c108BFloat16EEEZZNS1_9scan_implILNS1_25lookback_scan_determinismE0ELb0ELb0ES3_PKS6_PS6_S6_ZZZN2at6native31launch_logcumsumexp_cuda_kernelERKNSD_10TensorBaseESH_lENKUlvE_clEvENKUlvE4_clEvEUlS6_S6_E_S6_EEDaPvRmT3_T4_T5_mT6_P12ihipStream_tbENKUlT_T0_E_clISt17integral_constantIbLb0EESY_EEDaST_SU_EUlST_E0_NS1_11comp_targetILNS1_3genE2ELNS1_11target_archE906ELNS1_3gpuE6ELNS1_3repE0EEENS1_30default_config_static_selectorELNS0_4arch9wavefront6targetE1EEEvT1_
	.p2align	8
	.type	_ZN7rocprim17ROCPRIM_400000_NS6detail17trampoline_kernelINS0_14default_configENS1_20scan_config_selectorIN3c108BFloat16EEEZZNS1_9scan_implILNS1_25lookback_scan_determinismE0ELb0ELb0ES3_PKS6_PS6_S6_ZZZN2at6native31launch_logcumsumexp_cuda_kernelERKNSD_10TensorBaseESH_lENKUlvE_clEvENKUlvE4_clEvEUlS6_S6_E_S6_EEDaPvRmT3_T4_T5_mT6_P12ihipStream_tbENKUlT_T0_E_clISt17integral_constantIbLb0EESY_EEDaST_SU_EUlST_E0_NS1_11comp_targetILNS1_3genE2ELNS1_11target_archE906ELNS1_3gpuE6ELNS1_3repE0EEENS1_30default_config_static_selectorELNS0_4arch9wavefront6targetE1EEEvT1_,@function
_ZN7rocprim17ROCPRIM_400000_NS6detail17trampoline_kernelINS0_14default_configENS1_20scan_config_selectorIN3c108BFloat16EEEZZNS1_9scan_implILNS1_25lookback_scan_determinismE0ELb0ELb0ES3_PKS6_PS6_S6_ZZZN2at6native31launch_logcumsumexp_cuda_kernelERKNSD_10TensorBaseESH_lENKUlvE_clEvENKUlvE4_clEvEUlS6_S6_E_S6_EEDaPvRmT3_T4_T5_mT6_P12ihipStream_tbENKUlT_T0_E_clISt17integral_constantIbLb0EESY_EEDaST_SU_EUlST_E0_NS1_11comp_targetILNS1_3genE2ELNS1_11target_archE906ELNS1_3gpuE6ELNS1_3repE0EEENS1_30default_config_static_selectorELNS0_4arch9wavefront6targetE1EEEvT1_: ; @_ZN7rocprim17ROCPRIM_400000_NS6detail17trampoline_kernelINS0_14default_configENS1_20scan_config_selectorIN3c108BFloat16EEEZZNS1_9scan_implILNS1_25lookback_scan_determinismE0ELb0ELb0ES3_PKS6_PS6_S6_ZZZN2at6native31launch_logcumsumexp_cuda_kernelERKNSD_10TensorBaseESH_lENKUlvE_clEvENKUlvE4_clEvEUlS6_S6_E_S6_EEDaPvRmT3_T4_T5_mT6_P12ihipStream_tbENKUlT_T0_E_clISt17integral_constantIbLb0EESY_EEDaST_SU_EUlST_E0_NS1_11comp_targetILNS1_3genE2ELNS1_11target_archE906ELNS1_3gpuE6ELNS1_3repE0EEENS1_30default_config_static_selectorELNS0_4arch9wavefront6targetE1EEEvT1_
; %bb.0:
	.section	.rodata,"a",@progbits
	.p2align	6, 0x0
	.amdhsa_kernel _ZN7rocprim17ROCPRIM_400000_NS6detail17trampoline_kernelINS0_14default_configENS1_20scan_config_selectorIN3c108BFloat16EEEZZNS1_9scan_implILNS1_25lookback_scan_determinismE0ELb0ELb0ES3_PKS6_PS6_S6_ZZZN2at6native31launch_logcumsumexp_cuda_kernelERKNSD_10TensorBaseESH_lENKUlvE_clEvENKUlvE4_clEvEUlS6_S6_E_S6_EEDaPvRmT3_T4_T5_mT6_P12ihipStream_tbENKUlT_T0_E_clISt17integral_constantIbLb0EESY_EEDaST_SU_EUlST_E0_NS1_11comp_targetILNS1_3genE2ELNS1_11target_archE906ELNS1_3gpuE6ELNS1_3repE0EEENS1_30default_config_static_selectorELNS0_4arch9wavefront6targetE1EEEvT1_
		.amdhsa_group_segment_fixed_size 0
		.amdhsa_private_segment_fixed_size 0
		.amdhsa_kernarg_size 32
		.amdhsa_user_sgpr_count 6
		.amdhsa_user_sgpr_private_segment_buffer 1
		.amdhsa_user_sgpr_dispatch_ptr 0
		.amdhsa_user_sgpr_queue_ptr 0
		.amdhsa_user_sgpr_kernarg_segment_ptr 1
		.amdhsa_user_sgpr_dispatch_id 0
		.amdhsa_user_sgpr_flat_scratch_init 0
		.amdhsa_user_sgpr_kernarg_preload_length 0
		.amdhsa_user_sgpr_kernarg_preload_offset 0
		.amdhsa_user_sgpr_private_segment_size 0
		.amdhsa_uses_dynamic_stack 0
		.amdhsa_system_sgpr_private_segment_wavefront_offset 0
		.amdhsa_system_sgpr_workgroup_id_x 1
		.amdhsa_system_sgpr_workgroup_id_y 0
		.amdhsa_system_sgpr_workgroup_id_z 0
		.amdhsa_system_sgpr_workgroup_info 0
		.amdhsa_system_vgpr_workitem_id 0
		.amdhsa_next_free_vgpr 1
		.amdhsa_next_free_sgpr 0
		.amdhsa_accum_offset 4
		.amdhsa_reserve_vcc 0
		.amdhsa_reserve_flat_scratch 0
		.amdhsa_float_round_mode_32 0
		.amdhsa_float_round_mode_16_64 0
		.amdhsa_float_denorm_mode_32 3
		.amdhsa_float_denorm_mode_16_64 3
		.amdhsa_dx10_clamp 1
		.amdhsa_ieee_mode 1
		.amdhsa_fp16_overflow 0
		.amdhsa_tg_split 0
		.amdhsa_exception_fp_ieee_invalid_op 0
		.amdhsa_exception_fp_denorm_src 0
		.amdhsa_exception_fp_ieee_div_zero 0
		.amdhsa_exception_fp_ieee_overflow 0
		.amdhsa_exception_fp_ieee_underflow 0
		.amdhsa_exception_fp_ieee_inexact 0
		.amdhsa_exception_int_div_zero 0
	.end_amdhsa_kernel
	.section	.text._ZN7rocprim17ROCPRIM_400000_NS6detail17trampoline_kernelINS0_14default_configENS1_20scan_config_selectorIN3c108BFloat16EEEZZNS1_9scan_implILNS1_25lookback_scan_determinismE0ELb0ELb0ES3_PKS6_PS6_S6_ZZZN2at6native31launch_logcumsumexp_cuda_kernelERKNSD_10TensorBaseESH_lENKUlvE_clEvENKUlvE4_clEvEUlS6_S6_E_S6_EEDaPvRmT3_T4_T5_mT6_P12ihipStream_tbENKUlT_T0_E_clISt17integral_constantIbLb0EESY_EEDaST_SU_EUlST_E0_NS1_11comp_targetILNS1_3genE2ELNS1_11target_archE906ELNS1_3gpuE6ELNS1_3repE0EEENS1_30default_config_static_selectorELNS0_4arch9wavefront6targetE1EEEvT1_,"axG",@progbits,_ZN7rocprim17ROCPRIM_400000_NS6detail17trampoline_kernelINS0_14default_configENS1_20scan_config_selectorIN3c108BFloat16EEEZZNS1_9scan_implILNS1_25lookback_scan_determinismE0ELb0ELb0ES3_PKS6_PS6_S6_ZZZN2at6native31launch_logcumsumexp_cuda_kernelERKNSD_10TensorBaseESH_lENKUlvE_clEvENKUlvE4_clEvEUlS6_S6_E_S6_EEDaPvRmT3_T4_T5_mT6_P12ihipStream_tbENKUlT_T0_E_clISt17integral_constantIbLb0EESY_EEDaST_SU_EUlST_E0_NS1_11comp_targetILNS1_3genE2ELNS1_11target_archE906ELNS1_3gpuE6ELNS1_3repE0EEENS1_30default_config_static_selectorELNS0_4arch9wavefront6targetE1EEEvT1_,comdat
.Lfunc_end464:
	.size	_ZN7rocprim17ROCPRIM_400000_NS6detail17trampoline_kernelINS0_14default_configENS1_20scan_config_selectorIN3c108BFloat16EEEZZNS1_9scan_implILNS1_25lookback_scan_determinismE0ELb0ELb0ES3_PKS6_PS6_S6_ZZZN2at6native31launch_logcumsumexp_cuda_kernelERKNSD_10TensorBaseESH_lENKUlvE_clEvENKUlvE4_clEvEUlS6_S6_E_S6_EEDaPvRmT3_T4_T5_mT6_P12ihipStream_tbENKUlT_T0_E_clISt17integral_constantIbLb0EESY_EEDaST_SU_EUlST_E0_NS1_11comp_targetILNS1_3genE2ELNS1_11target_archE906ELNS1_3gpuE6ELNS1_3repE0EEENS1_30default_config_static_selectorELNS0_4arch9wavefront6targetE1EEEvT1_, .Lfunc_end464-_ZN7rocprim17ROCPRIM_400000_NS6detail17trampoline_kernelINS0_14default_configENS1_20scan_config_selectorIN3c108BFloat16EEEZZNS1_9scan_implILNS1_25lookback_scan_determinismE0ELb0ELb0ES3_PKS6_PS6_S6_ZZZN2at6native31launch_logcumsumexp_cuda_kernelERKNSD_10TensorBaseESH_lENKUlvE_clEvENKUlvE4_clEvEUlS6_S6_E_S6_EEDaPvRmT3_T4_T5_mT6_P12ihipStream_tbENKUlT_T0_E_clISt17integral_constantIbLb0EESY_EEDaST_SU_EUlST_E0_NS1_11comp_targetILNS1_3genE2ELNS1_11target_archE906ELNS1_3gpuE6ELNS1_3repE0EEENS1_30default_config_static_selectorELNS0_4arch9wavefront6targetE1EEEvT1_
                                        ; -- End function
	.section	.AMDGPU.csdata,"",@progbits
; Kernel info:
; codeLenInByte = 0
; NumSgprs: 4
; NumVgprs: 0
; NumAgprs: 0
; TotalNumVgprs: 0
; ScratchSize: 0
; MemoryBound: 0
; FloatMode: 240
; IeeeMode: 1
; LDSByteSize: 0 bytes/workgroup (compile time only)
; SGPRBlocks: 0
; VGPRBlocks: 0
; NumSGPRsForWavesPerEU: 4
; NumVGPRsForWavesPerEU: 1
; AccumOffset: 4
; Occupancy: 8
; WaveLimiterHint : 0
; COMPUTE_PGM_RSRC2:SCRATCH_EN: 0
; COMPUTE_PGM_RSRC2:USER_SGPR: 6
; COMPUTE_PGM_RSRC2:TRAP_HANDLER: 0
; COMPUTE_PGM_RSRC2:TGID_X_EN: 1
; COMPUTE_PGM_RSRC2:TGID_Y_EN: 0
; COMPUTE_PGM_RSRC2:TGID_Z_EN: 0
; COMPUTE_PGM_RSRC2:TIDIG_COMP_CNT: 0
; COMPUTE_PGM_RSRC3_GFX90A:ACCUM_OFFSET: 0
; COMPUTE_PGM_RSRC3_GFX90A:TG_SPLIT: 0
	.section	.text._ZN7rocprim17ROCPRIM_400000_NS6detail17trampoline_kernelINS0_14default_configENS1_20scan_config_selectorIN3c108BFloat16EEEZZNS1_9scan_implILNS1_25lookback_scan_determinismE0ELb0ELb0ES3_PKS6_PS6_S6_ZZZN2at6native31launch_logcumsumexp_cuda_kernelERKNSD_10TensorBaseESH_lENKUlvE_clEvENKUlvE4_clEvEUlS6_S6_E_S6_EEDaPvRmT3_T4_T5_mT6_P12ihipStream_tbENKUlT_T0_E_clISt17integral_constantIbLb0EESY_EEDaST_SU_EUlST_E0_NS1_11comp_targetILNS1_3genE10ELNS1_11target_archE1201ELNS1_3gpuE5ELNS1_3repE0EEENS1_30default_config_static_selectorELNS0_4arch9wavefront6targetE1EEEvT1_,"axG",@progbits,_ZN7rocprim17ROCPRIM_400000_NS6detail17trampoline_kernelINS0_14default_configENS1_20scan_config_selectorIN3c108BFloat16EEEZZNS1_9scan_implILNS1_25lookback_scan_determinismE0ELb0ELb0ES3_PKS6_PS6_S6_ZZZN2at6native31launch_logcumsumexp_cuda_kernelERKNSD_10TensorBaseESH_lENKUlvE_clEvENKUlvE4_clEvEUlS6_S6_E_S6_EEDaPvRmT3_T4_T5_mT6_P12ihipStream_tbENKUlT_T0_E_clISt17integral_constantIbLb0EESY_EEDaST_SU_EUlST_E0_NS1_11comp_targetILNS1_3genE10ELNS1_11target_archE1201ELNS1_3gpuE5ELNS1_3repE0EEENS1_30default_config_static_selectorELNS0_4arch9wavefront6targetE1EEEvT1_,comdat
	.globl	_ZN7rocprim17ROCPRIM_400000_NS6detail17trampoline_kernelINS0_14default_configENS1_20scan_config_selectorIN3c108BFloat16EEEZZNS1_9scan_implILNS1_25lookback_scan_determinismE0ELb0ELb0ES3_PKS6_PS6_S6_ZZZN2at6native31launch_logcumsumexp_cuda_kernelERKNSD_10TensorBaseESH_lENKUlvE_clEvENKUlvE4_clEvEUlS6_S6_E_S6_EEDaPvRmT3_T4_T5_mT6_P12ihipStream_tbENKUlT_T0_E_clISt17integral_constantIbLb0EESY_EEDaST_SU_EUlST_E0_NS1_11comp_targetILNS1_3genE10ELNS1_11target_archE1201ELNS1_3gpuE5ELNS1_3repE0EEENS1_30default_config_static_selectorELNS0_4arch9wavefront6targetE1EEEvT1_ ; -- Begin function _ZN7rocprim17ROCPRIM_400000_NS6detail17trampoline_kernelINS0_14default_configENS1_20scan_config_selectorIN3c108BFloat16EEEZZNS1_9scan_implILNS1_25lookback_scan_determinismE0ELb0ELb0ES3_PKS6_PS6_S6_ZZZN2at6native31launch_logcumsumexp_cuda_kernelERKNSD_10TensorBaseESH_lENKUlvE_clEvENKUlvE4_clEvEUlS6_S6_E_S6_EEDaPvRmT3_T4_T5_mT6_P12ihipStream_tbENKUlT_T0_E_clISt17integral_constantIbLb0EESY_EEDaST_SU_EUlST_E0_NS1_11comp_targetILNS1_3genE10ELNS1_11target_archE1201ELNS1_3gpuE5ELNS1_3repE0EEENS1_30default_config_static_selectorELNS0_4arch9wavefront6targetE1EEEvT1_
	.p2align	8
	.type	_ZN7rocprim17ROCPRIM_400000_NS6detail17trampoline_kernelINS0_14default_configENS1_20scan_config_selectorIN3c108BFloat16EEEZZNS1_9scan_implILNS1_25lookback_scan_determinismE0ELb0ELb0ES3_PKS6_PS6_S6_ZZZN2at6native31launch_logcumsumexp_cuda_kernelERKNSD_10TensorBaseESH_lENKUlvE_clEvENKUlvE4_clEvEUlS6_S6_E_S6_EEDaPvRmT3_T4_T5_mT6_P12ihipStream_tbENKUlT_T0_E_clISt17integral_constantIbLb0EESY_EEDaST_SU_EUlST_E0_NS1_11comp_targetILNS1_3genE10ELNS1_11target_archE1201ELNS1_3gpuE5ELNS1_3repE0EEENS1_30default_config_static_selectorELNS0_4arch9wavefront6targetE1EEEvT1_,@function
_ZN7rocprim17ROCPRIM_400000_NS6detail17trampoline_kernelINS0_14default_configENS1_20scan_config_selectorIN3c108BFloat16EEEZZNS1_9scan_implILNS1_25lookback_scan_determinismE0ELb0ELb0ES3_PKS6_PS6_S6_ZZZN2at6native31launch_logcumsumexp_cuda_kernelERKNSD_10TensorBaseESH_lENKUlvE_clEvENKUlvE4_clEvEUlS6_S6_E_S6_EEDaPvRmT3_T4_T5_mT6_P12ihipStream_tbENKUlT_T0_E_clISt17integral_constantIbLb0EESY_EEDaST_SU_EUlST_E0_NS1_11comp_targetILNS1_3genE10ELNS1_11target_archE1201ELNS1_3gpuE5ELNS1_3repE0EEENS1_30default_config_static_selectorELNS0_4arch9wavefront6targetE1EEEvT1_: ; @_ZN7rocprim17ROCPRIM_400000_NS6detail17trampoline_kernelINS0_14default_configENS1_20scan_config_selectorIN3c108BFloat16EEEZZNS1_9scan_implILNS1_25lookback_scan_determinismE0ELb0ELb0ES3_PKS6_PS6_S6_ZZZN2at6native31launch_logcumsumexp_cuda_kernelERKNSD_10TensorBaseESH_lENKUlvE_clEvENKUlvE4_clEvEUlS6_S6_E_S6_EEDaPvRmT3_T4_T5_mT6_P12ihipStream_tbENKUlT_T0_E_clISt17integral_constantIbLb0EESY_EEDaST_SU_EUlST_E0_NS1_11comp_targetILNS1_3genE10ELNS1_11target_archE1201ELNS1_3gpuE5ELNS1_3repE0EEENS1_30default_config_static_selectorELNS0_4arch9wavefront6targetE1EEEvT1_
; %bb.0:
	.section	.rodata,"a",@progbits
	.p2align	6, 0x0
	.amdhsa_kernel _ZN7rocprim17ROCPRIM_400000_NS6detail17trampoline_kernelINS0_14default_configENS1_20scan_config_selectorIN3c108BFloat16EEEZZNS1_9scan_implILNS1_25lookback_scan_determinismE0ELb0ELb0ES3_PKS6_PS6_S6_ZZZN2at6native31launch_logcumsumexp_cuda_kernelERKNSD_10TensorBaseESH_lENKUlvE_clEvENKUlvE4_clEvEUlS6_S6_E_S6_EEDaPvRmT3_T4_T5_mT6_P12ihipStream_tbENKUlT_T0_E_clISt17integral_constantIbLb0EESY_EEDaST_SU_EUlST_E0_NS1_11comp_targetILNS1_3genE10ELNS1_11target_archE1201ELNS1_3gpuE5ELNS1_3repE0EEENS1_30default_config_static_selectorELNS0_4arch9wavefront6targetE1EEEvT1_
		.amdhsa_group_segment_fixed_size 0
		.amdhsa_private_segment_fixed_size 0
		.amdhsa_kernarg_size 32
		.amdhsa_user_sgpr_count 6
		.amdhsa_user_sgpr_private_segment_buffer 1
		.amdhsa_user_sgpr_dispatch_ptr 0
		.amdhsa_user_sgpr_queue_ptr 0
		.amdhsa_user_sgpr_kernarg_segment_ptr 1
		.amdhsa_user_sgpr_dispatch_id 0
		.amdhsa_user_sgpr_flat_scratch_init 0
		.amdhsa_user_sgpr_kernarg_preload_length 0
		.amdhsa_user_sgpr_kernarg_preload_offset 0
		.amdhsa_user_sgpr_private_segment_size 0
		.amdhsa_uses_dynamic_stack 0
		.amdhsa_system_sgpr_private_segment_wavefront_offset 0
		.amdhsa_system_sgpr_workgroup_id_x 1
		.amdhsa_system_sgpr_workgroup_id_y 0
		.amdhsa_system_sgpr_workgroup_id_z 0
		.amdhsa_system_sgpr_workgroup_info 0
		.amdhsa_system_vgpr_workitem_id 0
		.amdhsa_next_free_vgpr 1
		.amdhsa_next_free_sgpr 0
		.amdhsa_accum_offset 4
		.amdhsa_reserve_vcc 0
		.amdhsa_reserve_flat_scratch 0
		.amdhsa_float_round_mode_32 0
		.amdhsa_float_round_mode_16_64 0
		.amdhsa_float_denorm_mode_32 3
		.amdhsa_float_denorm_mode_16_64 3
		.amdhsa_dx10_clamp 1
		.amdhsa_ieee_mode 1
		.amdhsa_fp16_overflow 0
		.amdhsa_tg_split 0
		.amdhsa_exception_fp_ieee_invalid_op 0
		.amdhsa_exception_fp_denorm_src 0
		.amdhsa_exception_fp_ieee_div_zero 0
		.amdhsa_exception_fp_ieee_overflow 0
		.amdhsa_exception_fp_ieee_underflow 0
		.amdhsa_exception_fp_ieee_inexact 0
		.amdhsa_exception_int_div_zero 0
	.end_amdhsa_kernel
	.section	.text._ZN7rocprim17ROCPRIM_400000_NS6detail17trampoline_kernelINS0_14default_configENS1_20scan_config_selectorIN3c108BFloat16EEEZZNS1_9scan_implILNS1_25lookback_scan_determinismE0ELb0ELb0ES3_PKS6_PS6_S6_ZZZN2at6native31launch_logcumsumexp_cuda_kernelERKNSD_10TensorBaseESH_lENKUlvE_clEvENKUlvE4_clEvEUlS6_S6_E_S6_EEDaPvRmT3_T4_T5_mT6_P12ihipStream_tbENKUlT_T0_E_clISt17integral_constantIbLb0EESY_EEDaST_SU_EUlST_E0_NS1_11comp_targetILNS1_3genE10ELNS1_11target_archE1201ELNS1_3gpuE5ELNS1_3repE0EEENS1_30default_config_static_selectorELNS0_4arch9wavefront6targetE1EEEvT1_,"axG",@progbits,_ZN7rocprim17ROCPRIM_400000_NS6detail17trampoline_kernelINS0_14default_configENS1_20scan_config_selectorIN3c108BFloat16EEEZZNS1_9scan_implILNS1_25lookback_scan_determinismE0ELb0ELb0ES3_PKS6_PS6_S6_ZZZN2at6native31launch_logcumsumexp_cuda_kernelERKNSD_10TensorBaseESH_lENKUlvE_clEvENKUlvE4_clEvEUlS6_S6_E_S6_EEDaPvRmT3_T4_T5_mT6_P12ihipStream_tbENKUlT_T0_E_clISt17integral_constantIbLb0EESY_EEDaST_SU_EUlST_E0_NS1_11comp_targetILNS1_3genE10ELNS1_11target_archE1201ELNS1_3gpuE5ELNS1_3repE0EEENS1_30default_config_static_selectorELNS0_4arch9wavefront6targetE1EEEvT1_,comdat
.Lfunc_end465:
	.size	_ZN7rocprim17ROCPRIM_400000_NS6detail17trampoline_kernelINS0_14default_configENS1_20scan_config_selectorIN3c108BFloat16EEEZZNS1_9scan_implILNS1_25lookback_scan_determinismE0ELb0ELb0ES3_PKS6_PS6_S6_ZZZN2at6native31launch_logcumsumexp_cuda_kernelERKNSD_10TensorBaseESH_lENKUlvE_clEvENKUlvE4_clEvEUlS6_S6_E_S6_EEDaPvRmT3_T4_T5_mT6_P12ihipStream_tbENKUlT_T0_E_clISt17integral_constantIbLb0EESY_EEDaST_SU_EUlST_E0_NS1_11comp_targetILNS1_3genE10ELNS1_11target_archE1201ELNS1_3gpuE5ELNS1_3repE0EEENS1_30default_config_static_selectorELNS0_4arch9wavefront6targetE1EEEvT1_, .Lfunc_end465-_ZN7rocprim17ROCPRIM_400000_NS6detail17trampoline_kernelINS0_14default_configENS1_20scan_config_selectorIN3c108BFloat16EEEZZNS1_9scan_implILNS1_25lookback_scan_determinismE0ELb0ELb0ES3_PKS6_PS6_S6_ZZZN2at6native31launch_logcumsumexp_cuda_kernelERKNSD_10TensorBaseESH_lENKUlvE_clEvENKUlvE4_clEvEUlS6_S6_E_S6_EEDaPvRmT3_T4_T5_mT6_P12ihipStream_tbENKUlT_T0_E_clISt17integral_constantIbLb0EESY_EEDaST_SU_EUlST_E0_NS1_11comp_targetILNS1_3genE10ELNS1_11target_archE1201ELNS1_3gpuE5ELNS1_3repE0EEENS1_30default_config_static_selectorELNS0_4arch9wavefront6targetE1EEEvT1_
                                        ; -- End function
	.section	.AMDGPU.csdata,"",@progbits
; Kernel info:
; codeLenInByte = 0
; NumSgprs: 4
; NumVgprs: 0
; NumAgprs: 0
; TotalNumVgprs: 0
; ScratchSize: 0
; MemoryBound: 0
; FloatMode: 240
; IeeeMode: 1
; LDSByteSize: 0 bytes/workgroup (compile time only)
; SGPRBlocks: 0
; VGPRBlocks: 0
; NumSGPRsForWavesPerEU: 4
; NumVGPRsForWavesPerEU: 1
; AccumOffset: 4
; Occupancy: 8
; WaveLimiterHint : 0
; COMPUTE_PGM_RSRC2:SCRATCH_EN: 0
; COMPUTE_PGM_RSRC2:USER_SGPR: 6
; COMPUTE_PGM_RSRC2:TRAP_HANDLER: 0
; COMPUTE_PGM_RSRC2:TGID_X_EN: 1
; COMPUTE_PGM_RSRC2:TGID_Y_EN: 0
; COMPUTE_PGM_RSRC2:TGID_Z_EN: 0
; COMPUTE_PGM_RSRC2:TIDIG_COMP_CNT: 0
; COMPUTE_PGM_RSRC3_GFX90A:ACCUM_OFFSET: 0
; COMPUTE_PGM_RSRC3_GFX90A:TG_SPLIT: 0
	.section	.text._ZN7rocprim17ROCPRIM_400000_NS6detail17trampoline_kernelINS0_14default_configENS1_20scan_config_selectorIN3c108BFloat16EEEZZNS1_9scan_implILNS1_25lookback_scan_determinismE0ELb0ELb0ES3_PKS6_PS6_S6_ZZZN2at6native31launch_logcumsumexp_cuda_kernelERKNSD_10TensorBaseESH_lENKUlvE_clEvENKUlvE4_clEvEUlS6_S6_E_S6_EEDaPvRmT3_T4_T5_mT6_P12ihipStream_tbENKUlT_T0_E_clISt17integral_constantIbLb0EESY_EEDaST_SU_EUlST_E0_NS1_11comp_targetILNS1_3genE10ELNS1_11target_archE1200ELNS1_3gpuE4ELNS1_3repE0EEENS1_30default_config_static_selectorELNS0_4arch9wavefront6targetE1EEEvT1_,"axG",@progbits,_ZN7rocprim17ROCPRIM_400000_NS6detail17trampoline_kernelINS0_14default_configENS1_20scan_config_selectorIN3c108BFloat16EEEZZNS1_9scan_implILNS1_25lookback_scan_determinismE0ELb0ELb0ES3_PKS6_PS6_S6_ZZZN2at6native31launch_logcumsumexp_cuda_kernelERKNSD_10TensorBaseESH_lENKUlvE_clEvENKUlvE4_clEvEUlS6_S6_E_S6_EEDaPvRmT3_T4_T5_mT6_P12ihipStream_tbENKUlT_T0_E_clISt17integral_constantIbLb0EESY_EEDaST_SU_EUlST_E0_NS1_11comp_targetILNS1_3genE10ELNS1_11target_archE1200ELNS1_3gpuE4ELNS1_3repE0EEENS1_30default_config_static_selectorELNS0_4arch9wavefront6targetE1EEEvT1_,comdat
	.globl	_ZN7rocprim17ROCPRIM_400000_NS6detail17trampoline_kernelINS0_14default_configENS1_20scan_config_selectorIN3c108BFloat16EEEZZNS1_9scan_implILNS1_25lookback_scan_determinismE0ELb0ELb0ES3_PKS6_PS6_S6_ZZZN2at6native31launch_logcumsumexp_cuda_kernelERKNSD_10TensorBaseESH_lENKUlvE_clEvENKUlvE4_clEvEUlS6_S6_E_S6_EEDaPvRmT3_T4_T5_mT6_P12ihipStream_tbENKUlT_T0_E_clISt17integral_constantIbLb0EESY_EEDaST_SU_EUlST_E0_NS1_11comp_targetILNS1_3genE10ELNS1_11target_archE1200ELNS1_3gpuE4ELNS1_3repE0EEENS1_30default_config_static_selectorELNS0_4arch9wavefront6targetE1EEEvT1_ ; -- Begin function _ZN7rocprim17ROCPRIM_400000_NS6detail17trampoline_kernelINS0_14default_configENS1_20scan_config_selectorIN3c108BFloat16EEEZZNS1_9scan_implILNS1_25lookback_scan_determinismE0ELb0ELb0ES3_PKS6_PS6_S6_ZZZN2at6native31launch_logcumsumexp_cuda_kernelERKNSD_10TensorBaseESH_lENKUlvE_clEvENKUlvE4_clEvEUlS6_S6_E_S6_EEDaPvRmT3_T4_T5_mT6_P12ihipStream_tbENKUlT_T0_E_clISt17integral_constantIbLb0EESY_EEDaST_SU_EUlST_E0_NS1_11comp_targetILNS1_3genE10ELNS1_11target_archE1200ELNS1_3gpuE4ELNS1_3repE0EEENS1_30default_config_static_selectorELNS0_4arch9wavefront6targetE1EEEvT1_
	.p2align	8
	.type	_ZN7rocprim17ROCPRIM_400000_NS6detail17trampoline_kernelINS0_14default_configENS1_20scan_config_selectorIN3c108BFloat16EEEZZNS1_9scan_implILNS1_25lookback_scan_determinismE0ELb0ELb0ES3_PKS6_PS6_S6_ZZZN2at6native31launch_logcumsumexp_cuda_kernelERKNSD_10TensorBaseESH_lENKUlvE_clEvENKUlvE4_clEvEUlS6_S6_E_S6_EEDaPvRmT3_T4_T5_mT6_P12ihipStream_tbENKUlT_T0_E_clISt17integral_constantIbLb0EESY_EEDaST_SU_EUlST_E0_NS1_11comp_targetILNS1_3genE10ELNS1_11target_archE1200ELNS1_3gpuE4ELNS1_3repE0EEENS1_30default_config_static_selectorELNS0_4arch9wavefront6targetE1EEEvT1_,@function
_ZN7rocprim17ROCPRIM_400000_NS6detail17trampoline_kernelINS0_14default_configENS1_20scan_config_selectorIN3c108BFloat16EEEZZNS1_9scan_implILNS1_25lookback_scan_determinismE0ELb0ELb0ES3_PKS6_PS6_S6_ZZZN2at6native31launch_logcumsumexp_cuda_kernelERKNSD_10TensorBaseESH_lENKUlvE_clEvENKUlvE4_clEvEUlS6_S6_E_S6_EEDaPvRmT3_T4_T5_mT6_P12ihipStream_tbENKUlT_T0_E_clISt17integral_constantIbLb0EESY_EEDaST_SU_EUlST_E0_NS1_11comp_targetILNS1_3genE10ELNS1_11target_archE1200ELNS1_3gpuE4ELNS1_3repE0EEENS1_30default_config_static_selectorELNS0_4arch9wavefront6targetE1EEEvT1_: ; @_ZN7rocprim17ROCPRIM_400000_NS6detail17trampoline_kernelINS0_14default_configENS1_20scan_config_selectorIN3c108BFloat16EEEZZNS1_9scan_implILNS1_25lookback_scan_determinismE0ELb0ELb0ES3_PKS6_PS6_S6_ZZZN2at6native31launch_logcumsumexp_cuda_kernelERKNSD_10TensorBaseESH_lENKUlvE_clEvENKUlvE4_clEvEUlS6_S6_E_S6_EEDaPvRmT3_T4_T5_mT6_P12ihipStream_tbENKUlT_T0_E_clISt17integral_constantIbLb0EESY_EEDaST_SU_EUlST_E0_NS1_11comp_targetILNS1_3genE10ELNS1_11target_archE1200ELNS1_3gpuE4ELNS1_3repE0EEENS1_30default_config_static_selectorELNS0_4arch9wavefront6targetE1EEEvT1_
; %bb.0:
	.section	.rodata,"a",@progbits
	.p2align	6, 0x0
	.amdhsa_kernel _ZN7rocprim17ROCPRIM_400000_NS6detail17trampoline_kernelINS0_14default_configENS1_20scan_config_selectorIN3c108BFloat16EEEZZNS1_9scan_implILNS1_25lookback_scan_determinismE0ELb0ELb0ES3_PKS6_PS6_S6_ZZZN2at6native31launch_logcumsumexp_cuda_kernelERKNSD_10TensorBaseESH_lENKUlvE_clEvENKUlvE4_clEvEUlS6_S6_E_S6_EEDaPvRmT3_T4_T5_mT6_P12ihipStream_tbENKUlT_T0_E_clISt17integral_constantIbLb0EESY_EEDaST_SU_EUlST_E0_NS1_11comp_targetILNS1_3genE10ELNS1_11target_archE1200ELNS1_3gpuE4ELNS1_3repE0EEENS1_30default_config_static_selectorELNS0_4arch9wavefront6targetE1EEEvT1_
		.amdhsa_group_segment_fixed_size 0
		.amdhsa_private_segment_fixed_size 0
		.amdhsa_kernarg_size 32
		.amdhsa_user_sgpr_count 6
		.amdhsa_user_sgpr_private_segment_buffer 1
		.amdhsa_user_sgpr_dispatch_ptr 0
		.amdhsa_user_sgpr_queue_ptr 0
		.amdhsa_user_sgpr_kernarg_segment_ptr 1
		.amdhsa_user_sgpr_dispatch_id 0
		.amdhsa_user_sgpr_flat_scratch_init 0
		.amdhsa_user_sgpr_kernarg_preload_length 0
		.amdhsa_user_sgpr_kernarg_preload_offset 0
		.amdhsa_user_sgpr_private_segment_size 0
		.amdhsa_uses_dynamic_stack 0
		.amdhsa_system_sgpr_private_segment_wavefront_offset 0
		.amdhsa_system_sgpr_workgroup_id_x 1
		.amdhsa_system_sgpr_workgroup_id_y 0
		.amdhsa_system_sgpr_workgroup_id_z 0
		.amdhsa_system_sgpr_workgroup_info 0
		.amdhsa_system_vgpr_workitem_id 0
		.amdhsa_next_free_vgpr 1
		.amdhsa_next_free_sgpr 0
		.amdhsa_accum_offset 4
		.amdhsa_reserve_vcc 0
		.amdhsa_reserve_flat_scratch 0
		.amdhsa_float_round_mode_32 0
		.amdhsa_float_round_mode_16_64 0
		.amdhsa_float_denorm_mode_32 3
		.amdhsa_float_denorm_mode_16_64 3
		.amdhsa_dx10_clamp 1
		.amdhsa_ieee_mode 1
		.amdhsa_fp16_overflow 0
		.amdhsa_tg_split 0
		.amdhsa_exception_fp_ieee_invalid_op 0
		.amdhsa_exception_fp_denorm_src 0
		.amdhsa_exception_fp_ieee_div_zero 0
		.amdhsa_exception_fp_ieee_overflow 0
		.amdhsa_exception_fp_ieee_underflow 0
		.amdhsa_exception_fp_ieee_inexact 0
		.amdhsa_exception_int_div_zero 0
	.end_amdhsa_kernel
	.section	.text._ZN7rocprim17ROCPRIM_400000_NS6detail17trampoline_kernelINS0_14default_configENS1_20scan_config_selectorIN3c108BFloat16EEEZZNS1_9scan_implILNS1_25lookback_scan_determinismE0ELb0ELb0ES3_PKS6_PS6_S6_ZZZN2at6native31launch_logcumsumexp_cuda_kernelERKNSD_10TensorBaseESH_lENKUlvE_clEvENKUlvE4_clEvEUlS6_S6_E_S6_EEDaPvRmT3_T4_T5_mT6_P12ihipStream_tbENKUlT_T0_E_clISt17integral_constantIbLb0EESY_EEDaST_SU_EUlST_E0_NS1_11comp_targetILNS1_3genE10ELNS1_11target_archE1200ELNS1_3gpuE4ELNS1_3repE0EEENS1_30default_config_static_selectorELNS0_4arch9wavefront6targetE1EEEvT1_,"axG",@progbits,_ZN7rocprim17ROCPRIM_400000_NS6detail17trampoline_kernelINS0_14default_configENS1_20scan_config_selectorIN3c108BFloat16EEEZZNS1_9scan_implILNS1_25lookback_scan_determinismE0ELb0ELb0ES3_PKS6_PS6_S6_ZZZN2at6native31launch_logcumsumexp_cuda_kernelERKNSD_10TensorBaseESH_lENKUlvE_clEvENKUlvE4_clEvEUlS6_S6_E_S6_EEDaPvRmT3_T4_T5_mT6_P12ihipStream_tbENKUlT_T0_E_clISt17integral_constantIbLb0EESY_EEDaST_SU_EUlST_E0_NS1_11comp_targetILNS1_3genE10ELNS1_11target_archE1200ELNS1_3gpuE4ELNS1_3repE0EEENS1_30default_config_static_selectorELNS0_4arch9wavefront6targetE1EEEvT1_,comdat
.Lfunc_end466:
	.size	_ZN7rocprim17ROCPRIM_400000_NS6detail17trampoline_kernelINS0_14default_configENS1_20scan_config_selectorIN3c108BFloat16EEEZZNS1_9scan_implILNS1_25lookback_scan_determinismE0ELb0ELb0ES3_PKS6_PS6_S6_ZZZN2at6native31launch_logcumsumexp_cuda_kernelERKNSD_10TensorBaseESH_lENKUlvE_clEvENKUlvE4_clEvEUlS6_S6_E_S6_EEDaPvRmT3_T4_T5_mT6_P12ihipStream_tbENKUlT_T0_E_clISt17integral_constantIbLb0EESY_EEDaST_SU_EUlST_E0_NS1_11comp_targetILNS1_3genE10ELNS1_11target_archE1200ELNS1_3gpuE4ELNS1_3repE0EEENS1_30default_config_static_selectorELNS0_4arch9wavefront6targetE1EEEvT1_, .Lfunc_end466-_ZN7rocprim17ROCPRIM_400000_NS6detail17trampoline_kernelINS0_14default_configENS1_20scan_config_selectorIN3c108BFloat16EEEZZNS1_9scan_implILNS1_25lookback_scan_determinismE0ELb0ELb0ES3_PKS6_PS6_S6_ZZZN2at6native31launch_logcumsumexp_cuda_kernelERKNSD_10TensorBaseESH_lENKUlvE_clEvENKUlvE4_clEvEUlS6_S6_E_S6_EEDaPvRmT3_T4_T5_mT6_P12ihipStream_tbENKUlT_T0_E_clISt17integral_constantIbLb0EESY_EEDaST_SU_EUlST_E0_NS1_11comp_targetILNS1_3genE10ELNS1_11target_archE1200ELNS1_3gpuE4ELNS1_3repE0EEENS1_30default_config_static_selectorELNS0_4arch9wavefront6targetE1EEEvT1_
                                        ; -- End function
	.section	.AMDGPU.csdata,"",@progbits
; Kernel info:
; codeLenInByte = 0
; NumSgprs: 4
; NumVgprs: 0
; NumAgprs: 0
; TotalNumVgprs: 0
; ScratchSize: 0
; MemoryBound: 0
; FloatMode: 240
; IeeeMode: 1
; LDSByteSize: 0 bytes/workgroup (compile time only)
; SGPRBlocks: 0
; VGPRBlocks: 0
; NumSGPRsForWavesPerEU: 4
; NumVGPRsForWavesPerEU: 1
; AccumOffset: 4
; Occupancy: 8
; WaveLimiterHint : 0
; COMPUTE_PGM_RSRC2:SCRATCH_EN: 0
; COMPUTE_PGM_RSRC2:USER_SGPR: 6
; COMPUTE_PGM_RSRC2:TRAP_HANDLER: 0
; COMPUTE_PGM_RSRC2:TGID_X_EN: 1
; COMPUTE_PGM_RSRC2:TGID_Y_EN: 0
; COMPUTE_PGM_RSRC2:TGID_Z_EN: 0
; COMPUTE_PGM_RSRC2:TIDIG_COMP_CNT: 0
; COMPUTE_PGM_RSRC3_GFX90A:ACCUM_OFFSET: 0
; COMPUTE_PGM_RSRC3_GFX90A:TG_SPLIT: 0
	.section	.text._ZN7rocprim17ROCPRIM_400000_NS6detail17trampoline_kernelINS0_14default_configENS1_20scan_config_selectorIN3c108BFloat16EEEZZNS1_9scan_implILNS1_25lookback_scan_determinismE0ELb0ELb0ES3_PKS6_PS6_S6_ZZZN2at6native31launch_logcumsumexp_cuda_kernelERKNSD_10TensorBaseESH_lENKUlvE_clEvENKUlvE4_clEvEUlS6_S6_E_S6_EEDaPvRmT3_T4_T5_mT6_P12ihipStream_tbENKUlT_T0_E_clISt17integral_constantIbLb0EESY_EEDaST_SU_EUlST_E0_NS1_11comp_targetILNS1_3genE9ELNS1_11target_archE1100ELNS1_3gpuE3ELNS1_3repE0EEENS1_30default_config_static_selectorELNS0_4arch9wavefront6targetE1EEEvT1_,"axG",@progbits,_ZN7rocprim17ROCPRIM_400000_NS6detail17trampoline_kernelINS0_14default_configENS1_20scan_config_selectorIN3c108BFloat16EEEZZNS1_9scan_implILNS1_25lookback_scan_determinismE0ELb0ELb0ES3_PKS6_PS6_S6_ZZZN2at6native31launch_logcumsumexp_cuda_kernelERKNSD_10TensorBaseESH_lENKUlvE_clEvENKUlvE4_clEvEUlS6_S6_E_S6_EEDaPvRmT3_T4_T5_mT6_P12ihipStream_tbENKUlT_T0_E_clISt17integral_constantIbLb0EESY_EEDaST_SU_EUlST_E0_NS1_11comp_targetILNS1_3genE9ELNS1_11target_archE1100ELNS1_3gpuE3ELNS1_3repE0EEENS1_30default_config_static_selectorELNS0_4arch9wavefront6targetE1EEEvT1_,comdat
	.globl	_ZN7rocprim17ROCPRIM_400000_NS6detail17trampoline_kernelINS0_14default_configENS1_20scan_config_selectorIN3c108BFloat16EEEZZNS1_9scan_implILNS1_25lookback_scan_determinismE0ELb0ELb0ES3_PKS6_PS6_S6_ZZZN2at6native31launch_logcumsumexp_cuda_kernelERKNSD_10TensorBaseESH_lENKUlvE_clEvENKUlvE4_clEvEUlS6_S6_E_S6_EEDaPvRmT3_T4_T5_mT6_P12ihipStream_tbENKUlT_T0_E_clISt17integral_constantIbLb0EESY_EEDaST_SU_EUlST_E0_NS1_11comp_targetILNS1_3genE9ELNS1_11target_archE1100ELNS1_3gpuE3ELNS1_3repE0EEENS1_30default_config_static_selectorELNS0_4arch9wavefront6targetE1EEEvT1_ ; -- Begin function _ZN7rocprim17ROCPRIM_400000_NS6detail17trampoline_kernelINS0_14default_configENS1_20scan_config_selectorIN3c108BFloat16EEEZZNS1_9scan_implILNS1_25lookback_scan_determinismE0ELb0ELb0ES3_PKS6_PS6_S6_ZZZN2at6native31launch_logcumsumexp_cuda_kernelERKNSD_10TensorBaseESH_lENKUlvE_clEvENKUlvE4_clEvEUlS6_S6_E_S6_EEDaPvRmT3_T4_T5_mT6_P12ihipStream_tbENKUlT_T0_E_clISt17integral_constantIbLb0EESY_EEDaST_SU_EUlST_E0_NS1_11comp_targetILNS1_3genE9ELNS1_11target_archE1100ELNS1_3gpuE3ELNS1_3repE0EEENS1_30default_config_static_selectorELNS0_4arch9wavefront6targetE1EEEvT1_
	.p2align	8
	.type	_ZN7rocprim17ROCPRIM_400000_NS6detail17trampoline_kernelINS0_14default_configENS1_20scan_config_selectorIN3c108BFloat16EEEZZNS1_9scan_implILNS1_25lookback_scan_determinismE0ELb0ELb0ES3_PKS6_PS6_S6_ZZZN2at6native31launch_logcumsumexp_cuda_kernelERKNSD_10TensorBaseESH_lENKUlvE_clEvENKUlvE4_clEvEUlS6_S6_E_S6_EEDaPvRmT3_T4_T5_mT6_P12ihipStream_tbENKUlT_T0_E_clISt17integral_constantIbLb0EESY_EEDaST_SU_EUlST_E0_NS1_11comp_targetILNS1_3genE9ELNS1_11target_archE1100ELNS1_3gpuE3ELNS1_3repE0EEENS1_30default_config_static_selectorELNS0_4arch9wavefront6targetE1EEEvT1_,@function
_ZN7rocprim17ROCPRIM_400000_NS6detail17trampoline_kernelINS0_14default_configENS1_20scan_config_selectorIN3c108BFloat16EEEZZNS1_9scan_implILNS1_25lookback_scan_determinismE0ELb0ELb0ES3_PKS6_PS6_S6_ZZZN2at6native31launch_logcumsumexp_cuda_kernelERKNSD_10TensorBaseESH_lENKUlvE_clEvENKUlvE4_clEvEUlS6_S6_E_S6_EEDaPvRmT3_T4_T5_mT6_P12ihipStream_tbENKUlT_T0_E_clISt17integral_constantIbLb0EESY_EEDaST_SU_EUlST_E0_NS1_11comp_targetILNS1_3genE9ELNS1_11target_archE1100ELNS1_3gpuE3ELNS1_3repE0EEENS1_30default_config_static_selectorELNS0_4arch9wavefront6targetE1EEEvT1_: ; @_ZN7rocprim17ROCPRIM_400000_NS6detail17trampoline_kernelINS0_14default_configENS1_20scan_config_selectorIN3c108BFloat16EEEZZNS1_9scan_implILNS1_25lookback_scan_determinismE0ELb0ELb0ES3_PKS6_PS6_S6_ZZZN2at6native31launch_logcumsumexp_cuda_kernelERKNSD_10TensorBaseESH_lENKUlvE_clEvENKUlvE4_clEvEUlS6_S6_E_S6_EEDaPvRmT3_T4_T5_mT6_P12ihipStream_tbENKUlT_T0_E_clISt17integral_constantIbLb0EESY_EEDaST_SU_EUlST_E0_NS1_11comp_targetILNS1_3genE9ELNS1_11target_archE1100ELNS1_3gpuE3ELNS1_3repE0EEENS1_30default_config_static_selectorELNS0_4arch9wavefront6targetE1EEEvT1_
; %bb.0:
	.section	.rodata,"a",@progbits
	.p2align	6, 0x0
	.amdhsa_kernel _ZN7rocprim17ROCPRIM_400000_NS6detail17trampoline_kernelINS0_14default_configENS1_20scan_config_selectorIN3c108BFloat16EEEZZNS1_9scan_implILNS1_25lookback_scan_determinismE0ELb0ELb0ES3_PKS6_PS6_S6_ZZZN2at6native31launch_logcumsumexp_cuda_kernelERKNSD_10TensorBaseESH_lENKUlvE_clEvENKUlvE4_clEvEUlS6_S6_E_S6_EEDaPvRmT3_T4_T5_mT6_P12ihipStream_tbENKUlT_T0_E_clISt17integral_constantIbLb0EESY_EEDaST_SU_EUlST_E0_NS1_11comp_targetILNS1_3genE9ELNS1_11target_archE1100ELNS1_3gpuE3ELNS1_3repE0EEENS1_30default_config_static_selectorELNS0_4arch9wavefront6targetE1EEEvT1_
		.amdhsa_group_segment_fixed_size 0
		.amdhsa_private_segment_fixed_size 0
		.amdhsa_kernarg_size 32
		.amdhsa_user_sgpr_count 6
		.amdhsa_user_sgpr_private_segment_buffer 1
		.amdhsa_user_sgpr_dispatch_ptr 0
		.amdhsa_user_sgpr_queue_ptr 0
		.amdhsa_user_sgpr_kernarg_segment_ptr 1
		.amdhsa_user_sgpr_dispatch_id 0
		.amdhsa_user_sgpr_flat_scratch_init 0
		.amdhsa_user_sgpr_kernarg_preload_length 0
		.amdhsa_user_sgpr_kernarg_preload_offset 0
		.amdhsa_user_sgpr_private_segment_size 0
		.amdhsa_uses_dynamic_stack 0
		.amdhsa_system_sgpr_private_segment_wavefront_offset 0
		.amdhsa_system_sgpr_workgroup_id_x 1
		.amdhsa_system_sgpr_workgroup_id_y 0
		.amdhsa_system_sgpr_workgroup_id_z 0
		.amdhsa_system_sgpr_workgroup_info 0
		.amdhsa_system_vgpr_workitem_id 0
		.amdhsa_next_free_vgpr 1
		.amdhsa_next_free_sgpr 0
		.amdhsa_accum_offset 4
		.amdhsa_reserve_vcc 0
		.amdhsa_reserve_flat_scratch 0
		.amdhsa_float_round_mode_32 0
		.amdhsa_float_round_mode_16_64 0
		.amdhsa_float_denorm_mode_32 3
		.amdhsa_float_denorm_mode_16_64 3
		.amdhsa_dx10_clamp 1
		.amdhsa_ieee_mode 1
		.amdhsa_fp16_overflow 0
		.amdhsa_tg_split 0
		.amdhsa_exception_fp_ieee_invalid_op 0
		.amdhsa_exception_fp_denorm_src 0
		.amdhsa_exception_fp_ieee_div_zero 0
		.amdhsa_exception_fp_ieee_overflow 0
		.amdhsa_exception_fp_ieee_underflow 0
		.amdhsa_exception_fp_ieee_inexact 0
		.amdhsa_exception_int_div_zero 0
	.end_amdhsa_kernel
	.section	.text._ZN7rocprim17ROCPRIM_400000_NS6detail17trampoline_kernelINS0_14default_configENS1_20scan_config_selectorIN3c108BFloat16EEEZZNS1_9scan_implILNS1_25lookback_scan_determinismE0ELb0ELb0ES3_PKS6_PS6_S6_ZZZN2at6native31launch_logcumsumexp_cuda_kernelERKNSD_10TensorBaseESH_lENKUlvE_clEvENKUlvE4_clEvEUlS6_S6_E_S6_EEDaPvRmT3_T4_T5_mT6_P12ihipStream_tbENKUlT_T0_E_clISt17integral_constantIbLb0EESY_EEDaST_SU_EUlST_E0_NS1_11comp_targetILNS1_3genE9ELNS1_11target_archE1100ELNS1_3gpuE3ELNS1_3repE0EEENS1_30default_config_static_selectorELNS0_4arch9wavefront6targetE1EEEvT1_,"axG",@progbits,_ZN7rocprim17ROCPRIM_400000_NS6detail17trampoline_kernelINS0_14default_configENS1_20scan_config_selectorIN3c108BFloat16EEEZZNS1_9scan_implILNS1_25lookback_scan_determinismE0ELb0ELb0ES3_PKS6_PS6_S6_ZZZN2at6native31launch_logcumsumexp_cuda_kernelERKNSD_10TensorBaseESH_lENKUlvE_clEvENKUlvE4_clEvEUlS6_S6_E_S6_EEDaPvRmT3_T4_T5_mT6_P12ihipStream_tbENKUlT_T0_E_clISt17integral_constantIbLb0EESY_EEDaST_SU_EUlST_E0_NS1_11comp_targetILNS1_3genE9ELNS1_11target_archE1100ELNS1_3gpuE3ELNS1_3repE0EEENS1_30default_config_static_selectorELNS0_4arch9wavefront6targetE1EEEvT1_,comdat
.Lfunc_end467:
	.size	_ZN7rocprim17ROCPRIM_400000_NS6detail17trampoline_kernelINS0_14default_configENS1_20scan_config_selectorIN3c108BFloat16EEEZZNS1_9scan_implILNS1_25lookback_scan_determinismE0ELb0ELb0ES3_PKS6_PS6_S6_ZZZN2at6native31launch_logcumsumexp_cuda_kernelERKNSD_10TensorBaseESH_lENKUlvE_clEvENKUlvE4_clEvEUlS6_S6_E_S6_EEDaPvRmT3_T4_T5_mT6_P12ihipStream_tbENKUlT_T0_E_clISt17integral_constantIbLb0EESY_EEDaST_SU_EUlST_E0_NS1_11comp_targetILNS1_3genE9ELNS1_11target_archE1100ELNS1_3gpuE3ELNS1_3repE0EEENS1_30default_config_static_selectorELNS0_4arch9wavefront6targetE1EEEvT1_, .Lfunc_end467-_ZN7rocprim17ROCPRIM_400000_NS6detail17trampoline_kernelINS0_14default_configENS1_20scan_config_selectorIN3c108BFloat16EEEZZNS1_9scan_implILNS1_25lookback_scan_determinismE0ELb0ELb0ES3_PKS6_PS6_S6_ZZZN2at6native31launch_logcumsumexp_cuda_kernelERKNSD_10TensorBaseESH_lENKUlvE_clEvENKUlvE4_clEvEUlS6_S6_E_S6_EEDaPvRmT3_T4_T5_mT6_P12ihipStream_tbENKUlT_T0_E_clISt17integral_constantIbLb0EESY_EEDaST_SU_EUlST_E0_NS1_11comp_targetILNS1_3genE9ELNS1_11target_archE1100ELNS1_3gpuE3ELNS1_3repE0EEENS1_30default_config_static_selectorELNS0_4arch9wavefront6targetE1EEEvT1_
                                        ; -- End function
	.section	.AMDGPU.csdata,"",@progbits
; Kernel info:
; codeLenInByte = 0
; NumSgprs: 4
; NumVgprs: 0
; NumAgprs: 0
; TotalNumVgprs: 0
; ScratchSize: 0
; MemoryBound: 0
; FloatMode: 240
; IeeeMode: 1
; LDSByteSize: 0 bytes/workgroup (compile time only)
; SGPRBlocks: 0
; VGPRBlocks: 0
; NumSGPRsForWavesPerEU: 4
; NumVGPRsForWavesPerEU: 1
; AccumOffset: 4
; Occupancy: 8
; WaveLimiterHint : 0
; COMPUTE_PGM_RSRC2:SCRATCH_EN: 0
; COMPUTE_PGM_RSRC2:USER_SGPR: 6
; COMPUTE_PGM_RSRC2:TRAP_HANDLER: 0
; COMPUTE_PGM_RSRC2:TGID_X_EN: 1
; COMPUTE_PGM_RSRC2:TGID_Y_EN: 0
; COMPUTE_PGM_RSRC2:TGID_Z_EN: 0
; COMPUTE_PGM_RSRC2:TIDIG_COMP_CNT: 0
; COMPUTE_PGM_RSRC3_GFX90A:ACCUM_OFFSET: 0
; COMPUTE_PGM_RSRC3_GFX90A:TG_SPLIT: 0
	.section	.text._ZN7rocprim17ROCPRIM_400000_NS6detail17trampoline_kernelINS0_14default_configENS1_20scan_config_selectorIN3c108BFloat16EEEZZNS1_9scan_implILNS1_25lookback_scan_determinismE0ELb0ELb0ES3_PKS6_PS6_S6_ZZZN2at6native31launch_logcumsumexp_cuda_kernelERKNSD_10TensorBaseESH_lENKUlvE_clEvENKUlvE4_clEvEUlS6_S6_E_S6_EEDaPvRmT3_T4_T5_mT6_P12ihipStream_tbENKUlT_T0_E_clISt17integral_constantIbLb0EESY_EEDaST_SU_EUlST_E0_NS1_11comp_targetILNS1_3genE8ELNS1_11target_archE1030ELNS1_3gpuE2ELNS1_3repE0EEENS1_30default_config_static_selectorELNS0_4arch9wavefront6targetE1EEEvT1_,"axG",@progbits,_ZN7rocprim17ROCPRIM_400000_NS6detail17trampoline_kernelINS0_14default_configENS1_20scan_config_selectorIN3c108BFloat16EEEZZNS1_9scan_implILNS1_25lookback_scan_determinismE0ELb0ELb0ES3_PKS6_PS6_S6_ZZZN2at6native31launch_logcumsumexp_cuda_kernelERKNSD_10TensorBaseESH_lENKUlvE_clEvENKUlvE4_clEvEUlS6_S6_E_S6_EEDaPvRmT3_T4_T5_mT6_P12ihipStream_tbENKUlT_T0_E_clISt17integral_constantIbLb0EESY_EEDaST_SU_EUlST_E0_NS1_11comp_targetILNS1_3genE8ELNS1_11target_archE1030ELNS1_3gpuE2ELNS1_3repE0EEENS1_30default_config_static_selectorELNS0_4arch9wavefront6targetE1EEEvT1_,comdat
	.globl	_ZN7rocprim17ROCPRIM_400000_NS6detail17trampoline_kernelINS0_14default_configENS1_20scan_config_selectorIN3c108BFloat16EEEZZNS1_9scan_implILNS1_25lookback_scan_determinismE0ELb0ELb0ES3_PKS6_PS6_S6_ZZZN2at6native31launch_logcumsumexp_cuda_kernelERKNSD_10TensorBaseESH_lENKUlvE_clEvENKUlvE4_clEvEUlS6_S6_E_S6_EEDaPvRmT3_T4_T5_mT6_P12ihipStream_tbENKUlT_T0_E_clISt17integral_constantIbLb0EESY_EEDaST_SU_EUlST_E0_NS1_11comp_targetILNS1_3genE8ELNS1_11target_archE1030ELNS1_3gpuE2ELNS1_3repE0EEENS1_30default_config_static_selectorELNS0_4arch9wavefront6targetE1EEEvT1_ ; -- Begin function _ZN7rocprim17ROCPRIM_400000_NS6detail17trampoline_kernelINS0_14default_configENS1_20scan_config_selectorIN3c108BFloat16EEEZZNS1_9scan_implILNS1_25lookback_scan_determinismE0ELb0ELb0ES3_PKS6_PS6_S6_ZZZN2at6native31launch_logcumsumexp_cuda_kernelERKNSD_10TensorBaseESH_lENKUlvE_clEvENKUlvE4_clEvEUlS6_S6_E_S6_EEDaPvRmT3_T4_T5_mT6_P12ihipStream_tbENKUlT_T0_E_clISt17integral_constantIbLb0EESY_EEDaST_SU_EUlST_E0_NS1_11comp_targetILNS1_3genE8ELNS1_11target_archE1030ELNS1_3gpuE2ELNS1_3repE0EEENS1_30default_config_static_selectorELNS0_4arch9wavefront6targetE1EEEvT1_
	.p2align	8
	.type	_ZN7rocprim17ROCPRIM_400000_NS6detail17trampoline_kernelINS0_14default_configENS1_20scan_config_selectorIN3c108BFloat16EEEZZNS1_9scan_implILNS1_25lookback_scan_determinismE0ELb0ELb0ES3_PKS6_PS6_S6_ZZZN2at6native31launch_logcumsumexp_cuda_kernelERKNSD_10TensorBaseESH_lENKUlvE_clEvENKUlvE4_clEvEUlS6_S6_E_S6_EEDaPvRmT3_T4_T5_mT6_P12ihipStream_tbENKUlT_T0_E_clISt17integral_constantIbLb0EESY_EEDaST_SU_EUlST_E0_NS1_11comp_targetILNS1_3genE8ELNS1_11target_archE1030ELNS1_3gpuE2ELNS1_3repE0EEENS1_30default_config_static_selectorELNS0_4arch9wavefront6targetE1EEEvT1_,@function
_ZN7rocprim17ROCPRIM_400000_NS6detail17trampoline_kernelINS0_14default_configENS1_20scan_config_selectorIN3c108BFloat16EEEZZNS1_9scan_implILNS1_25lookback_scan_determinismE0ELb0ELb0ES3_PKS6_PS6_S6_ZZZN2at6native31launch_logcumsumexp_cuda_kernelERKNSD_10TensorBaseESH_lENKUlvE_clEvENKUlvE4_clEvEUlS6_S6_E_S6_EEDaPvRmT3_T4_T5_mT6_P12ihipStream_tbENKUlT_T0_E_clISt17integral_constantIbLb0EESY_EEDaST_SU_EUlST_E0_NS1_11comp_targetILNS1_3genE8ELNS1_11target_archE1030ELNS1_3gpuE2ELNS1_3repE0EEENS1_30default_config_static_selectorELNS0_4arch9wavefront6targetE1EEEvT1_: ; @_ZN7rocprim17ROCPRIM_400000_NS6detail17trampoline_kernelINS0_14default_configENS1_20scan_config_selectorIN3c108BFloat16EEEZZNS1_9scan_implILNS1_25lookback_scan_determinismE0ELb0ELb0ES3_PKS6_PS6_S6_ZZZN2at6native31launch_logcumsumexp_cuda_kernelERKNSD_10TensorBaseESH_lENKUlvE_clEvENKUlvE4_clEvEUlS6_S6_E_S6_EEDaPvRmT3_T4_T5_mT6_P12ihipStream_tbENKUlT_T0_E_clISt17integral_constantIbLb0EESY_EEDaST_SU_EUlST_E0_NS1_11comp_targetILNS1_3genE8ELNS1_11target_archE1030ELNS1_3gpuE2ELNS1_3repE0EEENS1_30default_config_static_selectorELNS0_4arch9wavefront6targetE1EEEvT1_
; %bb.0:
	.section	.rodata,"a",@progbits
	.p2align	6, 0x0
	.amdhsa_kernel _ZN7rocprim17ROCPRIM_400000_NS6detail17trampoline_kernelINS0_14default_configENS1_20scan_config_selectorIN3c108BFloat16EEEZZNS1_9scan_implILNS1_25lookback_scan_determinismE0ELb0ELb0ES3_PKS6_PS6_S6_ZZZN2at6native31launch_logcumsumexp_cuda_kernelERKNSD_10TensorBaseESH_lENKUlvE_clEvENKUlvE4_clEvEUlS6_S6_E_S6_EEDaPvRmT3_T4_T5_mT6_P12ihipStream_tbENKUlT_T0_E_clISt17integral_constantIbLb0EESY_EEDaST_SU_EUlST_E0_NS1_11comp_targetILNS1_3genE8ELNS1_11target_archE1030ELNS1_3gpuE2ELNS1_3repE0EEENS1_30default_config_static_selectorELNS0_4arch9wavefront6targetE1EEEvT1_
		.amdhsa_group_segment_fixed_size 0
		.amdhsa_private_segment_fixed_size 0
		.amdhsa_kernarg_size 32
		.amdhsa_user_sgpr_count 6
		.amdhsa_user_sgpr_private_segment_buffer 1
		.amdhsa_user_sgpr_dispatch_ptr 0
		.amdhsa_user_sgpr_queue_ptr 0
		.amdhsa_user_sgpr_kernarg_segment_ptr 1
		.amdhsa_user_sgpr_dispatch_id 0
		.amdhsa_user_sgpr_flat_scratch_init 0
		.amdhsa_user_sgpr_kernarg_preload_length 0
		.amdhsa_user_sgpr_kernarg_preload_offset 0
		.amdhsa_user_sgpr_private_segment_size 0
		.amdhsa_uses_dynamic_stack 0
		.amdhsa_system_sgpr_private_segment_wavefront_offset 0
		.amdhsa_system_sgpr_workgroup_id_x 1
		.amdhsa_system_sgpr_workgroup_id_y 0
		.amdhsa_system_sgpr_workgroup_id_z 0
		.amdhsa_system_sgpr_workgroup_info 0
		.amdhsa_system_vgpr_workitem_id 0
		.amdhsa_next_free_vgpr 1
		.amdhsa_next_free_sgpr 0
		.amdhsa_accum_offset 4
		.amdhsa_reserve_vcc 0
		.amdhsa_reserve_flat_scratch 0
		.amdhsa_float_round_mode_32 0
		.amdhsa_float_round_mode_16_64 0
		.amdhsa_float_denorm_mode_32 3
		.amdhsa_float_denorm_mode_16_64 3
		.amdhsa_dx10_clamp 1
		.amdhsa_ieee_mode 1
		.amdhsa_fp16_overflow 0
		.amdhsa_tg_split 0
		.amdhsa_exception_fp_ieee_invalid_op 0
		.amdhsa_exception_fp_denorm_src 0
		.amdhsa_exception_fp_ieee_div_zero 0
		.amdhsa_exception_fp_ieee_overflow 0
		.amdhsa_exception_fp_ieee_underflow 0
		.amdhsa_exception_fp_ieee_inexact 0
		.amdhsa_exception_int_div_zero 0
	.end_amdhsa_kernel
	.section	.text._ZN7rocprim17ROCPRIM_400000_NS6detail17trampoline_kernelINS0_14default_configENS1_20scan_config_selectorIN3c108BFloat16EEEZZNS1_9scan_implILNS1_25lookback_scan_determinismE0ELb0ELb0ES3_PKS6_PS6_S6_ZZZN2at6native31launch_logcumsumexp_cuda_kernelERKNSD_10TensorBaseESH_lENKUlvE_clEvENKUlvE4_clEvEUlS6_S6_E_S6_EEDaPvRmT3_T4_T5_mT6_P12ihipStream_tbENKUlT_T0_E_clISt17integral_constantIbLb0EESY_EEDaST_SU_EUlST_E0_NS1_11comp_targetILNS1_3genE8ELNS1_11target_archE1030ELNS1_3gpuE2ELNS1_3repE0EEENS1_30default_config_static_selectorELNS0_4arch9wavefront6targetE1EEEvT1_,"axG",@progbits,_ZN7rocprim17ROCPRIM_400000_NS6detail17trampoline_kernelINS0_14default_configENS1_20scan_config_selectorIN3c108BFloat16EEEZZNS1_9scan_implILNS1_25lookback_scan_determinismE0ELb0ELb0ES3_PKS6_PS6_S6_ZZZN2at6native31launch_logcumsumexp_cuda_kernelERKNSD_10TensorBaseESH_lENKUlvE_clEvENKUlvE4_clEvEUlS6_S6_E_S6_EEDaPvRmT3_T4_T5_mT6_P12ihipStream_tbENKUlT_T0_E_clISt17integral_constantIbLb0EESY_EEDaST_SU_EUlST_E0_NS1_11comp_targetILNS1_3genE8ELNS1_11target_archE1030ELNS1_3gpuE2ELNS1_3repE0EEENS1_30default_config_static_selectorELNS0_4arch9wavefront6targetE1EEEvT1_,comdat
.Lfunc_end468:
	.size	_ZN7rocprim17ROCPRIM_400000_NS6detail17trampoline_kernelINS0_14default_configENS1_20scan_config_selectorIN3c108BFloat16EEEZZNS1_9scan_implILNS1_25lookback_scan_determinismE0ELb0ELb0ES3_PKS6_PS6_S6_ZZZN2at6native31launch_logcumsumexp_cuda_kernelERKNSD_10TensorBaseESH_lENKUlvE_clEvENKUlvE4_clEvEUlS6_S6_E_S6_EEDaPvRmT3_T4_T5_mT6_P12ihipStream_tbENKUlT_T0_E_clISt17integral_constantIbLb0EESY_EEDaST_SU_EUlST_E0_NS1_11comp_targetILNS1_3genE8ELNS1_11target_archE1030ELNS1_3gpuE2ELNS1_3repE0EEENS1_30default_config_static_selectorELNS0_4arch9wavefront6targetE1EEEvT1_, .Lfunc_end468-_ZN7rocprim17ROCPRIM_400000_NS6detail17trampoline_kernelINS0_14default_configENS1_20scan_config_selectorIN3c108BFloat16EEEZZNS1_9scan_implILNS1_25lookback_scan_determinismE0ELb0ELb0ES3_PKS6_PS6_S6_ZZZN2at6native31launch_logcumsumexp_cuda_kernelERKNSD_10TensorBaseESH_lENKUlvE_clEvENKUlvE4_clEvEUlS6_S6_E_S6_EEDaPvRmT3_T4_T5_mT6_P12ihipStream_tbENKUlT_T0_E_clISt17integral_constantIbLb0EESY_EEDaST_SU_EUlST_E0_NS1_11comp_targetILNS1_3genE8ELNS1_11target_archE1030ELNS1_3gpuE2ELNS1_3repE0EEENS1_30default_config_static_selectorELNS0_4arch9wavefront6targetE1EEEvT1_
                                        ; -- End function
	.section	.AMDGPU.csdata,"",@progbits
; Kernel info:
; codeLenInByte = 0
; NumSgprs: 4
; NumVgprs: 0
; NumAgprs: 0
; TotalNumVgprs: 0
; ScratchSize: 0
; MemoryBound: 0
; FloatMode: 240
; IeeeMode: 1
; LDSByteSize: 0 bytes/workgroup (compile time only)
; SGPRBlocks: 0
; VGPRBlocks: 0
; NumSGPRsForWavesPerEU: 4
; NumVGPRsForWavesPerEU: 1
; AccumOffset: 4
; Occupancy: 8
; WaveLimiterHint : 0
; COMPUTE_PGM_RSRC2:SCRATCH_EN: 0
; COMPUTE_PGM_RSRC2:USER_SGPR: 6
; COMPUTE_PGM_RSRC2:TRAP_HANDLER: 0
; COMPUTE_PGM_RSRC2:TGID_X_EN: 1
; COMPUTE_PGM_RSRC2:TGID_Y_EN: 0
; COMPUTE_PGM_RSRC2:TGID_Z_EN: 0
; COMPUTE_PGM_RSRC2:TIDIG_COMP_CNT: 0
; COMPUTE_PGM_RSRC3_GFX90A:ACCUM_OFFSET: 0
; COMPUTE_PGM_RSRC3_GFX90A:TG_SPLIT: 0
	.section	.text._ZN7rocprim17ROCPRIM_400000_NS6detail31init_lookback_scan_state_kernelINS1_19lookback_scan_stateIN3c108BFloat16ELb1ELb1EEENS1_16block_id_wrapperIjLb1EEEEEvT_jT0_jPNS9_10value_typeE,"axG",@progbits,_ZN7rocprim17ROCPRIM_400000_NS6detail31init_lookback_scan_state_kernelINS1_19lookback_scan_stateIN3c108BFloat16ELb1ELb1EEENS1_16block_id_wrapperIjLb1EEEEEvT_jT0_jPNS9_10value_typeE,comdat
	.protected	_ZN7rocprim17ROCPRIM_400000_NS6detail31init_lookback_scan_state_kernelINS1_19lookback_scan_stateIN3c108BFloat16ELb1ELb1EEENS1_16block_id_wrapperIjLb1EEEEEvT_jT0_jPNS9_10value_typeE ; -- Begin function _ZN7rocprim17ROCPRIM_400000_NS6detail31init_lookback_scan_state_kernelINS1_19lookback_scan_stateIN3c108BFloat16ELb1ELb1EEENS1_16block_id_wrapperIjLb1EEEEEvT_jT0_jPNS9_10value_typeE
	.globl	_ZN7rocprim17ROCPRIM_400000_NS6detail31init_lookback_scan_state_kernelINS1_19lookback_scan_stateIN3c108BFloat16ELb1ELb1EEENS1_16block_id_wrapperIjLb1EEEEEvT_jT0_jPNS9_10value_typeE
	.p2align	8
	.type	_ZN7rocprim17ROCPRIM_400000_NS6detail31init_lookback_scan_state_kernelINS1_19lookback_scan_stateIN3c108BFloat16ELb1ELb1EEENS1_16block_id_wrapperIjLb1EEEEEvT_jT0_jPNS9_10value_typeE,@function
_ZN7rocprim17ROCPRIM_400000_NS6detail31init_lookback_scan_state_kernelINS1_19lookback_scan_stateIN3c108BFloat16ELb1ELb1EEENS1_16block_id_wrapperIjLb1EEEEEvT_jT0_jPNS9_10value_typeE: ; @_ZN7rocprim17ROCPRIM_400000_NS6detail31init_lookback_scan_state_kernelINS1_19lookback_scan_stateIN3c108BFloat16ELb1ELb1EEENS1_16block_id_wrapperIjLb1EEEEEvT_jT0_jPNS9_10value_typeE
; %bb.0:
	s_load_dword s7, s[4:5], 0x34
	s_load_dwordx2 s[2:3], s[4:5], 0x20
	s_load_dwordx2 s[0:1], s[4:5], 0x0
	s_load_dword s10, s[4:5], 0x8
	s_waitcnt lgkmcnt(0)
	s_and_b32 s7, s7, 0xffff
	s_mul_i32 s6, s6, s7
	s_cmp_eq_u64 s[2:3], 0
	v_add_u32_e32 v0, s6, v0
	s_cbranch_scc1 .LBB469_9
; %bb.1:
	s_load_dword s8, s[4:5], 0x18
	s_mov_b32 s9, 0
	s_waitcnt lgkmcnt(0)
	s_cmp_lt_u32 s8, s10
	s_cselect_b32 s6, s8, 0
	v_cmp_eq_u32_e32 vcc, s6, v0
	s_and_saveexec_b64 s[6:7], vcc
	s_cbranch_execz .LBB469_8
; %bb.2:
	s_add_i32 s8, s8, 64
	s_lshl_b64 s[8:9], s[8:9], 2
	s_add_u32 s8, s0, s8
	s_addc_u32 s9, s1, s9
	v_mov_b32_e32 v1, 0
	global_load_dword v2, v1, s[8:9] glc
	s_waitcnt vmcnt(0)
	v_and_b32_e32 v3, 0xff0000, v2
	v_cmp_ne_u32_e32 vcc, 0, v3
	s_cbranch_vccnz .LBB469_7
; %bb.3:
	s_mov_b32 s11, 1
.LBB469_4:                              ; =>This Loop Header: Depth=1
                                        ;     Child Loop BB469_5 Depth 2
	s_max_u32 s12, s11, 1
.LBB469_5:                              ;   Parent Loop BB469_4 Depth=1
                                        ; =>  This Inner Loop Header: Depth=2
	s_add_i32 s12, s12, -1
	s_cmp_eq_u32 s12, 0
	s_sleep 1
	s_cbranch_scc0 .LBB469_5
; %bb.6:                                ;   in Loop: Header=BB469_4 Depth=1
	global_load_dword v2, v1, s[8:9] glc
	s_cmp_lt_u32 s11, 32
	s_cselect_b64 s[12:13], -1, 0
	s_cmp_lg_u64 s[12:13], 0
	s_addc_u32 s11, s11, 0
	s_waitcnt vmcnt(0)
	v_and_b32_e32 v3, 0xff0000, v2
	v_cmp_ne_u32_e32 vcc, 0, v3
	s_cbranch_vccz .LBB469_4
.LBB469_7:
	v_mov_b32_e32 v1, 0
	global_store_short v1, v2, s[2:3]
.LBB469_8:
	s_or_b64 exec, exec, s[6:7]
.LBB469_9:
	v_cmp_eq_u32_e32 vcc, 0, v0
	s_and_saveexec_b64 s[2:3], vcc
	s_cbranch_execnz .LBB469_13
; %bb.10:
	s_or_b64 exec, exec, s[2:3]
	v_cmp_gt_u32_e32 vcc, s10, v0
	s_and_saveexec_b64 s[2:3], vcc
	s_cbranch_execnz .LBB469_14
.LBB469_11:
	s_or_b64 exec, exec, s[2:3]
	v_cmp_gt_u32_e32 vcc, 64, v0
	s_and_saveexec_b64 s[2:3], vcc
	s_cbranch_execnz .LBB469_15
.LBB469_12:
	s_endpgm
.LBB469_13:
	s_load_dwordx2 s[4:5], s[4:5], 0x10
	v_mov_b32_e32 v1, 0
	s_waitcnt lgkmcnt(0)
	global_store_dword v1, v1, s[4:5]
	s_or_b64 exec, exec, s[2:3]
	v_cmp_gt_u32_e32 vcc, s10, v0
	s_and_saveexec_b64 s[2:3], vcc
	s_cbranch_execz .LBB469_11
.LBB469_14:
	v_add_u32_e32 v2, 64, v0
	v_mov_b32_e32 v3, 0
	v_lshlrev_b64 v[4:5], 2, v[2:3]
	v_mov_b32_e32 v1, s1
	v_add_co_u32_e32 v4, vcc, s0, v4
	v_addc_co_u32_e32 v5, vcc, v1, v5, vcc
	global_store_dword v[4:5], v3, off
	s_or_b64 exec, exec, s[2:3]
	v_cmp_gt_u32_e32 vcc, 64, v0
	s_and_saveexec_b64 s[2:3], vcc
	s_cbranch_execz .LBB469_12
.LBB469_15:
	v_mov_b32_e32 v1, 0
	v_lshlrev_b64 v[0:1], 2, v[0:1]
	v_mov_b32_e32 v2, s1
	v_add_co_u32_e32 v0, vcc, s0, v0
	v_addc_co_u32_e32 v1, vcc, v2, v1, vcc
	v_mov_b32_e32 v2, 0xff0000
	global_store_dword v[0:1], v2, off
	s_endpgm
	.section	.rodata,"a",@progbits
	.p2align	6, 0x0
	.amdhsa_kernel _ZN7rocprim17ROCPRIM_400000_NS6detail31init_lookback_scan_state_kernelINS1_19lookback_scan_stateIN3c108BFloat16ELb1ELb1EEENS1_16block_id_wrapperIjLb1EEEEEvT_jT0_jPNS9_10value_typeE
		.amdhsa_group_segment_fixed_size 0
		.amdhsa_private_segment_fixed_size 0
		.amdhsa_kernarg_size 296
		.amdhsa_user_sgpr_count 6
		.amdhsa_user_sgpr_private_segment_buffer 1
		.amdhsa_user_sgpr_dispatch_ptr 0
		.amdhsa_user_sgpr_queue_ptr 0
		.amdhsa_user_sgpr_kernarg_segment_ptr 1
		.amdhsa_user_sgpr_dispatch_id 0
		.amdhsa_user_sgpr_flat_scratch_init 0
		.amdhsa_user_sgpr_kernarg_preload_length 0
		.amdhsa_user_sgpr_kernarg_preload_offset 0
		.amdhsa_user_sgpr_private_segment_size 0
		.amdhsa_uses_dynamic_stack 0
		.amdhsa_system_sgpr_private_segment_wavefront_offset 0
		.amdhsa_system_sgpr_workgroup_id_x 1
		.amdhsa_system_sgpr_workgroup_id_y 0
		.amdhsa_system_sgpr_workgroup_id_z 0
		.amdhsa_system_sgpr_workgroup_info 0
		.amdhsa_system_vgpr_workitem_id 0
		.amdhsa_next_free_vgpr 6
		.amdhsa_next_free_sgpr 14
		.amdhsa_accum_offset 8
		.amdhsa_reserve_vcc 1
		.amdhsa_reserve_flat_scratch 0
		.amdhsa_float_round_mode_32 0
		.amdhsa_float_round_mode_16_64 0
		.amdhsa_float_denorm_mode_32 3
		.amdhsa_float_denorm_mode_16_64 3
		.amdhsa_dx10_clamp 1
		.amdhsa_ieee_mode 1
		.amdhsa_fp16_overflow 0
		.amdhsa_tg_split 0
		.amdhsa_exception_fp_ieee_invalid_op 0
		.amdhsa_exception_fp_denorm_src 0
		.amdhsa_exception_fp_ieee_div_zero 0
		.amdhsa_exception_fp_ieee_overflow 0
		.amdhsa_exception_fp_ieee_underflow 0
		.amdhsa_exception_fp_ieee_inexact 0
		.amdhsa_exception_int_div_zero 0
	.end_amdhsa_kernel
	.section	.text._ZN7rocprim17ROCPRIM_400000_NS6detail31init_lookback_scan_state_kernelINS1_19lookback_scan_stateIN3c108BFloat16ELb1ELb1EEENS1_16block_id_wrapperIjLb1EEEEEvT_jT0_jPNS9_10value_typeE,"axG",@progbits,_ZN7rocprim17ROCPRIM_400000_NS6detail31init_lookback_scan_state_kernelINS1_19lookback_scan_stateIN3c108BFloat16ELb1ELb1EEENS1_16block_id_wrapperIjLb1EEEEEvT_jT0_jPNS9_10value_typeE,comdat
.Lfunc_end469:
	.size	_ZN7rocprim17ROCPRIM_400000_NS6detail31init_lookback_scan_state_kernelINS1_19lookback_scan_stateIN3c108BFloat16ELb1ELb1EEENS1_16block_id_wrapperIjLb1EEEEEvT_jT0_jPNS9_10value_typeE, .Lfunc_end469-_ZN7rocprim17ROCPRIM_400000_NS6detail31init_lookback_scan_state_kernelINS1_19lookback_scan_stateIN3c108BFloat16ELb1ELb1EEENS1_16block_id_wrapperIjLb1EEEEEvT_jT0_jPNS9_10value_typeE
                                        ; -- End function
	.section	.AMDGPU.csdata,"",@progbits
; Kernel info:
; codeLenInByte = 412
; NumSgprs: 18
; NumVgprs: 6
; NumAgprs: 0
; TotalNumVgprs: 6
; ScratchSize: 0
; MemoryBound: 0
; FloatMode: 240
; IeeeMode: 1
; LDSByteSize: 0 bytes/workgroup (compile time only)
; SGPRBlocks: 2
; VGPRBlocks: 0
; NumSGPRsForWavesPerEU: 18
; NumVGPRsForWavesPerEU: 6
; AccumOffset: 8
; Occupancy: 8
; WaveLimiterHint : 0
; COMPUTE_PGM_RSRC2:SCRATCH_EN: 0
; COMPUTE_PGM_RSRC2:USER_SGPR: 6
; COMPUTE_PGM_RSRC2:TRAP_HANDLER: 0
; COMPUTE_PGM_RSRC2:TGID_X_EN: 1
; COMPUTE_PGM_RSRC2:TGID_Y_EN: 0
; COMPUTE_PGM_RSRC2:TGID_Z_EN: 0
; COMPUTE_PGM_RSRC2:TIDIG_COMP_CNT: 0
; COMPUTE_PGM_RSRC3_GFX90A:ACCUM_OFFSET: 1
; COMPUTE_PGM_RSRC3_GFX90A:TG_SPLIT: 0
	.section	.text._ZN7rocprim17ROCPRIM_400000_NS6detail17trampoline_kernelINS0_14default_configENS1_20scan_config_selectorIN3c108BFloat16EEEZZNS1_9scan_implILNS1_25lookback_scan_determinismE0ELb0ELb0ES3_PKS6_PS6_S6_ZZZN2at6native31launch_logcumsumexp_cuda_kernelERKNSD_10TensorBaseESH_lENKUlvE_clEvENKUlvE4_clEvEUlS6_S6_E_S6_EEDaPvRmT3_T4_T5_mT6_P12ihipStream_tbENKUlT_T0_E_clISt17integral_constantIbLb1EESY_EEDaST_SU_EUlST_E_NS1_11comp_targetILNS1_3genE0ELNS1_11target_archE4294967295ELNS1_3gpuE0ELNS1_3repE0EEENS1_30default_config_static_selectorELNS0_4arch9wavefront6targetE1EEEvT1_,"axG",@progbits,_ZN7rocprim17ROCPRIM_400000_NS6detail17trampoline_kernelINS0_14default_configENS1_20scan_config_selectorIN3c108BFloat16EEEZZNS1_9scan_implILNS1_25lookback_scan_determinismE0ELb0ELb0ES3_PKS6_PS6_S6_ZZZN2at6native31launch_logcumsumexp_cuda_kernelERKNSD_10TensorBaseESH_lENKUlvE_clEvENKUlvE4_clEvEUlS6_S6_E_S6_EEDaPvRmT3_T4_T5_mT6_P12ihipStream_tbENKUlT_T0_E_clISt17integral_constantIbLb1EESY_EEDaST_SU_EUlST_E_NS1_11comp_targetILNS1_3genE0ELNS1_11target_archE4294967295ELNS1_3gpuE0ELNS1_3repE0EEENS1_30default_config_static_selectorELNS0_4arch9wavefront6targetE1EEEvT1_,comdat
	.globl	_ZN7rocprim17ROCPRIM_400000_NS6detail17trampoline_kernelINS0_14default_configENS1_20scan_config_selectorIN3c108BFloat16EEEZZNS1_9scan_implILNS1_25lookback_scan_determinismE0ELb0ELb0ES3_PKS6_PS6_S6_ZZZN2at6native31launch_logcumsumexp_cuda_kernelERKNSD_10TensorBaseESH_lENKUlvE_clEvENKUlvE4_clEvEUlS6_S6_E_S6_EEDaPvRmT3_T4_T5_mT6_P12ihipStream_tbENKUlT_T0_E_clISt17integral_constantIbLb1EESY_EEDaST_SU_EUlST_E_NS1_11comp_targetILNS1_3genE0ELNS1_11target_archE4294967295ELNS1_3gpuE0ELNS1_3repE0EEENS1_30default_config_static_selectorELNS0_4arch9wavefront6targetE1EEEvT1_ ; -- Begin function _ZN7rocprim17ROCPRIM_400000_NS6detail17trampoline_kernelINS0_14default_configENS1_20scan_config_selectorIN3c108BFloat16EEEZZNS1_9scan_implILNS1_25lookback_scan_determinismE0ELb0ELb0ES3_PKS6_PS6_S6_ZZZN2at6native31launch_logcumsumexp_cuda_kernelERKNSD_10TensorBaseESH_lENKUlvE_clEvENKUlvE4_clEvEUlS6_S6_E_S6_EEDaPvRmT3_T4_T5_mT6_P12ihipStream_tbENKUlT_T0_E_clISt17integral_constantIbLb1EESY_EEDaST_SU_EUlST_E_NS1_11comp_targetILNS1_3genE0ELNS1_11target_archE4294967295ELNS1_3gpuE0ELNS1_3repE0EEENS1_30default_config_static_selectorELNS0_4arch9wavefront6targetE1EEEvT1_
	.p2align	8
	.type	_ZN7rocprim17ROCPRIM_400000_NS6detail17trampoline_kernelINS0_14default_configENS1_20scan_config_selectorIN3c108BFloat16EEEZZNS1_9scan_implILNS1_25lookback_scan_determinismE0ELb0ELb0ES3_PKS6_PS6_S6_ZZZN2at6native31launch_logcumsumexp_cuda_kernelERKNSD_10TensorBaseESH_lENKUlvE_clEvENKUlvE4_clEvEUlS6_S6_E_S6_EEDaPvRmT3_T4_T5_mT6_P12ihipStream_tbENKUlT_T0_E_clISt17integral_constantIbLb1EESY_EEDaST_SU_EUlST_E_NS1_11comp_targetILNS1_3genE0ELNS1_11target_archE4294967295ELNS1_3gpuE0ELNS1_3repE0EEENS1_30default_config_static_selectorELNS0_4arch9wavefront6targetE1EEEvT1_,@function
_ZN7rocprim17ROCPRIM_400000_NS6detail17trampoline_kernelINS0_14default_configENS1_20scan_config_selectorIN3c108BFloat16EEEZZNS1_9scan_implILNS1_25lookback_scan_determinismE0ELb0ELb0ES3_PKS6_PS6_S6_ZZZN2at6native31launch_logcumsumexp_cuda_kernelERKNSD_10TensorBaseESH_lENKUlvE_clEvENKUlvE4_clEvEUlS6_S6_E_S6_EEDaPvRmT3_T4_T5_mT6_P12ihipStream_tbENKUlT_T0_E_clISt17integral_constantIbLb1EESY_EEDaST_SU_EUlST_E_NS1_11comp_targetILNS1_3genE0ELNS1_11target_archE4294967295ELNS1_3gpuE0ELNS1_3repE0EEENS1_30default_config_static_selectorELNS0_4arch9wavefront6targetE1EEEvT1_: ; @_ZN7rocprim17ROCPRIM_400000_NS6detail17trampoline_kernelINS0_14default_configENS1_20scan_config_selectorIN3c108BFloat16EEEZZNS1_9scan_implILNS1_25lookback_scan_determinismE0ELb0ELb0ES3_PKS6_PS6_S6_ZZZN2at6native31launch_logcumsumexp_cuda_kernelERKNSD_10TensorBaseESH_lENKUlvE_clEvENKUlvE4_clEvEUlS6_S6_E_S6_EEDaPvRmT3_T4_T5_mT6_P12ihipStream_tbENKUlT_T0_E_clISt17integral_constantIbLb1EESY_EEDaST_SU_EUlST_E_NS1_11comp_targetILNS1_3genE0ELNS1_11target_archE4294967295ELNS1_3gpuE0ELNS1_3repE0EEENS1_30default_config_static_selectorELNS0_4arch9wavefront6targetE1EEEvT1_
; %bb.0:
	.section	.rodata,"a",@progbits
	.p2align	6, 0x0
	.amdhsa_kernel _ZN7rocprim17ROCPRIM_400000_NS6detail17trampoline_kernelINS0_14default_configENS1_20scan_config_selectorIN3c108BFloat16EEEZZNS1_9scan_implILNS1_25lookback_scan_determinismE0ELb0ELb0ES3_PKS6_PS6_S6_ZZZN2at6native31launch_logcumsumexp_cuda_kernelERKNSD_10TensorBaseESH_lENKUlvE_clEvENKUlvE4_clEvEUlS6_S6_E_S6_EEDaPvRmT3_T4_T5_mT6_P12ihipStream_tbENKUlT_T0_E_clISt17integral_constantIbLb1EESY_EEDaST_SU_EUlST_E_NS1_11comp_targetILNS1_3genE0ELNS1_11target_archE4294967295ELNS1_3gpuE0ELNS1_3repE0EEENS1_30default_config_static_selectorELNS0_4arch9wavefront6targetE1EEEvT1_
		.amdhsa_group_segment_fixed_size 0
		.amdhsa_private_segment_fixed_size 0
		.amdhsa_kernarg_size 96
		.amdhsa_user_sgpr_count 6
		.amdhsa_user_sgpr_private_segment_buffer 1
		.amdhsa_user_sgpr_dispatch_ptr 0
		.amdhsa_user_sgpr_queue_ptr 0
		.amdhsa_user_sgpr_kernarg_segment_ptr 1
		.amdhsa_user_sgpr_dispatch_id 0
		.amdhsa_user_sgpr_flat_scratch_init 0
		.amdhsa_user_sgpr_kernarg_preload_length 0
		.amdhsa_user_sgpr_kernarg_preload_offset 0
		.amdhsa_user_sgpr_private_segment_size 0
		.amdhsa_uses_dynamic_stack 0
		.amdhsa_system_sgpr_private_segment_wavefront_offset 0
		.amdhsa_system_sgpr_workgroup_id_x 1
		.amdhsa_system_sgpr_workgroup_id_y 0
		.amdhsa_system_sgpr_workgroup_id_z 0
		.amdhsa_system_sgpr_workgroup_info 0
		.amdhsa_system_vgpr_workitem_id 0
		.amdhsa_next_free_vgpr 1
		.amdhsa_next_free_sgpr 0
		.amdhsa_accum_offset 4
		.amdhsa_reserve_vcc 0
		.amdhsa_reserve_flat_scratch 0
		.amdhsa_float_round_mode_32 0
		.amdhsa_float_round_mode_16_64 0
		.amdhsa_float_denorm_mode_32 3
		.amdhsa_float_denorm_mode_16_64 3
		.amdhsa_dx10_clamp 1
		.amdhsa_ieee_mode 1
		.amdhsa_fp16_overflow 0
		.amdhsa_tg_split 0
		.amdhsa_exception_fp_ieee_invalid_op 0
		.amdhsa_exception_fp_denorm_src 0
		.amdhsa_exception_fp_ieee_div_zero 0
		.amdhsa_exception_fp_ieee_overflow 0
		.amdhsa_exception_fp_ieee_underflow 0
		.amdhsa_exception_fp_ieee_inexact 0
		.amdhsa_exception_int_div_zero 0
	.end_amdhsa_kernel
	.section	.text._ZN7rocprim17ROCPRIM_400000_NS6detail17trampoline_kernelINS0_14default_configENS1_20scan_config_selectorIN3c108BFloat16EEEZZNS1_9scan_implILNS1_25lookback_scan_determinismE0ELb0ELb0ES3_PKS6_PS6_S6_ZZZN2at6native31launch_logcumsumexp_cuda_kernelERKNSD_10TensorBaseESH_lENKUlvE_clEvENKUlvE4_clEvEUlS6_S6_E_S6_EEDaPvRmT3_T4_T5_mT6_P12ihipStream_tbENKUlT_T0_E_clISt17integral_constantIbLb1EESY_EEDaST_SU_EUlST_E_NS1_11comp_targetILNS1_3genE0ELNS1_11target_archE4294967295ELNS1_3gpuE0ELNS1_3repE0EEENS1_30default_config_static_selectorELNS0_4arch9wavefront6targetE1EEEvT1_,"axG",@progbits,_ZN7rocprim17ROCPRIM_400000_NS6detail17trampoline_kernelINS0_14default_configENS1_20scan_config_selectorIN3c108BFloat16EEEZZNS1_9scan_implILNS1_25lookback_scan_determinismE0ELb0ELb0ES3_PKS6_PS6_S6_ZZZN2at6native31launch_logcumsumexp_cuda_kernelERKNSD_10TensorBaseESH_lENKUlvE_clEvENKUlvE4_clEvEUlS6_S6_E_S6_EEDaPvRmT3_T4_T5_mT6_P12ihipStream_tbENKUlT_T0_E_clISt17integral_constantIbLb1EESY_EEDaST_SU_EUlST_E_NS1_11comp_targetILNS1_3genE0ELNS1_11target_archE4294967295ELNS1_3gpuE0ELNS1_3repE0EEENS1_30default_config_static_selectorELNS0_4arch9wavefront6targetE1EEEvT1_,comdat
.Lfunc_end470:
	.size	_ZN7rocprim17ROCPRIM_400000_NS6detail17trampoline_kernelINS0_14default_configENS1_20scan_config_selectorIN3c108BFloat16EEEZZNS1_9scan_implILNS1_25lookback_scan_determinismE0ELb0ELb0ES3_PKS6_PS6_S6_ZZZN2at6native31launch_logcumsumexp_cuda_kernelERKNSD_10TensorBaseESH_lENKUlvE_clEvENKUlvE4_clEvEUlS6_S6_E_S6_EEDaPvRmT3_T4_T5_mT6_P12ihipStream_tbENKUlT_T0_E_clISt17integral_constantIbLb1EESY_EEDaST_SU_EUlST_E_NS1_11comp_targetILNS1_3genE0ELNS1_11target_archE4294967295ELNS1_3gpuE0ELNS1_3repE0EEENS1_30default_config_static_selectorELNS0_4arch9wavefront6targetE1EEEvT1_, .Lfunc_end470-_ZN7rocprim17ROCPRIM_400000_NS6detail17trampoline_kernelINS0_14default_configENS1_20scan_config_selectorIN3c108BFloat16EEEZZNS1_9scan_implILNS1_25lookback_scan_determinismE0ELb0ELb0ES3_PKS6_PS6_S6_ZZZN2at6native31launch_logcumsumexp_cuda_kernelERKNSD_10TensorBaseESH_lENKUlvE_clEvENKUlvE4_clEvEUlS6_S6_E_S6_EEDaPvRmT3_T4_T5_mT6_P12ihipStream_tbENKUlT_T0_E_clISt17integral_constantIbLb1EESY_EEDaST_SU_EUlST_E_NS1_11comp_targetILNS1_3genE0ELNS1_11target_archE4294967295ELNS1_3gpuE0ELNS1_3repE0EEENS1_30default_config_static_selectorELNS0_4arch9wavefront6targetE1EEEvT1_
                                        ; -- End function
	.section	.AMDGPU.csdata,"",@progbits
; Kernel info:
; codeLenInByte = 0
; NumSgprs: 4
; NumVgprs: 0
; NumAgprs: 0
; TotalNumVgprs: 0
; ScratchSize: 0
; MemoryBound: 0
; FloatMode: 240
; IeeeMode: 1
; LDSByteSize: 0 bytes/workgroup (compile time only)
; SGPRBlocks: 0
; VGPRBlocks: 0
; NumSGPRsForWavesPerEU: 4
; NumVGPRsForWavesPerEU: 1
; AccumOffset: 4
; Occupancy: 8
; WaveLimiterHint : 0
; COMPUTE_PGM_RSRC2:SCRATCH_EN: 0
; COMPUTE_PGM_RSRC2:USER_SGPR: 6
; COMPUTE_PGM_RSRC2:TRAP_HANDLER: 0
; COMPUTE_PGM_RSRC2:TGID_X_EN: 1
; COMPUTE_PGM_RSRC2:TGID_Y_EN: 0
; COMPUTE_PGM_RSRC2:TGID_Z_EN: 0
; COMPUTE_PGM_RSRC2:TIDIG_COMP_CNT: 0
; COMPUTE_PGM_RSRC3_GFX90A:ACCUM_OFFSET: 0
; COMPUTE_PGM_RSRC3_GFX90A:TG_SPLIT: 0
	.section	.text._ZN7rocprim17ROCPRIM_400000_NS6detail17trampoline_kernelINS0_14default_configENS1_20scan_config_selectorIN3c108BFloat16EEEZZNS1_9scan_implILNS1_25lookback_scan_determinismE0ELb0ELb0ES3_PKS6_PS6_S6_ZZZN2at6native31launch_logcumsumexp_cuda_kernelERKNSD_10TensorBaseESH_lENKUlvE_clEvENKUlvE4_clEvEUlS6_S6_E_S6_EEDaPvRmT3_T4_T5_mT6_P12ihipStream_tbENKUlT_T0_E_clISt17integral_constantIbLb1EESY_EEDaST_SU_EUlST_E_NS1_11comp_targetILNS1_3genE5ELNS1_11target_archE942ELNS1_3gpuE9ELNS1_3repE0EEENS1_30default_config_static_selectorELNS0_4arch9wavefront6targetE1EEEvT1_,"axG",@progbits,_ZN7rocprim17ROCPRIM_400000_NS6detail17trampoline_kernelINS0_14default_configENS1_20scan_config_selectorIN3c108BFloat16EEEZZNS1_9scan_implILNS1_25lookback_scan_determinismE0ELb0ELb0ES3_PKS6_PS6_S6_ZZZN2at6native31launch_logcumsumexp_cuda_kernelERKNSD_10TensorBaseESH_lENKUlvE_clEvENKUlvE4_clEvEUlS6_S6_E_S6_EEDaPvRmT3_T4_T5_mT6_P12ihipStream_tbENKUlT_T0_E_clISt17integral_constantIbLb1EESY_EEDaST_SU_EUlST_E_NS1_11comp_targetILNS1_3genE5ELNS1_11target_archE942ELNS1_3gpuE9ELNS1_3repE0EEENS1_30default_config_static_selectorELNS0_4arch9wavefront6targetE1EEEvT1_,comdat
	.globl	_ZN7rocprim17ROCPRIM_400000_NS6detail17trampoline_kernelINS0_14default_configENS1_20scan_config_selectorIN3c108BFloat16EEEZZNS1_9scan_implILNS1_25lookback_scan_determinismE0ELb0ELb0ES3_PKS6_PS6_S6_ZZZN2at6native31launch_logcumsumexp_cuda_kernelERKNSD_10TensorBaseESH_lENKUlvE_clEvENKUlvE4_clEvEUlS6_S6_E_S6_EEDaPvRmT3_T4_T5_mT6_P12ihipStream_tbENKUlT_T0_E_clISt17integral_constantIbLb1EESY_EEDaST_SU_EUlST_E_NS1_11comp_targetILNS1_3genE5ELNS1_11target_archE942ELNS1_3gpuE9ELNS1_3repE0EEENS1_30default_config_static_selectorELNS0_4arch9wavefront6targetE1EEEvT1_ ; -- Begin function _ZN7rocprim17ROCPRIM_400000_NS6detail17trampoline_kernelINS0_14default_configENS1_20scan_config_selectorIN3c108BFloat16EEEZZNS1_9scan_implILNS1_25lookback_scan_determinismE0ELb0ELb0ES3_PKS6_PS6_S6_ZZZN2at6native31launch_logcumsumexp_cuda_kernelERKNSD_10TensorBaseESH_lENKUlvE_clEvENKUlvE4_clEvEUlS6_S6_E_S6_EEDaPvRmT3_T4_T5_mT6_P12ihipStream_tbENKUlT_T0_E_clISt17integral_constantIbLb1EESY_EEDaST_SU_EUlST_E_NS1_11comp_targetILNS1_3genE5ELNS1_11target_archE942ELNS1_3gpuE9ELNS1_3repE0EEENS1_30default_config_static_selectorELNS0_4arch9wavefront6targetE1EEEvT1_
	.p2align	8
	.type	_ZN7rocprim17ROCPRIM_400000_NS6detail17trampoline_kernelINS0_14default_configENS1_20scan_config_selectorIN3c108BFloat16EEEZZNS1_9scan_implILNS1_25lookback_scan_determinismE0ELb0ELb0ES3_PKS6_PS6_S6_ZZZN2at6native31launch_logcumsumexp_cuda_kernelERKNSD_10TensorBaseESH_lENKUlvE_clEvENKUlvE4_clEvEUlS6_S6_E_S6_EEDaPvRmT3_T4_T5_mT6_P12ihipStream_tbENKUlT_T0_E_clISt17integral_constantIbLb1EESY_EEDaST_SU_EUlST_E_NS1_11comp_targetILNS1_3genE5ELNS1_11target_archE942ELNS1_3gpuE9ELNS1_3repE0EEENS1_30default_config_static_selectorELNS0_4arch9wavefront6targetE1EEEvT1_,@function
_ZN7rocprim17ROCPRIM_400000_NS6detail17trampoline_kernelINS0_14default_configENS1_20scan_config_selectorIN3c108BFloat16EEEZZNS1_9scan_implILNS1_25lookback_scan_determinismE0ELb0ELb0ES3_PKS6_PS6_S6_ZZZN2at6native31launch_logcumsumexp_cuda_kernelERKNSD_10TensorBaseESH_lENKUlvE_clEvENKUlvE4_clEvEUlS6_S6_E_S6_EEDaPvRmT3_T4_T5_mT6_P12ihipStream_tbENKUlT_T0_E_clISt17integral_constantIbLb1EESY_EEDaST_SU_EUlST_E_NS1_11comp_targetILNS1_3genE5ELNS1_11target_archE942ELNS1_3gpuE9ELNS1_3repE0EEENS1_30default_config_static_selectorELNS0_4arch9wavefront6targetE1EEEvT1_: ; @_ZN7rocprim17ROCPRIM_400000_NS6detail17trampoline_kernelINS0_14default_configENS1_20scan_config_selectorIN3c108BFloat16EEEZZNS1_9scan_implILNS1_25lookback_scan_determinismE0ELb0ELb0ES3_PKS6_PS6_S6_ZZZN2at6native31launch_logcumsumexp_cuda_kernelERKNSD_10TensorBaseESH_lENKUlvE_clEvENKUlvE4_clEvEUlS6_S6_E_S6_EEDaPvRmT3_T4_T5_mT6_P12ihipStream_tbENKUlT_T0_E_clISt17integral_constantIbLb1EESY_EEDaST_SU_EUlST_E_NS1_11comp_targetILNS1_3genE5ELNS1_11target_archE942ELNS1_3gpuE9ELNS1_3repE0EEENS1_30default_config_static_selectorELNS0_4arch9wavefront6targetE1EEEvT1_
; %bb.0:
	.section	.rodata,"a",@progbits
	.p2align	6, 0x0
	.amdhsa_kernel _ZN7rocprim17ROCPRIM_400000_NS6detail17trampoline_kernelINS0_14default_configENS1_20scan_config_selectorIN3c108BFloat16EEEZZNS1_9scan_implILNS1_25lookback_scan_determinismE0ELb0ELb0ES3_PKS6_PS6_S6_ZZZN2at6native31launch_logcumsumexp_cuda_kernelERKNSD_10TensorBaseESH_lENKUlvE_clEvENKUlvE4_clEvEUlS6_S6_E_S6_EEDaPvRmT3_T4_T5_mT6_P12ihipStream_tbENKUlT_T0_E_clISt17integral_constantIbLb1EESY_EEDaST_SU_EUlST_E_NS1_11comp_targetILNS1_3genE5ELNS1_11target_archE942ELNS1_3gpuE9ELNS1_3repE0EEENS1_30default_config_static_selectorELNS0_4arch9wavefront6targetE1EEEvT1_
		.amdhsa_group_segment_fixed_size 0
		.amdhsa_private_segment_fixed_size 0
		.amdhsa_kernarg_size 96
		.amdhsa_user_sgpr_count 6
		.amdhsa_user_sgpr_private_segment_buffer 1
		.amdhsa_user_sgpr_dispatch_ptr 0
		.amdhsa_user_sgpr_queue_ptr 0
		.amdhsa_user_sgpr_kernarg_segment_ptr 1
		.amdhsa_user_sgpr_dispatch_id 0
		.amdhsa_user_sgpr_flat_scratch_init 0
		.amdhsa_user_sgpr_kernarg_preload_length 0
		.amdhsa_user_sgpr_kernarg_preload_offset 0
		.amdhsa_user_sgpr_private_segment_size 0
		.amdhsa_uses_dynamic_stack 0
		.amdhsa_system_sgpr_private_segment_wavefront_offset 0
		.amdhsa_system_sgpr_workgroup_id_x 1
		.amdhsa_system_sgpr_workgroup_id_y 0
		.amdhsa_system_sgpr_workgroup_id_z 0
		.amdhsa_system_sgpr_workgroup_info 0
		.amdhsa_system_vgpr_workitem_id 0
		.amdhsa_next_free_vgpr 1
		.amdhsa_next_free_sgpr 0
		.amdhsa_accum_offset 4
		.amdhsa_reserve_vcc 0
		.amdhsa_reserve_flat_scratch 0
		.amdhsa_float_round_mode_32 0
		.amdhsa_float_round_mode_16_64 0
		.amdhsa_float_denorm_mode_32 3
		.amdhsa_float_denorm_mode_16_64 3
		.amdhsa_dx10_clamp 1
		.amdhsa_ieee_mode 1
		.amdhsa_fp16_overflow 0
		.amdhsa_tg_split 0
		.amdhsa_exception_fp_ieee_invalid_op 0
		.amdhsa_exception_fp_denorm_src 0
		.amdhsa_exception_fp_ieee_div_zero 0
		.amdhsa_exception_fp_ieee_overflow 0
		.amdhsa_exception_fp_ieee_underflow 0
		.amdhsa_exception_fp_ieee_inexact 0
		.amdhsa_exception_int_div_zero 0
	.end_amdhsa_kernel
	.section	.text._ZN7rocprim17ROCPRIM_400000_NS6detail17trampoline_kernelINS0_14default_configENS1_20scan_config_selectorIN3c108BFloat16EEEZZNS1_9scan_implILNS1_25lookback_scan_determinismE0ELb0ELb0ES3_PKS6_PS6_S6_ZZZN2at6native31launch_logcumsumexp_cuda_kernelERKNSD_10TensorBaseESH_lENKUlvE_clEvENKUlvE4_clEvEUlS6_S6_E_S6_EEDaPvRmT3_T4_T5_mT6_P12ihipStream_tbENKUlT_T0_E_clISt17integral_constantIbLb1EESY_EEDaST_SU_EUlST_E_NS1_11comp_targetILNS1_3genE5ELNS1_11target_archE942ELNS1_3gpuE9ELNS1_3repE0EEENS1_30default_config_static_selectorELNS0_4arch9wavefront6targetE1EEEvT1_,"axG",@progbits,_ZN7rocprim17ROCPRIM_400000_NS6detail17trampoline_kernelINS0_14default_configENS1_20scan_config_selectorIN3c108BFloat16EEEZZNS1_9scan_implILNS1_25lookback_scan_determinismE0ELb0ELb0ES3_PKS6_PS6_S6_ZZZN2at6native31launch_logcumsumexp_cuda_kernelERKNSD_10TensorBaseESH_lENKUlvE_clEvENKUlvE4_clEvEUlS6_S6_E_S6_EEDaPvRmT3_T4_T5_mT6_P12ihipStream_tbENKUlT_T0_E_clISt17integral_constantIbLb1EESY_EEDaST_SU_EUlST_E_NS1_11comp_targetILNS1_3genE5ELNS1_11target_archE942ELNS1_3gpuE9ELNS1_3repE0EEENS1_30default_config_static_selectorELNS0_4arch9wavefront6targetE1EEEvT1_,comdat
.Lfunc_end471:
	.size	_ZN7rocprim17ROCPRIM_400000_NS6detail17trampoline_kernelINS0_14default_configENS1_20scan_config_selectorIN3c108BFloat16EEEZZNS1_9scan_implILNS1_25lookback_scan_determinismE0ELb0ELb0ES3_PKS6_PS6_S6_ZZZN2at6native31launch_logcumsumexp_cuda_kernelERKNSD_10TensorBaseESH_lENKUlvE_clEvENKUlvE4_clEvEUlS6_S6_E_S6_EEDaPvRmT3_T4_T5_mT6_P12ihipStream_tbENKUlT_T0_E_clISt17integral_constantIbLb1EESY_EEDaST_SU_EUlST_E_NS1_11comp_targetILNS1_3genE5ELNS1_11target_archE942ELNS1_3gpuE9ELNS1_3repE0EEENS1_30default_config_static_selectorELNS0_4arch9wavefront6targetE1EEEvT1_, .Lfunc_end471-_ZN7rocprim17ROCPRIM_400000_NS6detail17trampoline_kernelINS0_14default_configENS1_20scan_config_selectorIN3c108BFloat16EEEZZNS1_9scan_implILNS1_25lookback_scan_determinismE0ELb0ELb0ES3_PKS6_PS6_S6_ZZZN2at6native31launch_logcumsumexp_cuda_kernelERKNSD_10TensorBaseESH_lENKUlvE_clEvENKUlvE4_clEvEUlS6_S6_E_S6_EEDaPvRmT3_T4_T5_mT6_P12ihipStream_tbENKUlT_T0_E_clISt17integral_constantIbLb1EESY_EEDaST_SU_EUlST_E_NS1_11comp_targetILNS1_3genE5ELNS1_11target_archE942ELNS1_3gpuE9ELNS1_3repE0EEENS1_30default_config_static_selectorELNS0_4arch9wavefront6targetE1EEEvT1_
                                        ; -- End function
	.section	.AMDGPU.csdata,"",@progbits
; Kernel info:
; codeLenInByte = 0
; NumSgprs: 4
; NumVgprs: 0
; NumAgprs: 0
; TotalNumVgprs: 0
; ScratchSize: 0
; MemoryBound: 0
; FloatMode: 240
; IeeeMode: 1
; LDSByteSize: 0 bytes/workgroup (compile time only)
; SGPRBlocks: 0
; VGPRBlocks: 0
; NumSGPRsForWavesPerEU: 4
; NumVGPRsForWavesPerEU: 1
; AccumOffset: 4
; Occupancy: 8
; WaveLimiterHint : 0
; COMPUTE_PGM_RSRC2:SCRATCH_EN: 0
; COMPUTE_PGM_RSRC2:USER_SGPR: 6
; COMPUTE_PGM_RSRC2:TRAP_HANDLER: 0
; COMPUTE_PGM_RSRC2:TGID_X_EN: 1
; COMPUTE_PGM_RSRC2:TGID_Y_EN: 0
; COMPUTE_PGM_RSRC2:TGID_Z_EN: 0
; COMPUTE_PGM_RSRC2:TIDIG_COMP_CNT: 0
; COMPUTE_PGM_RSRC3_GFX90A:ACCUM_OFFSET: 0
; COMPUTE_PGM_RSRC3_GFX90A:TG_SPLIT: 0
	.text
	.p2align	2                               ; -- Begin function _ZZZN7rocprim17ROCPRIM_400000_NS6detail9scan_implILNS1_25lookback_scan_determinismE0ELb0ELb0ENS0_14default_configEPKN3c108BFloat16EPS6_S6_ZZZN2at6native31launch_logcumsumexp_cuda_kernelERKNSA_10TensorBaseESE_lENKUlvE_clEvENKUlvE4_clEvEUlS6_S6_E_S6_EEDaPvRmT3_T4_T5_mT6_P12ihipStream_tbENKUlT_T0_E_clISt17integral_constantIbLb1EESV_EEDaSQ_SR_ENKUlSQ_E_clINS1_13target_configIS4_NS1_20scan_config_selectorIS6_EENS1_11comp_targetILNS1_3genE4ELNS1_11target_archE910ELNS1_3gpuE8ELNS1_3repE0EEELNS0_4arch9wavefront6targetE1EEEEEDaSQ_
	.type	_ZZZN7rocprim17ROCPRIM_400000_NS6detail9scan_implILNS1_25lookback_scan_determinismE0ELb0ELb0ENS0_14default_configEPKN3c108BFloat16EPS6_S6_ZZZN2at6native31launch_logcumsumexp_cuda_kernelERKNSA_10TensorBaseESE_lENKUlvE_clEvENKUlvE4_clEvEUlS6_S6_E_S6_EEDaPvRmT3_T4_T5_mT6_P12ihipStream_tbENKUlT_T0_E_clISt17integral_constantIbLb1EESV_EEDaSQ_SR_ENKUlSQ_E_clINS1_13target_configIS4_NS1_20scan_config_selectorIS6_EENS1_11comp_targetILNS1_3genE4ELNS1_11target_archE910ELNS1_3gpuE8ELNS1_3repE0EEELNS0_4arch9wavefront6targetE1EEEEEDaSQ_,@function
_ZZZN7rocprim17ROCPRIM_400000_NS6detail9scan_implILNS1_25lookback_scan_determinismE0ELb0ELb0ENS0_14default_configEPKN3c108BFloat16EPS6_S6_ZZZN2at6native31launch_logcumsumexp_cuda_kernelERKNSA_10TensorBaseESE_lENKUlvE_clEvENKUlvE4_clEvEUlS6_S6_E_S6_EEDaPvRmT3_T4_T5_mT6_P12ihipStream_tbENKUlT_T0_E_clISt17integral_constantIbLb1EESV_EEDaSQ_SR_ENKUlSQ_E_clINS1_13target_configIS4_NS1_20scan_config_selectorIS6_EENS1_11comp_targetILNS1_3genE4ELNS1_11target_archE910ELNS1_3gpuE8ELNS1_3repE0EEELNS0_4arch9wavefront6targetE1EEEEEDaSQ_: ; @_ZZZN7rocprim17ROCPRIM_400000_NS6detail9scan_implILNS1_25lookback_scan_determinismE0ELb0ELb0ENS0_14default_configEPKN3c108BFloat16EPS6_S6_ZZZN2at6native31launch_logcumsumexp_cuda_kernelERKNSA_10TensorBaseESE_lENKUlvE_clEvENKUlvE4_clEvEUlS6_S6_E_S6_EEDaPvRmT3_T4_T5_mT6_P12ihipStream_tbENKUlT_T0_E_clISt17integral_constantIbLb1EESV_EEDaSQ_SR_ENKUlSQ_E_clINS1_13target_configIS4_NS1_20scan_config_selectorIS6_EENS1_11comp_targetILNS1_3genE4ELNS1_11target_archE910ELNS1_3gpuE8ELNS1_3repE0EEELNS0_4arch9wavefront6targetE1EEEEEDaSQ_
; %bb.0:
	s_waitcnt vmcnt(0) expcnt(0) lgkmcnt(0)
	s_or_saveexec_b64 s[4:5], -1
	buffer_store_dword v40, off, s[0:3], s32 ; 4-byte Folded Spill
	s_mov_b64 exec, s[4:5]
	v_writelane_b32 v40, s30, 0
	v_writelane_b32 v40, s31, 1
	flat_load_dwordx4 v[14:17], v[0:1]
	flat_load_dwordx4 v[10:13], v[0:1] offset:16
	flat_load_dwordx3 v[24:26], v[0:1] offset:40
	flat_load_dwordx4 v[2:5], v[0:1] offset:56
	flat_load_dwordx4 v[6:9], v[0:1] offset:72
	v_and_b32_e32 v28, 0x3ff, v31
	v_cmp_ne_u32_e64 s[6:7], 0, v28
	v_cmp_eq_u32_e64 s[8:9], 0, v28
	s_and_saveexec_b64 s[4:5], s[8:9]
	s_cbranch_execz .LBB472_2
; %bb.1:
	flat_load_dwordx2 v[0:1], v[0:1] offset:88
	v_mov_b32_e32 v18, 1
	s_waitcnt vmcnt(0) lgkmcnt(0)
	flat_atomic_add v0, v[0:1], v18 glc
	v_mov_b32_e32 v1, 0
	s_waitcnt vmcnt(0) lgkmcnt(0)
	ds_write_b32 v1, v0
.LBB472_2:
	s_or_b64 exec, exec, s[4:5]
	s_waitcnt vmcnt(0) lgkmcnt(0)
	v_lshlrev_b64 v[0:1], 1, v[16:17]
	v_mov_b32_e32 v17, 0
	s_waitcnt lgkmcnt(0)
	; wave barrier
	ds_read_b32 v18, v17
	v_add_co_u32_e32 v14, vcc, v14, v0
	s_movk_i32 s4, 0x600
	v_add_u32_e32 v19, -1, v26
	v_addc_co_u32_e32 v15, vcc, v15, v1, vcc
	v_mul_lo_u32 v20, v19, s4
	s_waitcnt lgkmcnt(0)
	v_mul_lo_u32 v16, v18, s4
	v_sub_co_u32_e32 v38, vcc, v12, v20
	v_subbrev_co_u32_e32 v39, vcc, 0, v13, vcc
	v_lshlrev_b64 v[26:27], 1, v[16:17]
	v_add_co_u32_e32 v12, vcc, v14, v26
	v_readfirstlane_b32 s68, v18
	v_cmp_ne_u32_e64 s[4:5], v18, v19
	v_addc_co_u32_e32 v13, vcc, v15, v27, vcc
	v_lshlrev_b32_e32 v48, 1, v28
	s_waitcnt lgkmcnt(0)
	; wave barrier
	s_and_saveexec_b64 s[10:11], s[4:5]
	s_xor_b64 s[10:11], exec, s[10:11]
	s_cbranch_execz .LBB472_4
; %bb.3:
	v_add_co_u32_e32 v12, vcc, v12, v48
	v_addc_co_u32_e32 v13, vcc, 0, v13, vcc
	flat_load_ushort v14, v[12:13]
	flat_load_ushort v15, v[12:13] offset:128
	flat_load_ushort v16, v[12:13] offset:256
	;; [unrolled: 1-line block ×23, first 2 shown]
                                        ; implicit-def: $vgpr12
	s_waitcnt vmcnt(0) lgkmcnt(0)
	ds_write_b16 v48, v14
	ds_write_b16 v48, v15 offset:128
	ds_write_b16 v48, v16 offset:256
	;; [unrolled: 1-line block ×23, first 2 shown]
	s_waitcnt lgkmcnt(0)
	; wave barrier
.LBB472_4:
	s_andn2_saveexec_b64 s[10:11], s[10:11]
	s_cbranch_execz .LBB472_54
; %bb.5:
	flat_load_ushort v14, v[12:13]
	v_cmp_lt_u32_e32 vcc, v28, v38
	s_waitcnt vmcnt(0) lgkmcnt(0)
	v_mov_b32_e32 v15, v14
	s_and_saveexec_b64 s[12:13], vcc
	s_cbranch_execz .LBB472_7
; %bb.6:
	v_add_co_u32_e32 v16, vcc, v12, v48
	v_addc_co_u32_e32 v17, vcc, 0, v13, vcc
	flat_load_ushort v15, v[16:17]
.LBB472_7:
	s_or_b64 exec, exec, s[12:13]
	v_add_u32_e32 v16, 64, v28
	v_cmp_lt_u32_e32 vcc, v16, v38
	v_mov_b32_e32 v16, v14
	s_and_saveexec_b64 s[12:13], vcc
	s_cbranch_execz .LBB472_9
; %bb.8:
	v_add_co_u32_e32 v16, vcc, v12, v48
	v_addc_co_u32_e32 v17, vcc, 0, v13, vcc
	flat_load_ushort v16, v[16:17] offset:128
.LBB472_9:
	s_or_b64 exec, exec, s[12:13]
	v_add_u32_e32 v17, 0x80, v28
	v_cmp_lt_u32_e32 vcc, v17, v38
	v_mov_b32_e32 v17, v14
	s_and_saveexec_b64 s[12:13], vcc
	s_cbranch_execz .LBB472_11
; %bb.10:
	v_add_co_u32_e32 v18, vcc, v12, v48
	v_addc_co_u32_e32 v19, vcc, 0, v13, vcc
	flat_load_ushort v17, v[18:19] offset:256
.LBB472_11:
	;; [unrolled: 11-line block ×15, first 2 shown]
	s_or_b64 exec, exec, s[12:13]
	v_or_b32_e32 v36, 0x400, v28
	v_cmp_lt_u32_e32 vcc, v36, v38
	v_mov_b32_e32 v36, v14
	s_and_saveexec_b64 s[12:13], vcc
	s_cbranch_execz .LBB472_39
; %bb.38:
	v_add_co_u32_e32 v36, vcc, v12, v48
	v_addc_co_u32_e32 v37, vcc, 0, v13, vcc
	flat_load_ushort v36, v[36:37] offset:2048
.LBB472_39:
	s_or_b64 exec, exec, s[12:13]
	v_add_u32_e32 v37, 0x440, v28
	v_cmp_lt_u32_e32 vcc, v37, v38
	v_mov_b32_e32 v37, v14
	s_and_saveexec_b64 s[12:13], vcc
	s_cbranch_execz .LBB472_41
; %bb.40:
	v_add_co_u32_e32 v50, vcc, v12, v48
	v_addc_co_u32_e32 v51, vcc, 0, v13, vcc
	flat_load_ushort v37, v[50:51] offset:2176
.LBB472_41:
	s_or_b64 exec, exec, s[12:13]
	v_add_u32_e32 v49, 0x480, v28
	;; [unrolled: 11-line block ×7, first 2 shown]
	v_cmp_lt_u32_e32 vcc, v54, v38
	s_and_saveexec_b64 s[12:13], vcc
	s_cbranch_execz .LBB472_53
; %bb.52:
	v_add_co_u32_e32 v12, vcc, v12, v48
	v_addc_co_u32_e32 v13, vcc, 0, v13, vcc
	flat_load_ushort v14, v[12:13] offset:2944
.LBB472_53:
	s_or_b64 exec, exec, s[12:13]
	s_waitcnt vmcnt(0) lgkmcnt(0)
	ds_write_b16 v48, v15
	ds_write_b16 v48, v16 offset:128
	ds_write_b16 v48, v17 offset:256
	;; [unrolled: 1-line block ×23, first 2 shown]
	s_waitcnt lgkmcnt(0)
	; wave barrier
.LBB472_54:
	s_or_b64 exec, exec, s[10:11]
	v_mul_u32_u24_e32 v49, 24, v28
	v_lshlrev_b32_e32 v29, 1, v49
	s_waitcnt lgkmcnt(0)
	ds_read_b128 v[20:23], v29
	ds_read_b128 v[16:19], v29 offset:16
	ds_read_b128 v[12:15], v29 offset:32
	s_cmp_lg_u32 s68, 0
	s_waitcnt lgkmcnt(0)
	; wave barrier
	s_waitcnt lgkmcnt(0)
	s_cbranch_scc0 .LBB472_255
; %bb.55:
	v_mov_b32_e32 v30, 16
	v_lshlrev_b32_e32 v144, 16, v20
	v_lshlrev_b32_sdwa v50, v30, v20 dst_sel:DWORD dst_unused:UNUSED_PAD src0_sel:DWORD src1_sel:WORD_1
	v_max_f32_e32 v51, v50, v50
	v_max_f32_e32 v145, v144, v144
	v_min_f32_e32 v31, v145, v51
	v_cmp_u_f32_e64 s[58:59], v144, v144
	v_cndmask_b32_e64 v31, v31, v144, s[58:59]
	v_cmp_u_f32_e64 s[10:11], v50, v50
	v_cndmask_b32_e64 v33, v31, v50, s[10:11]
	v_max_f32_e32 v31, v145, v51
	v_cndmask_b32_e64 v31, v31, v144, s[58:59]
	v_cndmask_b32_e64 v31, v31, v50, s[10:11]
	s_movk_i32 s14, 0x1f8
	v_cmp_neq_f32_e32 vcc, v33, v31
	v_cmp_class_f32_e64 s[12:13], v33, s14
	s_or_b64 s[16:17], vcc, s[12:13]
	v_mov_b32_e32 v32, v144
	s_and_saveexec_b64 s[12:13], s[16:17]
	s_cbranch_execz .LBB472_57
; %bb.56:
	v_sub_f32_e32 v32, v33, v31
	s_mov_b32 s15, 0x3fb8aa3b
	v_mul_f32_e32 v33, 0x3fb8aa3b, v32
	v_fma_f32 v34, v32, s15, -v33
	v_rndne_f32_e32 v35, v33
	v_fmac_f32_e32 v34, 0x32a5705f, v32
	v_sub_f32_e32 v33, v33, v35
	v_add_f32_e32 v33, v33, v34
	v_exp_f32_e32 v33, v33
	v_cvt_i32_f32_e32 v34, v35
	s_mov_b32 s15, 0xc2ce8ed0
	v_cmp_ngt_f32_e32 vcc, s15, v32
	s_mov_b32 s15, 0x42b17218
	v_ldexp_f32 v33, v33, v34
	v_cndmask_b32_e32 v33, 0, v33, vcc
	v_mov_b32_e32 v34, 0x7f800000
	v_cmp_nlt_f32_e32 vcc, s15, v32
	v_cndmask_b32_e32 v70, v34, v33, vcc
	v_add_f32_e32 v34, 1.0, v70
	v_add_f32_e32 v32, -1.0, v34
	v_sub_f32_e32 v33, v32, v34
	v_add_f32_e32 v33, 1.0, v33
	v_sub_f32_e32 v32, v70, v32
	v_add_f32_e32 v35, v32, v33
	v_frexp_mant_f32_e32 v36, v34
	s_mov_b32 s15, 0x3f2aaaab
	v_cvt_f64_f32_e32 v[32:33], v34
	v_frexp_exp_i32_f64_e32 v32, v[32:33]
	v_cmp_gt_f32_e32 vcc, s15, v36
	v_subbrev_co_u32_e32 v54, vcc, 0, v32, vcc
	v_sub_u32_e32 v32, 0, v54
	v_ldexp_f32 v33, v34, v32
	v_add_f32_e32 v34, -1.0, v33
	v_add_f32_e32 v36, 1.0, v33
	v_ldexp_f32 v32, v35, v32
	v_add_f32_e32 v35, 1.0, v34
	v_add_f32_e32 v37, -1.0, v36
	v_sub_f32_e32 v35, v33, v35
	v_sub_f32_e32 v33, v33, v37
	v_add_f32_e32 v35, v32, v35
	v_add_f32_e32 v32, v32, v33
	;; [unrolled: 1-line block ×3, first 2 shown]
	v_rcp_f32_e32 v65, v55
	v_sub_f32_e32 v33, v36, v55
	v_add_f32_e32 v64, v32, v33
	v_add_f32_e32 v33, v34, v35
	v_mul_f32_e32 v67, v33, v65
	v_sub_f32_e32 v32, v34, v33
	v_mul_f32_e32 v34, v55, v67
	v_fma_f32 v36, v67, v55, -v34
	v_fmac_f32_e32 v36, v67, v64
	v_add_f32_e32 v66, v35, v32
	v_add_f32_e32 v32, v34, v36
	v_sub_f32_e32 v35, v33, v32
	v_pk_add_f32 v[52:53], v[32:33], v[34:35] neg_lo:[0,1] neg_hi:[0,1]
	v_mov_b32_e32 v37, v32
	v_pk_add_f32 v[32:33], v[52:53], v[36:37] neg_lo:[0,1] neg_hi:[0,1]
	v_add_f32_e32 v33, v66, v33
	v_add_f32_e32 v32, v32, v33
	;; [unrolled: 1-line block ×3, first 2 shown]
	v_mul_f32_e32 v66, v65, v33
	v_mul_f32_e32 v34, v55, v66
	v_fma_f32 v36, v66, v55, -v34
	v_fmac_f32_e32 v36, v66, v64
	v_sub_f32_e32 v35, v35, v33
	v_add_f32_e32 v55, v32, v35
	v_add_f32_e32 v32, v34, v36
	v_sub_f32_e32 v35, v33, v32
	v_pk_add_f32 v[52:53], v[32:33], v[34:35] neg_lo:[0,1] neg_hi:[0,1]
	v_mov_b32_e32 v37, v32
	v_pk_add_f32 v[32:33], v[52:53], v[36:37] neg_lo:[0,1] neg_hi:[0,1]
	v_add_f32_e32 v33, v55, v33
	v_add_f32_e32 v32, v32, v33
	;; [unrolled: 1-line block ×4, first 2 shown]
	v_sub_f32_e32 v33, v35, v67
	v_mul_f32_e32 v32, v65, v32
	v_sub_f32_e32 v33, v66, v33
	v_add_f32_e32 v32, v33, v32
	v_add_f32_e32 v36, v35, v32
	v_mul_f32_e32 v52, v36, v36
	v_mov_b32_e32 v34, 0x3ecc95a3
	v_fmac_f32_e32 v34, 0x3e9b6dac, v52
	v_mov_b32_e32 v33, 0x3f2aaada
	v_fmac_f32_e32 v33, v52, v34
	v_cvt_f32_i32_e32 v34, v54
	v_sub_f32_e32 v35, v36, v35
	v_sub_f32_e32 v32, v32, v35
	v_ldexp_f32 v53, v32, 1
	v_mul_f32_e32 v35, v36, v52
	v_mov_b32_e32 v32, 0x3f317218
	s_mov_b32 s15, 0x3f317218
	v_pk_mul_f32 v[32:33], v[34:35], v[32:33]
	v_ldexp_f32 v37, v36, 1
	v_fma_f32 v36, v34, s15, -v32
	v_fmac_f32_e32 v36, 0xb102e308, v34
	v_pk_add_f32 v[34:35], v[32:33], v[36:37]
	v_sub_f32_e32 v37, v35, v37
	v_sub_f32_e32 v37, v33, v37
	v_add_f32_e32 v53, v53, v37
	v_mov_b32_e32 v52, v32
	v_pk_add_f32 v[32:33], v[34:35], v[32:33] neg_lo:[0,1] neg_hi:[0,1]
	v_pk_add_f32 v[54:55], v[34:35], v[52:53]
	v_mov_b32_e32 v33, v55
	v_mov_b32_e32 v37, v34
	v_pk_add_f32 v[64:65], v[36:37], v[32:33] neg_lo:[0,1] neg_hi:[0,1]
	v_pk_add_f32 v[32:33], v[36:37], v[32:33]
	v_mov_b32_e32 v36, v33
	v_pk_add_f32 v[66:67], v[36:37], v[34:35] neg_lo:[0,1] neg_hi:[0,1]
	v_mov_b32_e32 v37, v66
	v_pk_add_f32 v[68:69], v[54:55], v[36:37] neg_lo:[0,1] neg_hi:[0,1]
	v_mov_b32_e32 v32, v55
	v_mov_b32_e32 v54, v35
	;; [unrolled: 1-line block ×4, first 2 shown]
	v_pk_add_f32 v[32:33], v[32:33], v[54:55] neg_lo:[0,1] neg_hi:[0,1]
	v_mov_b32_e32 v52, v53
	v_mov_b32_e32 v53, v34
	v_pk_add_f32 v[32:33], v[52:53], v[32:33] neg_lo:[0,1] neg_hi:[0,1]
	v_mov_b32_e32 v68, v64
	v_pk_add_f32 v[34:35], v[68:69], v[32:33]
	v_mov_b32_e32 v52, v35
	v_pk_add_f32 v[52:53], v[34:35], v[52:53]
	v_pk_add_f32 v[36:37], v[36:37], v[52:53]
	v_mov_b32_e32 v35, v36
	v_pk_add_f32 v[54:55], v[34:35], v[64:65] neg_lo:[0,1] neg_hi:[0,1]
	v_mov_b32_e32 v33, v52
	v_sub_f32_e32 v34, v34, v54
	v_pk_add_f32 v[32:33], v[32:33], v[54:55] neg_lo:[0,1] neg_hi:[0,1]
	v_sub_f32_e32 v34, v64, v34
	s_mov_b32 s16, 0x7f800000
	v_add_f32_e32 v32, v32, v34
	s_mov_b32 s15, 0x33800000
	v_add_f32_e32 v32, v32, v33
	v_cmp_eq_f32_e32 vcc, s16, v70
	v_cmp_lt_f32_e64 s[16:17], |v70|, s15
	v_add_f32_e32 v32, v36, v32
	s_or_b64 vcc, vcc, s[16:17]
	v_cndmask_b32_e32 v32, v32, v70, vcc
	v_add_f32_e32 v32, v31, v32
.LBB472_57:
	s_or_b64 exec, exec, s[12:13]
	v_bfe_u32 v31, v32, 16, 1
	s_movk_i32 s16, 0x7fff
	v_add3_u32 v31, v32, v31, s16
	v_and_b32_e32 v33, 0xffff0000, v31
	v_mov_b32_e32 v31, 0x7fc00000
	v_cmp_o_f32_e32 vcc, v32, v32
	v_cndmask_b32_e32 v32, v31, v33, vcc
	v_lshlrev_b32_sdwa v52, v30, v21 dst_sel:DWORD dst_unused:UNUSED_PAD src0_sel:DWORD src1_sel:WORD_0
	v_max_f32_e32 v30, v32, v32
	v_max_f32_e32 v64, v52, v52
	v_min_f32_e32 v33, v30, v64
	v_cmp_u_f32_e32 vcc, v32, v32
	v_max_f32_e32 v30, v30, v64
	v_cndmask_b32_e32 v33, v33, v32, vcc
	v_cmp_u_f32_e64 s[12:13], v52, v52
	v_cndmask_b32_e32 v30, v30, v32, vcc
	v_cndmask_b32_e64 v33, v33, v52, s[12:13]
	v_cndmask_b32_e64 v30, v30, v52, s[12:13]
	v_cmp_neq_f32_e32 vcc, v33, v30
	v_cmp_class_f32_e64 s[14:15], v33, s14
	s_or_b64 s[18:19], vcc, s[14:15]
	s_and_saveexec_b64 s[14:15], s[18:19]
	s_cbranch_execz .LBB472_59
; %bb.58:
	v_sub_f32_e32 v32, v33, v30
	s_mov_b32 s17, 0x3fb8aa3b
	v_mul_f32_e32 v33, 0x3fb8aa3b, v32
	v_fma_f32 v34, v32, s17, -v33
	v_rndne_f32_e32 v35, v33
	v_fmac_f32_e32 v34, 0x32a5705f, v32
	v_sub_f32_e32 v33, v33, v35
	v_add_f32_e32 v33, v33, v34
	v_exp_f32_e32 v33, v33
	v_cvt_i32_f32_e32 v34, v35
	s_mov_b32 s17, 0xc2ce8ed0
	v_cmp_ngt_f32_e32 vcc, s17, v32
	s_mov_b32 s17, 0x42b17218
	v_ldexp_f32 v33, v33, v34
	v_cndmask_b32_e32 v33, 0, v33, vcc
	v_mov_b32_e32 v34, 0x7f800000
	v_cmp_nlt_f32_e32 vcc, s17, v32
	v_cndmask_b32_e32 v53, v34, v33, vcc
	v_add_f32_e32 v34, 1.0, v53
	v_add_f32_e32 v32, -1.0, v34
	v_sub_f32_e32 v33, v32, v34
	v_add_f32_e32 v33, 1.0, v33
	v_sub_f32_e32 v32, v53, v32
	v_add_f32_e32 v35, v32, v33
	v_frexp_mant_f32_e32 v36, v34
	s_mov_b32 s17, 0x3f2aaaab
	v_cvt_f64_f32_e32 v[32:33], v34
	v_frexp_exp_i32_f64_e32 v32, v[32:33]
	v_cmp_gt_f32_e32 vcc, s17, v36
	v_subbrev_co_u32_e32 v65, vcc, 0, v32, vcc
	v_sub_u32_e32 v32, 0, v65
	v_ldexp_f32 v33, v34, v32
	v_add_f32_e32 v34, -1.0, v33
	v_add_f32_e32 v36, 1.0, v33
	v_ldexp_f32 v32, v35, v32
	v_add_f32_e32 v35, 1.0, v34
	v_add_f32_e32 v37, -1.0, v36
	v_sub_f32_e32 v35, v33, v35
	v_sub_f32_e32 v33, v33, v37
	v_add_f32_e32 v35, v32, v35
	v_add_f32_e32 v32, v32, v33
	;; [unrolled: 1-line block ×3, first 2 shown]
	v_rcp_f32_e32 v68, v66
	v_sub_f32_e32 v33, v36, v66
	v_add_f32_e32 v67, v32, v33
	v_add_f32_e32 v33, v34, v35
	v_mul_f32_e32 v70, v33, v68
	v_sub_f32_e32 v32, v34, v33
	v_mul_f32_e32 v34, v66, v70
	v_fma_f32 v36, v70, v66, -v34
	v_fmac_f32_e32 v36, v70, v67
	v_add_f32_e32 v69, v35, v32
	v_add_f32_e32 v32, v34, v36
	v_sub_f32_e32 v35, v33, v32
	v_pk_add_f32 v[54:55], v[32:33], v[34:35] neg_lo:[0,1] neg_hi:[0,1]
	v_mov_b32_e32 v37, v32
	v_pk_add_f32 v[32:33], v[54:55], v[36:37] neg_lo:[0,1] neg_hi:[0,1]
	v_add_f32_e32 v33, v69, v33
	v_add_f32_e32 v32, v32, v33
	;; [unrolled: 1-line block ×3, first 2 shown]
	v_mul_f32_e32 v69, v68, v33
	v_mul_f32_e32 v34, v66, v69
	v_fma_f32 v36, v69, v66, -v34
	v_fmac_f32_e32 v36, v69, v67
	v_sub_f32_e32 v35, v35, v33
	v_add_f32_e32 v66, v32, v35
	v_add_f32_e32 v32, v34, v36
	v_sub_f32_e32 v35, v33, v32
	v_pk_add_f32 v[54:55], v[32:33], v[34:35] neg_lo:[0,1] neg_hi:[0,1]
	v_mov_b32_e32 v37, v32
	v_pk_add_f32 v[32:33], v[54:55], v[36:37] neg_lo:[0,1] neg_hi:[0,1]
	v_add_f32_e32 v33, v66, v33
	v_add_f32_e32 v32, v32, v33
	;; [unrolled: 1-line block ×4, first 2 shown]
	v_sub_f32_e32 v33, v35, v70
	v_mul_f32_e32 v32, v68, v32
	v_sub_f32_e32 v33, v69, v33
	v_add_f32_e32 v32, v33, v32
	v_add_f32_e32 v36, v35, v32
	v_mul_f32_e32 v54, v36, v36
	v_mov_b32_e32 v34, 0x3ecc95a3
	v_fmac_f32_e32 v34, 0x3e9b6dac, v54
	v_mov_b32_e32 v33, 0x3f2aaada
	v_fmac_f32_e32 v33, v54, v34
	v_cvt_f32_i32_e32 v34, v65
	v_sub_f32_e32 v35, v36, v35
	v_sub_f32_e32 v32, v32, v35
	v_ldexp_f32 v55, v32, 1
	v_mul_f32_e32 v35, v36, v54
	v_mov_b32_e32 v32, 0x3f317218
	s_mov_b32 s17, 0x3f317218
	v_pk_mul_f32 v[32:33], v[34:35], v[32:33]
	v_ldexp_f32 v37, v36, 1
	v_fma_f32 v36, v34, s17, -v32
	v_fmac_f32_e32 v36, 0xb102e308, v34
	v_pk_add_f32 v[34:35], v[32:33], v[36:37]
	v_sub_f32_e32 v37, v35, v37
	v_sub_f32_e32 v37, v33, v37
	v_add_f32_e32 v55, v55, v37
	v_mov_b32_e32 v54, v32
	v_pk_add_f32 v[32:33], v[34:35], v[32:33] neg_lo:[0,1] neg_hi:[0,1]
	v_pk_add_f32 v[66:67], v[34:35], v[54:55]
	v_mov_b32_e32 v33, v67
	v_mov_b32_e32 v37, v34
	v_pk_add_f32 v[68:69], v[36:37], v[32:33] neg_lo:[0,1] neg_hi:[0,1]
	v_pk_add_f32 v[32:33], v[36:37], v[32:33]
	v_mov_b32_e32 v36, v33
	v_pk_add_f32 v[70:71], v[36:37], v[34:35] neg_lo:[0,1] neg_hi:[0,1]
	v_mov_b32_e32 v37, v70
	v_pk_add_f32 v[80:81], v[66:67], v[36:37] neg_lo:[0,1] neg_hi:[0,1]
	v_mov_b32_e32 v32, v67
	v_mov_b32_e32 v66, v35
	;; [unrolled: 1-line block ×4, first 2 shown]
	v_pk_add_f32 v[32:33], v[32:33], v[66:67] neg_lo:[0,1] neg_hi:[0,1]
	v_mov_b32_e32 v54, v55
	v_mov_b32_e32 v55, v34
	v_pk_add_f32 v[32:33], v[54:55], v[32:33] neg_lo:[0,1] neg_hi:[0,1]
	v_mov_b32_e32 v80, v68
	v_pk_add_f32 v[34:35], v[80:81], v[32:33]
	v_mov_b32_e32 v54, v35
	v_pk_add_f32 v[54:55], v[34:35], v[54:55]
	v_pk_add_f32 v[36:37], v[36:37], v[54:55]
	v_mov_b32_e32 v35, v36
	v_pk_add_f32 v[66:67], v[34:35], v[68:69] neg_lo:[0,1] neg_hi:[0,1]
	v_mov_b32_e32 v33, v54
	v_sub_f32_e32 v34, v34, v66
	v_pk_add_f32 v[32:33], v[32:33], v[66:67] neg_lo:[0,1] neg_hi:[0,1]
	v_sub_f32_e32 v34, v68, v34
	s_mov_b32 s18, 0x7f800000
	v_add_f32_e32 v32, v32, v34
	s_mov_b32 s17, 0x33800000
	v_add_f32_e32 v32, v32, v33
	v_cmp_eq_f32_e32 vcc, s18, v53
	v_cmp_lt_f32_e64 s[18:19], |v53|, s17
	v_add_f32_e32 v32, v36, v32
	s_or_b64 vcc, vcc, s[18:19]
	v_cndmask_b32_e32 v32, v32, v53, vcc
	v_add_f32_e32 v32, v30, v32
.LBB472_59:
	s_or_b64 exec, exec, s[14:15]
	v_bfe_u32 v30, v32, 16, 1
	v_add3_u32 v30, v32, v30, s16
	v_and_b32_e32 v30, 0xffff0000, v30
	v_cmp_o_f32_e32 vcc, v32, v32
	v_cndmask_b32_e32 v32, v31, v30, vcc
	v_mov_b32_e32 v30, 16
	v_lshlrev_b32_sdwa v53, v30, v21 dst_sel:DWORD dst_unused:UNUSED_PAD src0_sel:DWORD src1_sel:WORD_1
	v_max_f32_e32 v31, v32, v32
	v_max_f32_e32 v65, v53, v53
	v_min_f32_e32 v33, v31, v65
	v_cmp_u_f32_e32 vcc, v32, v32
	v_max_f32_e32 v31, v31, v65
	v_cndmask_b32_e32 v33, v33, v32, vcc
	v_cmp_u_f32_e64 s[14:15], v53, v53
	v_cndmask_b32_e32 v31, v31, v32, vcc
	v_cndmask_b32_e64 v33, v33, v53, s[14:15]
	v_cndmask_b32_e64 v31, v31, v53, s[14:15]
	s_movk_i32 s18, 0x1f8
	v_cmp_neq_f32_e32 vcc, v33, v31
	v_cmp_class_f32_e64 s[16:17], v33, s18
	s_or_b64 s[20:21], vcc, s[16:17]
	s_and_saveexec_b64 s[16:17], s[20:21]
	s_cbranch_execz .LBB472_61
; %bb.60:
	v_sub_f32_e32 v32, v33, v31
	s_mov_b32 s19, 0x3fb8aa3b
	v_mul_f32_e32 v33, 0x3fb8aa3b, v32
	v_fma_f32 v34, v32, s19, -v33
	v_rndne_f32_e32 v35, v33
	v_fmac_f32_e32 v34, 0x32a5705f, v32
	v_sub_f32_e32 v33, v33, v35
	v_add_f32_e32 v33, v33, v34
	v_exp_f32_e32 v33, v33
	v_cvt_i32_f32_e32 v34, v35
	s_mov_b32 s19, 0xc2ce8ed0
	v_cmp_ngt_f32_e32 vcc, s19, v32
	s_mov_b32 s19, 0x42b17218
	v_ldexp_f32 v33, v33, v34
	v_cndmask_b32_e32 v33, 0, v33, vcc
	v_mov_b32_e32 v34, 0x7f800000
	v_cmp_nlt_f32_e32 vcc, s19, v32
	v_cndmask_b32_e32 v82, v34, v33, vcc
	v_add_f32_e32 v34, 1.0, v82
	v_add_f32_e32 v32, -1.0, v34
	v_sub_f32_e32 v33, v32, v34
	v_add_f32_e32 v33, 1.0, v33
	v_sub_f32_e32 v32, v82, v32
	v_add_f32_e32 v35, v32, v33
	v_frexp_mant_f32_e32 v36, v34
	s_mov_b32 s19, 0x3f2aaaab
	v_cvt_f64_f32_e32 v[32:33], v34
	v_frexp_exp_i32_f64_e32 v32, v[32:33]
	v_cmp_gt_f32_e32 vcc, s19, v36
	v_subbrev_co_u32_e32 v66, vcc, 0, v32, vcc
	v_sub_u32_e32 v32, 0, v66
	v_ldexp_f32 v33, v34, v32
	v_add_f32_e32 v34, -1.0, v33
	v_add_f32_e32 v36, 1.0, v33
	v_ldexp_f32 v32, v35, v32
	v_add_f32_e32 v35, 1.0, v34
	v_add_f32_e32 v37, -1.0, v36
	v_sub_f32_e32 v35, v33, v35
	v_sub_f32_e32 v33, v33, v37
	v_add_f32_e32 v35, v32, v35
	v_add_f32_e32 v32, v32, v33
	;; [unrolled: 1-line block ×3, first 2 shown]
	v_rcp_f32_e32 v69, v67
	v_sub_f32_e32 v33, v36, v67
	v_add_f32_e32 v68, v32, v33
	v_add_f32_e32 v33, v34, v35
	v_mul_f32_e32 v71, v33, v69
	v_sub_f32_e32 v32, v34, v33
	v_mul_f32_e32 v34, v67, v71
	v_fma_f32 v36, v71, v67, -v34
	v_fmac_f32_e32 v36, v71, v68
	v_add_f32_e32 v70, v35, v32
	v_add_f32_e32 v32, v34, v36
	v_sub_f32_e32 v35, v33, v32
	v_pk_add_f32 v[54:55], v[32:33], v[34:35] neg_lo:[0,1] neg_hi:[0,1]
	v_mov_b32_e32 v37, v32
	v_pk_add_f32 v[32:33], v[54:55], v[36:37] neg_lo:[0,1] neg_hi:[0,1]
	v_add_f32_e32 v33, v70, v33
	v_add_f32_e32 v32, v32, v33
	;; [unrolled: 1-line block ×3, first 2 shown]
	v_mul_f32_e32 v70, v69, v33
	v_mul_f32_e32 v34, v67, v70
	v_fma_f32 v36, v70, v67, -v34
	v_fmac_f32_e32 v36, v70, v68
	v_sub_f32_e32 v35, v35, v33
	v_add_f32_e32 v67, v32, v35
	v_add_f32_e32 v32, v34, v36
	v_sub_f32_e32 v35, v33, v32
	v_pk_add_f32 v[54:55], v[32:33], v[34:35] neg_lo:[0,1] neg_hi:[0,1]
	v_mov_b32_e32 v37, v32
	v_pk_add_f32 v[32:33], v[54:55], v[36:37] neg_lo:[0,1] neg_hi:[0,1]
	v_add_f32_e32 v33, v67, v33
	v_add_f32_e32 v32, v32, v33
	;; [unrolled: 1-line block ×4, first 2 shown]
	v_sub_f32_e32 v33, v35, v71
	v_mul_f32_e32 v32, v69, v32
	v_sub_f32_e32 v33, v70, v33
	v_add_f32_e32 v32, v33, v32
	v_add_f32_e32 v36, v35, v32
	v_mul_f32_e32 v54, v36, v36
	v_mov_b32_e32 v34, 0x3ecc95a3
	v_fmac_f32_e32 v34, 0x3e9b6dac, v54
	v_mov_b32_e32 v33, 0x3f2aaada
	v_fmac_f32_e32 v33, v54, v34
	v_cvt_f32_i32_e32 v34, v66
	v_sub_f32_e32 v35, v36, v35
	v_sub_f32_e32 v32, v32, v35
	v_ldexp_f32 v55, v32, 1
	v_mul_f32_e32 v35, v36, v54
	v_mov_b32_e32 v32, 0x3f317218
	s_mov_b32 s19, 0x3f317218
	v_pk_mul_f32 v[32:33], v[34:35], v[32:33]
	v_ldexp_f32 v37, v36, 1
	v_fma_f32 v36, v34, s19, -v32
	v_fmac_f32_e32 v36, 0xb102e308, v34
	v_pk_add_f32 v[34:35], v[32:33], v[36:37]
	v_sub_f32_e32 v37, v35, v37
	v_sub_f32_e32 v37, v33, v37
	v_add_f32_e32 v55, v55, v37
	v_mov_b32_e32 v54, v32
	v_pk_add_f32 v[32:33], v[34:35], v[32:33] neg_lo:[0,1] neg_hi:[0,1]
	v_pk_add_f32 v[66:67], v[34:35], v[54:55]
	v_mov_b32_e32 v33, v67
	v_mov_b32_e32 v37, v34
	v_pk_add_f32 v[68:69], v[36:37], v[32:33] neg_lo:[0,1] neg_hi:[0,1]
	v_pk_add_f32 v[32:33], v[36:37], v[32:33]
	v_mov_b32_e32 v36, v33
	v_pk_add_f32 v[70:71], v[36:37], v[34:35] neg_lo:[0,1] neg_hi:[0,1]
	v_mov_b32_e32 v37, v70
	v_pk_add_f32 v[80:81], v[66:67], v[36:37] neg_lo:[0,1] neg_hi:[0,1]
	v_mov_b32_e32 v32, v67
	v_mov_b32_e32 v66, v35
	;; [unrolled: 1-line block ×4, first 2 shown]
	v_pk_add_f32 v[32:33], v[32:33], v[66:67] neg_lo:[0,1] neg_hi:[0,1]
	v_mov_b32_e32 v54, v55
	v_mov_b32_e32 v55, v34
	v_pk_add_f32 v[32:33], v[54:55], v[32:33] neg_lo:[0,1] neg_hi:[0,1]
	v_mov_b32_e32 v80, v68
	v_pk_add_f32 v[34:35], v[80:81], v[32:33]
	v_mov_b32_e32 v54, v35
	v_pk_add_f32 v[54:55], v[34:35], v[54:55]
	v_pk_add_f32 v[36:37], v[36:37], v[54:55]
	v_mov_b32_e32 v35, v36
	v_pk_add_f32 v[66:67], v[34:35], v[68:69] neg_lo:[0,1] neg_hi:[0,1]
	v_mov_b32_e32 v33, v54
	v_sub_f32_e32 v34, v34, v66
	v_pk_add_f32 v[32:33], v[32:33], v[66:67] neg_lo:[0,1] neg_hi:[0,1]
	v_sub_f32_e32 v34, v68, v34
	s_mov_b32 s20, 0x7f800000
	v_add_f32_e32 v32, v32, v34
	s_mov_b32 s19, 0x33800000
	v_add_f32_e32 v32, v32, v33
	v_cmp_eq_f32_e32 vcc, s20, v82
	v_cmp_lt_f32_e64 s[20:21], |v82|, s19
	v_add_f32_e32 v32, v36, v32
	s_or_b64 vcc, vcc, s[20:21]
	v_cndmask_b32_e32 v32, v32, v82, vcc
	v_add_f32_e32 v32, v31, v32
.LBB472_61:
	s_or_b64 exec, exec, s[16:17]
	v_bfe_u32 v31, v32, 16, 1
	s_movk_i32 s20, 0x7fff
	v_add3_u32 v31, v32, v31, s20
	v_and_b32_e32 v33, 0xffff0000, v31
	v_mov_b32_e32 v31, 0x7fc00000
	v_cmp_o_f32_e32 vcc, v32, v32
	v_cndmask_b32_e32 v32, v31, v33, vcc
	v_lshlrev_b32_sdwa v54, v30, v22 dst_sel:DWORD dst_unused:UNUSED_PAD src0_sel:DWORD src1_sel:WORD_0
	v_max_f32_e32 v30, v32, v32
	v_max_f32_e32 v68, v54, v54
	v_min_f32_e32 v33, v30, v68
	v_cmp_u_f32_e32 vcc, v32, v32
	v_max_f32_e32 v30, v30, v68
	v_cndmask_b32_e32 v33, v33, v32, vcc
	v_cmp_u_f32_e64 s[16:17], v54, v54
	v_cndmask_b32_e32 v30, v30, v32, vcc
	v_cndmask_b32_e64 v33, v33, v54, s[16:17]
	v_cndmask_b32_e64 v30, v30, v54, s[16:17]
	v_cmp_neq_f32_e32 vcc, v33, v30
	v_cmp_class_f32_e64 s[18:19], v33, s18
	s_or_b64 s[22:23], vcc, s[18:19]
	s_and_saveexec_b64 s[18:19], s[22:23]
	s_cbranch_execz .LBB472_63
; %bb.62:
	v_sub_f32_e32 v32, v33, v30
	s_mov_b32 s21, 0x3fb8aa3b
	v_mul_f32_e32 v33, 0x3fb8aa3b, v32
	v_fma_f32 v34, v32, s21, -v33
	v_rndne_f32_e32 v35, v33
	v_fmac_f32_e32 v34, 0x32a5705f, v32
	v_sub_f32_e32 v33, v33, v35
	v_add_f32_e32 v33, v33, v34
	v_exp_f32_e32 v33, v33
	v_cvt_i32_f32_e32 v34, v35
	s_mov_b32 s21, 0xc2ce8ed0
	v_cmp_ngt_f32_e32 vcc, s21, v32
	s_mov_b32 s21, 0x42b17218
	v_ldexp_f32 v33, v33, v34
	v_cndmask_b32_e32 v33, 0, v33, vcc
	v_mov_b32_e32 v34, 0x7f800000
	v_cmp_nlt_f32_e32 vcc, s21, v32
	v_cndmask_b32_e32 v55, v34, v33, vcc
	v_add_f32_e32 v34, 1.0, v55
	v_add_f32_e32 v32, -1.0, v34
	v_sub_f32_e32 v33, v32, v34
	v_add_f32_e32 v33, 1.0, v33
	v_sub_f32_e32 v32, v55, v32
	v_add_f32_e32 v35, v32, v33
	v_frexp_mant_f32_e32 v36, v34
	s_mov_b32 s21, 0x3f2aaaab
	v_cvt_f64_f32_e32 v[32:33], v34
	v_frexp_exp_i32_f64_e32 v32, v[32:33]
	v_cmp_gt_f32_e32 vcc, s21, v36
	v_subbrev_co_u32_e32 v69, vcc, 0, v32, vcc
	v_sub_u32_e32 v32, 0, v69
	v_ldexp_f32 v33, v34, v32
	v_add_f32_e32 v34, -1.0, v33
	v_add_f32_e32 v36, 1.0, v33
	v_ldexp_f32 v32, v35, v32
	v_add_f32_e32 v35, 1.0, v34
	v_add_f32_e32 v37, -1.0, v36
	v_sub_f32_e32 v35, v33, v35
	v_sub_f32_e32 v33, v33, v37
	v_add_f32_e32 v35, v32, v35
	v_add_f32_e32 v32, v32, v33
	;; [unrolled: 1-line block ×3, first 2 shown]
	v_rcp_f32_e32 v80, v70
	v_sub_f32_e32 v33, v36, v70
	v_add_f32_e32 v71, v32, v33
	v_add_f32_e32 v33, v34, v35
	v_mul_f32_e32 v82, v33, v80
	v_sub_f32_e32 v32, v34, v33
	v_mul_f32_e32 v34, v70, v82
	v_fma_f32 v36, v82, v70, -v34
	v_fmac_f32_e32 v36, v82, v71
	v_add_f32_e32 v81, v35, v32
	v_add_f32_e32 v32, v34, v36
	v_sub_f32_e32 v35, v33, v32
	v_pk_add_f32 v[66:67], v[32:33], v[34:35] neg_lo:[0,1] neg_hi:[0,1]
	v_mov_b32_e32 v37, v32
	v_pk_add_f32 v[32:33], v[66:67], v[36:37] neg_lo:[0,1] neg_hi:[0,1]
	v_add_f32_e32 v33, v81, v33
	v_add_f32_e32 v32, v32, v33
	;; [unrolled: 1-line block ×3, first 2 shown]
	v_mul_f32_e32 v81, v80, v33
	v_mul_f32_e32 v34, v70, v81
	v_fma_f32 v36, v81, v70, -v34
	v_fmac_f32_e32 v36, v81, v71
	v_sub_f32_e32 v35, v35, v33
	v_add_f32_e32 v70, v32, v35
	v_add_f32_e32 v32, v34, v36
	v_sub_f32_e32 v35, v33, v32
	v_pk_add_f32 v[66:67], v[32:33], v[34:35] neg_lo:[0,1] neg_hi:[0,1]
	v_mov_b32_e32 v37, v32
	v_pk_add_f32 v[32:33], v[66:67], v[36:37] neg_lo:[0,1] neg_hi:[0,1]
	v_add_f32_e32 v33, v70, v33
	v_add_f32_e32 v32, v32, v33
	;; [unrolled: 1-line block ×4, first 2 shown]
	v_sub_f32_e32 v33, v35, v82
	v_mul_f32_e32 v32, v80, v32
	v_sub_f32_e32 v33, v81, v33
	v_add_f32_e32 v32, v33, v32
	v_add_f32_e32 v36, v35, v32
	v_mul_f32_e32 v66, v36, v36
	v_mov_b32_e32 v34, 0x3ecc95a3
	v_fmac_f32_e32 v34, 0x3e9b6dac, v66
	v_mov_b32_e32 v33, 0x3f2aaada
	v_fmac_f32_e32 v33, v66, v34
	v_cvt_f32_i32_e32 v34, v69
	v_sub_f32_e32 v35, v36, v35
	v_sub_f32_e32 v32, v32, v35
	v_ldexp_f32 v67, v32, 1
	v_mul_f32_e32 v35, v36, v66
	v_mov_b32_e32 v32, 0x3f317218
	s_mov_b32 s21, 0x3f317218
	v_pk_mul_f32 v[32:33], v[34:35], v[32:33]
	v_ldexp_f32 v37, v36, 1
	v_fma_f32 v36, v34, s21, -v32
	v_fmac_f32_e32 v36, 0xb102e308, v34
	v_pk_add_f32 v[34:35], v[32:33], v[36:37]
	v_sub_f32_e32 v37, v35, v37
	v_sub_f32_e32 v37, v33, v37
	v_add_f32_e32 v67, v67, v37
	v_mov_b32_e32 v66, v32
	v_pk_add_f32 v[32:33], v[34:35], v[32:33] neg_lo:[0,1] neg_hi:[0,1]
	v_pk_add_f32 v[70:71], v[34:35], v[66:67]
	v_mov_b32_e32 v33, v71
	v_mov_b32_e32 v37, v34
	v_pk_add_f32 v[80:81], v[36:37], v[32:33] neg_lo:[0,1] neg_hi:[0,1]
	v_pk_add_f32 v[32:33], v[36:37], v[32:33]
	v_mov_b32_e32 v36, v33
	v_pk_add_f32 v[82:83], v[36:37], v[34:35] neg_lo:[0,1] neg_hi:[0,1]
	v_mov_b32_e32 v37, v82
	v_pk_add_f32 v[84:85], v[70:71], v[36:37] neg_lo:[0,1] neg_hi:[0,1]
	v_mov_b32_e32 v32, v71
	v_mov_b32_e32 v70, v35
	;; [unrolled: 1-line block ×4, first 2 shown]
	v_pk_add_f32 v[32:33], v[32:33], v[70:71] neg_lo:[0,1] neg_hi:[0,1]
	v_mov_b32_e32 v66, v67
	v_mov_b32_e32 v67, v34
	v_pk_add_f32 v[32:33], v[66:67], v[32:33] neg_lo:[0,1] neg_hi:[0,1]
	v_mov_b32_e32 v84, v80
	v_pk_add_f32 v[34:35], v[84:85], v[32:33]
	v_mov_b32_e32 v66, v35
	v_pk_add_f32 v[66:67], v[34:35], v[66:67]
	v_pk_add_f32 v[36:37], v[36:37], v[66:67]
	v_mov_b32_e32 v35, v36
	v_pk_add_f32 v[70:71], v[34:35], v[80:81] neg_lo:[0,1] neg_hi:[0,1]
	v_mov_b32_e32 v33, v66
	v_sub_f32_e32 v34, v34, v70
	v_pk_add_f32 v[32:33], v[32:33], v[70:71] neg_lo:[0,1] neg_hi:[0,1]
	v_sub_f32_e32 v34, v80, v34
	s_mov_b32 s22, 0x7f800000
	v_add_f32_e32 v32, v32, v34
	s_mov_b32 s21, 0x33800000
	v_add_f32_e32 v32, v32, v33
	v_cmp_eq_f32_e32 vcc, s22, v55
	v_cmp_lt_f32_e64 s[22:23], |v55|, s21
	v_add_f32_e32 v32, v36, v32
	s_or_b64 vcc, vcc, s[22:23]
	v_cndmask_b32_e32 v32, v32, v55, vcc
	v_add_f32_e32 v32, v30, v32
.LBB472_63:
	s_or_b64 exec, exec, s[18:19]
	v_bfe_u32 v30, v32, 16, 1
	v_add3_u32 v30, v32, v30, s20
	v_and_b32_e32 v30, 0xffff0000, v30
	v_cmp_o_f32_e32 vcc, v32, v32
	v_cndmask_b32_e32 v32, v31, v30, vcc
	v_mov_b32_e32 v30, 16
	v_lshlrev_b32_sdwa v55, v30, v22 dst_sel:DWORD dst_unused:UNUSED_PAD src0_sel:DWORD src1_sel:WORD_1
	v_max_f32_e32 v31, v32, v32
	v_max_f32_e32 v69, v55, v55
	v_min_f32_e32 v33, v31, v69
	v_cmp_u_f32_e32 vcc, v32, v32
	v_max_f32_e32 v31, v31, v69
	v_cndmask_b32_e32 v33, v33, v32, vcc
	v_cmp_u_f32_e64 s[18:19], v55, v55
	v_cndmask_b32_e32 v31, v31, v32, vcc
	v_cndmask_b32_e64 v33, v33, v55, s[18:19]
	v_cndmask_b32_e64 v31, v31, v55, s[18:19]
	s_movk_i32 s22, 0x1f8
	v_cmp_neq_f32_e32 vcc, v33, v31
	v_cmp_class_f32_e64 s[20:21], v33, s22
	s_or_b64 s[24:25], vcc, s[20:21]
	s_and_saveexec_b64 s[20:21], s[24:25]
	s_cbranch_execz .LBB472_65
; %bb.64:
	v_sub_f32_e32 v32, v33, v31
	s_mov_b32 s23, 0x3fb8aa3b
	v_mul_f32_e32 v33, 0x3fb8aa3b, v32
	v_fma_f32 v34, v32, s23, -v33
	v_rndne_f32_e32 v35, v33
	v_fmac_f32_e32 v34, 0x32a5705f, v32
	v_sub_f32_e32 v33, v33, v35
	v_add_f32_e32 v33, v33, v34
	v_exp_f32_e32 v33, v33
	v_cvt_i32_f32_e32 v34, v35
	s_mov_b32 s23, 0xc2ce8ed0
	v_cmp_ngt_f32_e32 vcc, s23, v32
	s_mov_b32 s23, 0x42b17218
	v_ldexp_f32 v33, v33, v34
	v_cndmask_b32_e32 v33, 0, v33, vcc
	v_mov_b32_e32 v34, 0x7f800000
	v_cmp_nlt_f32_e32 vcc, s23, v32
	v_cndmask_b32_e32 v86, v34, v33, vcc
	v_add_f32_e32 v34, 1.0, v86
	v_add_f32_e32 v32, -1.0, v34
	v_sub_f32_e32 v33, v32, v34
	v_add_f32_e32 v33, 1.0, v33
	v_sub_f32_e32 v32, v86, v32
	v_add_f32_e32 v35, v32, v33
	v_frexp_mant_f32_e32 v36, v34
	s_mov_b32 s23, 0x3f2aaaab
	v_cvt_f64_f32_e32 v[32:33], v34
	v_frexp_exp_i32_f64_e32 v32, v[32:33]
	v_cmp_gt_f32_e32 vcc, s23, v36
	v_subbrev_co_u32_e32 v70, vcc, 0, v32, vcc
	v_sub_u32_e32 v32, 0, v70
	v_ldexp_f32 v33, v34, v32
	v_add_f32_e32 v34, -1.0, v33
	v_add_f32_e32 v36, 1.0, v33
	v_ldexp_f32 v32, v35, v32
	v_add_f32_e32 v35, 1.0, v34
	v_add_f32_e32 v37, -1.0, v36
	v_sub_f32_e32 v35, v33, v35
	v_sub_f32_e32 v33, v33, v37
	v_add_f32_e32 v35, v32, v35
	v_add_f32_e32 v32, v32, v33
	;; [unrolled: 1-line block ×3, first 2 shown]
	v_rcp_f32_e32 v81, v71
	v_sub_f32_e32 v33, v36, v71
	v_add_f32_e32 v80, v32, v33
	v_add_f32_e32 v33, v34, v35
	v_mul_f32_e32 v83, v33, v81
	v_sub_f32_e32 v32, v34, v33
	v_mul_f32_e32 v34, v71, v83
	v_fma_f32 v36, v83, v71, -v34
	v_fmac_f32_e32 v36, v83, v80
	v_add_f32_e32 v82, v35, v32
	v_add_f32_e32 v32, v34, v36
	v_sub_f32_e32 v35, v33, v32
	v_pk_add_f32 v[66:67], v[32:33], v[34:35] neg_lo:[0,1] neg_hi:[0,1]
	v_mov_b32_e32 v37, v32
	v_pk_add_f32 v[32:33], v[66:67], v[36:37] neg_lo:[0,1] neg_hi:[0,1]
	v_add_f32_e32 v33, v82, v33
	v_add_f32_e32 v32, v32, v33
	;; [unrolled: 1-line block ×3, first 2 shown]
	v_mul_f32_e32 v82, v81, v33
	v_mul_f32_e32 v34, v71, v82
	v_fma_f32 v36, v82, v71, -v34
	v_fmac_f32_e32 v36, v82, v80
	v_sub_f32_e32 v35, v35, v33
	v_add_f32_e32 v71, v32, v35
	v_add_f32_e32 v32, v34, v36
	v_sub_f32_e32 v35, v33, v32
	v_pk_add_f32 v[66:67], v[32:33], v[34:35] neg_lo:[0,1] neg_hi:[0,1]
	v_mov_b32_e32 v37, v32
	v_pk_add_f32 v[32:33], v[66:67], v[36:37] neg_lo:[0,1] neg_hi:[0,1]
	v_add_f32_e32 v33, v71, v33
	v_add_f32_e32 v32, v32, v33
	;; [unrolled: 1-line block ×4, first 2 shown]
	v_sub_f32_e32 v33, v35, v83
	v_mul_f32_e32 v32, v81, v32
	v_sub_f32_e32 v33, v82, v33
	v_add_f32_e32 v32, v33, v32
	v_add_f32_e32 v36, v35, v32
	v_mul_f32_e32 v66, v36, v36
	v_mov_b32_e32 v34, 0x3ecc95a3
	v_fmac_f32_e32 v34, 0x3e9b6dac, v66
	v_mov_b32_e32 v33, 0x3f2aaada
	v_fmac_f32_e32 v33, v66, v34
	v_cvt_f32_i32_e32 v34, v70
	v_sub_f32_e32 v35, v36, v35
	v_sub_f32_e32 v32, v32, v35
	v_ldexp_f32 v67, v32, 1
	v_mul_f32_e32 v35, v36, v66
	v_mov_b32_e32 v32, 0x3f317218
	s_mov_b32 s23, 0x3f317218
	v_pk_mul_f32 v[32:33], v[34:35], v[32:33]
	v_ldexp_f32 v37, v36, 1
	v_fma_f32 v36, v34, s23, -v32
	v_fmac_f32_e32 v36, 0xb102e308, v34
	v_pk_add_f32 v[34:35], v[32:33], v[36:37]
	v_sub_f32_e32 v37, v35, v37
	v_sub_f32_e32 v37, v33, v37
	v_add_f32_e32 v67, v67, v37
	v_mov_b32_e32 v66, v32
	v_pk_add_f32 v[32:33], v[34:35], v[32:33] neg_lo:[0,1] neg_hi:[0,1]
	v_pk_add_f32 v[70:71], v[34:35], v[66:67]
	v_mov_b32_e32 v33, v71
	v_mov_b32_e32 v37, v34
	v_pk_add_f32 v[80:81], v[36:37], v[32:33] neg_lo:[0,1] neg_hi:[0,1]
	v_pk_add_f32 v[32:33], v[36:37], v[32:33]
	v_mov_b32_e32 v36, v33
	v_pk_add_f32 v[82:83], v[36:37], v[34:35] neg_lo:[0,1] neg_hi:[0,1]
	v_mov_b32_e32 v37, v82
	v_pk_add_f32 v[84:85], v[70:71], v[36:37] neg_lo:[0,1] neg_hi:[0,1]
	v_mov_b32_e32 v32, v71
	v_mov_b32_e32 v70, v35
	;; [unrolled: 1-line block ×4, first 2 shown]
	v_pk_add_f32 v[32:33], v[32:33], v[70:71] neg_lo:[0,1] neg_hi:[0,1]
	v_mov_b32_e32 v66, v67
	v_mov_b32_e32 v67, v34
	v_pk_add_f32 v[32:33], v[66:67], v[32:33] neg_lo:[0,1] neg_hi:[0,1]
	v_mov_b32_e32 v84, v80
	v_pk_add_f32 v[34:35], v[84:85], v[32:33]
	v_mov_b32_e32 v66, v35
	v_pk_add_f32 v[66:67], v[34:35], v[66:67]
	v_pk_add_f32 v[36:37], v[36:37], v[66:67]
	v_mov_b32_e32 v35, v36
	v_pk_add_f32 v[70:71], v[34:35], v[80:81] neg_lo:[0,1] neg_hi:[0,1]
	v_mov_b32_e32 v33, v66
	v_sub_f32_e32 v34, v34, v70
	v_pk_add_f32 v[32:33], v[32:33], v[70:71] neg_lo:[0,1] neg_hi:[0,1]
	v_sub_f32_e32 v34, v80, v34
	s_mov_b32 s24, 0x7f800000
	v_add_f32_e32 v32, v32, v34
	s_mov_b32 s23, 0x33800000
	v_add_f32_e32 v32, v32, v33
	v_cmp_eq_f32_e32 vcc, s24, v86
	v_cmp_lt_f32_e64 s[24:25], |v86|, s23
	v_add_f32_e32 v32, v36, v32
	s_or_b64 vcc, vcc, s[24:25]
	v_cndmask_b32_e32 v32, v32, v86, vcc
	v_add_f32_e32 v32, v31, v32
.LBB472_65:
	s_or_b64 exec, exec, s[20:21]
	v_bfe_u32 v31, v32, 16, 1
	s_movk_i32 s24, 0x7fff
	v_add3_u32 v31, v32, v31, s24
	v_and_b32_e32 v33, 0xffff0000, v31
	v_mov_b32_e32 v31, 0x7fc00000
	v_cmp_o_f32_e32 vcc, v32, v32
	v_cndmask_b32_e32 v32, v31, v33, vcc
	v_lshlrev_b32_sdwa v66, v30, v23 dst_sel:DWORD dst_unused:UNUSED_PAD src0_sel:DWORD src1_sel:WORD_0
	v_max_f32_e32 v30, v32, v32
	v_max_f32_e32 v80, v66, v66
	v_min_f32_e32 v33, v30, v80
	v_cmp_u_f32_e32 vcc, v32, v32
	v_max_f32_e32 v30, v30, v80
	v_cndmask_b32_e32 v33, v33, v32, vcc
	v_cmp_u_f32_e64 s[20:21], v66, v66
	v_cndmask_b32_e32 v30, v30, v32, vcc
	v_cndmask_b32_e64 v33, v33, v66, s[20:21]
	v_cndmask_b32_e64 v30, v30, v66, s[20:21]
	v_cmp_neq_f32_e32 vcc, v33, v30
	v_cmp_class_f32_e64 s[22:23], v33, s22
	s_or_b64 s[26:27], vcc, s[22:23]
	s_and_saveexec_b64 s[22:23], s[26:27]
	s_cbranch_execz .LBB472_67
; %bb.66:
	v_sub_f32_e32 v32, v33, v30
	s_mov_b32 s25, 0x3fb8aa3b
	v_mul_f32_e32 v33, 0x3fb8aa3b, v32
	v_fma_f32 v34, v32, s25, -v33
	v_rndne_f32_e32 v35, v33
	v_fmac_f32_e32 v34, 0x32a5705f, v32
	v_sub_f32_e32 v33, v33, v35
	v_add_f32_e32 v33, v33, v34
	v_exp_f32_e32 v33, v33
	v_cvt_i32_f32_e32 v34, v35
	s_mov_b32 s25, 0xc2ce8ed0
	v_cmp_ngt_f32_e32 vcc, s25, v32
	s_mov_b32 s25, 0x42b17218
	v_ldexp_f32 v33, v33, v34
	v_cndmask_b32_e32 v33, 0, v33, vcc
	v_mov_b32_e32 v34, 0x7f800000
	v_cmp_nlt_f32_e32 vcc, s25, v32
	v_cndmask_b32_e32 v67, v34, v33, vcc
	v_add_f32_e32 v34, 1.0, v67
	v_add_f32_e32 v32, -1.0, v34
	v_sub_f32_e32 v33, v32, v34
	v_add_f32_e32 v33, 1.0, v33
	v_sub_f32_e32 v32, v67, v32
	v_add_f32_e32 v35, v32, v33
	v_frexp_mant_f32_e32 v36, v34
	s_mov_b32 s25, 0x3f2aaaab
	v_cvt_f64_f32_e32 v[32:33], v34
	v_frexp_exp_i32_f64_e32 v32, v[32:33]
	v_cmp_gt_f32_e32 vcc, s25, v36
	v_subbrev_co_u32_e32 v81, vcc, 0, v32, vcc
	v_sub_u32_e32 v32, 0, v81
	v_ldexp_f32 v33, v34, v32
	v_add_f32_e32 v34, -1.0, v33
	v_add_f32_e32 v36, 1.0, v33
	v_ldexp_f32 v32, v35, v32
	v_add_f32_e32 v35, 1.0, v34
	v_add_f32_e32 v37, -1.0, v36
	v_sub_f32_e32 v35, v33, v35
	v_sub_f32_e32 v33, v33, v37
	v_add_f32_e32 v35, v32, v35
	v_add_f32_e32 v32, v32, v33
	;; [unrolled: 1-line block ×3, first 2 shown]
	v_rcp_f32_e32 v84, v82
	v_sub_f32_e32 v33, v36, v82
	v_add_f32_e32 v83, v32, v33
	v_add_f32_e32 v33, v34, v35
	v_mul_f32_e32 v86, v33, v84
	v_sub_f32_e32 v32, v34, v33
	v_mul_f32_e32 v34, v82, v86
	v_fma_f32 v36, v86, v82, -v34
	v_fmac_f32_e32 v36, v86, v83
	v_add_f32_e32 v85, v35, v32
	v_add_f32_e32 v32, v34, v36
	v_sub_f32_e32 v35, v33, v32
	v_pk_add_f32 v[70:71], v[32:33], v[34:35] neg_lo:[0,1] neg_hi:[0,1]
	v_mov_b32_e32 v37, v32
	v_pk_add_f32 v[32:33], v[70:71], v[36:37] neg_lo:[0,1] neg_hi:[0,1]
	v_add_f32_e32 v33, v85, v33
	v_add_f32_e32 v32, v32, v33
	;; [unrolled: 1-line block ×3, first 2 shown]
	v_mul_f32_e32 v85, v84, v33
	v_mul_f32_e32 v34, v82, v85
	v_fma_f32 v36, v85, v82, -v34
	v_fmac_f32_e32 v36, v85, v83
	v_sub_f32_e32 v35, v35, v33
	v_add_f32_e32 v82, v32, v35
	v_add_f32_e32 v32, v34, v36
	v_sub_f32_e32 v35, v33, v32
	v_pk_add_f32 v[70:71], v[32:33], v[34:35] neg_lo:[0,1] neg_hi:[0,1]
	v_mov_b32_e32 v37, v32
	v_pk_add_f32 v[32:33], v[70:71], v[36:37] neg_lo:[0,1] neg_hi:[0,1]
	v_add_f32_e32 v33, v82, v33
	v_add_f32_e32 v32, v32, v33
	;; [unrolled: 1-line block ×4, first 2 shown]
	v_sub_f32_e32 v33, v35, v86
	v_mul_f32_e32 v32, v84, v32
	v_sub_f32_e32 v33, v85, v33
	v_add_f32_e32 v32, v33, v32
	v_add_f32_e32 v36, v35, v32
	v_mul_f32_e32 v70, v36, v36
	v_mov_b32_e32 v34, 0x3ecc95a3
	v_fmac_f32_e32 v34, 0x3e9b6dac, v70
	v_mov_b32_e32 v33, 0x3f2aaada
	v_fmac_f32_e32 v33, v70, v34
	v_cvt_f32_i32_e32 v34, v81
	v_sub_f32_e32 v35, v36, v35
	v_sub_f32_e32 v32, v32, v35
	v_ldexp_f32 v71, v32, 1
	v_mul_f32_e32 v35, v36, v70
	v_mov_b32_e32 v32, 0x3f317218
	s_mov_b32 s25, 0x3f317218
	v_pk_mul_f32 v[32:33], v[34:35], v[32:33]
	v_ldexp_f32 v37, v36, 1
	v_fma_f32 v36, v34, s25, -v32
	v_fmac_f32_e32 v36, 0xb102e308, v34
	v_pk_add_f32 v[34:35], v[32:33], v[36:37]
	v_sub_f32_e32 v37, v35, v37
	v_sub_f32_e32 v37, v33, v37
	v_add_f32_e32 v71, v71, v37
	v_mov_b32_e32 v70, v32
	v_pk_add_f32 v[32:33], v[34:35], v[32:33] neg_lo:[0,1] neg_hi:[0,1]
	v_pk_add_f32 v[82:83], v[34:35], v[70:71]
	v_mov_b32_e32 v33, v83
	v_mov_b32_e32 v37, v34
	v_pk_add_f32 v[84:85], v[36:37], v[32:33] neg_lo:[0,1] neg_hi:[0,1]
	v_pk_add_f32 v[32:33], v[36:37], v[32:33]
	v_mov_b32_e32 v36, v33
	v_pk_add_f32 v[86:87], v[36:37], v[34:35] neg_lo:[0,1] neg_hi:[0,1]
	v_mov_b32_e32 v37, v86
	v_pk_add_f32 v[96:97], v[82:83], v[36:37] neg_lo:[0,1] neg_hi:[0,1]
	v_mov_b32_e32 v32, v83
	v_mov_b32_e32 v82, v35
	;; [unrolled: 1-line block ×4, first 2 shown]
	v_pk_add_f32 v[32:33], v[32:33], v[82:83] neg_lo:[0,1] neg_hi:[0,1]
	v_mov_b32_e32 v70, v71
	v_mov_b32_e32 v71, v34
	v_pk_add_f32 v[32:33], v[70:71], v[32:33] neg_lo:[0,1] neg_hi:[0,1]
	v_mov_b32_e32 v96, v84
	v_pk_add_f32 v[34:35], v[96:97], v[32:33]
	v_mov_b32_e32 v70, v35
	v_pk_add_f32 v[70:71], v[34:35], v[70:71]
	v_pk_add_f32 v[36:37], v[36:37], v[70:71]
	v_mov_b32_e32 v35, v36
	v_pk_add_f32 v[82:83], v[34:35], v[84:85] neg_lo:[0,1] neg_hi:[0,1]
	v_mov_b32_e32 v33, v70
	v_sub_f32_e32 v34, v34, v82
	v_pk_add_f32 v[32:33], v[32:33], v[82:83] neg_lo:[0,1] neg_hi:[0,1]
	v_sub_f32_e32 v34, v84, v34
	s_mov_b32 s26, 0x7f800000
	v_add_f32_e32 v32, v32, v34
	s_mov_b32 s25, 0x33800000
	v_add_f32_e32 v32, v32, v33
	v_cmp_eq_f32_e32 vcc, s26, v67
	v_cmp_lt_f32_e64 s[26:27], |v67|, s25
	v_add_f32_e32 v32, v36, v32
	s_or_b64 vcc, vcc, s[26:27]
	v_cndmask_b32_e32 v32, v32, v67, vcc
	v_add_f32_e32 v32, v30, v32
.LBB472_67:
	s_or_b64 exec, exec, s[22:23]
	v_bfe_u32 v30, v32, 16, 1
	v_add3_u32 v30, v32, v30, s24
	v_and_b32_e32 v30, 0xffff0000, v30
	v_cmp_o_f32_e32 vcc, v32, v32
	v_cndmask_b32_e32 v32, v31, v30, vcc
	v_mov_b32_e32 v30, 16
	v_lshlrev_b32_sdwa v67, v30, v23 dst_sel:DWORD dst_unused:UNUSED_PAD src0_sel:DWORD src1_sel:WORD_1
	v_max_f32_e32 v31, v32, v32
	v_max_f32_e32 v81, v67, v67
	v_min_f32_e32 v33, v31, v81
	v_cmp_u_f32_e32 vcc, v32, v32
	v_max_f32_e32 v31, v31, v81
	v_cndmask_b32_e32 v33, v33, v32, vcc
	v_cmp_u_f32_e64 s[22:23], v67, v67
	v_cndmask_b32_e32 v31, v31, v32, vcc
	v_cndmask_b32_e64 v33, v33, v67, s[22:23]
	v_cndmask_b32_e64 v31, v31, v67, s[22:23]
	s_movk_i32 s26, 0x1f8
	v_cmp_neq_f32_e32 vcc, v33, v31
	v_cmp_class_f32_e64 s[24:25], v33, s26
	s_or_b64 s[28:29], vcc, s[24:25]
	s_and_saveexec_b64 s[24:25], s[28:29]
	s_cbranch_execz .LBB472_69
; %bb.68:
	v_sub_f32_e32 v32, v33, v31
	s_mov_b32 s27, 0x3fb8aa3b
	v_mul_f32_e32 v33, 0x3fb8aa3b, v32
	v_fma_f32 v34, v32, s27, -v33
	v_rndne_f32_e32 v35, v33
	v_fmac_f32_e32 v34, 0x32a5705f, v32
	v_sub_f32_e32 v33, v33, v35
	v_add_f32_e32 v33, v33, v34
	v_exp_f32_e32 v33, v33
	v_cvt_i32_f32_e32 v34, v35
	s_mov_b32 s27, 0xc2ce8ed0
	v_cmp_ngt_f32_e32 vcc, s27, v32
	s_mov_b32 s27, 0x42b17218
	v_ldexp_f32 v33, v33, v34
	v_cndmask_b32_e32 v33, 0, v33, vcc
	v_mov_b32_e32 v34, 0x7f800000
	v_cmp_nlt_f32_e32 vcc, s27, v32
	v_cndmask_b32_e32 v98, v34, v33, vcc
	v_add_f32_e32 v34, 1.0, v98
	v_add_f32_e32 v32, -1.0, v34
	v_sub_f32_e32 v33, v32, v34
	v_add_f32_e32 v33, 1.0, v33
	v_sub_f32_e32 v32, v98, v32
	v_add_f32_e32 v35, v32, v33
	v_frexp_mant_f32_e32 v36, v34
	s_mov_b32 s27, 0x3f2aaaab
	v_cvt_f64_f32_e32 v[32:33], v34
	v_frexp_exp_i32_f64_e32 v32, v[32:33]
	v_cmp_gt_f32_e32 vcc, s27, v36
	v_subbrev_co_u32_e32 v82, vcc, 0, v32, vcc
	v_sub_u32_e32 v32, 0, v82
	v_ldexp_f32 v33, v34, v32
	v_add_f32_e32 v34, -1.0, v33
	v_add_f32_e32 v36, 1.0, v33
	v_ldexp_f32 v32, v35, v32
	v_add_f32_e32 v35, 1.0, v34
	v_add_f32_e32 v37, -1.0, v36
	v_sub_f32_e32 v35, v33, v35
	v_sub_f32_e32 v33, v33, v37
	v_add_f32_e32 v35, v32, v35
	v_add_f32_e32 v32, v32, v33
	;; [unrolled: 1-line block ×3, first 2 shown]
	v_rcp_f32_e32 v85, v83
	v_sub_f32_e32 v33, v36, v83
	v_add_f32_e32 v84, v32, v33
	v_add_f32_e32 v33, v34, v35
	v_mul_f32_e32 v87, v33, v85
	v_sub_f32_e32 v32, v34, v33
	v_mul_f32_e32 v34, v83, v87
	v_fma_f32 v36, v87, v83, -v34
	v_fmac_f32_e32 v36, v87, v84
	v_add_f32_e32 v86, v35, v32
	v_add_f32_e32 v32, v34, v36
	v_sub_f32_e32 v35, v33, v32
	v_pk_add_f32 v[70:71], v[32:33], v[34:35] neg_lo:[0,1] neg_hi:[0,1]
	v_mov_b32_e32 v37, v32
	v_pk_add_f32 v[32:33], v[70:71], v[36:37] neg_lo:[0,1] neg_hi:[0,1]
	v_add_f32_e32 v33, v86, v33
	v_add_f32_e32 v32, v32, v33
	;; [unrolled: 1-line block ×3, first 2 shown]
	v_mul_f32_e32 v86, v85, v33
	v_mul_f32_e32 v34, v83, v86
	v_fma_f32 v36, v86, v83, -v34
	v_fmac_f32_e32 v36, v86, v84
	v_sub_f32_e32 v35, v35, v33
	v_add_f32_e32 v83, v32, v35
	v_add_f32_e32 v32, v34, v36
	v_sub_f32_e32 v35, v33, v32
	v_pk_add_f32 v[70:71], v[32:33], v[34:35] neg_lo:[0,1] neg_hi:[0,1]
	v_mov_b32_e32 v37, v32
	v_pk_add_f32 v[32:33], v[70:71], v[36:37] neg_lo:[0,1] neg_hi:[0,1]
	v_add_f32_e32 v33, v83, v33
	v_add_f32_e32 v32, v32, v33
	;; [unrolled: 1-line block ×4, first 2 shown]
	v_sub_f32_e32 v33, v35, v87
	v_mul_f32_e32 v32, v85, v32
	v_sub_f32_e32 v33, v86, v33
	v_add_f32_e32 v32, v33, v32
	v_add_f32_e32 v36, v35, v32
	v_mul_f32_e32 v70, v36, v36
	v_mov_b32_e32 v34, 0x3ecc95a3
	v_fmac_f32_e32 v34, 0x3e9b6dac, v70
	v_mov_b32_e32 v33, 0x3f2aaada
	v_fmac_f32_e32 v33, v70, v34
	v_cvt_f32_i32_e32 v34, v82
	v_sub_f32_e32 v35, v36, v35
	v_sub_f32_e32 v32, v32, v35
	v_ldexp_f32 v71, v32, 1
	v_mul_f32_e32 v35, v36, v70
	v_mov_b32_e32 v32, 0x3f317218
	s_mov_b32 s27, 0x3f317218
	v_pk_mul_f32 v[32:33], v[34:35], v[32:33]
	v_ldexp_f32 v37, v36, 1
	v_fma_f32 v36, v34, s27, -v32
	v_fmac_f32_e32 v36, 0xb102e308, v34
	v_pk_add_f32 v[34:35], v[32:33], v[36:37]
	v_sub_f32_e32 v37, v35, v37
	v_sub_f32_e32 v37, v33, v37
	v_add_f32_e32 v71, v71, v37
	v_mov_b32_e32 v70, v32
	v_pk_add_f32 v[32:33], v[34:35], v[32:33] neg_lo:[0,1] neg_hi:[0,1]
	v_pk_add_f32 v[82:83], v[34:35], v[70:71]
	v_mov_b32_e32 v33, v83
	v_mov_b32_e32 v37, v34
	v_pk_add_f32 v[84:85], v[36:37], v[32:33] neg_lo:[0,1] neg_hi:[0,1]
	v_pk_add_f32 v[32:33], v[36:37], v[32:33]
	v_mov_b32_e32 v36, v33
	v_pk_add_f32 v[86:87], v[36:37], v[34:35] neg_lo:[0,1] neg_hi:[0,1]
	v_mov_b32_e32 v37, v86
	v_pk_add_f32 v[96:97], v[82:83], v[36:37] neg_lo:[0,1] neg_hi:[0,1]
	v_mov_b32_e32 v32, v83
	v_mov_b32_e32 v82, v35
	;; [unrolled: 1-line block ×4, first 2 shown]
	v_pk_add_f32 v[32:33], v[32:33], v[82:83] neg_lo:[0,1] neg_hi:[0,1]
	v_mov_b32_e32 v70, v71
	v_mov_b32_e32 v71, v34
	v_pk_add_f32 v[32:33], v[70:71], v[32:33] neg_lo:[0,1] neg_hi:[0,1]
	v_mov_b32_e32 v96, v84
	v_pk_add_f32 v[34:35], v[96:97], v[32:33]
	v_mov_b32_e32 v70, v35
	v_pk_add_f32 v[70:71], v[34:35], v[70:71]
	v_pk_add_f32 v[36:37], v[36:37], v[70:71]
	v_mov_b32_e32 v35, v36
	v_pk_add_f32 v[82:83], v[34:35], v[84:85] neg_lo:[0,1] neg_hi:[0,1]
	v_mov_b32_e32 v33, v70
	v_sub_f32_e32 v34, v34, v82
	v_pk_add_f32 v[32:33], v[32:33], v[82:83] neg_lo:[0,1] neg_hi:[0,1]
	v_sub_f32_e32 v34, v84, v34
	s_mov_b32 s28, 0x7f800000
	v_add_f32_e32 v32, v32, v34
	s_mov_b32 s27, 0x33800000
	v_add_f32_e32 v32, v32, v33
	v_cmp_eq_f32_e32 vcc, s28, v98
	v_cmp_lt_f32_e64 s[28:29], |v98|, s27
	v_add_f32_e32 v32, v36, v32
	s_or_b64 vcc, vcc, s[28:29]
	v_cndmask_b32_e32 v32, v32, v98, vcc
	v_add_f32_e32 v32, v31, v32
.LBB472_69:
	s_or_b64 exec, exec, s[24:25]
	v_bfe_u32 v31, v32, 16, 1
	s_movk_i32 s28, 0x7fff
	v_add3_u32 v31, v32, v31, s28
	v_and_b32_e32 v33, 0xffff0000, v31
	v_mov_b32_e32 v31, 0x7fc00000
	v_cmp_o_f32_e32 vcc, v32, v32
	v_cndmask_b32_e32 v32, v31, v33, vcc
	v_lshlrev_b32_sdwa v70, v30, v16 dst_sel:DWORD dst_unused:UNUSED_PAD src0_sel:DWORD src1_sel:WORD_0
	v_max_f32_e32 v30, v32, v32
	v_max_f32_e32 v84, v70, v70
	v_min_f32_e32 v33, v30, v84
	v_cmp_u_f32_e32 vcc, v32, v32
	v_max_f32_e32 v30, v30, v84
	v_cndmask_b32_e32 v33, v33, v32, vcc
	v_cmp_u_f32_e64 s[24:25], v70, v70
	v_cndmask_b32_e32 v30, v30, v32, vcc
	v_cndmask_b32_e64 v33, v33, v70, s[24:25]
	v_cndmask_b32_e64 v30, v30, v70, s[24:25]
	v_cmp_neq_f32_e32 vcc, v33, v30
	v_cmp_class_f32_e64 s[26:27], v33, s26
	s_or_b64 vcc, vcc, s[26:27]
	s_and_saveexec_b64 s[26:27], vcc
	s_cbranch_execz .LBB472_71
; %bb.70:
	v_sub_f32_e32 v32, v33, v30
	s_mov_b32 s29, 0x3fb8aa3b
	v_mul_f32_e32 v33, 0x3fb8aa3b, v32
	v_fma_f32 v34, v32, s29, -v33
	v_rndne_f32_e32 v35, v33
	v_fmac_f32_e32 v34, 0x32a5705f, v32
	v_sub_f32_e32 v33, v33, v35
	v_add_f32_e32 v33, v33, v34
	v_exp_f32_e32 v33, v33
	v_cvt_i32_f32_e32 v34, v35
	s_mov_b32 s29, 0xc2ce8ed0
	v_cmp_ngt_f32_e32 vcc, s29, v32
	s_mov_b32 s29, 0x42b17218
	v_ldexp_f32 v33, v33, v34
	v_cndmask_b32_e32 v33, 0, v33, vcc
	v_mov_b32_e32 v34, 0x7f800000
	v_cmp_nlt_f32_e32 vcc, s29, v32
	v_cndmask_b32_e32 v71, v34, v33, vcc
	v_add_f32_e32 v34, 1.0, v71
	v_add_f32_e32 v32, -1.0, v34
	v_sub_f32_e32 v33, v32, v34
	v_add_f32_e32 v33, 1.0, v33
	v_sub_f32_e32 v32, v71, v32
	v_add_f32_e32 v35, v32, v33
	v_frexp_mant_f32_e32 v36, v34
	s_mov_b32 s29, 0x3f2aaaab
	v_cvt_f64_f32_e32 v[32:33], v34
	v_frexp_exp_i32_f64_e32 v32, v[32:33]
	v_cmp_gt_f32_e32 vcc, s29, v36
	v_subbrev_co_u32_e32 v85, vcc, 0, v32, vcc
	v_sub_u32_e32 v32, 0, v85
	v_ldexp_f32 v33, v34, v32
	v_add_f32_e32 v34, -1.0, v33
	v_add_f32_e32 v36, 1.0, v33
	v_ldexp_f32 v32, v35, v32
	v_add_f32_e32 v35, 1.0, v34
	v_add_f32_e32 v37, -1.0, v36
	v_sub_f32_e32 v35, v33, v35
	v_sub_f32_e32 v33, v33, v37
	v_add_f32_e32 v35, v32, v35
	v_add_f32_e32 v32, v32, v33
	;; [unrolled: 1-line block ×3, first 2 shown]
	v_rcp_f32_e32 v96, v86
	v_sub_f32_e32 v33, v36, v86
	v_add_f32_e32 v87, v32, v33
	v_add_f32_e32 v33, v34, v35
	v_mul_f32_e32 v98, v33, v96
	v_sub_f32_e32 v32, v34, v33
	v_mul_f32_e32 v34, v86, v98
	v_fma_f32 v36, v98, v86, -v34
	v_fmac_f32_e32 v36, v98, v87
	v_add_f32_e32 v97, v35, v32
	v_add_f32_e32 v32, v34, v36
	v_sub_f32_e32 v35, v33, v32
	v_pk_add_f32 v[82:83], v[32:33], v[34:35] neg_lo:[0,1] neg_hi:[0,1]
	v_mov_b32_e32 v37, v32
	v_pk_add_f32 v[32:33], v[82:83], v[36:37] neg_lo:[0,1] neg_hi:[0,1]
	v_add_f32_e32 v33, v97, v33
	v_add_f32_e32 v32, v32, v33
	;; [unrolled: 1-line block ×3, first 2 shown]
	v_mul_f32_e32 v97, v96, v33
	v_mul_f32_e32 v34, v86, v97
	v_fma_f32 v36, v97, v86, -v34
	v_fmac_f32_e32 v36, v97, v87
	v_sub_f32_e32 v35, v35, v33
	v_add_f32_e32 v86, v32, v35
	v_add_f32_e32 v32, v34, v36
	v_sub_f32_e32 v35, v33, v32
	v_pk_add_f32 v[82:83], v[32:33], v[34:35] neg_lo:[0,1] neg_hi:[0,1]
	v_mov_b32_e32 v37, v32
	v_pk_add_f32 v[32:33], v[82:83], v[36:37] neg_lo:[0,1] neg_hi:[0,1]
	v_add_f32_e32 v33, v86, v33
	v_add_f32_e32 v32, v32, v33
	;; [unrolled: 1-line block ×4, first 2 shown]
	v_sub_f32_e32 v33, v35, v98
	v_mul_f32_e32 v32, v96, v32
	v_sub_f32_e32 v33, v97, v33
	v_add_f32_e32 v32, v33, v32
	v_add_f32_e32 v36, v35, v32
	v_mul_f32_e32 v82, v36, v36
	v_mov_b32_e32 v34, 0x3ecc95a3
	v_fmac_f32_e32 v34, 0x3e9b6dac, v82
	v_mov_b32_e32 v33, 0x3f2aaada
	v_fmac_f32_e32 v33, v82, v34
	v_cvt_f32_i32_e32 v34, v85
	v_sub_f32_e32 v35, v36, v35
	v_sub_f32_e32 v32, v32, v35
	v_ldexp_f32 v83, v32, 1
	v_mul_f32_e32 v35, v36, v82
	v_mov_b32_e32 v32, 0x3f317218
	s_mov_b32 s29, 0x3f317218
	v_pk_mul_f32 v[32:33], v[34:35], v[32:33]
	v_ldexp_f32 v37, v36, 1
	v_fma_f32 v36, v34, s29, -v32
	v_fmac_f32_e32 v36, 0xb102e308, v34
	v_pk_add_f32 v[34:35], v[32:33], v[36:37]
	v_sub_f32_e32 v37, v35, v37
	v_sub_f32_e32 v37, v33, v37
	v_add_f32_e32 v83, v83, v37
	v_mov_b32_e32 v82, v32
	v_pk_add_f32 v[32:33], v[34:35], v[32:33] neg_lo:[0,1] neg_hi:[0,1]
	v_pk_add_f32 v[86:87], v[34:35], v[82:83]
	v_mov_b32_e32 v33, v87
	v_mov_b32_e32 v37, v34
	v_pk_add_f32 v[96:97], v[36:37], v[32:33] neg_lo:[0,1] neg_hi:[0,1]
	v_pk_add_f32 v[32:33], v[36:37], v[32:33]
	v_mov_b32_e32 v36, v33
	v_pk_add_f32 v[98:99], v[36:37], v[34:35] neg_lo:[0,1] neg_hi:[0,1]
	v_mov_b32_e32 v37, v98
	v_pk_add_f32 v[100:101], v[86:87], v[36:37] neg_lo:[0,1] neg_hi:[0,1]
	v_mov_b32_e32 v32, v87
	v_mov_b32_e32 v86, v35
	;; [unrolled: 1-line block ×4, first 2 shown]
	v_pk_add_f32 v[32:33], v[32:33], v[86:87] neg_lo:[0,1] neg_hi:[0,1]
	v_mov_b32_e32 v82, v83
	v_mov_b32_e32 v83, v34
	v_pk_add_f32 v[32:33], v[82:83], v[32:33] neg_lo:[0,1] neg_hi:[0,1]
	v_mov_b32_e32 v100, v96
	v_pk_add_f32 v[34:35], v[100:101], v[32:33]
	v_mov_b32_e32 v82, v35
	v_pk_add_f32 v[82:83], v[34:35], v[82:83]
	v_pk_add_f32 v[36:37], v[36:37], v[82:83]
	v_mov_b32_e32 v35, v36
	v_pk_add_f32 v[86:87], v[34:35], v[96:97] neg_lo:[0,1] neg_hi:[0,1]
	v_mov_b32_e32 v33, v82
	v_sub_f32_e32 v34, v34, v86
	v_pk_add_f32 v[32:33], v[32:33], v[86:87] neg_lo:[0,1] neg_hi:[0,1]
	v_sub_f32_e32 v34, v96, v34
	s_mov_b32 s30, 0x7f800000
	v_add_f32_e32 v32, v32, v34
	s_mov_b32 s29, 0x33800000
	v_add_f32_e32 v32, v32, v33
	v_cmp_eq_f32_e32 vcc, s30, v71
	v_cmp_lt_f32_e64 s[30:31], |v71|, s29
	v_add_f32_e32 v32, v36, v32
	s_or_b64 vcc, vcc, s[30:31]
	v_cndmask_b32_e32 v32, v32, v71, vcc
	v_add_f32_e32 v32, v30, v32
.LBB472_71:
	s_or_b64 exec, exec, s[26:27]
	v_bfe_u32 v30, v32, 16, 1
	v_add3_u32 v30, v32, v30, s28
	v_and_b32_e32 v30, 0xffff0000, v30
	v_cmp_o_f32_e32 vcc, v32, v32
	v_cndmask_b32_e32 v32, v31, v30, vcc
	v_mov_b32_e32 v30, 16
	v_lshlrev_b32_sdwa v71, v30, v16 dst_sel:DWORD dst_unused:UNUSED_PAD src0_sel:DWORD src1_sel:WORD_1
	v_max_f32_e32 v31, v32, v32
	v_max_f32_e32 v85, v71, v71
	v_min_f32_e32 v33, v31, v85
	v_cmp_u_f32_e32 vcc, v32, v32
	v_max_f32_e32 v31, v31, v85
	v_cndmask_b32_e32 v33, v33, v32, vcc
	v_cmp_u_f32_e64 s[26:27], v71, v71
	v_cndmask_b32_e32 v31, v31, v32, vcc
	v_cndmask_b32_e64 v33, v33, v71, s[26:27]
	v_cndmask_b32_e64 v31, v31, v71, s[26:27]
	s_movk_i32 s30, 0x1f8
	v_cmp_neq_f32_e32 vcc, v33, v31
	v_cmp_class_f32_e64 s[28:29], v33, s30
	s_or_b64 vcc, vcc, s[28:29]
	s_and_saveexec_b64 s[28:29], vcc
	s_cbranch_execz .LBB472_73
; %bb.72:
	v_sub_f32_e32 v32, v33, v31
	s_mov_b32 s31, 0x3fb8aa3b
	v_mul_f32_e32 v33, 0x3fb8aa3b, v32
	v_fma_f32 v34, v32, s31, -v33
	v_rndne_f32_e32 v35, v33
	v_fmac_f32_e32 v34, 0x32a5705f, v32
	v_sub_f32_e32 v33, v33, v35
	v_add_f32_e32 v33, v33, v34
	v_exp_f32_e32 v33, v33
	v_cvt_i32_f32_e32 v34, v35
	s_mov_b32 s31, 0xc2ce8ed0
	v_cmp_ngt_f32_e32 vcc, s31, v32
	s_mov_b32 s31, 0x42b17218
	v_ldexp_f32 v33, v33, v34
	v_cndmask_b32_e32 v33, 0, v33, vcc
	v_mov_b32_e32 v34, 0x7f800000
	v_cmp_nlt_f32_e32 vcc, s31, v32
	v_cndmask_b32_e32 v102, v34, v33, vcc
	v_add_f32_e32 v34, 1.0, v102
	v_add_f32_e32 v32, -1.0, v34
	v_sub_f32_e32 v33, v32, v34
	v_add_f32_e32 v33, 1.0, v33
	v_sub_f32_e32 v32, v102, v32
	v_add_f32_e32 v35, v32, v33
	v_frexp_mant_f32_e32 v36, v34
	s_mov_b32 s31, 0x3f2aaaab
	v_cvt_f64_f32_e32 v[32:33], v34
	v_frexp_exp_i32_f64_e32 v32, v[32:33]
	v_cmp_gt_f32_e32 vcc, s31, v36
	v_subbrev_co_u32_e32 v86, vcc, 0, v32, vcc
	v_sub_u32_e32 v32, 0, v86
	v_ldexp_f32 v33, v34, v32
	v_add_f32_e32 v34, -1.0, v33
	v_add_f32_e32 v36, 1.0, v33
	v_ldexp_f32 v32, v35, v32
	v_add_f32_e32 v35, 1.0, v34
	v_add_f32_e32 v37, -1.0, v36
	v_sub_f32_e32 v35, v33, v35
	v_sub_f32_e32 v33, v33, v37
	v_add_f32_e32 v35, v32, v35
	v_add_f32_e32 v32, v32, v33
	;; [unrolled: 1-line block ×3, first 2 shown]
	v_rcp_f32_e32 v97, v87
	v_sub_f32_e32 v33, v36, v87
	v_add_f32_e32 v96, v32, v33
	v_add_f32_e32 v33, v34, v35
	v_mul_f32_e32 v99, v33, v97
	v_sub_f32_e32 v32, v34, v33
	v_mul_f32_e32 v34, v87, v99
	v_fma_f32 v36, v99, v87, -v34
	v_fmac_f32_e32 v36, v99, v96
	v_add_f32_e32 v98, v35, v32
	v_add_f32_e32 v32, v34, v36
	v_sub_f32_e32 v35, v33, v32
	v_pk_add_f32 v[82:83], v[32:33], v[34:35] neg_lo:[0,1] neg_hi:[0,1]
	v_mov_b32_e32 v37, v32
	v_pk_add_f32 v[32:33], v[82:83], v[36:37] neg_lo:[0,1] neg_hi:[0,1]
	v_add_f32_e32 v33, v98, v33
	v_add_f32_e32 v32, v32, v33
	v_add_f32_e32 v33, v35, v32
	v_mul_f32_e32 v98, v97, v33
	v_mul_f32_e32 v34, v87, v98
	v_fma_f32 v36, v98, v87, -v34
	v_fmac_f32_e32 v36, v98, v96
	v_sub_f32_e32 v35, v35, v33
	v_add_f32_e32 v87, v32, v35
	v_add_f32_e32 v32, v34, v36
	v_sub_f32_e32 v35, v33, v32
	v_pk_add_f32 v[82:83], v[32:33], v[34:35] neg_lo:[0,1] neg_hi:[0,1]
	v_mov_b32_e32 v37, v32
	v_pk_add_f32 v[32:33], v[82:83], v[36:37] neg_lo:[0,1] neg_hi:[0,1]
	v_add_f32_e32 v33, v87, v33
	v_add_f32_e32 v32, v32, v33
	;; [unrolled: 1-line block ×4, first 2 shown]
	v_sub_f32_e32 v33, v35, v99
	v_mul_f32_e32 v32, v97, v32
	v_sub_f32_e32 v33, v98, v33
	v_add_f32_e32 v32, v33, v32
	v_add_f32_e32 v36, v35, v32
	v_mul_f32_e32 v82, v36, v36
	v_mov_b32_e32 v34, 0x3ecc95a3
	v_fmac_f32_e32 v34, 0x3e9b6dac, v82
	v_mov_b32_e32 v33, 0x3f2aaada
	v_fmac_f32_e32 v33, v82, v34
	v_cvt_f32_i32_e32 v34, v86
	v_sub_f32_e32 v35, v36, v35
	v_sub_f32_e32 v32, v32, v35
	v_ldexp_f32 v83, v32, 1
	v_mul_f32_e32 v35, v36, v82
	v_mov_b32_e32 v32, 0x3f317218
	s_mov_b32 s31, 0x3f317218
	v_pk_mul_f32 v[32:33], v[34:35], v[32:33]
	v_ldexp_f32 v37, v36, 1
	v_fma_f32 v36, v34, s31, -v32
	v_fmac_f32_e32 v36, 0xb102e308, v34
	v_pk_add_f32 v[34:35], v[32:33], v[36:37]
	v_sub_f32_e32 v37, v35, v37
	v_sub_f32_e32 v37, v33, v37
	v_add_f32_e32 v83, v83, v37
	v_mov_b32_e32 v82, v32
	v_pk_add_f32 v[32:33], v[34:35], v[32:33] neg_lo:[0,1] neg_hi:[0,1]
	v_pk_add_f32 v[86:87], v[34:35], v[82:83]
	v_mov_b32_e32 v33, v87
	v_mov_b32_e32 v37, v34
	v_pk_add_f32 v[96:97], v[36:37], v[32:33] neg_lo:[0,1] neg_hi:[0,1]
	v_pk_add_f32 v[32:33], v[36:37], v[32:33]
	v_mov_b32_e32 v36, v33
	v_pk_add_f32 v[98:99], v[36:37], v[34:35] neg_lo:[0,1] neg_hi:[0,1]
	v_mov_b32_e32 v37, v98
	v_pk_add_f32 v[100:101], v[86:87], v[36:37] neg_lo:[0,1] neg_hi:[0,1]
	v_mov_b32_e32 v32, v87
	v_mov_b32_e32 v86, v35
	;; [unrolled: 1-line block ×4, first 2 shown]
	v_pk_add_f32 v[32:33], v[32:33], v[86:87] neg_lo:[0,1] neg_hi:[0,1]
	v_mov_b32_e32 v82, v83
	v_mov_b32_e32 v83, v34
	v_pk_add_f32 v[32:33], v[82:83], v[32:33] neg_lo:[0,1] neg_hi:[0,1]
	v_mov_b32_e32 v100, v96
	v_pk_add_f32 v[34:35], v[100:101], v[32:33]
	v_mov_b32_e32 v82, v35
	v_pk_add_f32 v[82:83], v[34:35], v[82:83]
	v_pk_add_f32 v[36:37], v[36:37], v[82:83]
	v_mov_b32_e32 v35, v36
	v_pk_add_f32 v[86:87], v[34:35], v[96:97] neg_lo:[0,1] neg_hi:[0,1]
	v_mov_b32_e32 v33, v82
	v_sub_f32_e32 v34, v34, v86
	v_pk_add_f32 v[32:33], v[32:33], v[86:87] neg_lo:[0,1] neg_hi:[0,1]
	v_sub_f32_e32 v34, v96, v34
	s_mov_b32 s34, 0x7f800000
	v_add_f32_e32 v32, v32, v34
	s_mov_b32 s31, 0x33800000
	v_add_f32_e32 v32, v32, v33
	v_cmp_eq_f32_e32 vcc, s34, v102
	v_cmp_lt_f32_e64 s[34:35], |v102|, s31
	v_add_f32_e32 v32, v36, v32
	s_or_b64 vcc, vcc, s[34:35]
	v_cndmask_b32_e32 v32, v32, v102, vcc
	v_add_f32_e32 v32, v31, v32
.LBB472_73:
	s_or_b64 exec, exec, s[28:29]
	v_bfe_u32 v31, v32, 16, 1
	s_movk_i32 s34, 0x7fff
	v_add3_u32 v31, v32, v31, s34
	v_and_b32_e32 v33, 0xffff0000, v31
	v_mov_b32_e32 v31, 0x7fc00000
	v_cmp_o_f32_e32 vcc, v32, v32
	v_cndmask_b32_e32 v32, v31, v33, vcc
	v_lshlrev_b32_sdwa v82, v30, v17 dst_sel:DWORD dst_unused:UNUSED_PAD src0_sel:DWORD src1_sel:WORD_0
	v_max_f32_e32 v30, v32, v32
	v_max_f32_e32 v96, v82, v82
	v_min_f32_e32 v33, v30, v96
	v_cmp_u_f32_e32 vcc, v32, v32
	v_max_f32_e32 v30, v30, v96
	v_cndmask_b32_e32 v33, v33, v32, vcc
	v_cmp_u_f32_e64 s[28:29], v82, v82
	v_cndmask_b32_e32 v30, v30, v32, vcc
	v_cndmask_b32_e64 v33, v33, v82, s[28:29]
	v_cndmask_b32_e64 v30, v30, v82, s[28:29]
	v_cmp_neq_f32_e32 vcc, v33, v30
	v_cmp_class_f32_e64 s[30:31], v33, s30
	s_or_b64 vcc, vcc, s[30:31]
	s_and_saveexec_b64 s[30:31], vcc
	s_cbranch_execz .LBB472_75
; %bb.74:
	v_sub_f32_e32 v32, v33, v30
	s_mov_b32 s35, 0x3fb8aa3b
	v_mul_f32_e32 v33, 0x3fb8aa3b, v32
	v_fma_f32 v34, v32, s35, -v33
	v_rndne_f32_e32 v35, v33
	v_fmac_f32_e32 v34, 0x32a5705f, v32
	v_sub_f32_e32 v33, v33, v35
	v_add_f32_e32 v33, v33, v34
	v_exp_f32_e32 v33, v33
	v_cvt_i32_f32_e32 v34, v35
	s_mov_b32 s35, 0xc2ce8ed0
	v_cmp_ngt_f32_e32 vcc, s35, v32
	s_mov_b32 s35, 0x42b17218
	v_ldexp_f32 v33, v33, v34
	v_cndmask_b32_e32 v33, 0, v33, vcc
	v_mov_b32_e32 v34, 0x7f800000
	v_cmp_nlt_f32_e32 vcc, s35, v32
	v_cndmask_b32_e32 v83, v34, v33, vcc
	v_add_f32_e32 v34, 1.0, v83
	v_add_f32_e32 v32, -1.0, v34
	v_sub_f32_e32 v33, v32, v34
	v_add_f32_e32 v33, 1.0, v33
	v_sub_f32_e32 v32, v83, v32
	v_add_f32_e32 v35, v32, v33
	v_frexp_mant_f32_e32 v36, v34
	s_mov_b32 s35, 0x3f2aaaab
	v_cvt_f64_f32_e32 v[32:33], v34
	v_frexp_exp_i32_f64_e32 v32, v[32:33]
	v_cmp_gt_f32_e32 vcc, s35, v36
	v_subbrev_co_u32_e32 v97, vcc, 0, v32, vcc
	v_sub_u32_e32 v32, 0, v97
	v_ldexp_f32 v33, v34, v32
	v_add_f32_e32 v34, -1.0, v33
	v_add_f32_e32 v36, 1.0, v33
	v_ldexp_f32 v32, v35, v32
	v_add_f32_e32 v35, 1.0, v34
	v_add_f32_e32 v37, -1.0, v36
	v_sub_f32_e32 v35, v33, v35
	v_sub_f32_e32 v33, v33, v37
	v_add_f32_e32 v35, v32, v35
	v_add_f32_e32 v32, v32, v33
	;; [unrolled: 1-line block ×3, first 2 shown]
	v_rcp_f32_e32 v100, v98
	v_sub_f32_e32 v33, v36, v98
	v_add_f32_e32 v99, v32, v33
	v_add_f32_e32 v33, v34, v35
	v_mul_f32_e32 v102, v33, v100
	v_sub_f32_e32 v32, v34, v33
	v_mul_f32_e32 v34, v98, v102
	v_fma_f32 v36, v102, v98, -v34
	v_fmac_f32_e32 v36, v102, v99
	v_add_f32_e32 v101, v35, v32
	v_add_f32_e32 v32, v34, v36
	v_sub_f32_e32 v35, v33, v32
	v_pk_add_f32 v[86:87], v[32:33], v[34:35] neg_lo:[0,1] neg_hi:[0,1]
	v_mov_b32_e32 v37, v32
	v_pk_add_f32 v[32:33], v[86:87], v[36:37] neg_lo:[0,1] neg_hi:[0,1]
	v_add_f32_e32 v33, v101, v33
	v_add_f32_e32 v32, v32, v33
	;; [unrolled: 1-line block ×3, first 2 shown]
	v_mul_f32_e32 v101, v100, v33
	v_mul_f32_e32 v34, v98, v101
	v_fma_f32 v36, v101, v98, -v34
	v_fmac_f32_e32 v36, v101, v99
	v_sub_f32_e32 v35, v35, v33
	v_add_f32_e32 v98, v32, v35
	v_add_f32_e32 v32, v34, v36
	v_sub_f32_e32 v35, v33, v32
	v_pk_add_f32 v[86:87], v[32:33], v[34:35] neg_lo:[0,1] neg_hi:[0,1]
	v_mov_b32_e32 v37, v32
	v_pk_add_f32 v[32:33], v[86:87], v[36:37] neg_lo:[0,1] neg_hi:[0,1]
	v_add_f32_e32 v33, v98, v33
	v_add_f32_e32 v32, v32, v33
	;; [unrolled: 1-line block ×4, first 2 shown]
	v_sub_f32_e32 v33, v35, v102
	v_mul_f32_e32 v32, v100, v32
	v_sub_f32_e32 v33, v101, v33
	v_add_f32_e32 v32, v33, v32
	v_add_f32_e32 v36, v35, v32
	v_mul_f32_e32 v86, v36, v36
	v_mov_b32_e32 v34, 0x3ecc95a3
	v_fmac_f32_e32 v34, 0x3e9b6dac, v86
	v_mov_b32_e32 v33, 0x3f2aaada
	v_fmac_f32_e32 v33, v86, v34
	v_cvt_f32_i32_e32 v34, v97
	v_sub_f32_e32 v35, v36, v35
	v_sub_f32_e32 v32, v32, v35
	v_ldexp_f32 v87, v32, 1
	v_mul_f32_e32 v35, v36, v86
	v_mov_b32_e32 v32, 0x3f317218
	s_mov_b32 s35, 0x3f317218
	v_pk_mul_f32 v[32:33], v[34:35], v[32:33]
	v_ldexp_f32 v37, v36, 1
	v_fma_f32 v36, v34, s35, -v32
	v_fmac_f32_e32 v36, 0xb102e308, v34
	v_pk_add_f32 v[34:35], v[32:33], v[36:37]
	v_sub_f32_e32 v37, v35, v37
	v_sub_f32_e32 v37, v33, v37
	v_add_f32_e32 v87, v87, v37
	v_mov_b32_e32 v86, v32
	v_pk_add_f32 v[32:33], v[34:35], v[32:33] neg_lo:[0,1] neg_hi:[0,1]
	v_pk_add_f32 v[98:99], v[34:35], v[86:87]
	v_mov_b32_e32 v33, v99
	v_mov_b32_e32 v37, v34
	v_pk_add_f32 v[100:101], v[36:37], v[32:33] neg_lo:[0,1] neg_hi:[0,1]
	v_pk_add_f32 v[32:33], v[36:37], v[32:33]
	v_mov_b32_e32 v36, v33
	v_pk_add_f32 v[102:103], v[36:37], v[34:35] neg_lo:[0,1] neg_hi:[0,1]
	v_mov_b32_e32 v37, v102
	v_pk_add_f32 v[112:113], v[98:99], v[36:37] neg_lo:[0,1] neg_hi:[0,1]
	v_mov_b32_e32 v32, v99
	v_mov_b32_e32 v98, v35
	;; [unrolled: 1-line block ×4, first 2 shown]
	v_pk_add_f32 v[32:33], v[32:33], v[98:99] neg_lo:[0,1] neg_hi:[0,1]
	v_mov_b32_e32 v86, v87
	v_mov_b32_e32 v87, v34
	v_pk_add_f32 v[32:33], v[86:87], v[32:33] neg_lo:[0,1] neg_hi:[0,1]
	v_mov_b32_e32 v112, v100
	v_pk_add_f32 v[34:35], v[112:113], v[32:33]
	v_mov_b32_e32 v86, v35
	v_pk_add_f32 v[86:87], v[34:35], v[86:87]
	v_pk_add_f32 v[36:37], v[36:37], v[86:87]
	v_mov_b32_e32 v35, v36
	v_pk_add_f32 v[98:99], v[34:35], v[100:101] neg_lo:[0,1] neg_hi:[0,1]
	v_mov_b32_e32 v33, v86
	v_sub_f32_e32 v34, v34, v98
	v_pk_add_f32 v[32:33], v[32:33], v[98:99] neg_lo:[0,1] neg_hi:[0,1]
	v_sub_f32_e32 v34, v100, v34
	s_mov_b32 s36, 0x7f800000
	v_add_f32_e32 v32, v32, v34
	s_mov_b32 s35, 0x33800000
	v_add_f32_e32 v32, v32, v33
	v_cmp_eq_f32_e32 vcc, s36, v83
	v_cmp_lt_f32_e64 s[36:37], |v83|, s35
	v_add_f32_e32 v32, v36, v32
	s_or_b64 vcc, vcc, s[36:37]
	v_cndmask_b32_e32 v32, v32, v83, vcc
	v_add_f32_e32 v32, v30, v32
.LBB472_75:
	s_or_b64 exec, exec, s[30:31]
	v_bfe_u32 v30, v32, 16, 1
	v_add3_u32 v30, v32, v30, s34
	v_and_b32_e32 v30, 0xffff0000, v30
	v_cmp_o_f32_e32 vcc, v32, v32
	v_cndmask_b32_e32 v32, v31, v30, vcc
	v_mov_b32_e32 v30, 16
	v_lshlrev_b32_sdwa v83, v30, v17 dst_sel:DWORD dst_unused:UNUSED_PAD src0_sel:DWORD src1_sel:WORD_1
	v_max_f32_e32 v31, v32, v32
	v_max_f32_e32 v97, v83, v83
	v_min_f32_e32 v33, v31, v97
	v_cmp_u_f32_e32 vcc, v32, v32
	v_max_f32_e32 v31, v31, v97
	v_cndmask_b32_e32 v33, v33, v32, vcc
	v_cmp_u_f32_e64 s[30:31], v83, v83
	v_cndmask_b32_e32 v31, v31, v32, vcc
	v_cndmask_b32_e64 v33, v33, v83, s[30:31]
	v_cndmask_b32_e64 v31, v31, v83, s[30:31]
	s_movk_i32 s36, 0x1f8
	v_cmp_neq_f32_e32 vcc, v33, v31
	v_cmp_class_f32_e64 s[34:35], v33, s36
	s_or_b64 vcc, vcc, s[34:35]
	s_and_saveexec_b64 s[34:35], vcc
	s_cbranch_execz .LBB472_77
; %bb.76:
	v_sub_f32_e32 v32, v33, v31
	s_mov_b32 s37, 0x3fb8aa3b
	v_mul_f32_e32 v33, 0x3fb8aa3b, v32
	v_fma_f32 v34, v32, s37, -v33
	v_rndne_f32_e32 v35, v33
	v_fmac_f32_e32 v34, 0x32a5705f, v32
	v_sub_f32_e32 v33, v33, v35
	v_add_f32_e32 v33, v33, v34
	v_exp_f32_e32 v33, v33
	v_cvt_i32_f32_e32 v34, v35
	s_mov_b32 s37, 0xc2ce8ed0
	v_cmp_ngt_f32_e32 vcc, s37, v32
	s_mov_b32 s37, 0x42b17218
	v_ldexp_f32 v33, v33, v34
	v_cndmask_b32_e32 v33, 0, v33, vcc
	v_mov_b32_e32 v34, 0x7f800000
	v_cmp_nlt_f32_e32 vcc, s37, v32
	v_cndmask_b32_e32 v114, v34, v33, vcc
	v_add_f32_e32 v34, 1.0, v114
	v_add_f32_e32 v32, -1.0, v34
	v_sub_f32_e32 v33, v32, v34
	v_add_f32_e32 v33, 1.0, v33
	v_sub_f32_e32 v32, v114, v32
	v_add_f32_e32 v35, v32, v33
	v_frexp_mant_f32_e32 v36, v34
	s_mov_b32 s37, 0x3f2aaaab
	v_cvt_f64_f32_e32 v[32:33], v34
	v_frexp_exp_i32_f64_e32 v32, v[32:33]
	v_cmp_gt_f32_e32 vcc, s37, v36
	v_subbrev_co_u32_e32 v98, vcc, 0, v32, vcc
	v_sub_u32_e32 v32, 0, v98
	v_ldexp_f32 v33, v34, v32
	v_add_f32_e32 v34, -1.0, v33
	v_add_f32_e32 v36, 1.0, v33
	v_ldexp_f32 v32, v35, v32
	v_add_f32_e32 v35, 1.0, v34
	v_add_f32_e32 v37, -1.0, v36
	v_sub_f32_e32 v35, v33, v35
	v_sub_f32_e32 v33, v33, v37
	v_add_f32_e32 v35, v32, v35
	v_add_f32_e32 v32, v32, v33
	;; [unrolled: 1-line block ×3, first 2 shown]
	v_rcp_f32_e32 v101, v99
	v_sub_f32_e32 v33, v36, v99
	v_add_f32_e32 v100, v32, v33
	v_add_f32_e32 v33, v34, v35
	v_mul_f32_e32 v103, v33, v101
	v_sub_f32_e32 v32, v34, v33
	v_mul_f32_e32 v34, v99, v103
	v_fma_f32 v36, v103, v99, -v34
	v_fmac_f32_e32 v36, v103, v100
	v_add_f32_e32 v102, v35, v32
	v_add_f32_e32 v32, v34, v36
	v_sub_f32_e32 v35, v33, v32
	v_pk_add_f32 v[86:87], v[32:33], v[34:35] neg_lo:[0,1] neg_hi:[0,1]
	v_mov_b32_e32 v37, v32
	v_pk_add_f32 v[32:33], v[86:87], v[36:37] neg_lo:[0,1] neg_hi:[0,1]
	v_add_f32_e32 v33, v102, v33
	v_add_f32_e32 v32, v32, v33
	;; [unrolled: 1-line block ×3, first 2 shown]
	v_mul_f32_e32 v102, v101, v33
	v_mul_f32_e32 v34, v99, v102
	v_fma_f32 v36, v102, v99, -v34
	v_fmac_f32_e32 v36, v102, v100
	v_sub_f32_e32 v35, v35, v33
	v_add_f32_e32 v99, v32, v35
	v_add_f32_e32 v32, v34, v36
	v_sub_f32_e32 v35, v33, v32
	v_pk_add_f32 v[86:87], v[32:33], v[34:35] neg_lo:[0,1] neg_hi:[0,1]
	v_mov_b32_e32 v37, v32
	v_pk_add_f32 v[32:33], v[86:87], v[36:37] neg_lo:[0,1] neg_hi:[0,1]
	v_add_f32_e32 v33, v99, v33
	v_add_f32_e32 v32, v32, v33
	;; [unrolled: 1-line block ×4, first 2 shown]
	v_sub_f32_e32 v33, v35, v103
	v_mul_f32_e32 v32, v101, v32
	v_sub_f32_e32 v33, v102, v33
	v_add_f32_e32 v32, v33, v32
	v_add_f32_e32 v36, v35, v32
	v_mul_f32_e32 v86, v36, v36
	v_mov_b32_e32 v34, 0x3ecc95a3
	v_fmac_f32_e32 v34, 0x3e9b6dac, v86
	v_mov_b32_e32 v33, 0x3f2aaada
	v_fmac_f32_e32 v33, v86, v34
	v_cvt_f32_i32_e32 v34, v98
	v_sub_f32_e32 v35, v36, v35
	v_sub_f32_e32 v32, v32, v35
	v_ldexp_f32 v87, v32, 1
	v_mul_f32_e32 v35, v36, v86
	v_mov_b32_e32 v32, 0x3f317218
	s_mov_b32 s37, 0x3f317218
	v_pk_mul_f32 v[32:33], v[34:35], v[32:33]
	v_ldexp_f32 v37, v36, 1
	v_fma_f32 v36, v34, s37, -v32
	v_fmac_f32_e32 v36, 0xb102e308, v34
	v_pk_add_f32 v[34:35], v[32:33], v[36:37]
	v_sub_f32_e32 v37, v35, v37
	v_sub_f32_e32 v37, v33, v37
	v_add_f32_e32 v87, v87, v37
	v_mov_b32_e32 v86, v32
	v_pk_add_f32 v[32:33], v[34:35], v[32:33] neg_lo:[0,1] neg_hi:[0,1]
	v_pk_add_f32 v[98:99], v[34:35], v[86:87]
	v_mov_b32_e32 v33, v99
	v_mov_b32_e32 v37, v34
	v_pk_add_f32 v[100:101], v[36:37], v[32:33] neg_lo:[0,1] neg_hi:[0,1]
	v_pk_add_f32 v[32:33], v[36:37], v[32:33]
	v_mov_b32_e32 v36, v33
	v_pk_add_f32 v[102:103], v[36:37], v[34:35] neg_lo:[0,1] neg_hi:[0,1]
	v_mov_b32_e32 v37, v102
	v_pk_add_f32 v[112:113], v[98:99], v[36:37] neg_lo:[0,1] neg_hi:[0,1]
	v_mov_b32_e32 v32, v99
	v_mov_b32_e32 v98, v35
	;; [unrolled: 1-line block ×4, first 2 shown]
	v_pk_add_f32 v[32:33], v[32:33], v[98:99] neg_lo:[0,1] neg_hi:[0,1]
	v_mov_b32_e32 v86, v87
	v_mov_b32_e32 v87, v34
	v_pk_add_f32 v[32:33], v[86:87], v[32:33] neg_lo:[0,1] neg_hi:[0,1]
	v_mov_b32_e32 v112, v100
	v_pk_add_f32 v[34:35], v[112:113], v[32:33]
	v_mov_b32_e32 v86, v35
	v_pk_add_f32 v[86:87], v[34:35], v[86:87]
	v_pk_add_f32 v[36:37], v[36:37], v[86:87]
	v_mov_b32_e32 v35, v36
	v_pk_add_f32 v[98:99], v[34:35], v[100:101] neg_lo:[0,1] neg_hi:[0,1]
	v_mov_b32_e32 v33, v86
	v_sub_f32_e32 v34, v34, v98
	v_pk_add_f32 v[32:33], v[32:33], v[98:99] neg_lo:[0,1] neg_hi:[0,1]
	v_sub_f32_e32 v34, v100, v34
	s_mov_b32 s38, 0x7f800000
	v_add_f32_e32 v32, v32, v34
	s_mov_b32 s37, 0x33800000
	v_add_f32_e32 v32, v32, v33
	v_cmp_eq_f32_e32 vcc, s38, v114
	v_cmp_lt_f32_e64 s[38:39], |v114|, s37
	v_add_f32_e32 v32, v36, v32
	s_or_b64 vcc, vcc, s[38:39]
	v_cndmask_b32_e32 v32, v32, v114, vcc
	v_add_f32_e32 v32, v31, v32
.LBB472_77:
	s_or_b64 exec, exec, s[34:35]
	v_bfe_u32 v31, v32, 16, 1
	s_movk_i32 s38, 0x7fff
	v_add3_u32 v31, v32, v31, s38
	v_and_b32_e32 v33, 0xffff0000, v31
	v_mov_b32_e32 v31, 0x7fc00000
	v_cmp_o_f32_e32 vcc, v32, v32
	v_cndmask_b32_e32 v32, v31, v33, vcc
	v_lshlrev_b32_sdwa v86, v30, v18 dst_sel:DWORD dst_unused:UNUSED_PAD src0_sel:DWORD src1_sel:WORD_0
	v_max_f32_e32 v30, v32, v32
	v_max_f32_e32 v100, v86, v86
	v_min_f32_e32 v33, v30, v100
	v_cmp_u_f32_e32 vcc, v32, v32
	v_max_f32_e32 v30, v30, v100
	v_cndmask_b32_e32 v33, v33, v32, vcc
	v_cmp_u_f32_e64 s[34:35], v86, v86
	v_cndmask_b32_e32 v30, v30, v32, vcc
	v_cndmask_b32_e64 v33, v33, v86, s[34:35]
	v_cndmask_b32_e64 v30, v30, v86, s[34:35]
	v_cmp_neq_f32_e32 vcc, v33, v30
	v_cmp_class_f32_e64 s[36:37], v33, s36
	s_or_b64 vcc, vcc, s[36:37]
	s_and_saveexec_b64 s[36:37], vcc
	s_cbranch_execz .LBB472_79
; %bb.78:
	v_sub_f32_e32 v32, v33, v30
	s_mov_b32 s39, 0x3fb8aa3b
	v_mul_f32_e32 v33, 0x3fb8aa3b, v32
	v_fma_f32 v34, v32, s39, -v33
	v_rndne_f32_e32 v35, v33
	v_fmac_f32_e32 v34, 0x32a5705f, v32
	v_sub_f32_e32 v33, v33, v35
	v_add_f32_e32 v33, v33, v34
	v_exp_f32_e32 v33, v33
	v_cvt_i32_f32_e32 v34, v35
	s_mov_b32 s39, 0xc2ce8ed0
	v_cmp_ngt_f32_e32 vcc, s39, v32
	s_mov_b32 s39, 0x42b17218
	v_ldexp_f32 v33, v33, v34
	v_cndmask_b32_e32 v33, 0, v33, vcc
	v_mov_b32_e32 v34, 0x7f800000
	v_cmp_nlt_f32_e32 vcc, s39, v32
	v_cndmask_b32_e32 v87, v34, v33, vcc
	v_add_f32_e32 v34, 1.0, v87
	v_add_f32_e32 v32, -1.0, v34
	v_sub_f32_e32 v33, v32, v34
	v_add_f32_e32 v33, 1.0, v33
	v_sub_f32_e32 v32, v87, v32
	v_add_f32_e32 v35, v32, v33
	v_frexp_mant_f32_e32 v36, v34
	s_mov_b32 s39, 0x3f2aaaab
	v_cvt_f64_f32_e32 v[32:33], v34
	v_frexp_exp_i32_f64_e32 v32, v[32:33]
	v_cmp_gt_f32_e32 vcc, s39, v36
	v_subbrev_co_u32_e32 v101, vcc, 0, v32, vcc
	v_sub_u32_e32 v32, 0, v101
	v_ldexp_f32 v33, v34, v32
	v_add_f32_e32 v34, -1.0, v33
	v_add_f32_e32 v36, 1.0, v33
	v_ldexp_f32 v32, v35, v32
	v_add_f32_e32 v35, 1.0, v34
	v_add_f32_e32 v37, -1.0, v36
	v_sub_f32_e32 v35, v33, v35
	v_sub_f32_e32 v33, v33, v37
	v_add_f32_e32 v35, v32, v35
	v_add_f32_e32 v32, v32, v33
	v_add_f32_e32 v102, v36, v32
	v_rcp_f32_e32 v112, v102
	v_sub_f32_e32 v33, v36, v102
	v_add_f32_e32 v103, v32, v33
	v_add_f32_e32 v33, v34, v35
	v_mul_f32_e32 v114, v33, v112
	v_sub_f32_e32 v32, v34, v33
	v_mul_f32_e32 v34, v102, v114
	v_fma_f32 v36, v114, v102, -v34
	v_fmac_f32_e32 v36, v114, v103
	v_add_f32_e32 v113, v35, v32
	v_add_f32_e32 v32, v34, v36
	v_sub_f32_e32 v35, v33, v32
	v_pk_add_f32 v[98:99], v[32:33], v[34:35] neg_lo:[0,1] neg_hi:[0,1]
	v_mov_b32_e32 v37, v32
	v_pk_add_f32 v[32:33], v[98:99], v[36:37] neg_lo:[0,1] neg_hi:[0,1]
	v_add_f32_e32 v33, v113, v33
	v_add_f32_e32 v32, v32, v33
	;; [unrolled: 1-line block ×3, first 2 shown]
	v_mul_f32_e32 v113, v112, v33
	v_mul_f32_e32 v34, v102, v113
	v_fma_f32 v36, v113, v102, -v34
	v_fmac_f32_e32 v36, v113, v103
	v_sub_f32_e32 v35, v35, v33
	v_add_f32_e32 v102, v32, v35
	v_add_f32_e32 v32, v34, v36
	v_sub_f32_e32 v35, v33, v32
	v_pk_add_f32 v[98:99], v[32:33], v[34:35] neg_lo:[0,1] neg_hi:[0,1]
	v_mov_b32_e32 v37, v32
	v_pk_add_f32 v[32:33], v[98:99], v[36:37] neg_lo:[0,1] neg_hi:[0,1]
	v_add_f32_e32 v33, v102, v33
	v_add_f32_e32 v32, v32, v33
	;; [unrolled: 1-line block ×4, first 2 shown]
	v_sub_f32_e32 v33, v35, v114
	v_mul_f32_e32 v32, v112, v32
	v_sub_f32_e32 v33, v113, v33
	v_add_f32_e32 v32, v33, v32
	v_add_f32_e32 v36, v35, v32
	v_mul_f32_e32 v98, v36, v36
	v_mov_b32_e32 v34, 0x3ecc95a3
	v_fmac_f32_e32 v34, 0x3e9b6dac, v98
	v_mov_b32_e32 v33, 0x3f2aaada
	v_fmac_f32_e32 v33, v98, v34
	v_cvt_f32_i32_e32 v34, v101
	v_sub_f32_e32 v35, v36, v35
	v_sub_f32_e32 v32, v32, v35
	v_ldexp_f32 v99, v32, 1
	v_mul_f32_e32 v35, v36, v98
	v_mov_b32_e32 v32, 0x3f317218
	s_mov_b32 s39, 0x3f317218
	v_pk_mul_f32 v[32:33], v[34:35], v[32:33]
	v_ldexp_f32 v37, v36, 1
	v_fma_f32 v36, v34, s39, -v32
	v_fmac_f32_e32 v36, 0xb102e308, v34
	v_pk_add_f32 v[34:35], v[32:33], v[36:37]
	v_sub_f32_e32 v37, v35, v37
	v_sub_f32_e32 v37, v33, v37
	v_add_f32_e32 v99, v99, v37
	v_mov_b32_e32 v98, v32
	v_pk_add_f32 v[32:33], v[34:35], v[32:33] neg_lo:[0,1] neg_hi:[0,1]
	v_pk_add_f32 v[102:103], v[34:35], v[98:99]
	v_mov_b32_e32 v33, v103
	v_mov_b32_e32 v37, v34
	v_pk_add_f32 v[112:113], v[36:37], v[32:33] neg_lo:[0,1] neg_hi:[0,1]
	v_pk_add_f32 v[32:33], v[36:37], v[32:33]
	v_mov_b32_e32 v36, v33
	v_pk_add_f32 v[114:115], v[36:37], v[34:35] neg_lo:[0,1] neg_hi:[0,1]
	v_mov_b32_e32 v37, v114
	v_pk_add_f32 v[116:117], v[102:103], v[36:37] neg_lo:[0,1] neg_hi:[0,1]
	v_mov_b32_e32 v32, v103
	v_mov_b32_e32 v102, v35
	;; [unrolled: 1-line block ×4, first 2 shown]
	v_pk_add_f32 v[32:33], v[32:33], v[102:103] neg_lo:[0,1] neg_hi:[0,1]
	v_mov_b32_e32 v98, v99
	v_mov_b32_e32 v99, v34
	v_pk_add_f32 v[32:33], v[98:99], v[32:33] neg_lo:[0,1] neg_hi:[0,1]
	v_mov_b32_e32 v116, v112
	v_pk_add_f32 v[34:35], v[116:117], v[32:33]
	v_mov_b32_e32 v98, v35
	v_pk_add_f32 v[98:99], v[34:35], v[98:99]
	v_pk_add_f32 v[36:37], v[36:37], v[98:99]
	v_mov_b32_e32 v35, v36
	v_pk_add_f32 v[102:103], v[34:35], v[112:113] neg_lo:[0,1] neg_hi:[0,1]
	v_mov_b32_e32 v33, v98
	v_sub_f32_e32 v34, v34, v102
	v_pk_add_f32 v[32:33], v[32:33], v[102:103] neg_lo:[0,1] neg_hi:[0,1]
	v_sub_f32_e32 v34, v112, v34
	s_mov_b32 s40, 0x7f800000
	v_add_f32_e32 v32, v32, v34
	s_mov_b32 s39, 0x33800000
	v_add_f32_e32 v32, v32, v33
	v_cmp_eq_f32_e32 vcc, s40, v87
	v_cmp_lt_f32_e64 s[40:41], |v87|, s39
	v_add_f32_e32 v32, v36, v32
	s_or_b64 vcc, vcc, s[40:41]
	v_cndmask_b32_e32 v32, v32, v87, vcc
	v_add_f32_e32 v32, v30, v32
.LBB472_79:
	s_or_b64 exec, exec, s[36:37]
	v_bfe_u32 v30, v32, 16, 1
	v_add3_u32 v30, v32, v30, s38
	v_and_b32_e32 v30, 0xffff0000, v30
	v_cmp_o_f32_e32 vcc, v32, v32
	v_cndmask_b32_e32 v32, v31, v30, vcc
	v_mov_b32_e32 v30, 16
	v_lshlrev_b32_sdwa v87, v30, v18 dst_sel:DWORD dst_unused:UNUSED_PAD src0_sel:DWORD src1_sel:WORD_1
	v_max_f32_e32 v31, v32, v32
	v_max_f32_e32 v101, v87, v87
	v_min_f32_e32 v33, v31, v101
	v_cmp_u_f32_e32 vcc, v32, v32
	v_max_f32_e32 v31, v31, v101
	v_cndmask_b32_e32 v33, v33, v32, vcc
	v_cmp_u_f32_e64 s[36:37], v87, v87
	v_cndmask_b32_e32 v31, v31, v32, vcc
	v_cndmask_b32_e64 v33, v33, v87, s[36:37]
	v_cndmask_b32_e64 v31, v31, v87, s[36:37]
	s_movk_i32 s40, 0x1f8
	v_cmp_neq_f32_e32 vcc, v33, v31
	v_cmp_class_f32_e64 s[38:39], v33, s40
	s_or_b64 vcc, vcc, s[38:39]
	s_and_saveexec_b64 s[38:39], vcc
	s_cbranch_execz .LBB472_81
; %bb.80:
	v_sub_f32_e32 v32, v33, v31
	s_mov_b32 s41, 0x3fb8aa3b
	v_mul_f32_e32 v33, 0x3fb8aa3b, v32
	v_fma_f32 v34, v32, s41, -v33
	v_rndne_f32_e32 v35, v33
	v_fmac_f32_e32 v34, 0x32a5705f, v32
	v_sub_f32_e32 v33, v33, v35
	v_add_f32_e32 v33, v33, v34
	v_exp_f32_e32 v33, v33
	v_cvt_i32_f32_e32 v34, v35
	s_mov_b32 s41, 0xc2ce8ed0
	v_cmp_ngt_f32_e32 vcc, s41, v32
	s_mov_b32 s41, 0x42b17218
	v_ldexp_f32 v33, v33, v34
	v_cndmask_b32_e32 v33, 0, v33, vcc
	v_mov_b32_e32 v34, 0x7f800000
	v_cmp_nlt_f32_e32 vcc, s41, v32
	v_cndmask_b32_e32 v118, v34, v33, vcc
	v_add_f32_e32 v34, 1.0, v118
	v_add_f32_e32 v32, -1.0, v34
	v_sub_f32_e32 v33, v32, v34
	v_add_f32_e32 v33, 1.0, v33
	v_sub_f32_e32 v32, v118, v32
	v_add_f32_e32 v35, v32, v33
	v_frexp_mant_f32_e32 v36, v34
	s_mov_b32 s41, 0x3f2aaaab
	v_cvt_f64_f32_e32 v[32:33], v34
	v_frexp_exp_i32_f64_e32 v32, v[32:33]
	v_cmp_gt_f32_e32 vcc, s41, v36
	v_subbrev_co_u32_e32 v102, vcc, 0, v32, vcc
	v_sub_u32_e32 v32, 0, v102
	v_ldexp_f32 v33, v34, v32
	v_add_f32_e32 v34, -1.0, v33
	v_add_f32_e32 v36, 1.0, v33
	v_ldexp_f32 v32, v35, v32
	v_add_f32_e32 v35, 1.0, v34
	v_add_f32_e32 v37, -1.0, v36
	v_sub_f32_e32 v35, v33, v35
	v_sub_f32_e32 v33, v33, v37
	v_add_f32_e32 v35, v32, v35
	v_add_f32_e32 v32, v32, v33
	;; [unrolled: 1-line block ×3, first 2 shown]
	v_rcp_f32_e32 v113, v103
	v_sub_f32_e32 v33, v36, v103
	v_add_f32_e32 v112, v32, v33
	v_add_f32_e32 v33, v34, v35
	v_mul_f32_e32 v115, v33, v113
	v_sub_f32_e32 v32, v34, v33
	v_mul_f32_e32 v34, v103, v115
	v_fma_f32 v36, v115, v103, -v34
	v_fmac_f32_e32 v36, v115, v112
	v_add_f32_e32 v114, v35, v32
	v_add_f32_e32 v32, v34, v36
	v_sub_f32_e32 v35, v33, v32
	v_pk_add_f32 v[98:99], v[32:33], v[34:35] neg_lo:[0,1] neg_hi:[0,1]
	v_mov_b32_e32 v37, v32
	v_pk_add_f32 v[32:33], v[98:99], v[36:37] neg_lo:[0,1] neg_hi:[0,1]
	v_add_f32_e32 v33, v114, v33
	v_add_f32_e32 v32, v32, v33
	;; [unrolled: 1-line block ×3, first 2 shown]
	v_mul_f32_e32 v114, v113, v33
	v_mul_f32_e32 v34, v103, v114
	v_fma_f32 v36, v114, v103, -v34
	v_fmac_f32_e32 v36, v114, v112
	v_sub_f32_e32 v35, v35, v33
	v_add_f32_e32 v103, v32, v35
	v_add_f32_e32 v32, v34, v36
	v_sub_f32_e32 v35, v33, v32
	v_pk_add_f32 v[98:99], v[32:33], v[34:35] neg_lo:[0,1] neg_hi:[0,1]
	v_mov_b32_e32 v37, v32
	v_pk_add_f32 v[32:33], v[98:99], v[36:37] neg_lo:[0,1] neg_hi:[0,1]
	v_add_f32_e32 v33, v103, v33
	v_add_f32_e32 v32, v32, v33
	;; [unrolled: 1-line block ×4, first 2 shown]
	v_sub_f32_e32 v33, v35, v115
	v_mul_f32_e32 v32, v113, v32
	v_sub_f32_e32 v33, v114, v33
	v_add_f32_e32 v32, v33, v32
	v_add_f32_e32 v36, v35, v32
	v_mul_f32_e32 v98, v36, v36
	v_mov_b32_e32 v34, 0x3ecc95a3
	v_fmac_f32_e32 v34, 0x3e9b6dac, v98
	v_mov_b32_e32 v33, 0x3f2aaada
	v_fmac_f32_e32 v33, v98, v34
	v_cvt_f32_i32_e32 v34, v102
	v_sub_f32_e32 v35, v36, v35
	v_sub_f32_e32 v32, v32, v35
	v_ldexp_f32 v99, v32, 1
	v_mul_f32_e32 v35, v36, v98
	v_mov_b32_e32 v32, 0x3f317218
	s_mov_b32 s41, 0x3f317218
	v_pk_mul_f32 v[32:33], v[34:35], v[32:33]
	v_ldexp_f32 v37, v36, 1
	v_fma_f32 v36, v34, s41, -v32
	v_fmac_f32_e32 v36, 0xb102e308, v34
	v_pk_add_f32 v[34:35], v[32:33], v[36:37]
	v_sub_f32_e32 v37, v35, v37
	v_sub_f32_e32 v37, v33, v37
	v_add_f32_e32 v99, v99, v37
	v_mov_b32_e32 v98, v32
	v_pk_add_f32 v[32:33], v[34:35], v[32:33] neg_lo:[0,1] neg_hi:[0,1]
	v_pk_add_f32 v[102:103], v[34:35], v[98:99]
	v_mov_b32_e32 v33, v103
	v_mov_b32_e32 v37, v34
	v_pk_add_f32 v[112:113], v[36:37], v[32:33] neg_lo:[0,1] neg_hi:[0,1]
	v_pk_add_f32 v[32:33], v[36:37], v[32:33]
	v_mov_b32_e32 v36, v33
	v_pk_add_f32 v[114:115], v[36:37], v[34:35] neg_lo:[0,1] neg_hi:[0,1]
	v_mov_b32_e32 v37, v114
	v_pk_add_f32 v[116:117], v[102:103], v[36:37] neg_lo:[0,1] neg_hi:[0,1]
	v_mov_b32_e32 v32, v103
	v_mov_b32_e32 v102, v35
	;; [unrolled: 1-line block ×4, first 2 shown]
	v_pk_add_f32 v[32:33], v[32:33], v[102:103] neg_lo:[0,1] neg_hi:[0,1]
	v_mov_b32_e32 v98, v99
	v_mov_b32_e32 v99, v34
	v_pk_add_f32 v[32:33], v[98:99], v[32:33] neg_lo:[0,1] neg_hi:[0,1]
	v_mov_b32_e32 v116, v112
	v_pk_add_f32 v[34:35], v[116:117], v[32:33]
	v_mov_b32_e32 v98, v35
	v_pk_add_f32 v[98:99], v[34:35], v[98:99]
	v_pk_add_f32 v[36:37], v[36:37], v[98:99]
	v_mov_b32_e32 v35, v36
	v_pk_add_f32 v[102:103], v[34:35], v[112:113] neg_lo:[0,1] neg_hi:[0,1]
	v_mov_b32_e32 v33, v98
	v_sub_f32_e32 v34, v34, v102
	v_pk_add_f32 v[32:33], v[32:33], v[102:103] neg_lo:[0,1] neg_hi:[0,1]
	v_sub_f32_e32 v34, v112, v34
	s_mov_b32 s42, 0x7f800000
	v_add_f32_e32 v32, v32, v34
	s_mov_b32 s41, 0x33800000
	v_add_f32_e32 v32, v32, v33
	v_cmp_eq_f32_e32 vcc, s42, v118
	v_cmp_lt_f32_e64 s[42:43], |v118|, s41
	v_add_f32_e32 v32, v36, v32
	s_or_b64 vcc, vcc, s[42:43]
	v_cndmask_b32_e32 v32, v32, v118, vcc
	v_add_f32_e32 v32, v31, v32
.LBB472_81:
	s_or_b64 exec, exec, s[38:39]
	v_bfe_u32 v31, v32, 16, 1
	s_movk_i32 s42, 0x7fff
	v_add3_u32 v31, v32, v31, s42
	v_and_b32_e32 v33, 0xffff0000, v31
	v_mov_b32_e32 v31, 0x7fc00000
	v_cmp_o_f32_e32 vcc, v32, v32
	v_cndmask_b32_e32 v32, v31, v33, vcc
	v_lshlrev_b32_sdwa v98, v30, v19 dst_sel:DWORD dst_unused:UNUSED_PAD src0_sel:DWORD src1_sel:WORD_0
	v_max_f32_e32 v30, v32, v32
	v_max_f32_e32 v112, v98, v98
	v_min_f32_e32 v33, v30, v112
	v_cmp_u_f32_e32 vcc, v32, v32
	v_max_f32_e32 v30, v30, v112
	v_cndmask_b32_e32 v33, v33, v32, vcc
	v_cmp_u_f32_e64 s[38:39], v98, v98
	v_cndmask_b32_e32 v30, v30, v32, vcc
	v_cndmask_b32_e64 v33, v33, v98, s[38:39]
	v_cndmask_b32_e64 v30, v30, v98, s[38:39]
	v_cmp_neq_f32_e32 vcc, v33, v30
	v_cmp_class_f32_e64 s[40:41], v33, s40
	s_or_b64 vcc, vcc, s[40:41]
	s_and_saveexec_b64 s[40:41], vcc
	s_cbranch_execz .LBB472_83
; %bb.82:
	v_sub_f32_e32 v32, v33, v30
	s_mov_b32 s43, 0x3fb8aa3b
	v_mul_f32_e32 v33, 0x3fb8aa3b, v32
	v_fma_f32 v34, v32, s43, -v33
	v_rndne_f32_e32 v35, v33
	v_fmac_f32_e32 v34, 0x32a5705f, v32
	v_sub_f32_e32 v33, v33, v35
	v_add_f32_e32 v33, v33, v34
	v_exp_f32_e32 v33, v33
	v_cvt_i32_f32_e32 v34, v35
	s_mov_b32 s43, 0xc2ce8ed0
	v_cmp_ngt_f32_e32 vcc, s43, v32
	s_mov_b32 s43, 0x42b17218
	v_ldexp_f32 v33, v33, v34
	v_cndmask_b32_e32 v33, 0, v33, vcc
	v_mov_b32_e32 v34, 0x7f800000
	v_cmp_nlt_f32_e32 vcc, s43, v32
	v_cndmask_b32_e32 v99, v34, v33, vcc
	v_add_f32_e32 v34, 1.0, v99
	v_add_f32_e32 v32, -1.0, v34
	v_sub_f32_e32 v33, v32, v34
	v_add_f32_e32 v33, 1.0, v33
	v_sub_f32_e32 v32, v99, v32
	v_add_f32_e32 v35, v32, v33
	v_frexp_mant_f32_e32 v36, v34
	s_mov_b32 s43, 0x3f2aaaab
	v_cvt_f64_f32_e32 v[32:33], v34
	v_frexp_exp_i32_f64_e32 v32, v[32:33]
	v_cmp_gt_f32_e32 vcc, s43, v36
	v_subbrev_co_u32_e32 v113, vcc, 0, v32, vcc
	v_sub_u32_e32 v32, 0, v113
	v_ldexp_f32 v33, v34, v32
	v_add_f32_e32 v34, -1.0, v33
	v_add_f32_e32 v36, 1.0, v33
	v_ldexp_f32 v32, v35, v32
	v_add_f32_e32 v35, 1.0, v34
	v_add_f32_e32 v37, -1.0, v36
	v_sub_f32_e32 v35, v33, v35
	v_sub_f32_e32 v33, v33, v37
	v_add_f32_e32 v35, v32, v35
	v_add_f32_e32 v32, v32, v33
	;; [unrolled: 1-line block ×3, first 2 shown]
	v_rcp_f32_e32 v116, v114
	v_sub_f32_e32 v33, v36, v114
	v_add_f32_e32 v115, v32, v33
	v_add_f32_e32 v33, v34, v35
	v_mul_f32_e32 v118, v33, v116
	v_sub_f32_e32 v32, v34, v33
	v_mul_f32_e32 v34, v114, v118
	v_fma_f32 v36, v118, v114, -v34
	v_fmac_f32_e32 v36, v118, v115
	v_add_f32_e32 v117, v35, v32
	v_add_f32_e32 v32, v34, v36
	v_sub_f32_e32 v35, v33, v32
	v_pk_add_f32 v[102:103], v[32:33], v[34:35] neg_lo:[0,1] neg_hi:[0,1]
	v_mov_b32_e32 v37, v32
	v_pk_add_f32 v[32:33], v[102:103], v[36:37] neg_lo:[0,1] neg_hi:[0,1]
	v_add_f32_e32 v33, v117, v33
	v_add_f32_e32 v32, v32, v33
	;; [unrolled: 1-line block ×3, first 2 shown]
	v_mul_f32_e32 v117, v116, v33
	v_mul_f32_e32 v34, v114, v117
	v_fma_f32 v36, v117, v114, -v34
	v_fmac_f32_e32 v36, v117, v115
	v_sub_f32_e32 v35, v35, v33
	v_add_f32_e32 v114, v32, v35
	v_add_f32_e32 v32, v34, v36
	v_sub_f32_e32 v35, v33, v32
	v_pk_add_f32 v[102:103], v[32:33], v[34:35] neg_lo:[0,1] neg_hi:[0,1]
	v_mov_b32_e32 v37, v32
	v_pk_add_f32 v[32:33], v[102:103], v[36:37] neg_lo:[0,1] neg_hi:[0,1]
	v_add_f32_e32 v33, v114, v33
	v_add_f32_e32 v32, v32, v33
	;; [unrolled: 1-line block ×4, first 2 shown]
	v_sub_f32_e32 v33, v35, v118
	v_mul_f32_e32 v32, v116, v32
	v_sub_f32_e32 v33, v117, v33
	v_add_f32_e32 v32, v33, v32
	v_add_f32_e32 v36, v35, v32
	v_mul_f32_e32 v102, v36, v36
	v_mov_b32_e32 v34, 0x3ecc95a3
	v_fmac_f32_e32 v34, 0x3e9b6dac, v102
	v_mov_b32_e32 v33, 0x3f2aaada
	v_fmac_f32_e32 v33, v102, v34
	v_cvt_f32_i32_e32 v34, v113
	v_sub_f32_e32 v35, v36, v35
	v_sub_f32_e32 v32, v32, v35
	v_ldexp_f32 v103, v32, 1
	v_mul_f32_e32 v35, v36, v102
	v_mov_b32_e32 v32, 0x3f317218
	s_mov_b32 s43, 0x3f317218
	v_pk_mul_f32 v[32:33], v[34:35], v[32:33]
	v_ldexp_f32 v37, v36, 1
	v_fma_f32 v36, v34, s43, -v32
	v_fmac_f32_e32 v36, 0xb102e308, v34
	v_pk_add_f32 v[34:35], v[32:33], v[36:37]
	v_sub_f32_e32 v37, v35, v37
	v_sub_f32_e32 v37, v33, v37
	v_add_f32_e32 v103, v103, v37
	v_mov_b32_e32 v102, v32
	v_pk_add_f32 v[32:33], v[34:35], v[32:33] neg_lo:[0,1] neg_hi:[0,1]
	v_pk_add_f32 v[114:115], v[34:35], v[102:103]
	v_mov_b32_e32 v33, v115
	v_mov_b32_e32 v37, v34
	v_pk_add_f32 v[116:117], v[36:37], v[32:33] neg_lo:[0,1] neg_hi:[0,1]
	v_pk_add_f32 v[32:33], v[36:37], v[32:33]
	v_mov_b32_e32 v36, v33
	v_pk_add_f32 v[118:119], v[36:37], v[34:35] neg_lo:[0,1] neg_hi:[0,1]
	v_mov_b32_e32 v37, v118
	v_pk_add_f32 v[128:129], v[114:115], v[36:37] neg_lo:[0,1] neg_hi:[0,1]
	v_mov_b32_e32 v32, v115
	v_mov_b32_e32 v114, v35
	;; [unrolled: 1-line block ×4, first 2 shown]
	v_pk_add_f32 v[32:33], v[32:33], v[114:115] neg_lo:[0,1] neg_hi:[0,1]
	v_mov_b32_e32 v102, v103
	v_mov_b32_e32 v103, v34
	v_pk_add_f32 v[32:33], v[102:103], v[32:33] neg_lo:[0,1] neg_hi:[0,1]
	v_mov_b32_e32 v128, v116
	v_pk_add_f32 v[34:35], v[128:129], v[32:33]
	v_mov_b32_e32 v102, v35
	v_pk_add_f32 v[102:103], v[34:35], v[102:103]
	v_pk_add_f32 v[36:37], v[36:37], v[102:103]
	v_mov_b32_e32 v35, v36
	v_pk_add_f32 v[114:115], v[34:35], v[116:117] neg_lo:[0,1] neg_hi:[0,1]
	v_mov_b32_e32 v33, v102
	v_sub_f32_e32 v34, v34, v114
	v_pk_add_f32 v[32:33], v[32:33], v[114:115] neg_lo:[0,1] neg_hi:[0,1]
	v_sub_f32_e32 v34, v116, v34
	s_mov_b32 s44, 0x7f800000
	v_add_f32_e32 v32, v32, v34
	s_mov_b32 s43, 0x33800000
	v_add_f32_e32 v32, v32, v33
	v_cmp_eq_f32_e32 vcc, s44, v99
	v_cmp_lt_f32_e64 s[44:45], |v99|, s43
	v_add_f32_e32 v32, v36, v32
	s_or_b64 vcc, vcc, s[44:45]
	v_cndmask_b32_e32 v32, v32, v99, vcc
	v_add_f32_e32 v32, v30, v32
.LBB472_83:
	s_or_b64 exec, exec, s[40:41]
	v_bfe_u32 v30, v32, 16, 1
	v_add3_u32 v30, v32, v30, s42
	v_and_b32_e32 v30, 0xffff0000, v30
	v_cmp_o_f32_e32 vcc, v32, v32
	v_cndmask_b32_e32 v32, v31, v30, vcc
	v_mov_b32_e32 v30, 16
	v_lshlrev_b32_sdwa v99, v30, v19 dst_sel:DWORD dst_unused:UNUSED_PAD src0_sel:DWORD src1_sel:WORD_1
	v_max_f32_e32 v31, v32, v32
	v_max_f32_e32 v113, v99, v99
	v_min_f32_e32 v33, v31, v113
	v_cmp_u_f32_e32 vcc, v32, v32
	v_max_f32_e32 v31, v31, v113
	v_cndmask_b32_e32 v33, v33, v32, vcc
	v_cmp_u_f32_e64 s[40:41], v99, v99
	v_cndmask_b32_e32 v31, v31, v32, vcc
	v_cndmask_b32_e64 v33, v33, v99, s[40:41]
	v_cndmask_b32_e64 v31, v31, v99, s[40:41]
	s_movk_i32 s44, 0x1f8
	v_cmp_neq_f32_e32 vcc, v33, v31
	v_cmp_class_f32_e64 s[42:43], v33, s44
	s_or_b64 vcc, vcc, s[42:43]
	s_and_saveexec_b64 s[42:43], vcc
	s_cbranch_execz .LBB472_85
; %bb.84:
	v_sub_f32_e32 v32, v33, v31
	s_mov_b32 s45, 0x3fb8aa3b
	v_mul_f32_e32 v33, 0x3fb8aa3b, v32
	v_fma_f32 v34, v32, s45, -v33
	v_rndne_f32_e32 v35, v33
	v_fmac_f32_e32 v34, 0x32a5705f, v32
	v_sub_f32_e32 v33, v33, v35
	v_add_f32_e32 v33, v33, v34
	v_exp_f32_e32 v33, v33
	v_cvt_i32_f32_e32 v34, v35
	s_mov_b32 s45, 0xc2ce8ed0
	v_cmp_ngt_f32_e32 vcc, s45, v32
	s_mov_b32 s45, 0x42b17218
	v_ldexp_f32 v33, v33, v34
	v_cndmask_b32_e32 v33, 0, v33, vcc
	v_mov_b32_e32 v34, 0x7f800000
	v_cmp_nlt_f32_e32 vcc, s45, v32
	v_cndmask_b32_e32 v130, v34, v33, vcc
	v_add_f32_e32 v34, 1.0, v130
	v_add_f32_e32 v32, -1.0, v34
	v_sub_f32_e32 v33, v32, v34
	v_add_f32_e32 v33, 1.0, v33
	v_sub_f32_e32 v32, v130, v32
	v_add_f32_e32 v35, v32, v33
	v_frexp_mant_f32_e32 v36, v34
	s_mov_b32 s45, 0x3f2aaaab
	v_cvt_f64_f32_e32 v[32:33], v34
	v_frexp_exp_i32_f64_e32 v32, v[32:33]
	v_cmp_gt_f32_e32 vcc, s45, v36
	v_subbrev_co_u32_e32 v114, vcc, 0, v32, vcc
	v_sub_u32_e32 v32, 0, v114
	v_ldexp_f32 v33, v34, v32
	v_add_f32_e32 v34, -1.0, v33
	v_add_f32_e32 v36, 1.0, v33
	v_ldexp_f32 v32, v35, v32
	v_add_f32_e32 v35, 1.0, v34
	v_add_f32_e32 v37, -1.0, v36
	v_sub_f32_e32 v35, v33, v35
	v_sub_f32_e32 v33, v33, v37
	v_add_f32_e32 v35, v32, v35
	v_add_f32_e32 v32, v32, v33
	v_add_f32_e32 v115, v36, v32
	v_rcp_f32_e32 v117, v115
	v_sub_f32_e32 v33, v36, v115
	v_add_f32_e32 v116, v32, v33
	v_add_f32_e32 v33, v34, v35
	v_mul_f32_e32 v119, v33, v117
	v_sub_f32_e32 v32, v34, v33
	v_mul_f32_e32 v34, v115, v119
	v_fma_f32 v36, v119, v115, -v34
	v_fmac_f32_e32 v36, v119, v116
	v_add_f32_e32 v118, v35, v32
	v_add_f32_e32 v32, v34, v36
	v_sub_f32_e32 v35, v33, v32
	v_pk_add_f32 v[102:103], v[32:33], v[34:35] neg_lo:[0,1] neg_hi:[0,1]
	v_mov_b32_e32 v37, v32
	v_pk_add_f32 v[32:33], v[102:103], v[36:37] neg_lo:[0,1] neg_hi:[0,1]
	v_add_f32_e32 v33, v118, v33
	v_add_f32_e32 v32, v32, v33
	v_add_f32_e32 v33, v35, v32
	v_mul_f32_e32 v118, v117, v33
	v_mul_f32_e32 v34, v115, v118
	v_fma_f32 v36, v118, v115, -v34
	v_fmac_f32_e32 v36, v118, v116
	v_sub_f32_e32 v35, v35, v33
	v_add_f32_e32 v115, v32, v35
	v_add_f32_e32 v32, v34, v36
	v_sub_f32_e32 v35, v33, v32
	v_pk_add_f32 v[102:103], v[32:33], v[34:35] neg_lo:[0,1] neg_hi:[0,1]
	v_mov_b32_e32 v37, v32
	v_pk_add_f32 v[32:33], v[102:103], v[36:37] neg_lo:[0,1] neg_hi:[0,1]
	v_add_f32_e32 v33, v115, v33
	v_add_f32_e32 v32, v32, v33
	;; [unrolled: 1-line block ×4, first 2 shown]
	v_sub_f32_e32 v33, v35, v119
	v_mul_f32_e32 v32, v117, v32
	v_sub_f32_e32 v33, v118, v33
	v_add_f32_e32 v32, v33, v32
	v_add_f32_e32 v36, v35, v32
	v_mul_f32_e32 v102, v36, v36
	v_mov_b32_e32 v34, 0x3ecc95a3
	v_fmac_f32_e32 v34, 0x3e9b6dac, v102
	v_mov_b32_e32 v33, 0x3f2aaada
	v_fmac_f32_e32 v33, v102, v34
	v_cvt_f32_i32_e32 v34, v114
	v_sub_f32_e32 v35, v36, v35
	v_sub_f32_e32 v32, v32, v35
	v_ldexp_f32 v103, v32, 1
	v_mul_f32_e32 v35, v36, v102
	v_mov_b32_e32 v32, 0x3f317218
	s_mov_b32 s45, 0x3f317218
	v_pk_mul_f32 v[32:33], v[34:35], v[32:33]
	v_ldexp_f32 v37, v36, 1
	v_fma_f32 v36, v34, s45, -v32
	v_fmac_f32_e32 v36, 0xb102e308, v34
	v_pk_add_f32 v[34:35], v[32:33], v[36:37]
	v_sub_f32_e32 v37, v35, v37
	v_sub_f32_e32 v37, v33, v37
	v_add_f32_e32 v103, v103, v37
	v_mov_b32_e32 v102, v32
	v_pk_add_f32 v[32:33], v[34:35], v[32:33] neg_lo:[0,1] neg_hi:[0,1]
	v_pk_add_f32 v[114:115], v[34:35], v[102:103]
	v_mov_b32_e32 v33, v115
	v_mov_b32_e32 v37, v34
	v_pk_add_f32 v[116:117], v[36:37], v[32:33] neg_lo:[0,1] neg_hi:[0,1]
	v_pk_add_f32 v[32:33], v[36:37], v[32:33]
	v_mov_b32_e32 v36, v33
	v_pk_add_f32 v[118:119], v[36:37], v[34:35] neg_lo:[0,1] neg_hi:[0,1]
	v_mov_b32_e32 v37, v118
	v_pk_add_f32 v[128:129], v[114:115], v[36:37] neg_lo:[0,1] neg_hi:[0,1]
	v_mov_b32_e32 v32, v115
	v_mov_b32_e32 v114, v35
	;; [unrolled: 1-line block ×4, first 2 shown]
	v_pk_add_f32 v[32:33], v[32:33], v[114:115] neg_lo:[0,1] neg_hi:[0,1]
	v_mov_b32_e32 v102, v103
	v_mov_b32_e32 v103, v34
	v_pk_add_f32 v[32:33], v[102:103], v[32:33] neg_lo:[0,1] neg_hi:[0,1]
	v_mov_b32_e32 v128, v116
	v_pk_add_f32 v[34:35], v[128:129], v[32:33]
	v_mov_b32_e32 v102, v35
	v_pk_add_f32 v[102:103], v[34:35], v[102:103]
	v_pk_add_f32 v[36:37], v[36:37], v[102:103]
	v_mov_b32_e32 v35, v36
	v_pk_add_f32 v[114:115], v[34:35], v[116:117] neg_lo:[0,1] neg_hi:[0,1]
	v_mov_b32_e32 v33, v102
	v_sub_f32_e32 v34, v34, v114
	v_pk_add_f32 v[32:33], v[32:33], v[114:115] neg_lo:[0,1] neg_hi:[0,1]
	v_sub_f32_e32 v34, v116, v34
	s_mov_b32 s46, 0x7f800000
	v_add_f32_e32 v32, v32, v34
	s_mov_b32 s45, 0x33800000
	v_add_f32_e32 v32, v32, v33
	v_cmp_eq_f32_e32 vcc, s46, v130
	v_cmp_lt_f32_e64 s[46:47], |v130|, s45
	v_add_f32_e32 v32, v36, v32
	s_or_b64 vcc, vcc, s[46:47]
	v_cndmask_b32_e32 v32, v32, v130, vcc
	v_add_f32_e32 v32, v31, v32
.LBB472_85:
	s_or_b64 exec, exec, s[42:43]
	v_bfe_u32 v31, v32, 16, 1
	s_movk_i32 s46, 0x7fff
	v_add3_u32 v31, v32, v31, s46
	v_and_b32_e32 v33, 0xffff0000, v31
	v_mov_b32_e32 v31, 0x7fc00000
	v_cmp_o_f32_e32 vcc, v32, v32
	v_cndmask_b32_e32 v32, v31, v33, vcc
	v_lshlrev_b32_sdwa v102, v30, v12 dst_sel:DWORD dst_unused:UNUSED_PAD src0_sel:DWORD src1_sel:WORD_0
	v_max_f32_e32 v30, v32, v32
	v_max_f32_e32 v116, v102, v102
	v_min_f32_e32 v33, v30, v116
	v_cmp_u_f32_e32 vcc, v32, v32
	v_max_f32_e32 v30, v30, v116
	v_cndmask_b32_e32 v33, v33, v32, vcc
	v_cmp_u_f32_e64 s[42:43], v102, v102
	v_cndmask_b32_e32 v30, v30, v32, vcc
	v_cndmask_b32_e64 v33, v33, v102, s[42:43]
	v_cndmask_b32_e64 v30, v30, v102, s[42:43]
	v_cmp_neq_f32_e32 vcc, v33, v30
	v_cmp_class_f32_e64 s[44:45], v33, s44
	s_or_b64 vcc, vcc, s[44:45]
	s_and_saveexec_b64 s[44:45], vcc
	s_cbranch_execz .LBB472_87
; %bb.86:
	v_sub_f32_e32 v32, v33, v30
	s_mov_b32 s47, 0x3fb8aa3b
	v_mul_f32_e32 v33, 0x3fb8aa3b, v32
	v_fma_f32 v34, v32, s47, -v33
	v_rndne_f32_e32 v35, v33
	v_fmac_f32_e32 v34, 0x32a5705f, v32
	v_sub_f32_e32 v33, v33, v35
	v_add_f32_e32 v33, v33, v34
	v_exp_f32_e32 v33, v33
	v_cvt_i32_f32_e32 v34, v35
	s_mov_b32 s47, 0xc2ce8ed0
	v_cmp_ngt_f32_e32 vcc, s47, v32
	s_mov_b32 s47, 0x42b17218
	v_ldexp_f32 v33, v33, v34
	v_cndmask_b32_e32 v33, 0, v33, vcc
	v_mov_b32_e32 v34, 0x7f800000
	v_cmp_nlt_f32_e32 vcc, s47, v32
	v_cndmask_b32_e32 v103, v34, v33, vcc
	v_add_f32_e32 v34, 1.0, v103
	v_add_f32_e32 v32, -1.0, v34
	v_sub_f32_e32 v33, v32, v34
	v_add_f32_e32 v33, 1.0, v33
	v_sub_f32_e32 v32, v103, v32
	v_add_f32_e32 v35, v32, v33
	v_frexp_mant_f32_e32 v36, v34
	s_mov_b32 s47, 0x3f2aaaab
	v_cvt_f64_f32_e32 v[32:33], v34
	v_frexp_exp_i32_f64_e32 v32, v[32:33]
	v_cmp_gt_f32_e32 vcc, s47, v36
	v_subbrev_co_u32_e32 v117, vcc, 0, v32, vcc
	v_sub_u32_e32 v32, 0, v117
	v_ldexp_f32 v33, v34, v32
	v_add_f32_e32 v34, -1.0, v33
	v_add_f32_e32 v36, 1.0, v33
	v_ldexp_f32 v32, v35, v32
	v_add_f32_e32 v35, 1.0, v34
	v_add_f32_e32 v37, -1.0, v36
	v_sub_f32_e32 v35, v33, v35
	v_sub_f32_e32 v33, v33, v37
	v_add_f32_e32 v35, v32, v35
	v_add_f32_e32 v32, v32, v33
	v_add_f32_e32 v118, v36, v32
	v_rcp_f32_e32 v128, v118
	v_sub_f32_e32 v33, v36, v118
	v_add_f32_e32 v119, v32, v33
	v_add_f32_e32 v33, v34, v35
	v_mul_f32_e32 v130, v33, v128
	v_sub_f32_e32 v32, v34, v33
	v_mul_f32_e32 v34, v118, v130
	v_fma_f32 v36, v130, v118, -v34
	v_fmac_f32_e32 v36, v130, v119
	v_add_f32_e32 v129, v35, v32
	v_add_f32_e32 v32, v34, v36
	v_sub_f32_e32 v35, v33, v32
	v_pk_add_f32 v[114:115], v[32:33], v[34:35] neg_lo:[0,1] neg_hi:[0,1]
	v_mov_b32_e32 v37, v32
	v_pk_add_f32 v[32:33], v[114:115], v[36:37] neg_lo:[0,1] neg_hi:[0,1]
	v_add_f32_e32 v33, v129, v33
	v_add_f32_e32 v32, v32, v33
	;; [unrolled: 1-line block ×3, first 2 shown]
	v_mul_f32_e32 v129, v128, v33
	v_mul_f32_e32 v34, v118, v129
	v_fma_f32 v36, v129, v118, -v34
	v_fmac_f32_e32 v36, v129, v119
	v_sub_f32_e32 v35, v35, v33
	v_add_f32_e32 v118, v32, v35
	v_add_f32_e32 v32, v34, v36
	v_sub_f32_e32 v35, v33, v32
	v_pk_add_f32 v[114:115], v[32:33], v[34:35] neg_lo:[0,1] neg_hi:[0,1]
	v_mov_b32_e32 v37, v32
	v_pk_add_f32 v[32:33], v[114:115], v[36:37] neg_lo:[0,1] neg_hi:[0,1]
	v_add_f32_e32 v33, v118, v33
	v_add_f32_e32 v32, v32, v33
	;; [unrolled: 1-line block ×4, first 2 shown]
	v_sub_f32_e32 v33, v35, v130
	v_mul_f32_e32 v32, v128, v32
	v_sub_f32_e32 v33, v129, v33
	v_add_f32_e32 v32, v33, v32
	v_add_f32_e32 v36, v35, v32
	v_mul_f32_e32 v114, v36, v36
	v_mov_b32_e32 v34, 0x3ecc95a3
	v_fmac_f32_e32 v34, 0x3e9b6dac, v114
	v_mov_b32_e32 v33, 0x3f2aaada
	v_fmac_f32_e32 v33, v114, v34
	v_cvt_f32_i32_e32 v34, v117
	v_sub_f32_e32 v35, v36, v35
	v_sub_f32_e32 v32, v32, v35
	v_ldexp_f32 v115, v32, 1
	v_mul_f32_e32 v35, v36, v114
	v_mov_b32_e32 v32, 0x3f317218
	s_mov_b32 s47, 0x3f317218
	v_pk_mul_f32 v[32:33], v[34:35], v[32:33]
	v_ldexp_f32 v37, v36, 1
	v_fma_f32 v36, v34, s47, -v32
	v_fmac_f32_e32 v36, 0xb102e308, v34
	v_pk_add_f32 v[34:35], v[32:33], v[36:37]
	v_sub_f32_e32 v37, v35, v37
	v_sub_f32_e32 v37, v33, v37
	v_add_f32_e32 v115, v115, v37
	v_mov_b32_e32 v114, v32
	v_pk_add_f32 v[32:33], v[34:35], v[32:33] neg_lo:[0,1] neg_hi:[0,1]
	v_pk_add_f32 v[118:119], v[34:35], v[114:115]
	v_mov_b32_e32 v33, v119
	v_mov_b32_e32 v37, v34
	v_pk_add_f32 v[128:129], v[36:37], v[32:33] neg_lo:[0,1] neg_hi:[0,1]
	v_pk_add_f32 v[32:33], v[36:37], v[32:33]
	v_mov_b32_e32 v36, v33
	v_pk_add_f32 v[130:131], v[36:37], v[34:35] neg_lo:[0,1] neg_hi:[0,1]
	v_mov_b32_e32 v37, v130
	v_pk_add_f32 v[132:133], v[118:119], v[36:37] neg_lo:[0,1] neg_hi:[0,1]
	v_mov_b32_e32 v32, v119
	v_mov_b32_e32 v118, v35
	;; [unrolled: 1-line block ×4, first 2 shown]
	v_pk_add_f32 v[32:33], v[32:33], v[118:119] neg_lo:[0,1] neg_hi:[0,1]
	v_mov_b32_e32 v114, v115
	v_mov_b32_e32 v115, v34
	v_pk_add_f32 v[32:33], v[114:115], v[32:33] neg_lo:[0,1] neg_hi:[0,1]
	v_mov_b32_e32 v132, v128
	v_pk_add_f32 v[34:35], v[132:133], v[32:33]
	v_mov_b32_e32 v114, v35
	v_pk_add_f32 v[114:115], v[34:35], v[114:115]
	v_pk_add_f32 v[36:37], v[36:37], v[114:115]
	v_mov_b32_e32 v35, v36
	v_pk_add_f32 v[118:119], v[34:35], v[128:129] neg_lo:[0,1] neg_hi:[0,1]
	v_mov_b32_e32 v33, v114
	v_sub_f32_e32 v34, v34, v118
	v_pk_add_f32 v[32:33], v[32:33], v[118:119] neg_lo:[0,1] neg_hi:[0,1]
	v_sub_f32_e32 v34, v128, v34
	s_mov_b32 s48, 0x7f800000
	v_add_f32_e32 v32, v32, v34
	s_mov_b32 s47, 0x33800000
	v_add_f32_e32 v32, v32, v33
	v_cmp_eq_f32_e32 vcc, s48, v103
	v_cmp_lt_f32_e64 s[48:49], |v103|, s47
	v_add_f32_e32 v32, v36, v32
	s_or_b64 vcc, vcc, s[48:49]
	v_cndmask_b32_e32 v32, v32, v103, vcc
	v_add_f32_e32 v32, v30, v32
.LBB472_87:
	s_or_b64 exec, exec, s[44:45]
	v_bfe_u32 v30, v32, 16, 1
	v_add3_u32 v30, v32, v30, s46
	v_and_b32_e32 v30, 0xffff0000, v30
	v_cmp_o_f32_e32 vcc, v32, v32
	v_cndmask_b32_e32 v32, v31, v30, vcc
	v_mov_b32_e32 v30, 16
	v_lshlrev_b32_sdwa v103, v30, v12 dst_sel:DWORD dst_unused:UNUSED_PAD src0_sel:DWORD src1_sel:WORD_1
	v_max_f32_e32 v31, v32, v32
	v_max_f32_e32 v117, v103, v103
	v_min_f32_e32 v33, v31, v117
	v_cmp_u_f32_e32 vcc, v32, v32
	v_max_f32_e32 v31, v31, v117
	v_cndmask_b32_e32 v33, v33, v32, vcc
	v_cmp_u_f32_e64 s[44:45], v103, v103
	v_cndmask_b32_e32 v31, v31, v32, vcc
	v_cndmask_b32_e64 v33, v33, v103, s[44:45]
	v_cndmask_b32_e64 v31, v31, v103, s[44:45]
	s_movk_i32 s48, 0x1f8
	v_cmp_neq_f32_e32 vcc, v33, v31
	v_cmp_class_f32_e64 s[46:47], v33, s48
	s_or_b64 vcc, vcc, s[46:47]
	s_and_saveexec_b64 s[46:47], vcc
	s_cbranch_execz .LBB472_89
; %bb.88:
	v_sub_f32_e32 v32, v33, v31
	s_mov_b32 s49, 0x3fb8aa3b
	v_mul_f32_e32 v33, 0x3fb8aa3b, v32
	v_fma_f32 v34, v32, s49, -v33
	v_rndne_f32_e32 v35, v33
	v_fmac_f32_e32 v34, 0x32a5705f, v32
	v_sub_f32_e32 v33, v33, v35
	v_add_f32_e32 v33, v33, v34
	v_exp_f32_e32 v33, v33
	v_cvt_i32_f32_e32 v34, v35
	s_mov_b32 s49, 0xc2ce8ed0
	v_cmp_ngt_f32_e32 vcc, s49, v32
	s_mov_b32 s49, 0x42b17218
	v_ldexp_f32 v33, v33, v34
	v_cndmask_b32_e32 v33, 0, v33, vcc
	v_mov_b32_e32 v34, 0x7f800000
	v_cmp_nlt_f32_e32 vcc, s49, v32
	v_cndmask_b32_e32 v134, v34, v33, vcc
	v_add_f32_e32 v34, 1.0, v134
	v_add_f32_e32 v32, -1.0, v34
	v_sub_f32_e32 v33, v32, v34
	v_add_f32_e32 v33, 1.0, v33
	v_sub_f32_e32 v32, v134, v32
	v_add_f32_e32 v35, v32, v33
	v_frexp_mant_f32_e32 v36, v34
	s_mov_b32 s49, 0x3f2aaaab
	v_cvt_f64_f32_e32 v[32:33], v34
	v_frexp_exp_i32_f64_e32 v32, v[32:33]
	v_cmp_gt_f32_e32 vcc, s49, v36
	v_subbrev_co_u32_e32 v118, vcc, 0, v32, vcc
	v_sub_u32_e32 v32, 0, v118
	v_ldexp_f32 v33, v34, v32
	v_add_f32_e32 v34, -1.0, v33
	v_add_f32_e32 v36, 1.0, v33
	v_ldexp_f32 v32, v35, v32
	v_add_f32_e32 v35, 1.0, v34
	v_add_f32_e32 v37, -1.0, v36
	v_sub_f32_e32 v35, v33, v35
	v_sub_f32_e32 v33, v33, v37
	v_add_f32_e32 v35, v32, v35
	v_add_f32_e32 v32, v32, v33
	;; [unrolled: 1-line block ×3, first 2 shown]
	v_rcp_f32_e32 v129, v119
	v_sub_f32_e32 v33, v36, v119
	v_add_f32_e32 v128, v32, v33
	v_add_f32_e32 v33, v34, v35
	v_mul_f32_e32 v131, v33, v129
	v_sub_f32_e32 v32, v34, v33
	v_mul_f32_e32 v34, v119, v131
	v_fma_f32 v36, v131, v119, -v34
	v_fmac_f32_e32 v36, v131, v128
	v_add_f32_e32 v130, v35, v32
	v_add_f32_e32 v32, v34, v36
	v_sub_f32_e32 v35, v33, v32
	v_pk_add_f32 v[114:115], v[32:33], v[34:35] neg_lo:[0,1] neg_hi:[0,1]
	v_mov_b32_e32 v37, v32
	v_pk_add_f32 v[32:33], v[114:115], v[36:37] neg_lo:[0,1] neg_hi:[0,1]
	v_add_f32_e32 v33, v130, v33
	v_add_f32_e32 v32, v32, v33
	;; [unrolled: 1-line block ×3, first 2 shown]
	v_mul_f32_e32 v130, v129, v33
	v_mul_f32_e32 v34, v119, v130
	v_fma_f32 v36, v130, v119, -v34
	v_fmac_f32_e32 v36, v130, v128
	v_sub_f32_e32 v35, v35, v33
	v_add_f32_e32 v119, v32, v35
	v_add_f32_e32 v32, v34, v36
	v_sub_f32_e32 v35, v33, v32
	v_pk_add_f32 v[114:115], v[32:33], v[34:35] neg_lo:[0,1] neg_hi:[0,1]
	v_mov_b32_e32 v37, v32
	v_pk_add_f32 v[32:33], v[114:115], v[36:37] neg_lo:[0,1] neg_hi:[0,1]
	v_add_f32_e32 v33, v119, v33
	v_add_f32_e32 v32, v32, v33
	;; [unrolled: 1-line block ×4, first 2 shown]
	v_sub_f32_e32 v33, v35, v131
	v_mul_f32_e32 v32, v129, v32
	v_sub_f32_e32 v33, v130, v33
	v_add_f32_e32 v32, v33, v32
	v_add_f32_e32 v36, v35, v32
	v_mul_f32_e32 v114, v36, v36
	v_mov_b32_e32 v34, 0x3ecc95a3
	v_fmac_f32_e32 v34, 0x3e9b6dac, v114
	v_mov_b32_e32 v33, 0x3f2aaada
	v_fmac_f32_e32 v33, v114, v34
	v_cvt_f32_i32_e32 v34, v118
	v_sub_f32_e32 v35, v36, v35
	v_sub_f32_e32 v32, v32, v35
	v_ldexp_f32 v115, v32, 1
	v_mul_f32_e32 v35, v36, v114
	v_mov_b32_e32 v32, 0x3f317218
	s_mov_b32 s49, 0x3f317218
	v_pk_mul_f32 v[32:33], v[34:35], v[32:33]
	v_ldexp_f32 v37, v36, 1
	v_fma_f32 v36, v34, s49, -v32
	v_fmac_f32_e32 v36, 0xb102e308, v34
	v_pk_add_f32 v[34:35], v[32:33], v[36:37]
	v_sub_f32_e32 v37, v35, v37
	v_sub_f32_e32 v37, v33, v37
	v_add_f32_e32 v115, v115, v37
	v_mov_b32_e32 v114, v32
	v_pk_add_f32 v[32:33], v[34:35], v[32:33] neg_lo:[0,1] neg_hi:[0,1]
	v_pk_add_f32 v[118:119], v[34:35], v[114:115]
	v_mov_b32_e32 v33, v119
	v_mov_b32_e32 v37, v34
	v_pk_add_f32 v[128:129], v[36:37], v[32:33] neg_lo:[0,1] neg_hi:[0,1]
	v_pk_add_f32 v[32:33], v[36:37], v[32:33]
	v_mov_b32_e32 v36, v33
	v_pk_add_f32 v[130:131], v[36:37], v[34:35] neg_lo:[0,1] neg_hi:[0,1]
	v_mov_b32_e32 v37, v130
	v_pk_add_f32 v[132:133], v[118:119], v[36:37] neg_lo:[0,1] neg_hi:[0,1]
	v_mov_b32_e32 v32, v119
	v_mov_b32_e32 v118, v35
	;; [unrolled: 1-line block ×4, first 2 shown]
	v_pk_add_f32 v[32:33], v[32:33], v[118:119] neg_lo:[0,1] neg_hi:[0,1]
	v_mov_b32_e32 v114, v115
	v_mov_b32_e32 v115, v34
	v_pk_add_f32 v[32:33], v[114:115], v[32:33] neg_lo:[0,1] neg_hi:[0,1]
	v_mov_b32_e32 v132, v128
	v_pk_add_f32 v[34:35], v[132:133], v[32:33]
	v_mov_b32_e32 v114, v35
	v_pk_add_f32 v[114:115], v[34:35], v[114:115]
	v_pk_add_f32 v[36:37], v[36:37], v[114:115]
	v_mov_b32_e32 v35, v36
	v_pk_add_f32 v[118:119], v[34:35], v[128:129] neg_lo:[0,1] neg_hi:[0,1]
	v_mov_b32_e32 v33, v114
	v_sub_f32_e32 v34, v34, v118
	v_pk_add_f32 v[32:33], v[32:33], v[118:119] neg_lo:[0,1] neg_hi:[0,1]
	v_sub_f32_e32 v34, v128, v34
	s_mov_b32 s50, 0x7f800000
	v_add_f32_e32 v32, v32, v34
	s_mov_b32 s49, 0x33800000
	v_add_f32_e32 v32, v32, v33
	v_cmp_eq_f32_e32 vcc, s50, v134
	v_cmp_lt_f32_e64 s[50:51], |v134|, s49
	v_add_f32_e32 v32, v36, v32
	s_or_b64 vcc, vcc, s[50:51]
	v_cndmask_b32_e32 v32, v32, v134, vcc
	v_add_f32_e32 v32, v31, v32
.LBB472_89:
	s_or_b64 exec, exec, s[46:47]
	v_bfe_u32 v31, v32, 16, 1
	s_movk_i32 s50, 0x7fff
	v_add3_u32 v31, v32, v31, s50
	v_and_b32_e32 v33, 0xffff0000, v31
	v_mov_b32_e32 v31, 0x7fc00000
	v_cmp_o_f32_e32 vcc, v32, v32
	v_cndmask_b32_e32 v32, v31, v33, vcc
	v_lshlrev_b32_sdwa v114, v30, v13 dst_sel:DWORD dst_unused:UNUSED_PAD src0_sel:DWORD src1_sel:WORD_0
	v_max_f32_e32 v30, v32, v32
	v_max_f32_e32 v128, v114, v114
	v_min_f32_e32 v33, v30, v128
	v_cmp_u_f32_e32 vcc, v32, v32
	v_max_f32_e32 v30, v30, v128
	v_cndmask_b32_e32 v33, v33, v32, vcc
	v_cmp_u_f32_e64 s[46:47], v114, v114
	v_cndmask_b32_e32 v30, v30, v32, vcc
	v_cndmask_b32_e64 v33, v33, v114, s[46:47]
	v_cndmask_b32_e64 v30, v30, v114, s[46:47]
	v_cmp_neq_f32_e32 vcc, v33, v30
	v_cmp_class_f32_e64 s[48:49], v33, s48
	s_or_b64 vcc, vcc, s[48:49]
	s_and_saveexec_b64 s[48:49], vcc
	s_cbranch_execz .LBB472_91
; %bb.90:
	v_sub_f32_e32 v32, v33, v30
	s_mov_b32 s51, 0x3fb8aa3b
	v_mul_f32_e32 v33, 0x3fb8aa3b, v32
	v_fma_f32 v34, v32, s51, -v33
	v_rndne_f32_e32 v35, v33
	v_fmac_f32_e32 v34, 0x32a5705f, v32
	v_sub_f32_e32 v33, v33, v35
	v_add_f32_e32 v33, v33, v34
	v_exp_f32_e32 v33, v33
	v_cvt_i32_f32_e32 v34, v35
	s_mov_b32 s51, 0xc2ce8ed0
	v_cmp_ngt_f32_e32 vcc, s51, v32
	s_mov_b32 s51, 0x42b17218
	v_ldexp_f32 v33, v33, v34
	v_cndmask_b32_e32 v33, 0, v33, vcc
	v_mov_b32_e32 v34, 0x7f800000
	v_cmp_nlt_f32_e32 vcc, s51, v32
	v_cndmask_b32_e32 v115, v34, v33, vcc
	v_add_f32_e32 v34, 1.0, v115
	v_add_f32_e32 v32, -1.0, v34
	v_sub_f32_e32 v33, v32, v34
	v_add_f32_e32 v33, 1.0, v33
	v_sub_f32_e32 v32, v115, v32
	v_add_f32_e32 v35, v32, v33
	v_frexp_mant_f32_e32 v36, v34
	s_mov_b32 s51, 0x3f2aaaab
	v_cvt_f64_f32_e32 v[32:33], v34
	v_frexp_exp_i32_f64_e32 v32, v[32:33]
	v_cmp_gt_f32_e32 vcc, s51, v36
	v_subbrev_co_u32_e32 v129, vcc, 0, v32, vcc
	v_sub_u32_e32 v32, 0, v129
	v_ldexp_f32 v33, v34, v32
	v_add_f32_e32 v34, -1.0, v33
	v_add_f32_e32 v36, 1.0, v33
	v_ldexp_f32 v32, v35, v32
	v_add_f32_e32 v35, 1.0, v34
	v_add_f32_e32 v37, -1.0, v36
	v_sub_f32_e32 v35, v33, v35
	v_sub_f32_e32 v33, v33, v37
	v_add_f32_e32 v35, v32, v35
	v_add_f32_e32 v32, v32, v33
	;; [unrolled: 1-line block ×3, first 2 shown]
	v_rcp_f32_e32 v132, v130
	v_sub_f32_e32 v33, v36, v130
	v_add_f32_e32 v131, v32, v33
	v_add_f32_e32 v33, v34, v35
	v_mul_f32_e32 v134, v33, v132
	v_sub_f32_e32 v32, v34, v33
	v_mul_f32_e32 v34, v130, v134
	v_fma_f32 v36, v134, v130, -v34
	v_fmac_f32_e32 v36, v134, v131
	v_add_f32_e32 v133, v35, v32
	v_add_f32_e32 v32, v34, v36
	v_sub_f32_e32 v35, v33, v32
	v_pk_add_f32 v[118:119], v[32:33], v[34:35] neg_lo:[0,1] neg_hi:[0,1]
	v_mov_b32_e32 v37, v32
	v_pk_add_f32 v[32:33], v[118:119], v[36:37] neg_lo:[0,1] neg_hi:[0,1]
	v_add_f32_e32 v33, v133, v33
	v_add_f32_e32 v32, v32, v33
	;; [unrolled: 1-line block ×3, first 2 shown]
	v_mul_f32_e32 v133, v132, v33
	v_mul_f32_e32 v34, v130, v133
	v_fma_f32 v36, v133, v130, -v34
	v_fmac_f32_e32 v36, v133, v131
	v_sub_f32_e32 v35, v35, v33
	v_add_f32_e32 v130, v32, v35
	v_add_f32_e32 v32, v34, v36
	v_sub_f32_e32 v35, v33, v32
	v_pk_add_f32 v[118:119], v[32:33], v[34:35] neg_lo:[0,1] neg_hi:[0,1]
	v_mov_b32_e32 v37, v32
	v_pk_add_f32 v[32:33], v[118:119], v[36:37] neg_lo:[0,1] neg_hi:[0,1]
	v_add_f32_e32 v33, v130, v33
	v_add_f32_e32 v32, v32, v33
	;; [unrolled: 1-line block ×4, first 2 shown]
	v_sub_f32_e32 v33, v35, v134
	v_mul_f32_e32 v32, v132, v32
	v_sub_f32_e32 v33, v133, v33
	v_add_f32_e32 v32, v33, v32
	v_add_f32_e32 v36, v35, v32
	v_mul_f32_e32 v118, v36, v36
	v_mov_b32_e32 v34, 0x3ecc95a3
	v_fmac_f32_e32 v34, 0x3e9b6dac, v118
	v_mov_b32_e32 v33, 0x3f2aaada
	v_fmac_f32_e32 v33, v118, v34
	v_cvt_f32_i32_e32 v34, v129
	v_sub_f32_e32 v35, v36, v35
	v_sub_f32_e32 v32, v32, v35
	v_ldexp_f32 v119, v32, 1
	v_mul_f32_e32 v35, v36, v118
	v_mov_b32_e32 v32, 0x3f317218
	s_mov_b32 s51, 0x3f317218
	v_pk_mul_f32 v[32:33], v[34:35], v[32:33]
	v_ldexp_f32 v37, v36, 1
	v_fma_f32 v36, v34, s51, -v32
	v_fmac_f32_e32 v36, 0xb102e308, v34
	v_pk_add_f32 v[34:35], v[32:33], v[36:37]
	v_sub_f32_e32 v37, v35, v37
	v_sub_f32_e32 v37, v33, v37
	v_add_f32_e32 v119, v119, v37
	v_mov_b32_e32 v118, v32
	v_pk_add_f32 v[32:33], v[34:35], v[32:33] neg_lo:[0,1] neg_hi:[0,1]
	v_pk_add_f32 v[130:131], v[34:35], v[118:119]
	v_mov_b32_e32 v33, v131
	v_mov_b32_e32 v37, v34
	v_pk_add_f32 v[132:133], v[36:37], v[32:33] neg_lo:[0,1] neg_hi:[0,1]
	v_pk_add_f32 v[32:33], v[36:37], v[32:33]
	v_mov_b32_e32 v36, v33
	v_pk_add_f32 v[134:135], v[36:37], v[34:35] neg_lo:[0,1] neg_hi:[0,1]
	v_mov_b32_e32 v37, v134
	v_pk_add_f32 v[146:147], v[130:131], v[36:37] neg_lo:[0,1] neg_hi:[0,1]
	v_mov_b32_e32 v32, v131
	v_mov_b32_e32 v130, v35
	;; [unrolled: 1-line block ×4, first 2 shown]
	v_pk_add_f32 v[32:33], v[32:33], v[130:131] neg_lo:[0,1] neg_hi:[0,1]
	v_mov_b32_e32 v118, v119
	v_mov_b32_e32 v119, v34
	v_pk_add_f32 v[32:33], v[118:119], v[32:33] neg_lo:[0,1] neg_hi:[0,1]
	v_mov_b32_e32 v146, v132
	v_pk_add_f32 v[34:35], v[146:147], v[32:33]
	v_mov_b32_e32 v118, v35
	v_pk_add_f32 v[118:119], v[34:35], v[118:119]
	v_pk_add_f32 v[36:37], v[36:37], v[118:119]
	v_mov_b32_e32 v35, v36
	v_pk_add_f32 v[130:131], v[34:35], v[132:133] neg_lo:[0,1] neg_hi:[0,1]
	v_mov_b32_e32 v33, v118
	v_sub_f32_e32 v34, v34, v130
	v_pk_add_f32 v[32:33], v[32:33], v[130:131] neg_lo:[0,1] neg_hi:[0,1]
	v_sub_f32_e32 v34, v132, v34
	s_mov_b32 s52, 0x7f800000
	v_add_f32_e32 v32, v32, v34
	s_mov_b32 s51, 0x33800000
	v_add_f32_e32 v32, v32, v33
	v_cmp_eq_f32_e32 vcc, s52, v115
	v_cmp_lt_f32_e64 s[52:53], |v115|, s51
	v_add_f32_e32 v32, v36, v32
	s_or_b64 vcc, vcc, s[52:53]
	v_cndmask_b32_e32 v32, v32, v115, vcc
	v_add_f32_e32 v32, v30, v32
.LBB472_91:
	s_or_b64 exec, exec, s[48:49]
	v_bfe_u32 v30, v32, 16, 1
	v_add3_u32 v30, v32, v30, s50
	v_and_b32_e32 v30, 0xffff0000, v30
	v_cmp_o_f32_e32 vcc, v32, v32
	v_cndmask_b32_e32 v32, v31, v30, vcc
	v_mov_b32_e32 v30, 16
	v_lshlrev_b32_sdwa v115, v30, v13 dst_sel:DWORD dst_unused:UNUSED_PAD src0_sel:DWORD src1_sel:WORD_1
	v_max_f32_e32 v31, v32, v32
	v_max_f32_e32 v129, v115, v115
	v_min_f32_e32 v33, v31, v129
	v_cmp_u_f32_e32 vcc, v32, v32
	v_max_f32_e32 v31, v31, v129
	v_cndmask_b32_e32 v33, v33, v32, vcc
	v_cmp_u_f32_e64 s[48:49], v115, v115
	v_cndmask_b32_e32 v31, v31, v32, vcc
	v_cndmask_b32_e64 v33, v33, v115, s[48:49]
	v_cndmask_b32_e64 v31, v31, v115, s[48:49]
	s_movk_i32 s52, 0x1f8
	v_cmp_neq_f32_e32 vcc, v33, v31
	v_cmp_class_f32_e64 s[50:51], v33, s52
	s_or_b64 vcc, vcc, s[50:51]
	s_and_saveexec_b64 s[50:51], vcc
	s_cbranch_execz .LBB472_93
; %bb.92:
	v_sub_f32_e32 v32, v33, v31
	s_mov_b32 s53, 0x3fb8aa3b
	v_mul_f32_e32 v33, 0x3fb8aa3b, v32
	v_fma_f32 v34, v32, s53, -v33
	v_rndne_f32_e32 v35, v33
	v_fmac_f32_e32 v34, 0x32a5705f, v32
	v_sub_f32_e32 v33, v33, v35
	v_add_f32_e32 v33, v33, v34
	v_exp_f32_e32 v33, v33
	v_cvt_i32_f32_e32 v34, v35
	s_mov_b32 s53, 0xc2ce8ed0
	v_cmp_ngt_f32_e32 vcc, s53, v32
	s_mov_b32 s53, 0x42b17218
	v_ldexp_f32 v33, v33, v34
	v_cndmask_b32_e32 v33, 0, v33, vcc
	v_mov_b32_e32 v34, 0x7f800000
	v_cmp_nlt_f32_e32 vcc, s53, v32
	v_cndmask_b32_e32 v148, v34, v33, vcc
	v_add_f32_e32 v34, 1.0, v148
	v_add_f32_e32 v32, -1.0, v34
	v_sub_f32_e32 v33, v32, v34
	v_add_f32_e32 v33, 1.0, v33
	v_sub_f32_e32 v32, v148, v32
	v_add_f32_e32 v35, v32, v33
	v_frexp_mant_f32_e32 v36, v34
	s_mov_b32 s53, 0x3f2aaaab
	v_cvt_f64_f32_e32 v[32:33], v34
	v_frexp_exp_i32_f64_e32 v32, v[32:33]
	v_cmp_gt_f32_e32 vcc, s53, v36
	v_subbrev_co_u32_e32 v130, vcc, 0, v32, vcc
	v_sub_u32_e32 v32, 0, v130
	v_ldexp_f32 v33, v34, v32
	v_add_f32_e32 v34, -1.0, v33
	v_add_f32_e32 v36, 1.0, v33
	v_ldexp_f32 v32, v35, v32
	v_add_f32_e32 v35, 1.0, v34
	v_add_f32_e32 v37, -1.0, v36
	v_sub_f32_e32 v35, v33, v35
	v_sub_f32_e32 v33, v33, v37
	v_add_f32_e32 v35, v32, v35
	v_add_f32_e32 v32, v32, v33
	;; [unrolled: 1-line block ×3, first 2 shown]
	v_rcp_f32_e32 v133, v131
	v_sub_f32_e32 v33, v36, v131
	v_add_f32_e32 v132, v32, v33
	v_add_f32_e32 v33, v34, v35
	v_mul_f32_e32 v135, v33, v133
	v_sub_f32_e32 v32, v34, v33
	v_mul_f32_e32 v34, v131, v135
	v_fma_f32 v36, v135, v131, -v34
	v_fmac_f32_e32 v36, v135, v132
	v_add_f32_e32 v134, v35, v32
	v_add_f32_e32 v32, v34, v36
	v_sub_f32_e32 v35, v33, v32
	v_pk_add_f32 v[118:119], v[32:33], v[34:35] neg_lo:[0,1] neg_hi:[0,1]
	v_mov_b32_e32 v37, v32
	v_pk_add_f32 v[32:33], v[118:119], v[36:37] neg_lo:[0,1] neg_hi:[0,1]
	v_add_f32_e32 v33, v134, v33
	v_add_f32_e32 v32, v32, v33
	;; [unrolled: 1-line block ×3, first 2 shown]
	v_mul_f32_e32 v134, v133, v33
	v_mul_f32_e32 v34, v131, v134
	v_fma_f32 v36, v134, v131, -v34
	v_fmac_f32_e32 v36, v134, v132
	v_sub_f32_e32 v35, v35, v33
	v_add_f32_e32 v131, v32, v35
	v_add_f32_e32 v32, v34, v36
	v_sub_f32_e32 v35, v33, v32
	v_pk_add_f32 v[118:119], v[32:33], v[34:35] neg_lo:[0,1] neg_hi:[0,1]
	v_mov_b32_e32 v37, v32
	v_pk_add_f32 v[32:33], v[118:119], v[36:37] neg_lo:[0,1] neg_hi:[0,1]
	v_add_f32_e32 v33, v131, v33
	v_add_f32_e32 v32, v32, v33
	v_add_f32_e32 v32, v35, v32
	v_add_f32_e32 v35, v135, v134
	v_sub_f32_e32 v33, v35, v135
	v_mul_f32_e32 v32, v133, v32
	v_sub_f32_e32 v33, v134, v33
	v_add_f32_e32 v32, v33, v32
	v_add_f32_e32 v36, v35, v32
	v_mul_f32_e32 v118, v36, v36
	v_mov_b32_e32 v34, 0x3ecc95a3
	v_fmac_f32_e32 v34, 0x3e9b6dac, v118
	v_mov_b32_e32 v33, 0x3f2aaada
	v_fmac_f32_e32 v33, v118, v34
	v_cvt_f32_i32_e32 v34, v130
	v_sub_f32_e32 v35, v36, v35
	v_sub_f32_e32 v32, v32, v35
	v_ldexp_f32 v119, v32, 1
	v_mul_f32_e32 v35, v36, v118
	v_mov_b32_e32 v32, 0x3f317218
	s_mov_b32 s53, 0x3f317218
	v_pk_mul_f32 v[32:33], v[34:35], v[32:33]
	v_ldexp_f32 v37, v36, 1
	v_fma_f32 v36, v34, s53, -v32
	v_fmac_f32_e32 v36, 0xb102e308, v34
	v_pk_add_f32 v[34:35], v[32:33], v[36:37]
	v_sub_f32_e32 v37, v35, v37
	v_sub_f32_e32 v37, v33, v37
	v_add_f32_e32 v119, v119, v37
	v_mov_b32_e32 v118, v32
	v_pk_add_f32 v[32:33], v[34:35], v[32:33] neg_lo:[0,1] neg_hi:[0,1]
	v_pk_add_f32 v[130:131], v[34:35], v[118:119]
	v_mov_b32_e32 v33, v131
	v_mov_b32_e32 v37, v34
	v_pk_add_f32 v[132:133], v[36:37], v[32:33] neg_lo:[0,1] neg_hi:[0,1]
	v_pk_add_f32 v[32:33], v[36:37], v[32:33]
	v_mov_b32_e32 v36, v33
	v_pk_add_f32 v[134:135], v[36:37], v[34:35] neg_lo:[0,1] neg_hi:[0,1]
	v_mov_b32_e32 v37, v134
	v_pk_add_f32 v[146:147], v[130:131], v[36:37] neg_lo:[0,1] neg_hi:[0,1]
	v_mov_b32_e32 v32, v131
	v_mov_b32_e32 v130, v35
	;; [unrolled: 1-line block ×4, first 2 shown]
	v_pk_add_f32 v[32:33], v[32:33], v[130:131] neg_lo:[0,1] neg_hi:[0,1]
	v_mov_b32_e32 v118, v119
	v_mov_b32_e32 v119, v34
	v_pk_add_f32 v[32:33], v[118:119], v[32:33] neg_lo:[0,1] neg_hi:[0,1]
	v_mov_b32_e32 v146, v132
	v_pk_add_f32 v[34:35], v[146:147], v[32:33]
	v_mov_b32_e32 v118, v35
	v_pk_add_f32 v[118:119], v[34:35], v[118:119]
	v_pk_add_f32 v[36:37], v[36:37], v[118:119]
	v_mov_b32_e32 v35, v36
	v_pk_add_f32 v[130:131], v[34:35], v[132:133] neg_lo:[0,1] neg_hi:[0,1]
	v_mov_b32_e32 v33, v118
	v_sub_f32_e32 v34, v34, v130
	v_pk_add_f32 v[32:33], v[32:33], v[130:131] neg_lo:[0,1] neg_hi:[0,1]
	v_sub_f32_e32 v34, v132, v34
	s_mov_b32 s54, 0x7f800000
	v_add_f32_e32 v32, v32, v34
	s_mov_b32 s53, 0x33800000
	v_add_f32_e32 v32, v32, v33
	v_cmp_eq_f32_e32 vcc, s54, v148
	v_cmp_lt_f32_e64 s[54:55], |v148|, s53
	v_add_f32_e32 v32, v36, v32
	s_or_b64 vcc, vcc, s[54:55]
	v_cndmask_b32_e32 v32, v32, v148, vcc
	v_add_f32_e32 v32, v31, v32
.LBB472_93:
	s_or_b64 exec, exec, s[50:51]
	v_bfe_u32 v31, v32, 16, 1
	s_movk_i32 s54, 0x7fff
	v_add3_u32 v31, v32, v31, s54
	v_and_b32_e32 v33, 0xffff0000, v31
	v_mov_b32_e32 v31, 0x7fc00000
	v_cmp_o_f32_e32 vcc, v32, v32
	v_cndmask_b32_e32 v32, v31, v33, vcc
	v_lshlrev_b32_sdwa v118, v30, v14 dst_sel:DWORD dst_unused:UNUSED_PAD src0_sel:DWORD src1_sel:WORD_0
	v_max_f32_e32 v30, v32, v32
	v_max_f32_e32 v132, v118, v118
	v_min_f32_e32 v33, v30, v132
	v_cmp_u_f32_e32 vcc, v32, v32
	v_max_f32_e32 v30, v30, v132
	v_cndmask_b32_e32 v33, v33, v32, vcc
	v_cmp_u_f32_e64 s[50:51], v118, v118
	v_cndmask_b32_e32 v30, v30, v32, vcc
	v_cndmask_b32_e64 v33, v33, v118, s[50:51]
	v_cndmask_b32_e64 v30, v30, v118, s[50:51]
	v_cmp_neq_f32_e32 vcc, v33, v30
	v_cmp_class_f32_e64 s[52:53], v33, s52
	s_or_b64 vcc, vcc, s[52:53]
	s_and_saveexec_b64 s[52:53], vcc
	s_cbranch_execz .LBB472_95
; %bb.94:
	v_sub_f32_e32 v32, v33, v30
	s_mov_b32 s55, 0x3fb8aa3b
	v_mul_f32_e32 v33, 0x3fb8aa3b, v32
	v_fma_f32 v34, v32, s55, -v33
	v_rndne_f32_e32 v35, v33
	v_fmac_f32_e32 v34, 0x32a5705f, v32
	v_sub_f32_e32 v33, v33, v35
	v_add_f32_e32 v33, v33, v34
	v_exp_f32_e32 v33, v33
	v_cvt_i32_f32_e32 v34, v35
	s_mov_b32 s55, 0xc2ce8ed0
	v_cmp_ngt_f32_e32 vcc, s55, v32
	s_mov_b32 s55, 0x42b17218
	v_ldexp_f32 v33, v33, v34
	v_cndmask_b32_e32 v33, 0, v33, vcc
	v_mov_b32_e32 v34, 0x7f800000
	v_cmp_nlt_f32_e32 vcc, s55, v32
	v_cndmask_b32_e32 v119, v34, v33, vcc
	v_add_f32_e32 v34, 1.0, v119
	v_add_f32_e32 v32, -1.0, v34
	v_sub_f32_e32 v33, v32, v34
	v_add_f32_e32 v33, 1.0, v33
	v_sub_f32_e32 v32, v119, v32
	v_add_f32_e32 v35, v32, v33
	v_frexp_mant_f32_e32 v36, v34
	s_mov_b32 s55, 0x3f2aaaab
	v_cvt_f64_f32_e32 v[32:33], v34
	v_frexp_exp_i32_f64_e32 v32, v[32:33]
	v_cmp_gt_f32_e32 vcc, s55, v36
	v_subbrev_co_u32_e32 v133, vcc, 0, v32, vcc
	v_sub_u32_e32 v32, 0, v133
	v_ldexp_f32 v33, v34, v32
	v_add_f32_e32 v34, -1.0, v33
	v_add_f32_e32 v36, 1.0, v33
	v_ldexp_f32 v32, v35, v32
	v_add_f32_e32 v35, 1.0, v34
	v_add_f32_e32 v37, -1.0, v36
	v_sub_f32_e32 v35, v33, v35
	v_sub_f32_e32 v33, v33, v37
	v_add_f32_e32 v35, v32, v35
	v_add_f32_e32 v32, v32, v33
	;; [unrolled: 1-line block ×3, first 2 shown]
	v_rcp_f32_e32 v146, v134
	v_sub_f32_e32 v33, v36, v134
	v_add_f32_e32 v135, v32, v33
	v_add_f32_e32 v33, v34, v35
	v_mul_f32_e32 v148, v33, v146
	v_sub_f32_e32 v32, v34, v33
	v_mul_f32_e32 v34, v134, v148
	v_fma_f32 v36, v148, v134, -v34
	v_fmac_f32_e32 v36, v148, v135
	v_add_f32_e32 v147, v35, v32
	v_add_f32_e32 v32, v34, v36
	v_sub_f32_e32 v35, v33, v32
	v_pk_add_f32 v[130:131], v[32:33], v[34:35] neg_lo:[0,1] neg_hi:[0,1]
	v_mov_b32_e32 v37, v32
	v_pk_add_f32 v[32:33], v[130:131], v[36:37] neg_lo:[0,1] neg_hi:[0,1]
	v_add_f32_e32 v33, v147, v33
	v_add_f32_e32 v32, v32, v33
	;; [unrolled: 1-line block ×3, first 2 shown]
	v_mul_f32_e32 v147, v146, v33
	v_mul_f32_e32 v34, v134, v147
	v_fma_f32 v36, v147, v134, -v34
	v_fmac_f32_e32 v36, v147, v135
	v_sub_f32_e32 v35, v35, v33
	v_add_f32_e32 v134, v32, v35
	v_add_f32_e32 v32, v34, v36
	v_sub_f32_e32 v35, v33, v32
	v_pk_add_f32 v[130:131], v[32:33], v[34:35] neg_lo:[0,1] neg_hi:[0,1]
	v_mov_b32_e32 v37, v32
	v_pk_add_f32 v[32:33], v[130:131], v[36:37] neg_lo:[0,1] neg_hi:[0,1]
	v_add_f32_e32 v33, v134, v33
	v_add_f32_e32 v32, v32, v33
	v_add_f32_e32 v32, v35, v32
	v_add_f32_e32 v35, v148, v147
	v_sub_f32_e32 v33, v35, v148
	v_mul_f32_e32 v32, v146, v32
	v_sub_f32_e32 v33, v147, v33
	v_add_f32_e32 v32, v33, v32
	v_add_f32_e32 v36, v35, v32
	v_mul_f32_e32 v130, v36, v36
	v_mov_b32_e32 v34, 0x3ecc95a3
	v_fmac_f32_e32 v34, 0x3e9b6dac, v130
	v_mov_b32_e32 v33, 0x3f2aaada
	v_fmac_f32_e32 v33, v130, v34
	v_cvt_f32_i32_e32 v34, v133
	v_sub_f32_e32 v35, v36, v35
	v_sub_f32_e32 v32, v32, v35
	v_ldexp_f32 v131, v32, 1
	v_mul_f32_e32 v35, v36, v130
	v_mov_b32_e32 v32, 0x3f317218
	s_mov_b32 s55, 0x3f317218
	v_pk_mul_f32 v[32:33], v[34:35], v[32:33]
	v_ldexp_f32 v37, v36, 1
	v_fma_f32 v36, v34, s55, -v32
	v_fmac_f32_e32 v36, 0xb102e308, v34
	v_pk_add_f32 v[34:35], v[32:33], v[36:37]
	v_sub_f32_e32 v37, v35, v37
	v_sub_f32_e32 v37, v33, v37
	v_add_f32_e32 v131, v131, v37
	v_mov_b32_e32 v130, v32
	v_pk_add_f32 v[32:33], v[34:35], v[32:33] neg_lo:[0,1] neg_hi:[0,1]
	v_pk_add_f32 v[134:135], v[34:35], v[130:131]
	v_mov_b32_e32 v33, v135
	v_mov_b32_e32 v37, v34
	v_pk_add_f32 v[146:147], v[36:37], v[32:33] neg_lo:[0,1] neg_hi:[0,1]
	v_pk_add_f32 v[32:33], v[36:37], v[32:33]
	v_mov_b32_e32 v36, v33
	v_pk_add_f32 v[148:149], v[36:37], v[34:35] neg_lo:[0,1] neg_hi:[0,1]
	v_mov_b32_e32 v37, v148
	v_pk_add_f32 v[150:151], v[134:135], v[36:37] neg_lo:[0,1] neg_hi:[0,1]
	v_mov_b32_e32 v32, v135
	v_mov_b32_e32 v134, v35
	v_mov_b32_e32 v135, v148
	v_mov_b32_e32 v147, v33
	v_pk_add_f32 v[32:33], v[32:33], v[134:135] neg_lo:[0,1] neg_hi:[0,1]
	v_mov_b32_e32 v130, v131
	v_mov_b32_e32 v131, v34
	v_pk_add_f32 v[32:33], v[130:131], v[32:33] neg_lo:[0,1] neg_hi:[0,1]
	v_mov_b32_e32 v150, v146
	v_pk_add_f32 v[34:35], v[150:151], v[32:33]
	v_mov_b32_e32 v130, v35
	v_pk_add_f32 v[130:131], v[34:35], v[130:131]
	v_pk_add_f32 v[36:37], v[36:37], v[130:131]
	v_mov_b32_e32 v35, v36
	v_pk_add_f32 v[134:135], v[34:35], v[146:147] neg_lo:[0,1] neg_hi:[0,1]
	v_mov_b32_e32 v33, v130
	v_sub_f32_e32 v34, v34, v134
	v_pk_add_f32 v[32:33], v[32:33], v[134:135] neg_lo:[0,1] neg_hi:[0,1]
	v_sub_f32_e32 v34, v146, v34
	s_mov_b32 s56, 0x7f800000
	v_add_f32_e32 v32, v32, v34
	s_mov_b32 s55, 0x33800000
	v_add_f32_e32 v32, v32, v33
	v_cmp_eq_f32_e32 vcc, s56, v119
	v_cmp_lt_f32_e64 s[56:57], |v119|, s55
	v_add_f32_e32 v32, v36, v32
	s_or_b64 vcc, vcc, s[56:57]
	v_cndmask_b32_e32 v32, v32, v119, vcc
	v_add_f32_e32 v32, v30, v32
.LBB472_95:
	s_or_b64 exec, exec, s[52:53]
	v_bfe_u32 v30, v32, 16, 1
	v_add3_u32 v30, v32, v30, s54
	v_and_b32_e32 v30, 0xffff0000, v30
	v_cmp_o_f32_e32 vcc, v32, v32
	v_cndmask_b32_e32 v32, v31, v30, vcc
	v_mov_b32_e32 v30, 16
	v_lshlrev_b32_sdwa v119, v30, v14 dst_sel:DWORD dst_unused:UNUSED_PAD src0_sel:DWORD src1_sel:WORD_1
	v_max_f32_e32 v31, v32, v32
	v_max_f32_e32 v133, v119, v119
	v_min_f32_e32 v33, v31, v133
	v_cmp_u_f32_e32 vcc, v32, v32
	v_max_f32_e32 v31, v31, v133
	v_cndmask_b32_e32 v33, v33, v32, vcc
	v_cmp_u_f32_e64 s[52:53], v119, v119
	v_cndmask_b32_e32 v31, v31, v32, vcc
	v_cndmask_b32_e64 v33, v33, v119, s[52:53]
	v_cndmask_b32_e64 v31, v31, v119, s[52:53]
	s_movk_i32 s56, 0x1f8
	v_cmp_neq_f32_e32 vcc, v33, v31
	v_cmp_class_f32_e64 s[54:55], v33, s56
	s_or_b64 vcc, vcc, s[54:55]
	s_and_saveexec_b64 s[54:55], vcc
	s_cbranch_execz .LBB472_97
; %bb.96:
	v_sub_f32_e32 v32, v33, v31
	s_mov_b32 s57, 0x3fb8aa3b
	v_mul_f32_e32 v33, 0x3fb8aa3b, v32
	v_fma_f32 v34, v32, s57, -v33
	v_rndne_f32_e32 v35, v33
	v_fmac_f32_e32 v34, 0x32a5705f, v32
	v_sub_f32_e32 v33, v33, v35
	v_add_f32_e32 v33, v33, v34
	v_exp_f32_e32 v33, v33
	v_cvt_i32_f32_e32 v34, v35
	s_mov_b32 s57, 0xc2ce8ed0
	v_cmp_ngt_f32_e32 vcc, s57, v32
	s_mov_b32 s57, 0x42b17218
	v_ldexp_f32 v33, v33, v34
	v_cndmask_b32_e32 v33, 0, v33, vcc
	v_mov_b32_e32 v34, 0x7f800000
	v_cmp_nlt_f32_e32 vcc, s57, v32
	v_cndmask_b32_e32 v160, v34, v33, vcc
	v_add_f32_e32 v34, 1.0, v160
	v_add_f32_e32 v32, -1.0, v34
	v_sub_f32_e32 v33, v32, v34
	v_add_f32_e32 v33, 1.0, v33
	v_sub_f32_e32 v32, v160, v32
	v_add_f32_e32 v35, v32, v33
	v_frexp_mant_f32_e32 v36, v34
	s_mov_b32 s57, 0x3f2aaaab
	v_cvt_f64_f32_e32 v[32:33], v34
	v_frexp_exp_i32_f64_e32 v32, v[32:33]
	v_cmp_gt_f32_e32 vcc, s57, v36
	v_subbrev_co_u32_e32 v134, vcc, 0, v32, vcc
	v_sub_u32_e32 v32, 0, v134
	v_ldexp_f32 v33, v34, v32
	v_add_f32_e32 v34, -1.0, v33
	v_add_f32_e32 v36, 1.0, v33
	v_ldexp_f32 v32, v35, v32
	v_add_f32_e32 v35, 1.0, v34
	v_add_f32_e32 v37, -1.0, v36
	v_sub_f32_e32 v35, v33, v35
	v_sub_f32_e32 v33, v33, v37
	v_add_f32_e32 v35, v32, v35
	v_add_f32_e32 v32, v32, v33
	;; [unrolled: 1-line block ×3, first 2 shown]
	v_rcp_f32_e32 v147, v135
	v_sub_f32_e32 v33, v36, v135
	v_add_f32_e32 v146, v32, v33
	v_add_f32_e32 v33, v34, v35
	v_mul_f32_e32 v149, v33, v147
	v_sub_f32_e32 v32, v34, v33
	v_mul_f32_e32 v34, v135, v149
	v_fma_f32 v36, v149, v135, -v34
	v_fmac_f32_e32 v36, v149, v146
	v_add_f32_e32 v148, v35, v32
	v_add_f32_e32 v32, v34, v36
	v_sub_f32_e32 v35, v33, v32
	v_pk_add_f32 v[130:131], v[32:33], v[34:35] neg_lo:[0,1] neg_hi:[0,1]
	v_mov_b32_e32 v37, v32
	v_pk_add_f32 v[32:33], v[130:131], v[36:37] neg_lo:[0,1] neg_hi:[0,1]
	v_add_f32_e32 v33, v148, v33
	v_add_f32_e32 v32, v32, v33
	;; [unrolled: 1-line block ×3, first 2 shown]
	v_mul_f32_e32 v148, v147, v33
	v_mul_f32_e32 v34, v135, v148
	v_fma_f32 v36, v148, v135, -v34
	v_fmac_f32_e32 v36, v148, v146
	v_sub_f32_e32 v35, v35, v33
	v_add_f32_e32 v135, v32, v35
	v_add_f32_e32 v32, v34, v36
	v_sub_f32_e32 v35, v33, v32
	v_pk_add_f32 v[130:131], v[32:33], v[34:35] neg_lo:[0,1] neg_hi:[0,1]
	v_mov_b32_e32 v37, v32
	v_pk_add_f32 v[32:33], v[130:131], v[36:37] neg_lo:[0,1] neg_hi:[0,1]
	v_add_f32_e32 v33, v135, v33
	v_add_f32_e32 v32, v32, v33
	;; [unrolled: 1-line block ×4, first 2 shown]
	v_sub_f32_e32 v33, v35, v149
	v_mul_f32_e32 v32, v147, v32
	v_sub_f32_e32 v33, v148, v33
	v_add_f32_e32 v32, v33, v32
	v_add_f32_e32 v36, v35, v32
	v_mul_f32_e32 v130, v36, v36
	v_mov_b32_e32 v34, 0x3ecc95a3
	v_fmac_f32_e32 v34, 0x3e9b6dac, v130
	v_mov_b32_e32 v33, 0x3f2aaada
	v_fmac_f32_e32 v33, v130, v34
	v_cvt_f32_i32_e32 v34, v134
	v_sub_f32_e32 v35, v36, v35
	v_sub_f32_e32 v32, v32, v35
	v_ldexp_f32 v131, v32, 1
	v_mul_f32_e32 v35, v36, v130
	v_mov_b32_e32 v32, 0x3f317218
	s_mov_b32 s57, 0x3f317218
	v_pk_mul_f32 v[32:33], v[34:35], v[32:33]
	v_ldexp_f32 v37, v36, 1
	v_fma_f32 v36, v34, s57, -v32
	v_fmac_f32_e32 v36, 0xb102e308, v34
	v_pk_add_f32 v[34:35], v[32:33], v[36:37]
	v_sub_f32_e32 v37, v35, v37
	v_sub_f32_e32 v37, v33, v37
	v_add_f32_e32 v131, v131, v37
	v_mov_b32_e32 v130, v32
	v_pk_add_f32 v[32:33], v[34:35], v[32:33] neg_lo:[0,1] neg_hi:[0,1]
	v_pk_add_f32 v[134:135], v[34:35], v[130:131]
	v_mov_b32_e32 v33, v135
	v_mov_b32_e32 v37, v34
	v_pk_add_f32 v[146:147], v[36:37], v[32:33] neg_lo:[0,1] neg_hi:[0,1]
	v_pk_add_f32 v[32:33], v[36:37], v[32:33]
	v_mov_b32_e32 v36, v33
	v_pk_add_f32 v[148:149], v[36:37], v[34:35] neg_lo:[0,1] neg_hi:[0,1]
	v_mov_b32_e32 v37, v148
	v_pk_add_f32 v[150:151], v[134:135], v[36:37] neg_lo:[0,1] neg_hi:[0,1]
	v_mov_b32_e32 v32, v135
	v_mov_b32_e32 v134, v35
	v_mov_b32_e32 v135, v148
	v_mov_b32_e32 v147, v33
	v_pk_add_f32 v[32:33], v[32:33], v[134:135] neg_lo:[0,1] neg_hi:[0,1]
	v_mov_b32_e32 v130, v131
	v_mov_b32_e32 v131, v34
	v_pk_add_f32 v[32:33], v[130:131], v[32:33] neg_lo:[0,1] neg_hi:[0,1]
	v_mov_b32_e32 v150, v146
	v_pk_add_f32 v[34:35], v[150:151], v[32:33]
	v_mov_b32_e32 v130, v35
	v_pk_add_f32 v[130:131], v[34:35], v[130:131]
	v_pk_add_f32 v[36:37], v[36:37], v[130:131]
	v_mov_b32_e32 v35, v36
	v_pk_add_f32 v[134:135], v[34:35], v[146:147] neg_lo:[0,1] neg_hi:[0,1]
	v_mov_b32_e32 v33, v130
	v_sub_f32_e32 v34, v34, v134
	v_pk_add_f32 v[32:33], v[32:33], v[134:135] neg_lo:[0,1] neg_hi:[0,1]
	v_sub_f32_e32 v34, v146, v34
	s_mov_b32 s60, 0x7f800000
	v_add_f32_e32 v32, v32, v34
	s_mov_b32 s57, 0x33800000
	v_add_f32_e32 v32, v32, v33
	v_cmp_eq_f32_e32 vcc, s60, v160
	v_cmp_lt_f32_e64 s[60:61], |v160|, s57
	v_add_f32_e32 v32, v36, v32
	s_or_b64 vcc, vcc, s[60:61]
	v_cndmask_b32_e32 v32, v32, v160, vcc
	v_add_f32_e32 v32, v31, v32
.LBB472_97:
	s_or_b64 exec, exec, s[54:55]
	v_bfe_u32 v31, v32, 16, 1
	s_movk_i32 s60, 0x7fff
	v_add3_u32 v31, v32, v31, s60
	v_and_b32_e32 v33, 0xffff0000, v31
	v_mov_b32_e32 v31, 0x7fc00000
	v_cmp_o_f32_e32 vcc, v32, v32
	v_cndmask_b32_e32 v32, v31, v33, vcc
	v_lshlrev_b32_sdwa v130, v30, v15 dst_sel:DWORD dst_unused:UNUSED_PAD src0_sel:DWORD src1_sel:WORD_0
	v_max_f32_e32 v30, v32, v32
	v_max_f32_e32 v134, v130, v130
	v_min_f32_e32 v33, v30, v134
	v_cmp_u_f32_e32 vcc, v32, v32
	v_max_f32_e32 v30, v30, v134
	v_cndmask_b32_e32 v33, v33, v32, vcc
	v_cmp_u_f32_e64 s[54:55], v130, v130
	v_cndmask_b32_e32 v30, v30, v32, vcc
	v_cndmask_b32_e64 v33, v33, v130, s[54:55]
	v_cndmask_b32_e64 v30, v30, v130, s[54:55]
	v_cmp_neq_f32_e32 vcc, v33, v30
	v_cmp_class_f32_e64 s[56:57], v33, s56
	s_or_b64 vcc, vcc, s[56:57]
	s_and_saveexec_b64 s[56:57], vcc
	s_cbranch_execz .LBB472_99
; %bb.98:
	v_sub_f32_e32 v32, v33, v30
	s_mov_b32 s61, 0x3fb8aa3b
	v_mul_f32_e32 v33, 0x3fb8aa3b, v32
	v_fma_f32 v34, v32, s61, -v33
	v_rndne_f32_e32 v35, v33
	v_fmac_f32_e32 v34, 0x32a5705f, v32
	v_sub_f32_e32 v33, v33, v35
	v_add_f32_e32 v33, v33, v34
	v_exp_f32_e32 v33, v33
	v_cvt_i32_f32_e32 v34, v35
	s_mov_b32 s61, 0xc2ce8ed0
	v_cmp_ngt_f32_e32 vcc, s61, v32
	s_mov_b32 s61, 0x42b17218
	v_ldexp_f32 v33, v33, v34
	v_cndmask_b32_e32 v33, 0, v33, vcc
	v_mov_b32_e32 v34, 0x7f800000
	v_cmp_nlt_f32_e32 vcc, s61, v32
	v_cndmask_b32_e32 v131, v34, v33, vcc
	v_add_f32_e32 v34, 1.0, v131
	v_add_f32_e32 v32, -1.0, v34
	v_sub_f32_e32 v33, v32, v34
	v_add_f32_e32 v33, 1.0, v33
	v_sub_f32_e32 v32, v131, v32
	v_add_f32_e32 v35, v32, v33
	v_frexp_mant_f32_e32 v36, v34
	s_mov_b32 s61, 0x3f2aaaab
	v_cvt_f64_f32_e32 v[32:33], v34
	v_frexp_exp_i32_f64_e32 v32, v[32:33]
	v_cmp_gt_f32_e32 vcc, s61, v36
	v_subbrev_co_u32_e32 v135, vcc, 0, v32, vcc
	v_sub_u32_e32 v32, 0, v135
	v_ldexp_f32 v33, v34, v32
	v_add_f32_e32 v34, -1.0, v33
	v_add_f32_e32 v36, 1.0, v33
	v_ldexp_f32 v32, v35, v32
	v_add_f32_e32 v35, 1.0, v34
	v_add_f32_e32 v37, -1.0, v36
	v_sub_f32_e32 v35, v33, v35
	v_sub_f32_e32 v33, v33, v37
	v_add_f32_e32 v35, v32, v35
	v_add_f32_e32 v32, v32, v33
	;; [unrolled: 1-line block ×3, first 2 shown]
	v_rcp_f32_e32 v150, v148
	v_sub_f32_e32 v33, v36, v148
	v_add_f32_e32 v149, v32, v33
	v_add_f32_e32 v33, v34, v35
	v_mul_f32_e32 v160, v33, v150
	v_sub_f32_e32 v32, v34, v33
	v_mul_f32_e32 v34, v148, v160
	v_fma_f32 v36, v160, v148, -v34
	v_fmac_f32_e32 v36, v160, v149
	v_add_f32_e32 v151, v35, v32
	v_add_f32_e32 v32, v34, v36
	v_sub_f32_e32 v35, v33, v32
	v_pk_add_f32 v[146:147], v[32:33], v[34:35] neg_lo:[0,1] neg_hi:[0,1]
	v_mov_b32_e32 v37, v32
	v_pk_add_f32 v[32:33], v[146:147], v[36:37] neg_lo:[0,1] neg_hi:[0,1]
	v_add_f32_e32 v33, v151, v33
	v_add_f32_e32 v32, v32, v33
	;; [unrolled: 1-line block ×3, first 2 shown]
	v_mul_f32_e32 v151, v150, v33
	v_mul_f32_e32 v34, v148, v151
	v_fma_f32 v36, v151, v148, -v34
	v_fmac_f32_e32 v36, v151, v149
	v_sub_f32_e32 v35, v35, v33
	v_add_f32_e32 v148, v32, v35
	v_add_f32_e32 v32, v34, v36
	v_sub_f32_e32 v35, v33, v32
	v_pk_add_f32 v[146:147], v[32:33], v[34:35] neg_lo:[0,1] neg_hi:[0,1]
	v_mov_b32_e32 v37, v32
	v_pk_add_f32 v[32:33], v[146:147], v[36:37] neg_lo:[0,1] neg_hi:[0,1]
	v_add_f32_e32 v33, v148, v33
	v_add_f32_e32 v32, v32, v33
	;; [unrolled: 1-line block ×4, first 2 shown]
	v_sub_f32_e32 v33, v35, v160
	v_mul_f32_e32 v32, v150, v32
	v_sub_f32_e32 v33, v151, v33
	v_add_f32_e32 v32, v33, v32
	v_add_f32_e32 v36, v35, v32
	v_mul_f32_e32 v146, v36, v36
	v_mov_b32_e32 v34, 0x3ecc95a3
	v_fmac_f32_e32 v34, 0x3e9b6dac, v146
	v_mov_b32_e32 v33, 0x3f2aaada
	v_fmac_f32_e32 v33, v146, v34
	v_cvt_f32_i32_e32 v34, v135
	v_sub_f32_e32 v35, v36, v35
	v_sub_f32_e32 v32, v32, v35
	v_ldexp_f32 v135, v32, 1
	v_mul_f32_e32 v35, v36, v146
	v_mov_b32_e32 v32, 0x3f317218
	s_mov_b32 s61, 0x3f317218
	v_pk_mul_f32 v[32:33], v[34:35], v[32:33]
	v_ldexp_f32 v37, v36, 1
	v_fma_f32 v36, v34, s61, -v32
	v_fmac_f32_e32 v36, 0xb102e308, v34
	v_pk_add_f32 v[34:35], v[32:33], v[36:37]
	v_sub_f32_e32 v37, v35, v37
	v_sub_f32_e32 v37, v33, v37
	v_add_f32_e32 v147, v135, v37
	v_mov_b32_e32 v146, v32
	v_pk_add_f32 v[32:33], v[34:35], v[32:33] neg_lo:[0,1] neg_hi:[0,1]
	v_pk_add_f32 v[148:149], v[34:35], v[146:147]
	v_mov_b32_e32 v33, v149
	v_mov_b32_e32 v37, v34
	v_pk_add_f32 v[150:151], v[36:37], v[32:33] neg_lo:[0,1] neg_hi:[0,1]
	v_pk_add_f32 v[32:33], v[36:37], v[32:33]
	v_mov_b32_e32 v36, v33
	v_pk_add_f32 v[160:161], v[36:37], v[34:35] neg_lo:[0,1] neg_hi:[0,1]
	v_mov_b32_e32 v37, v160
	v_pk_add_f32 v[162:163], v[148:149], v[36:37] neg_lo:[0,1] neg_hi:[0,1]
	v_mov_b32_e32 v32, v149
	v_mov_b32_e32 v148, v35
	;; [unrolled: 1-line block ×4, first 2 shown]
	v_pk_add_f32 v[32:33], v[32:33], v[148:149] neg_lo:[0,1] neg_hi:[0,1]
	v_mov_b32_e32 v146, v147
	v_mov_b32_e32 v147, v34
	v_pk_add_f32 v[32:33], v[146:147], v[32:33] neg_lo:[0,1] neg_hi:[0,1]
	v_mov_b32_e32 v162, v150
	v_pk_add_f32 v[34:35], v[162:163], v[32:33]
	v_mov_b32_e32 v146, v35
	v_pk_add_f32 v[146:147], v[34:35], v[146:147]
	v_pk_add_f32 v[36:37], v[36:37], v[146:147]
	v_mov_b32_e32 v35, v36
	v_pk_add_f32 v[148:149], v[34:35], v[150:151] neg_lo:[0,1] neg_hi:[0,1]
	v_mov_b32_e32 v33, v146
	v_sub_f32_e32 v34, v34, v148
	v_pk_add_f32 v[32:33], v[32:33], v[148:149] neg_lo:[0,1] neg_hi:[0,1]
	v_sub_f32_e32 v34, v150, v34
	s_mov_b32 s62, 0x7f800000
	v_add_f32_e32 v32, v32, v34
	s_mov_b32 s61, 0x33800000
	v_add_f32_e32 v32, v32, v33
	v_cmp_eq_f32_e32 vcc, s62, v131
	v_cmp_lt_f32_e64 s[62:63], |v131|, s61
	v_add_f32_e32 v32, v36, v32
	s_or_b64 vcc, vcc, s[62:63]
	v_cndmask_b32_e32 v32, v32, v131, vcc
	v_add_f32_e32 v32, v30, v32
.LBB472_99:
	s_or_b64 exec, exec, s[56:57]
	v_bfe_u32 v30, v32, 16, 1
	v_add3_u32 v30, v32, v30, s60
	v_and_b32_e32 v30, 0xffff0000, v30
	v_cmp_o_f32_e32 vcc, v32, v32
	v_cndmask_b32_e32 v31, v31, v30, vcc
	v_mov_b32_e32 v30, 16
	v_lshlrev_b32_sdwa v131, v30, v15 dst_sel:DWORD dst_unused:UNUSED_PAD src0_sel:DWORD src1_sel:WORD_1
	v_max_f32_e32 v30, v31, v31
	v_max_f32_e32 v135, v131, v131
	v_min_f32_e32 v32, v30, v135
	v_cmp_u_f32_e32 vcc, v31, v31
	v_max_f32_e32 v30, v30, v135
	v_cndmask_b32_e32 v32, v32, v31, vcc
	v_cmp_u_f32_e64 s[56:57], v131, v131
	v_cndmask_b32_e32 v30, v30, v31, vcc
	v_cndmask_b32_e64 v32, v32, v131, s[56:57]
	v_cndmask_b32_e64 v30, v30, v131, s[56:57]
	s_movk_i32 s60, 0x1f8
	v_cmp_neq_f32_e32 vcc, v32, v30
	v_cmp_class_f32_e64 s[60:61], v32, s60
	s_or_b64 vcc, vcc, s[60:61]
	s_and_saveexec_b64 s[60:61], vcc
	s_cbranch_execz .LBB472_101
; %bb.100:
	v_sub_f32_e32 v31, v32, v30
	s_mov_b32 s62, 0x3fb8aa3b
	v_mul_f32_e32 v32, 0x3fb8aa3b, v31
	v_fma_f32 v33, v31, s62, -v32
	v_rndne_f32_e32 v34, v32
	v_fmac_f32_e32 v33, 0x32a5705f, v31
	v_sub_f32_e32 v32, v32, v34
	v_add_f32_e32 v32, v32, v33
	v_exp_f32_e32 v32, v32
	v_cvt_i32_f32_e32 v33, v34
	s_mov_b32 s62, 0xc2ce8ed0
	v_cmp_ngt_f32_e32 vcc, s62, v31
	s_mov_b32 s62, 0x42b17218
	v_ldexp_f32 v32, v32, v33
	v_cndmask_b32_e32 v32, 0, v32, vcc
	v_mov_b32_e32 v33, 0x7f800000
	v_cmp_nlt_f32_e32 vcc, s62, v31
	v_cndmask_b32_e32 v164, v33, v32, vcc
	v_add_f32_e32 v31, 1.0, v164
	v_add_f32_e32 v32, -1.0, v31
	v_sub_f32_e32 v33, v32, v31
	v_add_f32_e32 v33, 1.0, v33
	v_sub_f32_e32 v32, v164, v32
	v_add_f32_e32 v34, v32, v33
	v_frexp_mant_f32_e32 v35, v31
	s_mov_b32 s62, 0x3f2aaaab
	v_cvt_f64_f32_e32 v[32:33], v31
	v_frexp_exp_i32_f64_e32 v32, v[32:33]
	v_cmp_gt_f32_e32 vcc, s62, v35
	v_subbrev_co_u32_e32 v148, vcc, 0, v32, vcc
	v_sub_u32_e32 v32, 0, v148
	v_ldexp_f32 v31, v31, v32
	v_ldexp_f32 v32, v34, v32
	v_add_f32_e32 v34, -1.0, v31
	v_add_f32_e32 v33, 1.0, v34
	v_sub_f32_e32 v33, v31, v33
	v_add_f32_e32 v35, v32, v33
	v_add_f32_e32 v33, 1.0, v31
	v_add_f32_e32 v36, -1.0, v33
	v_sub_f32_e32 v31, v31, v36
	v_add_f32_e32 v31, v32, v31
	v_add_f32_e32 v149, v33, v31
	v_rcp_f32_e32 v150, v149
	v_sub_f32_e32 v32, v33, v149
	v_add_f32_e32 v33, v34, v35
	v_add_f32_e32 v31, v31, v32
	v_mul_f32_e32 v160, v33, v150
	v_sub_f32_e32 v32, v34, v33
	v_mul_f32_e32 v34, v149, v160
	v_fma_f32 v36, v160, v149, -v34
	v_fmac_f32_e32 v36, v160, v31
	v_add_f32_e32 v151, v35, v32
	v_add_f32_e32 v32, v34, v36
	v_sub_f32_e32 v35, v33, v32
	v_pk_add_f32 v[146:147], v[32:33], v[34:35] neg_lo:[0,1] neg_hi:[0,1]
	v_mov_b32_e32 v37, v32
	v_pk_add_f32 v[32:33], v[146:147], v[36:37] neg_lo:[0,1] neg_hi:[0,1]
	v_add_f32_e32 v33, v151, v33
	v_add_f32_e32 v32, v32, v33
	;; [unrolled: 1-line block ×3, first 2 shown]
	v_mul_f32_e32 v151, v150, v33
	v_mul_f32_e32 v34, v149, v151
	v_fma_f32 v36, v151, v149, -v34
	v_fmac_f32_e32 v36, v151, v31
	v_sub_f32_e32 v31, v35, v33
	v_add_f32_e32 v31, v32, v31
	v_add_f32_e32 v32, v34, v36
	v_sub_f32_e32 v35, v33, v32
	v_pk_add_f32 v[146:147], v[32:33], v[34:35] neg_lo:[0,1] neg_hi:[0,1]
	v_mov_b32_e32 v37, v32
	v_pk_add_f32 v[32:33], v[146:147], v[36:37] neg_lo:[0,1] neg_hi:[0,1]
	v_add_f32_e32 v31, v31, v33
	v_add_f32_e32 v31, v32, v31
	v_add_f32_e32 v32, v160, v151
	v_add_f32_e32 v31, v35, v31
	v_sub_f32_e32 v33, v32, v160
	v_mul_f32_e32 v31, v150, v31
	v_sub_f32_e32 v33, v151, v33
	v_add_f32_e32 v31, v33, v31
	v_add_f32_e32 v35, v32, v31
	v_mul_f32_e32 v36, v35, v35
	v_mov_b32_e32 v34, 0x3ecc95a3
	v_fmac_f32_e32 v34, 0x3e9b6dac, v36
	v_mov_b32_e32 v33, 0x3f2aaada
	v_fmac_f32_e32 v33, v36, v34
	v_cvt_f32_i32_e32 v34, v148
	v_sub_f32_e32 v32, v35, v32
	v_sub_f32_e32 v31, v31, v32
	v_ldexp_f32 v37, v35, 1
	v_mul_f32_e32 v35, v35, v36
	v_mov_b32_e32 v32, 0x3f317218
	s_mov_b32 s62, 0x3f317218
	v_pk_mul_f32 v[32:33], v[34:35], v[32:33]
	v_fma_f32 v36, v34, s62, -v32
	v_fmac_f32_e32 v36, 0xb102e308, v34
	v_pk_add_f32 v[34:35], v[32:33], v[36:37]
	v_sub_f32_e32 v37, v35, v37
	v_ldexp_f32 v31, v31, 1
	v_sub_f32_e32 v37, v33, v37
	v_add_f32_e32 v147, v31, v37
	v_mov_b32_e32 v146, v32
	v_pk_add_f32 v[32:33], v[34:35], v[32:33] neg_lo:[0,1] neg_hi:[0,1]
	v_pk_add_f32 v[148:149], v[34:35], v[146:147]
	v_mov_b32_e32 v33, v149
	v_mov_b32_e32 v37, v34
	v_pk_add_f32 v[150:151], v[36:37], v[32:33] neg_lo:[0,1] neg_hi:[0,1]
	v_pk_add_f32 v[32:33], v[36:37], v[32:33]
	v_mov_b32_e32 v36, v33
	v_pk_add_f32 v[160:161], v[36:37], v[34:35] neg_lo:[0,1] neg_hi:[0,1]
	v_mov_b32_e32 v31, v160
	v_pk_add_f32 v[162:163], v[148:149], v[30:31] neg_lo:[0,1] neg_hi:[0,1]
	v_mov_b32_e32 v32, v149
	v_mov_b32_e32 v148, v35
	;; [unrolled: 1-line block ×4, first 2 shown]
	v_pk_add_f32 v[32:33], v[32:33], v[148:149] neg_lo:[0,1] neg_hi:[0,1]
	v_mov_b32_e32 v146, v147
	v_mov_b32_e32 v147, v34
	v_pk_add_f32 v[32:33], v[146:147], v[32:33] neg_lo:[0,1] neg_hi:[0,1]
	v_mov_b32_e32 v162, v150
	v_pk_add_f32 v[34:35], v[162:163], v[32:33]
	v_mov_b32_e32 v146, v35
	v_pk_add_f32 v[146:147], v[34:35], v[146:147]
	v_pk_add_f32 v[36:37], v[36:37], v[146:147]
	v_mov_b32_e32 v35, v36
	v_pk_add_f32 v[148:149], v[34:35], v[150:151] neg_lo:[0,1] neg_hi:[0,1]
	v_mov_b32_e32 v33, v146
	v_sub_f32_e32 v31, v34, v148
	v_pk_add_f32 v[32:33], v[32:33], v[148:149] neg_lo:[0,1] neg_hi:[0,1]
	v_sub_f32_e32 v31, v150, v31
	s_mov_b32 s63, 0x7f800000
	v_add_f32_e32 v31, v32, v31
	s_mov_b32 s62, 0x33800000
	v_add_f32_e32 v31, v31, v33
	v_cmp_eq_f32_e32 vcc, s63, v164
	v_cmp_lt_f32_e64 s[62:63], |v164|, s62
	v_add_f32_e32 v31, v36, v31
	s_or_b64 vcc, vcc, s[62:63]
	v_cndmask_b32_e32 v31, v31, v164, vcc
	v_add_f32_e32 v31, v30, v31
.LBB472_101:
	s_or_b64 exec, exec, s[60:61]
	v_bfe_u32 v30, v31, 16, 1
	s_movk_i32 vcc_lo, 0x7fff
	v_add3_u32 v30, v31, v30, vcc_lo
	v_lshrrev_b32_e32 v30, 16, v30
	v_mov_b32_e32 v32, 0x7fc0
	v_cmp_o_f32_e32 vcc, v31, v31
	v_cndmask_b32_e32 v32, v32, v30, vcc
	v_mbcnt_lo_u32_b32 v30, -1, 0
	v_mbcnt_hi_u32_b32 v31, -1, v30
	v_and_b32_e32 v30, 15, v31
	v_and_b32_e32 v33, 0xffff, v32
	v_cmp_ne_u32_e32 vcc, 0, v30
	s_nop 0
	v_mov_b32_dpp v34, v33 row_shr:1 row_mask:0xf bank_mask:0xf
	s_and_saveexec_b64 s[62:63], vcc
	s_cbranch_execz .LBB472_105
; %bb.102:
	v_lshlrev_b32_e32 v34, 16, v34
	v_lshlrev_b32_e32 v32, 16, v33
	v_max_f32_e32 v35, v32, v32
	v_max_f32_e32 v36, v34, v34
	v_min_f32_e32 v33, v36, v35
	v_cmp_u_f32_e32 vcc, v34, v34
	v_max_f32_e32 v35, v36, v35
	v_cndmask_b32_e32 v33, v33, v34, vcc
	v_cmp_u_f32_e64 s[60:61], v32, v32
	v_cndmask_b32_e32 v35, v35, v34, vcc
	v_cndmask_b32_e64 v33, v33, v32, s[60:61]
	v_cndmask_b32_e64 v32, v35, v32, s[60:61]
	s_movk_i32 s60, 0x1f8
	v_cmp_neq_f32_e32 vcc, v33, v32
	v_cmp_class_f32_e64 s[60:61], v33, s60
	s_or_b64 vcc, vcc, s[60:61]
	s_and_saveexec_b64 s[60:61], vcc
	s_cbranch_execz .LBB472_104
; %bb.103:
	v_sub_f32_e32 v33, v33, v32
	s_mov_b32 s64, 0x3fb8aa3b
	v_mul_f32_e32 v34, 0x3fb8aa3b, v33
	v_fma_f32 v35, v33, s64, -v34
	v_rndne_f32_e32 v36, v34
	v_fmac_f32_e32 v35, 0x32a5705f, v33
	v_sub_f32_e32 v34, v34, v36
	v_add_f32_e32 v34, v34, v35
	v_exp_f32_e32 v34, v34
	v_cvt_i32_f32_e32 v35, v36
	s_mov_b32 s64, 0xc2ce8ed0
	v_cmp_ngt_f32_e32 vcc, s64, v33
	s_mov_b32 s64, 0x42b17218
	v_ldexp_f32 v34, v34, v35
	v_cndmask_b32_e32 v34, 0, v34, vcc
	v_mov_b32_e32 v35, 0x7f800000
	v_cmp_nlt_f32_e32 vcc, s64, v33
	v_cndmask_b32_e32 v166, v35, v34, vcc
	v_add_f32_e32 v33, 1.0, v166
	v_add_f32_e32 v34, -1.0, v33
	v_sub_f32_e32 v35, v34, v33
	v_add_f32_e32 v35, 1.0, v35
	v_sub_f32_e32 v34, v166, v34
	v_add_f32_e32 v36, v34, v35
	v_frexp_mant_f32_e32 v37, v33
	s_mov_b32 s64, 0x3f2aaaab
	v_cvt_f64_f32_e32 v[34:35], v33
	v_frexp_exp_i32_f64_e32 v34, v[34:35]
	v_cmp_gt_f32_e32 vcc, s64, v37
	v_subbrev_co_u32_e32 v150, vcc, 0, v34, vcc
	v_sub_u32_e32 v34, 0, v150
	v_ldexp_f32 v33, v33, v34
	v_ldexp_f32 v34, v36, v34
	v_add_f32_e32 v36, -1.0, v33
	v_add_f32_e32 v35, 1.0, v36
	v_sub_f32_e32 v35, v33, v35
	v_add_f32_e32 v37, v34, v35
	v_add_f32_e32 v35, 1.0, v33
	v_add_f32_e32 v146, -1.0, v35
	v_sub_f32_e32 v33, v33, v146
	v_add_f32_e32 v33, v34, v33
	v_add_f32_e32 v151, v35, v33
	v_rcp_f32_e32 v160, v151
	v_sub_f32_e32 v34, v35, v151
	v_add_f32_e32 v35, v36, v37
	v_add_f32_e32 v33, v33, v34
	v_mul_f32_e32 v162, v35, v160
	v_sub_f32_e32 v34, v36, v35
	v_mul_f32_e32 v36, v151, v162
	v_fma_f32 v146, v162, v151, -v36
	v_fmac_f32_e32 v146, v162, v33
	v_add_f32_e32 v161, v37, v34
	v_add_f32_e32 v34, v36, v146
	v_sub_f32_e32 v37, v35, v34
	v_pk_add_f32 v[148:149], v[34:35], v[36:37] neg_lo:[0,1] neg_hi:[0,1]
	v_mov_b32_e32 v147, v34
	v_pk_add_f32 v[34:35], v[148:149], v[146:147] neg_lo:[0,1] neg_hi:[0,1]
	v_add_f32_e32 v35, v161, v35
	v_add_f32_e32 v34, v34, v35
	;; [unrolled: 1-line block ×3, first 2 shown]
	v_mul_f32_e32 v161, v160, v35
	v_mul_f32_e32 v36, v151, v161
	v_fma_f32 v146, v161, v151, -v36
	v_fmac_f32_e32 v146, v161, v33
	v_sub_f32_e32 v33, v37, v35
	v_add_f32_e32 v33, v34, v33
	v_add_f32_e32 v34, v36, v146
	v_sub_f32_e32 v37, v35, v34
	v_pk_add_f32 v[148:149], v[34:35], v[36:37] neg_lo:[0,1] neg_hi:[0,1]
	v_mov_b32_e32 v147, v34
	v_pk_add_f32 v[34:35], v[148:149], v[146:147] neg_lo:[0,1] neg_hi:[0,1]
	v_add_f32_e32 v33, v33, v35
	v_add_f32_e32 v33, v34, v33
	;; [unrolled: 1-line block ×4, first 2 shown]
	v_sub_f32_e32 v35, v34, v162
	v_mul_f32_e32 v33, v160, v33
	v_sub_f32_e32 v35, v161, v35
	v_add_f32_e32 v33, v35, v33
	v_add_f32_e32 v37, v34, v33
	v_mul_f32_e32 v146, v37, v37
	v_mov_b32_e32 v36, 0x3ecc95a3
	v_fmac_f32_e32 v36, 0x3e9b6dac, v146
	v_mov_b32_e32 v35, 0x3f2aaada
	v_fmac_f32_e32 v35, v146, v36
	v_cvt_f32_i32_e32 v36, v150
	v_sub_f32_e32 v34, v37, v34
	v_sub_f32_e32 v33, v33, v34
	v_ldexp_f32 v147, v37, 1
	v_mul_f32_e32 v37, v37, v146
	v_mov_b32_e32 v34, 0x3f317218
	s_mov_b32 s64, 0x3f317218
	v_pk_mul_f32 v[34:35], v[36:37], v[34:35]
	v_fma_f32 v146, v36, s64, -v34
	v_fmac_f32_e32 v146, 0xb102e308, v36
	v_pk_add_f32 v[36:37], v[34:35], v[146:147]
	v_sub_f32_e32 v147, v37, v147
	v_ldexp_f32 v33, v33, 1
	v_sub_f32_e32 v147, v35, v147
	v_add_f32_e32 v149, v33, v147
	v_mov_b32_e32 v148, v34
	v_pk_add_f32 v[34:35], v[36:37], v[34:35] neg_lo:[0,1] neg_hi:[0,1]
	v_pk_add_f32 v[150:151], v[36:37], v[148:149]
	v_mov_b32_e32 v35, v151
	v_mov_b32_e32 v147, v36
	v_pk_add_f32 v[160:161], v[146:147], v[34:35] neg_lo:[0,1] neg_hi:[0,1]
	v_pk_add_f32 v[34:35], v[146:147], v[34:35]
	v_mov_b32_e32 v146, v35
	v_pk_add_f32 v[162:163], v[146:147], v[36:37] neg_lo:[0,1] neg_hi:[0,1]
	v_mov_b32_e32 v33, v162
	v_pk_add_f32 v[164:165], v[150:151], v[32:33] neg_lo:[0,1] neg_hi:[0,1]
	v_mov_b32_e32 v34, v151
	v_mov_b32_e32 v150, v37
	;; [unrolled: 1-line block ×4, first 2 shown]
	v_pk_add_f32 v[34:35], v[34:35], v[150:151] neg_lo:[0,1] neg_hi:[0,1]
	v_mov_b32_e32 v148, v149
	v_mov_b32_e32 v149, v36
	v_pk_add_f32 v[34:35], v[148:149], v[34:35] neg_lo:[0,1] neg_hi:[0,1]
	v_mov_b32_e32 v164, v160
	v_pk_add_f32 v[36:37], v[164:165], v[34:35]
	v_mov_b32_e32 v148, v37
	v_pk_add_f32 v[148:149], v[36:37], v[148:149]
	v_pk_add_f32 v[146:147], v[146:147], v[148:149]
	v_mov_b32_e32 v37, v146
	v_pk_add_f32 v[150:151], v[36:37], v[160:161] neg_lo:[0,1] neg_hi:[0,1]
	v_mov_b32_e32 v35, v148
	v_sub_f32_e32 v33, v36, v150
	v_pk_add_f32 v[34:35], v[34:35], v[150:151] neg_lo:[0,1] neg_hi:[0,1]
	v_sub_f32_e32 v33, v160, v33
	s_mov_b32 s65, 0x7f800000
	v_add_f32_e32 v33, v34, v33
	s_mov_b32 s64, 0x33800000
	v_add_f32_e32 v33, v33, v35
	v_cmp_eq_f32_e32 vcc, s65, v166
	v_cmp_lt_f32_e64 s[64:65], |v166|, s64
	v_add_f32_e32 v33, v146, v33
	s_or_b64 vcc, vcc, s[64:65]
	v_cndmask_b32_e32 v33, v33, v166, vcc
	v_add_f32_e32 v34, v32, v33
.LBB472_104:
	s_or_b64 exec, exec, s[60:61]
	v_bfe_u32 v32, v34, 16, 1
	s_movk_i32 vcc_lo, 0x7fff
	v_add3_u32 v32, v34, v32, vcc_lo
	v_lshrrev_b32_e32 v32, 16, v32
	v_mov_b32_e32 v33, 0x7fc0
	v_cmp_o_f32_e32 vcc, v34, v34
	v_cndmask_b32_e32 v32, v33, v32, vcc
	v_and_b32_e32 v33, 0xffff, v32
.LBB472_105:
	s_or_b64 exec, exec, s[62:63]
	s_nop 0
	v_mov_b32_dpp v34, v33 row_shr:2 row_mask:0xf bank_mask:0xf
	v_cmp_lt_u32_e32 vcc, 1, v30
	s_and_saveexec_b64 s[62:63], vcc
	s_cbranch_execz .LBB472_109
; %bb.106:
	v_lshlrev_b32_e32 v34, 16, v34
	v_lshlrev_b32_e32 v32, 16, v33
	v_max_f32_e32 v35, v32, v32
	v_max_f32_e32 v36, v34, v34
	v_min_f32_e32 v33, v36, v35
	v_cmp_u_f32_e32 vcc, v34, v34
	v_max_f32_e32 v35, v36, v35
	v_cndmask_b32_e32 v33, v33, v34, vcc
	v_cmp_u_f32_e64 s[60:61], v32, v32
	v_cndmask_b32_e32 v35, v35, v34, vcc
	v_cndmask_b32_e64 v33, v33, v32, s[60:61]
	v_cndmask_b32_e64 v32, v35, v32, s[60:61]
	s_movk_i32 s60, 0x1f8
	v_cmp_neq_f32_e32 vcc, v33, v32
	v_cmp_class_f32_e64 s[60:61], v33, s60
	s_or_b64 vcc, vcc, s[60:61]
	s_and_saveexec_b64 s[60:61], vcc
	s_cbranch_execz .LBB472_108
; %bb.107:
	v_sub_f32_e32 v33, v33, v32
	s_mov_b32 s64, 0x3fb8aa3b
	v_mul_f32_e32 v34, 0x3fb8aa3b, v33
	v_fma_f32 v35, v33, s64, -v34
	v_rndne_f32_e32 v36, v34
	v_fmac_f32_e32 v35, 0x32a5705f, v33
	v_sub_f32_e32 v34, v34, v36
	v_add_f32_e32 v34, v34, v35
	v_exp_f32_e32 v34, v34
	v_cvt_i32_f32_e32 v35, v36
	s_mov_b32 s64, 0xc2ce8ed0
	v_cmp_ngt_f32_e32 vcc, s64, v33
	s_mov_b32 s64, 0x42b17218
	v_ldexp_f32 v34, v34, v35
	v_cndmask_b32_e32 v34, 0, v34, vcc
	v_mov_b32_e32 v35, 0x7f800000
	v_cmp_nlt_f32_e32 vcc, s64, v33
	v_cndmask_b32_e32 v166, v35, v34, vcc
	v_add_f32_e32 v33, 1.0, v166
	v_add_f32_e32 v34, -1.0, v33
	v_sub_f32_e32 v35, v34, v33
	v_add_f32_e32 v35, 1.0, v35
	v_sub_f32_e32 v34, v166, v34
	v_add_f32_e32 v36, v34, v35
	v_frexp_mant_f32_e32 v37, v33
	s_mov_b32 s64, 0x3f2aaaab
	v_cvt_f64_f32_e32 v[34:35], v33
	v_frexp_exp_i32_f64_e32 v34, v[34:35]
	v_cmp_gt_f32_e32 vcc, s64, v37
	v_subbrev_co_u32_e32 v150, vcc, 0, v34, vcc
	v_sub_u32_e32 v34, 0, v150
	v_ldexp_f32 v33, v33, v34
	v_ldexp_f32 v34, v36, v34
	v_add_f32_e32 v36, -1.0, v33
	v_add_f32_e32 v35, 1.0, v36
	v_sub_f32_e32 v35, v33, v35
	v_add_f32_e32 v37, v34, v35
	v_add_f32_e32 v35, 1.0, v33
	v_add_f32_e32 v146, -1.0, v35
	v_sub_f32_e32 v33, v33, v146
	v_add_f32_e32 v33, v34, v33
	v_add_f32_e32 v151, v35, v33
	v_rcp_f32_e32 v160, v151
	v_sub_f32_e32 v34, v35, v151
	v_add_f32_e32 v35, v36, v37
	v_add_f32_e32 v33, v33, v34
	v_mul_f32_e32 v162, v35, v160
	v_sub_f32_e32 v34, v36, v35
	v_mul_f32_e32 v36, v151, v162
	v_fma_f32 v146, v162, v151, -v36
	v_fmac_f32_e32 v146, v162, v33
	v_add_f32_e32 v161, v37, v34
	v_add_f32_e32 v34, v36, v146
	v_sub_f32_e32 v37, v35, v34
	v_pk_add_f32 v[148:149], v[34:35], v[36:37] neg_lo:[0,1] neg_hi:[0,1]
	v_mov_b32_e32 v147, v34
	v_pk_add_f32 v[34:35], v[148:149], v[146:147] neg_lo:[0,1] neg_hi:[0,1]
	v_add_f32_e32 v35, v161, v35
	v_add_f32_e32 v34, v34, v35
	;; [unrolled: 1-line block ×3, first 2 shown]
	v_mul_f32_e32 v161, v160, v35
	v_mul_f32_e32 v36, v151, v161
	v_fma_f32 v146, v161, v151, -v36
	v_fmac_f32_e32 v146, v161, v33
	v_sub_f32_e32 v33, v37, v35
	v_add_f32_e32 v33, v34, v33
	v_add_f32_e32 v34, v36, v146
	v_sub_f32_e32 v37, v35, v34
	v_pk_add_f32 v[148:149], v[34:35], v[36:37] neg_lo:[0,1] neg_hi:[0,1]
	v_mov_b32_e32 v147, v34
	v_pk_add_f32 v[34:35], v[148:149], v[146:147] neg_lo:[0,1] neg_hi:[0,1]
	v_add_f32_e32 v33, v33, v35
	v_add_f32_e32 v33, v34, v33
	;; [unrolled: 1-line block ×4, first 2 shown]
	v_sub_f32_e32 v35, v34, v162
	v_mul_f32_e32 v33, v160, v33
	v_sub_f32_e32 v35, v161, v35
	v_add_f32_e32 v33, v35, v33
	v_add_f32_e32 v37, v34, v33
	v_mul_f32_e32 v146, v37, v37
	v_mov_b32_e32 v36, 0x3ecc95a3
	v_fmac_f32_e32 v36, 0x3e9b6dac, v146
	v_mov_b32_e32 v35, 0x3f2aaada
	v_fmac_f32_e32 v35, v146, v36
	v_cvt_f32_i32_e32 v36, v150
	v_sub_f32_e32 v34, v37, v34
	v_sub_f32_e32 v33, v33, v34
	v_ldexp_f32 v147, v37, 1
	v_mul_f32_e32 v37, v37, v146
	v_mov_b32_e32 v34, 0x3f317218
	s_mov_b32 s64, 0x3f317218
	v_pk_mul_f32 v[34:35], v[36:37], v[34:35]
	v_fma_f32 v146, v36, s64, -v34
	v_fmac_f32_e32 v146, 0xb102e308, v36
	v_pk_add_f32 v[36:37], v[34:35], v[146:147]
	v_sub_f32_e32 v147, v37, v147
	v_ldexp_f32 v33, v33, 1
	v_sub_f32_e32 v147, v35, v147
	v_add_f32_e32 v149, v33, v147
	v_mov_b32_e32 v148, v34
	v_pk_add_f32 v[34:35], v[36:37], v[34:35] neg_lo:[0,1] neg_hi:[0,1]
	v_pk_add_f32 v[150:151], v[36:37], v[148:149]
	v_mov_b32_e32 v35, v151
	v_mov_b32_e32 v147, v36
	v_pk_add_f32 v[160:161], v[146:147], v[34:35] neg_lo:[0,1] neg_hi:[0,1]
	v_pk_add_f32 v[34:35], v[146:147], v[34:35]
	v_mov_b32_e32 v146, v35
	v_pk_add_f32 v[162:163], v[146:147], v[36:37] neg_lo:[0,1] neg_hi:[0,1]
	v_mov_b32_e32 v33, v162
	v_pk_add_f32 v[164:165], v[150:151], v[32:33] neg_lo:[0,1] neg_hi:[0,1]
	v_mov_b32_e32 v34, v151
	v_mov_b32_e32 v150, v37
	v_mov_b32_e32 v151, v162
	v_mov_b32_e32 v161, v35
	v_pk_add_f32 v[34:35], v[34:35], v[150:151] neg_lo:[0,1] neg_hi:[0,1]
	v_mov_b32_e32 v148, v149
	v_mov_b32_e32 v149, v36
	v_pk_add_f32 v[34:35], v[148:149], v[34:35] neg_lo:[0,1] neg_hi:[0,1]
	v_mov_b32_e32 v164, v160
	v_pk_add_f32 v[36:37], v[164:165], v[34:35]
	v_mov_b32_e32 v148, v37
	v_pk_add_f32 v[148:149], v[36:37], v[148:149]
	v_pk_add_f32 v[146:147], v[146:147], v[148:149]
	v_mov_b32_e32 v37, v146
	v_pk_add_f32 v[150:151], v[36:37], v[160:161] neg_lo:[0,1] neg_hi:[0,1]
	v_mov_b32_e32 v35, v148
	v_sub_f32_e32 v33, v36, v150
	v_pk_add_f32 v[34:35], v[34:35], v[150:151] neg_lo:[0,1] neg_hi:[0,1]
	v_sub_f32_e32 v33, v160, v33
	s_mov_b32 s65, 0x7f800000
	v_add_f32_e32 v33, v34, v33
	s_mov_b32 s64, 0x33800000
	v_add_f32_e32 v33, v33, v35
	v_cmp_eq_f32_e32 vcc, s65, v166
	v_cmp_lt_f32_e64 s[64:65], |v166|, s64
	v_add_f32_e32 v33, v146, v33
	s_or_b64 vcc, vcc, s[64:65]
	v_cndmask_b32_e32 v33, v33, v166, vcc
	v_add_f32_e32 v34, v32, v33
.LBB472_108:
	s_or_b64 exec, exec, s[60:61]
	v_bfe_u32 v32, v34, 16, 1
	s_movk_i32 vcc_lo, 0x7fff
	v_add3_u32 v32, v34, v32, vcc_lo
	v_lshrrev_b32_e32 v32, 16, v32
	v_mov_b32_e32 v33, 0x7fc0
	v_cmp_o_f32_e32 vcc, v34, v34
	v_cndmask_b32_e32 v32, v33, v32, vcc
	v_and_b32_e32 v33, 0xffff, v32
.LBB472_109:
	s_or_b64 exec, exec, s[62:63]
	s_nop 0
	v_mov_b32_dpp v34, v33 row_shr:4 row_mask:0xf bank_mask:0xf
	v_cmp_lt_u32_e32 vcc, 3, v30
	s_and_saveexec_b64 s[62:63], vcc
	s_cbranch_execz .LBB472_113
; %bb.110:
	v_lshlrev_b32_e32 v34, 16, v34
	v_lshlrev_b32_e32 v32, 16, v33
	v_max_f32_e32 v35, v32, v32
	v_max_f32_e32 v36, v34, v34
	v_min_f32_e32 v33, v36, v35
	v_cmp_u_f32_e32 vcc, v34, v34
	v_max_f32_e32 v35, v36, v35
	v_cndmask_b32_e32 v33, v33, v34, vcc
	v_cmp_u_f32_e64 s[60:61], v32, v32
	v_cndmask_b32_e32 v35, v35, v34, vcc
	v_cndmask_b32_e64 v33, v33, v32, s[60:61]
	v_cndmask_b32_e64 v32, v35, v32, s[60:61]
	s_movk_i32 s60, 0x1f8
	v_cmp_neq_f32_e32 vcc, v33, v32
	v_cmp_class_f32_e64 s[60:61], v33, s60
	s_or_b64 vcc, vcc, s[60:61]
	s_and_saveexec_b64 s[60:61], vcc
	s_cbranch_execz .LBB472_112
; %bb.111:
	v_sub_f32_e32 v33, v33, v32
	s_mov_b32 s64, 0x3fb8aa3b
	v_mul_f32_e32 v34, 0x3fb8aa3b, v33
	v_fma_f32 v35, v33, s64, -v34
	v_rndne_f32_e32 v36, v34
	v_fmac_f32_e32 v35, 0x32a5705f, v33
	v_sub_f32_e32 v34, v34, v36
	v_add_f32_e32 v34, v34, v35
	v_exp_f32_e32 v34, v34
	v_cvt_i32_f32_e32 v35, v36
	s_mov_b32 s64, 0xc2ce8ed0
	v_cmp_ngt_f32_e32 vcc, s64, v33
	s_mov_b32 s64, 0x42b17218
	v_ldexp_f32 v34, v34, v35
	v_cndmask_b32_e32 v34, 0, v34, vcc
	v_mov_b32_e32 v35, 0x7f800000
	v_cmp_nlt_f32_e32 vcc, s64, v33
	v_cndmask_b32_e32 v166, v35, v34, vcc
	v_add_f32_e32 v33, 1.0, v166
	v_add_f32_e32 v34, -1.0, v33
	v_sub_f32_e32 v35, v34, v33
	v_add_f32_e32 v35, 1.0, v35
	v_sub_f32_e32 v34, v166, v34
	v_add_f32_e32 v36, v34, v35
	v_frexp_mant_f32_e32 v37, v33
	s_mov_b32 s64, 0x3f2aaaab
	v_cvt_f64_f32_e32 v[34:35], v33
	v_frexp_exp_i32_f64_e32 v34, v[34:35]
	v_cmp_gt_f32_e32 vcc, s64, v37
	v_subbrev_co_u32_e32 v150, vcc, 0, v34, vcc
	v_sub_u32_e32 v34, 0, v150
	v_ldexp_f32 v33, v33, v34
	v_ldexp_f32 v34, v36, v34
	v_add_f32_e32 v36, -1.0, v33
	v_add_f32_e32 v35, 1.0, v36
	v_sub_f32_e32 v35, v33, v35
	v_add_f32_e32 v37, v34, v35
	v_add_f32_e32 v35, 1.0, v33
	v_add_f32_e32 v146, -1.0, v35
	v_sub_f32_e32 v33, v33, v146
	v_add_f32_e32 v33, v34, v33
	v_add_f32_e32 v151, v35, v33
	v_rcp_f32_e32 v160, v151
	v_sub_f32_e32 v34, v35, v151
	v_add_f32_e32 v35, v36, v37
	v_add_f32_e32 v33, v33, v34
	v_mul_f32_e32 v162, v35, v160
	v_sub_f32_e32 v34, v36, v35
	v_mul_f32_e32 v36, v151, v162
	v_fma_f32 v146, v162, v151, -v36
	v_fmac_f32_e32 v146, v162, v33
	v_add_f32_e32 v161, v37, v34
	v_add_f32_e32 v34, v36, v146
	v_sub_f32_e32 v37, v35, v34
	v_pk_add_f32 v[148:149], v[34:35], v[36:37] neg_lo:[0,1] neg_hi:[0,1]
	v_mov_b32_e32 v147, v34
	v_pk_add_f32 v[34:35], v[148:149], v[146:147] neg_lo:[0,1] neg_hi:[0,1]
	v_add_f32_e32 v35, v161, v35
	v_add_f32_e32 v34, v34, v35
	;; [unrolled: 1-line block ×3, first 2 shown]
	v_mul_f32_e32 v161, v160, v35
	v_mul_f32_e32 v36, v151, v161
	v_fma_f32 v146, v161, v151, -v36
	v_fmac_f32_e32 v146, v161, v33
	v_sub_f32_e32 v33, v37, v35
	v_add_f32_e32 v33, v34, v33
	v_add_f32_e32 v34, v36, v146
	v_sub_f32_e32 v37, v35, v34
	v_pk_add_f32 v[148:149], v[34:35], v[36:37] neg_lo:[0,1] neg_hi:[0,1]
	v_mov_b32_e32 v147, v34
	v_pk_add_f32 v[34:35], v[148:149], v[146:147] neg_lo:[0,1] neg_hi:[0,1]
	v_add_f32_e32 v33, v33, v35
	v_add_f32_e32 v33, v34, v33
	;; [unrolled: 1-line block ×4, first 2 shown]
	v_sub_f32_e32 v35, v34, v162
	v_mul_f32_e32 v33, v160, v33
	v_sub_f32_e32 v35, v161, v35
	v_add_f32_e32 v33, v35, v33
	v_add_f32_e32 v37, v34, v33
	v_mul_f32_e32 v146, v37, v37
	v_mov_b32_e32 v36, 0x3ecc95a3
	v_fmac_f32_e32 v36, 0x3e9b6dac, v146
	v_mov_b32_e32 v35, 0x3f2aaada
	v_fmac_f32_e32 v35, v146, v36
	v_cvt_f32_i32_e32 v36, v150
	v_sub_f32_e32 v34, v37, v34
	v_sub_f32_e32 v33, v33, v34
	v_ldexp_f32 v147, v37, 1
	v_mul_f32_e32 v37, v37, v146
	v_mov_b32_e32 v34, 0x3f317218
	s_mov_b32 s64, 0x3f317218
	v_pk_mul_f32 v[34:35], v[36:37], v[34:35]
	v_fma_f32 v146, v36, s64, -v34
	v_fmac_f32_e32 v146, 0xb102e308, v36
	v_pk_add_f32 v[36:37], v[34:35], v[146:147]
	v_sub_f32_e32 v147, v37, v147
	v_ldexp_f32 v33, v33, 1
	v_sub_f32_e32 v147, v35, v147
	v_add_f32_e32 v149, v33, v147
	v_mov_b32_e32 v148, v34
	v_pk_add_f32 v[34:35], v[36:37], v[34:35] neg_lo:[0,1] neg_hi:[0,1]
	v_pk_add_f32 v[150:151], v[36:37], v[148:149]
	v_mov_b32_e32 v35, v151
	v_mov_b32_e32 v147, v36
	v_pk_add_f32 v[160:161], v[146:147], v[34:35] neg_lo:[0,1] neg_hi:[0,1]
	v_pk_add_f32 v[34:35], v[146:147], v[34:35]
	v_mov_b32_e32 v146, v35
	v_pk_add_f32 v[162:163], v[146:147], v[36:37] neg_lo:[0,1] neg_hi:[0,1]
	v_mov_b32_e32 v33, v162
	v_pk_add_f32 v[164:165], v[150:151], v[32:33] neg_lo:[0,1] neg_hi:[0,1]
	v_mov_b32_e32 v34, v151
	v_mov_b32_e32 v150, v37
	;; [unrolled: 1-line block ×4, first 2 shown]
	v_pk_add_f32 v[34:35], v[34:35], v[150:151] neg_lo:[0,1] neg_hi:[0,1]
	v_mov_b32_e32 v148, v149
	v_mov_b32_e32 v149, v36
	v_pk_add_f32 v[34:35], v[148:149], v[34:35] neg_lo:[0,1] neg_hi:[0,1]
	v_mov_b32_e32 v164, v160
	v_pk_add_f32 v[36:37], v[164:165], v[34:35]
	v_mov_b32_e32 v148, v37
	v_pk_add_f32 v[148:149], v[36:37], v[148:149]
	v_pk_add_f32 v[146:147], v[146:147], v[148:149]
	v_mov_b32_e32 v37, v146
	v_pk_add_f32 v[150:151], v[36:37], v[160:161] neg_lo:[0,1] neg_hi:[0,1]
	v_mov_b32_e32 v35, v148
	v_sub_f32_e32 v33, v36, v150
	v_pk_add_f32 v[34:35], v[34:35], v[150:151] neg_lo:[0,1] neg_hi:[0,1]
	v_sub_f32_e32 v33, v160, v33
	s_mov_b32 s65, 0x7f800000
	v_add_f32_e32 v33, v34, v33
	s_mov_b32 s64, 0x33800000
	v_add_f32_e32 v33, v33, v35
	v_cmp_eq_f32_e32 vcc, s65, v166
	v_cmp_lt_f32_e64 s[64:65], |v166|, s64
	v_add_f32_e32 v33, v146, v33
	s_or_b64 vcc, vcc, s[64:65]
	v_cndmask_b32_e32 v33, v33, v166, vcc
	v_add_f32_e32 v34, v32, v33
.LBB472_112:
	s_or_b64 exec, exec, s[60:61]
	v_bfe_u32 v32, v34, 16, 1
	s_movk_i32 vcc_lo, 0x7fff
	v_add3_u32 v32, v34, v32, vcc_lo
	v_lshrrev_b32_e32 v32, 16, v32
	v_mov_b32_e32 v33, 0x7fc0
	v_cmp_o_f32_e32 vcc, v34, v34
	v_cndmask_b32_e32 v32, v33, v32, vcc
	v_and_b32_e32 v33, 0xffff, v32
.LBB472_113:
	s_or_b64 exec, exec, s[62:63]
	s_nop 0
	v_mov_b32_dpp v34, v33 row_shr:8 row_mask:0xf bank_mask:0xf
	v_cmp_lt_u32_e32 vcc, 7, v30
	s_and_saveexec_b64 s[62:63], vcc
	s_cbranch_execz .LBB472_117
; %bb.114:
	v_lshlrev_b32_e32 v32, 16, v34
	v_lshlrev_b32_e32 v30, 16, v33
	v_max_f32_e32 v34, v30, v30
	v_max_f32_e32 v35, v32, v32
	v_min_f32_e32 v33, v35, v34
	v_cmp_u_f32_e32 vcc, v32, v32
	v_max_f32_e32 v34, v35, v34
	v_cndmask_b32_e32 v33, v33, v32, vcc
	v_cmp_u_f32_e64 s[60:61], v30, v30
	v_cndmask_b32_e32 v34, v34, v32, vcc
	v_cndmask_b32_e64 v33, v33, v30, s[60:61]
	v_cndmask_b32_e64 v30, v34, v30, s[60:61]
	s_movk_i32 s60, 0x1f8
	v_cmp_neq_f32_e32 vcc, v33, v30
	v_cmp_class_f32_e64 s[60:61], v33, s60
	s_or_b64 vcc, vcc, s[60:61]
	s_and_saveexec_b64 s[60:61], vcc
	s_cbranch_execz .LBB472_116
; %bb.115:
	v_sub_f32_e32 v32, v33, v30
	s_mov_b32 s64, 0x3fb8aa3b
	v_mul_f32_e32 v33, 0x3fb8aa3b, v32
	v_fma_f32 v34, v32, s64, -v33
	v_rndne_f32_e32 v35, v33
	v_fmac_f32_e32 v34, 0x32a5705f, v32
	v_sub_f32_e32 v33, v33, v35
	v_add_f32_e32 v33, v33, v34
	v_exp_f32_e32 v33, v33
	v_cvt_i32_f32_e32 v34, v35
	s_mov_b32 s64, 0xc2ce8ed0
	v_cmp_ngt_f32_e32 vcc, s64, v32
	s_mov_b32 s64, 0x42b17218
	v_ldexp_f32 v33, v33, v34
	v_cndmask_b32_e32 v33, 0, v33, vcc
	v_mov_b32_e32 v34, 0x7f800000
	v_cmp_nlt_f32_e32 vcc, s64, v32
	v_cndmask_b32_e32 v164, v34, v33, vcc
	v_add_f32_e32 v34, 1.0, v164
	v_add_f32_e32 v32, -1.0, v34
	v_sub_f32_e32 v33, v32, v34
	v_add_f32_e32 v33, 1.0, v33
	v_sub_f32_e32 v32, v164, v32
	v_add_f32_e32 v35, v32, v33
	v_frexp_mant_f32_e32 v36, v34
	s_mov_b32 s64, 0x3f2aaaab
	v_cvt_f64_f32_e32 v[32:33], v34
	v_frexp_exp_i32_f64_e32 v32, v[32:33]
	v_cmp_gt_f32_e32 vcc, s64, v36
	v_subbrev_co_u32_e32 v148, vcc, 0, v32, vcc
	v_sub_u32_e32 v32, 0, v148
	v_ldexp_f32 v33, v34, v32
	v_add_f32_e32 v34, -1.0, v33
	v_add_f32_e32 v36, 1.0, v33
	v_ldexp_f32 v32, v35, v32
	v_add_f32_e32 v35, 1.0, v34
	v_add_f32_e32 v37, -1.0, v36
	v_sub_f32_e32 v35, v33, v35
	v_sub_f32_e32 v33, v33, v37
	v_add_f32_e32 v35, v32, v35
	v_add_f32_e32 v32, v32, v33
	;; [unrolled: 1-line block ×3, first 2 shown]
	v_rcp_f32_e32 v151, v149
	v_sub_f32_e32 v33, v36, v149
	v_add_f32_e32 v150, v32, v33
	v_add_f32_e32 v33, v34, v35
	v_mul_f32_e32 v161, v33, v151
	v_sub_f32_e32 v32, v34, v33
	v_mul_f32_e32 v34, v149, v161
	v_fma_f32 v36, v161, v149, -v34
	v_fmac_f32_e32 v36, v161, v150
	v_add_f32_e32 v160, v35, v32
	v_add_f32_e32 v32, v34, v36
	v_sub_f32_e32 v35, v33, v32
	v_pk_add_f32 v[146:147], v[32:33], v[34:35] neg_lo:[0,1] neg_hi:[0,1]
	v_mov_b32_e32 v37, v32
	v_pk_add_f32 v[32:33], v[146:147], v[36:37] neg_lo:[0,1] neg_hi:[0,1]
	v_add_f32_e32 v33, v160, v33
	v_add_f32_e32 v32, v32, v33
	v_add_f32_e32 v33, v35, v32
	v_mul_f32_e32 v160, v151, v33
	v_mul_f32_e32 v34, v149, v160
	v_fma_f32 v36, v160, v149, -v34
	v_fmac_f32_e32 v36, v160, v150
	v_sub_f32_e32 v35, v35, v33
	v_add_f32_e32 v149, v32, v35
	v_add_f32_e32 v32, v34, v36
	v_sub_f32_e32 v35, v33, v32
	v_pk_add_f32 v[146:147], v[32:33], v[34:35] neg_lo:[0,1] neg_hi:[0,1]
	v_mov_b32_e32 v37, v32
	v_pk_add_f32 v[32:33], v[146:147], v[36:37] neg_lo:[0,1] neg_hi:[0,1]
	v_add_f32_e32 v33, v149, v33
	v_add_f32_e32 v32, v32, v33
	;; [unrolled: 1-line block ×4, first 2 shown]
	v_sub_f32_e32 v33, v35, v161
	v_mul_f32_e32 v32, v151, v32
	v_sub_f32_e32 v33, v160, v33
	v_add_f32_e32 v32, v33, v32
	v_add_f32_e32 v36, v35, v32
	v_mul_f32_e32 v146, v36, v36
	v_mov_b32_e32 v34, 0x3ecc95a3
	v_fmac_f32_e32 v34, 0x3e9b6dac, v146
	v_mov_b32_e32 v33, 0x3f2aaada
	v_fmac_f32_e32 v33, v146, v34
	v_cvt_f32_i32_e32 v34, v148
	v_sub_f32_e32 v35, v36, v35
	v_sub_f32_e32 v32, v32, v35
	v_ldexp_f32 v147, v32, 1
	v_mul_f32_e32 v35, v36, v146
	v_mov_b32_e32 v32, 0x3f317218
	s_mov_b32 s64, 0x3f317218
	v_pk_mul_f32 v[32:33], v[34:35], v[32:33]
	v_ldexp_f32 v37, v36, 1
	v_fma_f32 v36, v34, s64, -v32
	v_fmac_f32_e32 v36, 0xb102e308, v34
	v_pk_add_f32 v[34:35], v[32:33], v[36:37]
	v_sub_f32_e32 v37, v35, v37
	v_sub_f32_e32 v37, v33, v37
	v_add_f32_e32 v147, v147, v37
	v_mov_b32_e32 v146, v32
	v_pk_add_f32 v[32:33], v[34:35], v[32:33] neg_lo:[0,1] neg_hi:[0,1]
	v_pk_add_f32 v[148:149], v[34:35], v[146:147]
	v_mov_b32_e32 v33, v149
	v_mov_b32_e32 v37, v34
	v_pk_add_f32 v[150:151], v[36:37], v[32:33] neg_lo:[0,1] neg_hi:[0,1]
	v_pk_add_f32 v[32:33], v[36:37], v[32:33]
	v_mov_b32_e32 v36, v33
	v_pk_add_f32 v[160:161], v[36:37], v[34:35] neg_lo:[0,1] neg_hi:[0,1]
	v_mov_b32_e32 v37, v160
	v_pk_add_f32 v[162:163], v[148:149], v[36:37] neg_lo:[0,1] neg_hi:[0,1]
	v_mov_b32_e32 v32, v149
	v_mov_b32_e32 v148, v35
	;; [unrolled: 1-line block ×4, first 2 shown]
	v_pk_add_f32 v[32:33], v[32:33], v[148:149] neg_lo:[0,1] neg_hi:[0,1]
	v_mov_b32_e32 v146, v147
	v_mov_b32_e32 v147, v34
	v_pk_add_f32 v[32:33], v[146:147], v[32:33] neg_lo:[0,1] neg_hi:[0,1]
	v_mov_b32_e32 v162, v150
	v_pk_add_f32 v[34:35], v[162:163], v[32:33]
	v_mov_b32_e32 v146, v35
	v_pk_add_f32 v[146:147], v[34:35], v[146:147]
	v_pk_add_f32 v[36:37], v[36:37], v[146:147]
	v_mov_b32_e32 v35, v36
	v_pk_add_f32 v[148:149], v[34:35], v[150:151] neg_lo:[0,1] neg_hi:[0,1]
	v_mov_b32_e32 v33, v146
	v_sub_f32_e32 v34, v34, v148
	v_pk_add_f32 v[32:33], v[32:33], v[148:149] neg_lo:[0,1] neg_hi:[0,1]
	v_sub_f32_e32 v34, v150, v34
	s_mov_b32 s65, 0x7f800000
	v_add_f32_e32 v32, v32, v34
	s_mov_b32 s64, 0x33800000
	v_add_f32_e32 v32, v32, v33
	v_cmp_eq_f32_e32 vcc, s65, v164
	v_cmp_lt_f32_e64 s[64:65], |v164|, s64
	v_add_f32_e32 v32, v36, v32
	s_or_b64 vcc, vcc, s[64:65]
	v_cndmask_b32_e32 v32, v32, v164, vcc
	v_add_f32_e32 v32, v30, v32
.LBB472_116:
	s_or_b64 exec, exec, s[60:61]
	v_bfe_u32 v30, v32, 16, 1
	s_movk_i32 vcc_lo, 0x7fff
	v_add3_u32 v30, v32, v30, vcc_lo
	v_lshrrev_b32_e32 v30, 16, v30
	v_mov_b32_e32 v33, 0x7fc0
	v_cmp_o_f32_e32 vcc, v32, v32
	v_cndmask_b32_e32 v32, v33, v30, vcc
	v_and_b32_e32 v33, 0xffff, v32
.LBB472_117:
	s_or_b64 exec, exec, s[62:63]
	v_and_b32_e32 v34, 16, v31
	v_mov_b32_dpp v30, v33 row_bcast:15 row_mask:0xf bank_mask:0xf
	v_cmp_ne_u32_e32 vcc, 0, v34
	s_and_saveexec_b64 s[62:63], vcc
	s_cbranch_execz .LBB472_121
; %bb.118:
	v_lshlrev_b32_e32 v32, 16, v30
	v_lshlrev_b32_e32 v30, 16, v33
	v_max_f32_e32 v34, v30, v30
	v_max_f32_e32 v35, v32, v32
	v_min_f32_e32 v33, v35, v34
	v_cmp_u_f32_e32 vcc, v32, v32
	v_max_f32_e32 v34, v35, v34
	v_cndmask_b32_e32 v33, v33, v32, vcc
	v_cmp_u_f32_e64 s[60:61], v30, v30
	v_cndmask_b32_e32 v34, v34, v32, vcc
	v_cndmask_b32_e64 v33, v33, v30, s[60:61]
	v_cndmask_b32_e64 v30, v34, v30, s[60:61]
	s_movk_i32 s60, 0x1f8
	v_cmp_neq_f32_e32 vcc, v33, v30
	v_cmp_class_f32_e64 s[60:61], v33, s60
	s_or_b64 vcc, vcc, s[60:61]
	s_and_saveexec_b64 s[60:61], vcc
	s_cbranch_execz .LBB472_120
; %bb.119:
	v_sub_f32_e32 v32, v33, v30
	s_mov_b32 s64, 0x3fb8aa3b
	v_mul_f32_e32 v33, 0x3fb8aa3b, v32
	v_fma_f32 v34, v32, s64, -v33
	v_rndne_f32_e32 v35, v33
	v_fmac_f32_e32 v34, 0x32a5705f, v32
	v_sub_f32_e32 v33, v33, v35
	v_add_f32_e32 v33, v33, v34
	v_exp_f32_e32 v33, v33
	v_cvt_i32_f32_e32 v34, v35
	s_mov_b32 s64, 0xc2ce8ed0
	v_cmp_ngt_f32_e32 vcc, s64, v32
	s_mov_b32 s64, 0x42b17218
	v_ldexp_f32 v33, v33, v34
	v_cndmask_b32_e32 v33, 0, v33, vcc
	v_mov_b32_e32 v34, 0x7f800000
	v_cmp_nlt_f32_e32 vcc, s64, v32
	v_cndmask_b32_e32 v164, v34, v33, vcc
	v_add_f32_e32 v34, 1.0, v164
	v_add_f32_e32 v32, -1.0, v34
	v_sub_f32_e32 v33, v32, v34
	v_add_f32_e32 v33, 1.0, v33
	v_sub_f32_e32 v32, v164, v32
	v_add_f32_e32 v35, v32, v33
	v_frexp_mant_f32_e32 v36, v34
	s_mov_b32 s64, 0x3f2aaaab
	v_cvt_f64_f32_e32 v[32:33], v34
	v_frexp_exp_i32_f64_e32 v32, v[32:33]
	v_cmp_gt_f32_e32 vcc, s64, v36
	v_subbrev_co_u32_e32 v148, vcc, 0, v32, vcc
	v_sub_u32_e32 v32, 0, v148
	v_ldexp_f32 v33, v34, v32
	v_add_f32_e32 v34, -1.0, v33
	v_add_f32_e32 v36, 1.0, v33
	v_ldexp_f32 v32, v35, v32
	v_add_f32_e32 v35, 1.0, v34
	v_add_f32_e32 v37, -1.0, v36
	v_sub_f32_e32 v35, v33, v35
	v_sub_f32_e32 v33, v33, v37
	v_add_f32_e32 v35, v32, v35
	v_add_f32_e32 v32, v32, v33
	;; [unrolled: 1-line block ×3, first 2 shown]
	v_rcp_f32_e32 v151, v149
	v_sub_f32_e32 v33, v36, v149
	v_add_f32_e32 v150, v32, v33
	v_add_f32_e32 v33, v34, v35
	v_mul_f32_e32 v161, v33, v151
	v_sub_f32_e32 v32, v34, v33
	v_mul_f32_e32 v34, v149, v161
	v_fma_f32 v36, v161, v149, -v34
	v_fmac_f32_e32 v36, v161, v150
	v_add_f32_e32 v160, v35, v32
	v_add_f32_e32 v32, v34, v36
	v_sub_f32_e32 v35, v33, v32
	v_pk_add_f32 v[146:147], v[32:33], v[34:35] neg_lo:[0,1] neg_hi:[0,1]
	v_mov_b32_e32 v37, v32
	v_pk_add_f32 v[32:33], v[146:147], v[36:37] neg_lo:[0,1] neg_hi:[0,1]
	v_add_f32_e32 v33, v160, v33
	v_add_f32_e32 v32, v32, v33
	;; [unrolled: 1-line block ×3, first 2 shown]
	v_mul_f32_e32 v160, v151, v33
	v_mul_f32_e32 v34, v149, v160
	v_fma_f32 v36, v160, v149, -v34
	v_fmac_f32_e32 v36, v160, v150
	v_sub_f32_e32 v35, v35, v33
	v_add_f32_e32 v149, v32, v35
	v_add_f32_e32 v32, v34, v36
	v_sub_f32_e32 v35, v33, v32
	v_pk_add_f32 v[146:147], v[32:33], v[34:35] neg_lo:[0,1] neg_hi:[0,1]
	v_mov_b32_e32 v37, v32
	v_pk_add_f32 v[32:33], v[146:147], v[36:37] neg_lo:[0,1] neg_hi:[0,1]
	v_add_f32_e32 v33, v149, v33
	v_add_f32_e32 v32, v32, v33
	;; [unrolled: 1-line block ×4, first 2 shown]
	v_sub_f32_e32 v33, v35, v161
	v_mul_f32_e32 v32, v151, v32
	v_sub_f32_e32 v33, v160, v33
	v_add_f32_e32 v32, v33, v32
	v_add_f32_e32 v36, v35, v32
	v_mul_f32_e32 v146, v36, v36
	v_mov_b32_e32 v34, 0x3ecc95a3
	v_fmac_f32_e32 v34, 0x3e9b6dac, v146
	v_mov_b32_e32 v33, 0x3f2aaada
	v_fmac_f32_e32 v33, v146, v34
	v_cvt_f32_i32_e32 v34, v148
	v_sub_f32_e32 v35, v36, v35
	v_sub_f32_e32 v32, v32, v35
	v_ldexp_f32 v147, v32, 1
	v_mul_f32_e32 v35, v36, v146
	v_mov_b32_e32 v32, 0x3f317218
	s_mov_b32 s64, 0x3f317218
	v_pk_mul_f32 v[32:33], v[34:35], v[32:33]
	v_ldexp_f32 v37, v36, 1
	v_fma_f32 v36, v34, s64, -v32
	v_fmac_f32_e32 v36, 0xb102e308, v34
	v_pk_add_f32 v[34:35], v[32:33], v[36:37]
	v_sub_f32_e32 v37, v35, v37
	v_sub_f32_e32 v37, v33, v37
	v_add_f32_e32 v147, v147, v37
	v_mov_b32_e32 v146, v32
	v_pk_add_f32 v[32:33], v[34:35], v[32:33] neg_lo:[0,1] neg_hi:[0,1]
	v_pk_add_f32 v[148:149], v[34:35], v[146:147]
	v_mov_b32_e32 v33, v149
	v_mov_b32_e32 v37, v34
	v_pk_add_f32 v[150:151], v[36:37], v[32:33] neg_lo:[0,1] neg_hi:[0,1]
	v_pk_add_f32 v[32:33], v[36:37], v[32:33]
	v_mov_b32_e32 v36, v33
	v_pk_add_f32 v[160:161], v[36:37], v[34:35] neg_lo:[0,1] neg_hi:[0,1]
	v_mov_b32_e32 v37, v160
	v_pk_add_f32 v[162:163], v[148:149], v[36:37] neg_lo:[0,1] neg_hi:[0,1]
	v_mov_b32_e32 v32, v149
	v_mov_b32_e32 v148, v35
	;; [unrolled: 1-line block ×4, first 2 shown]
	v_pk_add_f32 v[32:33], v[32:33], v[148:149] neg_lo:[0,1] neg_hi:[0,1]
	v_mov_b32_e32 v146, v147
	v_mov_b32_e32 v147, v34
	v_pk_add_f32 v[32:33], v[146:147], v[32:33] neg_lo:[0,1] neg_hi:[0,1]
	v_mov_b32_e32 v162, v150
	v_pk_add_f32 v[34:35], v[162:163], v[32:33]
	v_mov_b32_e32 v146, v35
	v_pk_add_f32 v[146:147], v[34:35], v[146:147]
	v_pk_add_f32 v[36:37], v[36:37], v[146:147]
	v_mov_b32_e32 v35, v36
	v_pk_add_f32 v[148:149], v[34:35], v[150:151] neg_lo:[0,1] neg_hi:[0,1]
	v_mov_b32_e32 v33, v146
	v_sub_f32_e32 v34, v34, v148
	v_pk_add_f32 v[32:33], v[32:33], v[148:149] neg_lo:[0,1] neg_hi:[0,1]
	v_sub_f32_e32 v34, v150, v34
	s_mov_b32 s65, 0x7f800000
	v_add_f32_e32 v32, v32, v34
	s_mov_b32 s64, 0x33800000
	v_add_f32_e32 v32, v32, v33
	v_cmp_eq_f32_e32 vcc, s65, v164
	v_cmp_lt_f32_e64 s[64:65], |v164|, s64
	v_add_f32_e32 v32, v36, v32
	s_or_b64 vcc, vcc, s[64:65]
	v_cndmask_b32_e32 v32, v32, v164, vcc
	v_add_f32_e32 v32, v30, v32
.LBB472_120:
	s_or_b64 exec, exec, s[60:61]
	v_bfe_u32 v30, v32, 16, 1
	s_movk_i32 vcc_lo, 0x7fff
	v_add3_u32 v30, v32, v30, vcc_lo
	v_lshrrev_b32_e32 v30, 16, v30
	v_mov_b32_e32 v33, 0x7fc0
	v_cmp_o_f32_e32 vcc, v32, v32
	v_cndmask_b32_e32 v32, v33, v30, vcc
	v_and_b32_e32 v33, 0xffff, v32
.LBB472_121:
	s_or_b64 exec, exec, s[62:63]
	s_nop 0
	v_mov_b32_dpp v30, v33 row_bcast:31 row_mask:0xf bank_mask:0xf
	v_cmp_lt_u32_e32 vcc, 31, v31
	s_and_saveexec_b64 s[62:63], vcc
	s_cbranch_execz .LBB472_125
; %bb.122:
	v_lshlrev_b32_e32 v32, 16, v30
	v_lshlrev_b32_e32 v30, 16, v33
	v_max_f32_e32 v34, v30, v30
	v_max_f32_e32 v35, v32, v32
	v_min_f32_e32 v33, v35, v34
	v_cmp_u_f32_e32 vcc, v32, v32
	v_max_f32_e32 v34, v35, v34
	v_cndmask_b32_e32 v33, v33, v32, vcc
	v_cmp_u_f32_e64 s[60:61], v30, v30
	v_cndmask_b32_e32 v34, v34, v32, vcc
	v_cndmask_b32_e64 v33, v33, v30, s[60:61]
	v_cndmask_b32_e64 v30, v34, v30, s[60:61]
	s_movk_i32 s60, 0x1f8
	v_cmp_neq_f32_e32 vcc, v33, v30
	v_cmp_class_f32_e64 s[60:61], v33, s60
	s_or_b64 vcc, vcc, s[60:61]
	s_and_saveexec_b64 s[60:61], vcc
	s_cbranch_execz .LBB472_124
; %bb.123:
	v_sub_f32_e32 v32, v33, v30
	s_mov_b32 s64, 0x3fb8aa3b
	v_mul_f32_e32 v33, 0x3fb8aa3b, v32
	v_fma_f32 v34, v32, s64, -v33
	v_rndne_f32_e32 v35, v33
	v_fmac_f32_e32 v34, 0x32a5705f, v32
	v_sub_f32_e32 v33, v33, v35
	v_add_f32_e32 v33, v33, v34
	v_exp_f32_e32 v33, v33
	v_cvt_i32_f32_e32 v34, v35
	s_mov_b32 s64, 0xc2ce8ed0
	v_cmp_ngt_f32_e32 vcc, s64, v32
	s_mov_b32 s64, 0x42b17218
	v_ldexp_f32 v33, v33, v34
	v_cndmask_b32_e32 v33, 0, v33, vcc
	v_mov_b32_e32 v34, 0x7f800000
	v_cmp_nlt_f32_e32 vcc, s64, v32
	v_cndmask_b32_e32 v164, v34, v33, vcc
	v_add_f32_e32 v34, 1.0, v164
	v_add_f32_e32 v32, -1.0, v34
	v_sub_f32_e32 v33, v32, v34
	v_add_f32_e32 v33, 1.0, v33
	v_sub_f32_e32 v32, v164, v32
	v_add_f32_e32 v35, v32, v33
	v_frexp_mant_f32_e32 v36, v34
	s_mov_b32 s64, 0x3f2aaaab
	v_cvt_f64_f32_e32 v[32:33], v34
	v_frexp_exp_i32_f64_e32 v32, v[32:33]
	v_cmp_gt_f32_e32 vcc, s64, v36
	v_subbrev_co_u32_e32 v148, vcc, 0, v32, vcc
	v_sub_u32_e32 v32, 0, v148
	v_ldexp_f32 v33, v34, v32
	v_add_f32_e32 v34, -1.0, v33
	v_add_f32_e32 v36, 1.0, v33
	v_ldexp_f32 v32, v35, v32
	v_add_f32_e32 v35, 1.0, v34
	v_add_f32_e32 v37, -1.0, v36
	v_sub_f32_e32 v35, v33, v35
	v_sub_f32_e32 v33, v33, v37
	v_add_f32_e32 v35, v32, v35
	v_add_f32_e32 v32, v32, v33
	;; [unrolled: 1-line block ×3, first 2 shown]
	v_rcp_f32_e32 v151, v149
	v_sub_f32_e32 v33, v36, v149
	v_add_f32_e32 v150, v32, v33
	v_add_f32_e32 v33, v34, v35
	v_mul_f32_e32 v161, v33, v151
	v_sub_f32_e32 v32, v34, v33
	v_mul_f32_e32 v34, v149, v161
	v_fma_f32 v36, v161, v149, -v34
	v_fmac_f32_e32 v36, v161, v150
	v_add_f32_e32 v160, v35, v32
	v_add_f32_e32 v32, v34, v36
	v_sub_f32_e32 v35, v33, v32
	v_pk_add_f32 v[146:147], v[32:33], v[34:35] neg_lo:[0,1] neg_hi:[0,1]
	v_mov_b32_e32 v37, v32
	v_pk_add_f32 v[32:33], v[146:147], v[36:37] neg_lo:[0,1] neg_hi:[0,1]
	v_add_f32_e32 v33, v160, v33
	v_add_f32_e32 v32, v32, v33
	;; [unrolled: 1-line block ×3, first 2 shown]
	v_mul_f32_e32 v160, v151, v33
	v_mul_f32_e32 v34, v149, v160
	v_fma_f32 v36, v160, v149, -v34
	v_fmac_f32_e32 v36, v160, v150
	v_sub_f32_e32 v35, v35, v33
	v_add_f32_e32 v149, v32, v35
	v_add_f32_e32 v32, v34, v36
	v_sub_f32_e32 v35, v33, v32
	v_pk_add_f32 v[146:147], v[32:33], v[34:35] neg_lo:[0,1] neg_hi:[0,1]
	v_mov_b32_e32 v37, v32
	v_pk_add_f32 v[32:33], v[146:147], v[36:37] neg_lo:[0,1] neg_hi:[0,1]
	v_add_f32_e32 v33, v149, v33
	v_add_f32_e32 v32, v32, v33
	;; [unrolled: 1-line block ×4, first 2 shown]
	v_sub_f32_e32 v33, v35, v161
	v_mul_f32_e32 v32, v151, v32
	v_sub_f32_e32 v33, v160, v33
	v_add_f32_e32 v32, v33, v32
	v_add_f32_e32 v36, v35, v32
	v_mul_f32_e32 v146, v36, v36
	v_mov_b32_e32 v34, 0x3ecc95a3
	v_fmac_f32_e32 v34, 0x3e9b6dac, v146
	v_mov_b32_e32 v33, 0x3f2aaada
	v_fmac_f32_e32 v33, v146, v34
	v_cvt_f32_i32_e32 v34, v148
	v_sub_f32_e32 v35, v36, v35
	v_sub_f32_e32 v32, v32, v35
	v_ldexp_f32 v147, v32, 1
	v_mul_f32_e32 v35, v36, v146
	v_mov_b32_e32 v32, 0x3f317218
	s_mov_b32 s64, 0x3f317218
	v_pk_mul_f32 v[32:33], v[34:35], v[32:33]
	v_ldexp_f32 v37, v36, 1
	v_fma_f32 v36, v34, s64, -v32
	v_fmac_f32_e32 v36, 0xb102e308, v34
	v_pk_add_f32 v[34:35], v[32:33], v[36:37]
	v_sub_f32_e32 v37, v35, v37
	v_sub_f32_e32 v37, v33, v37
	v_add_f32_e32 v147, v147, v37
	v_mov_b32_e32 v146, v32
	v_pk_add_f32 v[32:33], v[34:35], v[32:33] neg_lo:[0,1] neg_hi:[0,1]
	v_pk_add_f32 v[148:149], v[34:35], v[146:147]
	v_mov_b32_e32 v33, v149
	v_mov_b32_e32 v37, v34
	v_pk_add_f32 v[150:151], v[36:37], v[32:33] neg_lo:[0,1] neg_hi:[0,1]
	v_pk_add_f32 v[32:33], v[36:37], v[32:33]
	v_mov_b32_e32 v36, v33
	v_pk_add_f32 v[160:161], v[36:37], v[34:35] neg_lo:[0,1] neg_hi:[0,1]
	v_mov_b32_e32 v37, v160
	v_pk_add_f32 v[162:163], v[148:149], v[36:37] neg_lo:[0,1] neg_hi:[0,1]
	v_mov_b32_e32 v32, v149
	v_mov_b32_e32 v148, v35
	;; [unrolled: 1-line block ×4, first 2 shown]
	v_pk_add_f32 v[32:33], v[32:33], v[148:149] neg_lo:[0,1] neg_hi:[0,1]
	v_mov_b32_e32 v146, v147
	v_mov_b32_e32 v147, v34
	v_pk_add_f32 v[32:33], v[146:147], v[32:33] neg_lo:[0,1] neg_hi:[0,1]
	v_mov_b32_e32 v162, v150
	v_pk_add_f32 v[34:35], v[162:163], v[32:33]
	v_mov_b32_e32 v146, v35
	v_pk_add_f32 v[146:147], v[34:35], v[146:147]
	v_pk_add_f32 v[36:37], v[36:37], v[146:147]
	v_mov_b32_e32 v35, v36
	v_pk_add_f32 v[148:149], v[34:35], v[150:151] neg_lo:[0,1] neg_hi:[0,1]
	v_mov_b32_e32 v33, v146
	v_sub_f32_e32 v34, v34, v148
	v_pk_add_f32 v[32:33], v[32:33], v[148:149] neg_lo:[0,1] neg_hi:[0,1]
	v_sub_f32_e32 v34, v150, v34
	s_mov_b32 s65, 0x7f800000
	v_add_f32_e32 v32, v32, v34
	s_mov_b32 s64, 0x33800000
	v_add_f32_e32 v32, v32, v33
	v_cmp_eq_f32_e32 vcc, s65, v164
	v_cmp_lt_f32_e64 s[64:65], |v164|, s64
	v_add_f32_e32 v32, v36, v32
	s_or_b64 vcc, vcc, s[64:65]
	v_cndmask_b32_e32 v32, v32, v164, vcc
	v_add_f32_e32 v32, v30, v32
.LBB472_124:
	s_or_b64 exec, exec, s[60:61]
	v_bfe_u32 v30, v32, 16, 1
	s_movk_i32 vcc_lo, 0x7fff
	v_add3_u32 v30, v32, v30, vcc_lo
	v_lshrrev_b32_e32 v30, 16, v30
	v_mov_b32_e32 v33, 0x7fc0
	v_cmp_o_f32_e32 vcc, v32, v32
	v_cndmask_b32_e32 v32, v33, v30, vcc
.LBB472_125:
	s_or_b64 exec, exec, s[62:63]
	v_cmp_eq_u32_e32 vcc, 63, v28
	s_and_saveexec_b64 s[60:61], vcc
	s_cbranch_execz .LBB472_127
; %bb.126:
	v_mov_b32_e32 v30, 0
	ds_write_b16 v30, v32
.LBB472_127:
	s_or_b64 exec, exec, s[60:61]
	v_and_b32_e32 v30, 0xffff, v32
	v_add_u32_e32 v32, -1, v31
	v_and_b32_e32 v33, 64, v31
	v_cmp_lt_i32_e32 vcc, v32, v33
	v_cndmask_b32_e32 v32, v32, v31, vcc
	v_lshlrev_b32_e32 v32, 2, v32
	ds_bpermute_b32 v146, v32, v30
	v_cmp_gt_u32_e32 vcc, 64, v28
	s_waitcnt lgkmcnt(0)
	; wave barrier
	s_waitcnt lgkmcnt(0)
	s_and_saveexec_b64 s[64:65], vcc
	s_cbranch_execz .LBB472_202
; %bb.128:
	v_mov_b32_e32 v35, 0
	ds_read_u16 v147, v35
	s_mov_b32 vcc_hi, 0
	v_cmp_eq_u32_e64 s[60:61], 0, v31
	s_and_saveexec_b64 s[62:63], s[60:61]
	s_cbranch_execz .LBB472_130
; %bb.129:
	s_add_i32 vcc_lo, s68, 64
	s_lshl_b64 vcc, vcc, 2
	v_mov_b32_e32 v30, vcc_hi
	v_add_co_u32_e32 v32, vcc, vcc_lo, v24
	v_addc_co_u32_e32 v33, vcc, v25, v30, vcc
	s_waitcnt lgkmcnt(0)
	v_or_b32_e32 v30, 0x10000, v147
	flat_store_dword v[32:33], v30
.LBB472_130:
	s_or_b64 exec, exec, s[62:63]
	v_xad_u32 v30, v31, -1, s68
	v_add_u32_e32 v34, 64, v30
	v_lshlrev_b64 v[32:33], 2, v[34:35]
	v_add_co_u32_e32 v32, vcc, v24, v32
	v_addc_co_u32_e32 v33, vcc, v25, v33, vcc
	flat_load_dword v36, v[32:33] glc
	s_waitcnt vmcnt(0) lgkmcnt(0)
	v_lshrrev_b32_e32 v150, 16, v36
	v_cmp_eq_u16_sdwa s[62:63], v150, v35 src0_sel:BYTE_0 src1_sel:DWORD
	s_and_saveexec_b64 vcc, s[62:63]
	s_cbranch_execz .LBB472_136
; %bb.131:
	s_mov_b32 s66, 1
	s_mov_b64 s[62:63], 0
	v_mov_b32_e32 v34, 0
.LBB472_132:                            ; =>This Loop Header: Depth=1
                                        ;     Child Loop BB472_133 Depth 2
	s_max_u32 s67, s66, 1
.LBB472_133:                            ;   Parent Loop BB472_132 Depth=1
                                        ; =>  This Inner Loop Header: Depth=2
	s_add_i32 s67, s67, -1
	s_cmp_eq_u32 s67, 0
	s_sleep 1
	s_cbranch_scc0 .LBB472_133
; %bb.134:                              ;   in Loop: Header=BB472_132 Depth=1
	flat_load_dword v36, v[32:33] glc
	s_cmp_lt_u32 s66, 32
	s_cselect_b64 s[70:71], -1, 0
	s_cmp_lg_u64 s[70:71], 0
	s_addc_u32 s66, s66, 0
	s_waitcnt vmcnt(0) lgkmcnt(0)
	v_lshrrev_b32_e32 v150, 16, v36
	v_cmp_ne_u16_sdwa s[70:71], v150, v34 src0_sel:BYTE_0 src1_sel:DWORD
	s_or_b64 s[62:63], s[70:71], s[62:63]
	s_andn2_b64 exec, exec, s[62:63]
	s_cbranch_execnz .LBB472_132
; %bb.135:
	s_or_b64 exec, exec, s[62:63]
.LBB472_136:
	s_or_b64 exec, exec, vcc
	v_mov_b32_e32 v32, 2
	v_cmp_eq_u16_sdwa vcc, v150, v32 src0_sel:BYTE_0 src1_sel:DWORD
	v_lshlrev_b64 v[32:33], v31, -1
	v_and_b32_e32 v148, 63, v31
	v_and_b32_e32 v34, vcc_hi, v33
	v_and_b32_e32 v151, vcc_lo, v32
	v_cmp_ne_u32_e32 vcc, 63, v148
	v_addc_co_u32_e32 v37, vcc, 0, v31, vcc
	v_and_b32_e32 v35, 0xffff, v36
	v_lshlrev_b32_e32 v149, 2, v37
	v_or_b32_e32 v34, 0x80000000, v34
	ds_bpermute_b32 v37, v149, v35
	v_ffbl_b32_e32 v34, v34
	v_add_u32_e32 v34, 32, v34
	v_ffbl_b32_e32 v151, v151
	v_min_u32_e32 v34, v151, v34
	v_cmp_lt_u32_e32 vcc, v148, v34
	s_and_saveexec_b64 s[66:67], vcc
	s_cbranch_execz .LBB472_140
; %bb.137:
	s_waitcnt lgkmcnt(0)
	v_lshlrev_b32_e32 v36, 16, v37
	v_lshlrev_b32_e32 v35, 16, v35
	v_max_f32_e32 v151, v35, v35
	v_max_f32_e32 v160, v36, v36
	v_min_f32_e32 v37, v160, v151
	v_cmp_u_f32_e32 vcc, v36, v36
	v_max_f32_e32 v151, v160, v151
	v_cndmask_b32_e32 v37, v37, v36, vcc
	v_cmp_u_f32_e64 s[62:63], v35, v35
	v_cndmask_b32_e32 v151, v151, v36, vcc
	v_cndmask_b32_e64 v37, v37, v35, s[62:63]
	v_cndmask_b32_e64 v35, v151, v35, s[62:63]
	s_movk_i32 s62, 0x1f8
	v_cmp_neq_f32_e32 vcc, v37, v35
	v_cmp_class_f32_e64 s[62:63], v37, s62
	s_or_b64 vcc, vcc, s[62:63]
	s_and_saveexec_b64 s[62:63], vcc
	s_cbranch_execz .LBB472_139
; %bb.138:
	v_sub_f32_e32 v36, v37, v35
	s_mov_b32 s69, 0x3fb8aa3b
	v_mul_f32_e32 v37, 0x3fb8aa3b, v36
	v_fma_f32 v151, v36, s69, -v37
	v_rndne_f32_e32 v160, v37
	v_fmac_f32_e32 v151, 0x32a5705f, v36
	v_sub_f32_e32 v37, v37, v160
	v_add_f32_e32 v37, v37, v151
	v_exp_f32_e32 v37, v37
	v_cvt_i32_f32_e32 v151, v160
	s_mov_b32 s69, 0xc2ce8ed0
	v_cmp_ngt_f32_e32 vcc, s69, v36
	s_mov_b32 s69, 0x42b17218
	v_ldexp_f32 v37, v37, v151
	v_cndmask_b32_e32 v37, 0, v37, vcc
	v_mov_b32_e32 v151, 0x7f800000
	v_cmp_nlt_f32_e32 vcc, s69, v36
	v_cndmask_b32_e32 v182, v151, v37, vcc
	v_add_f32_e32 v151, 1.0, v182
	v_add_f32_e32 v36, -1.0, v151
	v_sub_f32_e32 v37, v36, v151
	v_add_f32_e32 v37, 1.0, v37
	v_sub_f32_e32 v36, v182, v36
	v_add_f32_e32 v160, v36, v37
	v_frexp_mant_f32_e32 v161, v151
	s_mov_b32 s69, 0x3f2aaaab
	v_cvt_f64_f32_e32 v[36:37], v151
	v_frexp_exp_i32_f64_e32 v36, v[36:37]
	v_cmp_gt_f32_e32 vcc, s69, v161
	v_subbrev_co_u32_e32 v166, vcc, 0, v36, vcc
	v_sub_u32_e32 v36, 0, v166
	v_ldexp_f32 v37, v151, v36
	v_add_f32_e32 v151, -1.0, v37
	v_add_f32_e32 v161, 1.0, v37
	v_ldexp_f32 v36, v160, v36
	v_add_f32_e32 v160, 1.0, v151
	v_add_f32_e32 v162, -1.0, v161
	v_sub_f32_e32 v160, v37, v160
	v_sub_f32_e32 v37, v37, v162
	v_add_f32_e32 v160, v36, v160
	v_add_f32_e32 v36, v36, v37
	v_add_f32_e32 v167, v161, v36
	v_rcp_f32_e32 v177, v167
	v_sub_f32_e32 v37, v161, v167
	v_add_f32_e32 v176, v36, v37
	v_add_f32_e32 v37, v151, v160
	v_sub_f32_e32 v36, v151, v37
	v_mul_f32_e32 v178, v37, v177
	v_add_f32_e32 v151, v160, v36
	v_mul_f32_e32 v160, v167, v178
	v_fma_f32 v162, v178, v167, -v160
	v_fmac_f32_e32 v162, v178, v176
	v_add_f32_e32 v36, v160, v162
	v_sub_f32_e32 v161, v37, v36
	v_pk_add_f32 v[164:165], v[36:37], v[160:161] neg_lo:[0,1] neg_hi:[0,1]
	v_mov_b32_e32 v163, v36
	v_pk_add_f32 v[36:37], v[164:165], v[162:163] neg_lo:[0,1] neg_hi:[0,1]
	v_add_f32_e32 v37, v151, v37
	v_add_f32_e32 v36, v36, v37
	;; [unrolled: 1-line block ×3, first 2 shown]
	v_mul_f32_e32 v151, v177, v37
	v_mul_f32_e32 v160, v167, v151
	v_fma_f32 v162, v151, v167, -v160
	v_fmac_f32_e32 v162, v151, v176
	v_sub_f32_e32 v161, v161, v37
	v_add_f32_e32 v167, v36, v161
	v_add_f32_e32 v36, v160, v162
	v_sub_f32_e32 v161, v37, v36
	v_pk_add_f32 v[164:165], v[36:37], v[160:161] neg_lo:[0,1] neg_hi:[0,1]
	v_mov_b32_e32 v163, v36
	v_pk_add_f32 v[36:37], v[164:165], v[162:163] neg_lo:[0,1] neg_hi:[0,1]
	v_add_f32_e32 v37, v167, v37
	v_add_f32_e32 v36, v36, v37
	;; [unrolled: 1-line block ×4, first 2 shown]
	v_sub_f32_e32 v37, v161, v178
	v_mul_f32_e32 v36, v177, v36
	v_sub_f32_e32 v37, v151, v37
	v_add_f32_e32 v36, v37, v36
	v_add_f32_e32 v151, v161, v36
	v_mul_f32_e32 v162, v151, v151
	v_mov_b32_e32 v160, 0x3ecc95a3
	v_fmac_f32_e32 v160, 0x3e9b6dac, v162
	v_mov_b32_e32 v37, 0x3f2aaada
	v_fmac_f32_e32 v37, v162, v160
	v_cvt_f32_i32_e32 v160, v166
	v_sub_f32_e32 v161, v151, v161
	v_sub_f32_e32 v36, v36, v161
	v_ldexp_f32 v164, v36, 1
	v_mul_f32_e32 v161, v151, v162
	v_mov_b32_e32 v36, 0x3f317218
	s_mov_b32 s69, 0x3f317218
	v_pk_mul_f32 v[36:37], v[160:161], v[36:37]
	v_fma_f32 v162, v160, s69, -v36
	v_ldexp_f32 v163, v151, 1
	v_fmac_f32_e32 v162, 0xb102e308, v160
	v_pk_add_f32 v[160:161], v[36:37], v[162:163]
	v_sub_f32_e32 v151, v161, v163
	v_sub_f32_e32 v151, v37, v151
	v_add_f32_e32 v165, v164, v151
	v_mov_b32_e32 v164, v36
	v_pk_add_f32 v[36:37], v[160:161], v[36:37] neg_lo:[0,1] neg_hi:[0,1]
	v_pk_add_f32 v[166:167], v[160:161], v[164:165]
	v_mov_b32_e32 v37, v167
	v_mov_b32_e32 v163, v160
	v_pk_add_f32 v[176:177], v[162:163], v[36:37] neg_lo:[0,1] neg_hi:[0,1]
	v_pk_add_f32 v[36:37], v[162:163], v[36:37]
	v_mov_b32_e32 v162, v37
	v_pk_add_f32 v[178:179], v[162:163], v[160:161] neg_lo:[0,1] neg_hi:[0,1]
	v_mov_b32_e32 v151, v178
	v_pk_add_f32 v[180:181], v[166:167], v[150:151] neg_lo:[0,1] neg_hi:[0,1]
	v_mov_b32_e32 v36, v167
	v_mov_b32_e32 v166, v161
	;; [unrolled: 1-line block ×4, first 2 shown]
	v_pk_add_f32 v[36:37], v[36:37], v[166:167] neg_lo:[0,1] neg_hi:[0,1]
	v_mov_b32_e32 v164, v165
	v_mov_b32_e32 v165, v160
	v_pk_add_f32 v[36:37], v[164:165], v[36:37] neg_lo:[0,1] neg_hi:[0,1]
	v_mov_b32_e32 v180, v176
	v_pk_add_f32 v[160:161], v[180:181], v[36:37]
	v_mov_b32_e32 v164, v161
	v_pk_add_f32 v[164:165], v[160:161], v[164:165]
	v_pk_add_f32 v[162:163], v[162:163], v[164:165]
	v_mov_b32_e32 v161, v162
	v_pk_add_f32 v[166:167], v[160:161], v[176:177] neg_lo:[0,1] neg_hi:[0,1]
	v_mov_b32_e32 v37, v164
	v_sub_f32_e32 v151, v160, v166
	v_pk_add_f32 v[36:37], v[36:37], v[166:167] neg_lo:[0,1] neg_hi:[0,1]
	v_sub_f32_e32 v151, v176, v151
	s_mov_b32 s70, 0x7f800000
	v_add_f32_e32 v36, v36, v151
	s_mov_b32 s69, 0x33800000
	v_add_f32_e32 v36, v36, v37
	v_cmp_eq_f32_e32 vcc, s70, v182
	v_cmp_lt_f32_e64 s[70:71], |v182|, s69
	v_add_f32_e32 v36, v162, v36
	s_or_b64 vcc, vcc, s[70:71]
	v_cndmask_b32_e32 v36, v36, v182, vcc
	v_add_f32_e32 v36, v35, v36
.LBB472_139:
	s_or_b64 exec, exec, s[62:63]
	v_bfe_u32 v35, v36, 16, 1
	s_movk_i32 vcc_lo, 0x7fff
	v_add3_u32 v35, v36, v35, vcc_lo
	v_lshrrev_b32_e32 v35, 16, v35
	v_mov_b32_e32 v37, 0x7fc0
	v_cmp_o_f32_e32 vcc, v36, v36
	v_cndmask_b32_e32 v36, v37, v35, vcc
	v_and_b32_e32 v35, 0xffff, v36
.LBB472_140:
	s_or_b64 exec, exec, s[66:67]
	v_cmp_gt_u32_e32 vcc, 62, v148
	s_waitcnt lgkmcnt(0)
	v_cndmask_b32_e64 v37, 0, 1, vcc
	v_lshlrev_b32_e32 v37, 1, v37
	v_add_lshl_u32 v151, v37, v31, 2
	ds_bpermute_b32 v37, v151, v35
	v_add_u32_e32 v160, 2, v148
	v_cmp_le_u32_e32 vcc, v160, v34
	s_and_saveexec_b64 s[66:67], vcc
	s_cbranch_execz .LBB472_144
; %bb.141:
	s_waitcnt lgkmcnt(0)
	v_lshlrev_b32_e32 v36, 16, v37
	v_lshlrev_b32_e32 v35, 16, v35
	v_max_f32_e32 v161, v35, v35
	v_max_f32_e32 v162, v36, v36
	v_min_f32_e32 v37, v162, v161
	v_cmp_u_f32_e32 vcc, v36, v36
	v_max_f32_e32 v161, v162, v161
	v_cndmask_b32_e32 v37, v37, v36, vcc
	v_cmp_u_f32_e64 s[62:63], v35, v35
	v_cndmask_b32_e32 v161, v161, v36, vcc
	v_cndmask_b32_e64 v37, v37, v35, s[62:63]
	v_cndmask_b32_e64 v35, v161, v35, s[62:63]
	s_movk_i32 s62, 0x1f8
	v_cmp_neq_f32_e32 vcc, v37, v35
	v_cmp_class_f32_e64 s[62:63], v37, s62
	s_or_b64 vcc, vcc, s[62:63]
	s_and_saveexec_b64 s[62:63], vcc
	s_cbranch_execz .LBB472_143
; %bb.142:
	v_sub_f32_e32 v36, v37, v35
	s_mov_b32 s69, 0x3fb8aa3b
	v_mul_f32_e32 v37, 0x3fb8aa3b, v36
	v_fma_f32 v161, v36, s69, -v37
	v_rndne_f32_e32 v162, v37
	v_fmac_f32_e32 v161, 0x32a5705f, v36
	v_sub_f32_e32 v37, v37, v162
	v_add_f32_e32 v37, v37, v161
	v_exp_f32_e32 v37, v37
	v_cvt_i32_f32_e32 v161, v162
	s_mov_b32 s69, 0xc2ce8ed0
	v_cmp_ngt_f32_e32 vcc, s69, v36
	s_mov_b32 s69, 0x42b17218
	v_ldexp_f32 v37, v37, v161
	v_cndmask_b32_e32 v37, 0, v37, vcc
	v_mov_b32_e32 v161, 0x7f800000
	v_cmp_nlt_f32_e32 vcc, s69, v36
	v_cndmask_b32_e32 v192, v161, v37, vcc
	v_add_f32_e32 v161, 1.0, v192
	v_add_f32_e32 v36, -1.0, v161
	v_sub_f32_e32 v37, v36, v161
	v_add_f32_e32 v37, 1.0, v37
	v_sub_f32_e32 v36, v192, v36
	v_add_f32_e32 v162, v36, v37
	v_frexp_mant_f32_e32 v163, v161
	s_mov_b32 s69, 0x3f2aaaab
	v_cvt_f64_f32_e32 v[36:37], v161
	v_frexp_exp_i32_f64_e32 v36, v[36:37]
	v_cmp_gt_f32_e32 vcc, s69, v163
	v_subbrev_co_u32_e32 v176, vcc, 0, v36, vcc
	v_sub_u32_e32 v36, 0, v176
	v_ldexp_f32 v37, v161, v36
	v_add_f32_e32 v161, -1.0, v37
	v_add_f32_e32 v163, 1.0, v37
	v_ldexp_f32 v36, v162, v36
	v_add_f32_e32 v162, 1.0, v161
	v_add_f32_e32 v164, -1.0, v163
	v_sub_f32_e32 v162, v37, v162
	v_sub_f32_e32 v37, v37, v164
	v_add_f32_e32 v162, v36, v162
	v_add_f32_e32 v36, v36, v37
	;; [unrolled: 1-line block ×3, first 2 shown]
	v_rcp_f32_e32 v179, v177
	v_sub_f32_e32 v37, v163, v177
	v_add_f32_e32 v178, v36, v37
	v_add_f32_e32 v37, v161, v162
	v_sub_f32_e32 v36, v161, v37
	v_mul_f32_e32 v180, v37, v179
	v_add_f32_e32 v161, v162, v36
	v_mul_f32_e32 v162, v177, v180
	v_fma_f32 v164, v180, v177, -v162
	v_fmac_f32_e32 v164, v180, v178
	v_add_f32_e32 v36, v162, v164
	v_sub_f32_e32 v163, v37, v36
	v_pk_add_f32 v[166:167], v[36:37], v[162:163] neg_lo:[0,1] neg_hi:[0,1]
	v_mov_b32_e32 v165, v36
	v_pk_add_f32 v[36:37], v[166:167], v[164:165] neg_lo:[0,1] neg_hi:[0,1]
	v_add_f32_e32 v37, v161, v37
	v_add_f32_e32 v36, v36, v37
	;; [unrolled: 1-line block ×3, first 2 shown]
	v_mul_f32_e32 v161, v179, v37
	v_mul_f32_e32 v162, v177, v161
	v_fma_f32 v164, v161, v177, -v162
	v_fmac_f32_e32 v164, v161, v178
	v_sub_f32_e32 v163, v163, v37
	v_add_f32_e32 v177, v36, v163
	v_add_f32_e32 v36, v162, v164
	v_sub_f32_e32 v163, v37, v36
	v_pk_add_f32 v[166:167], v[36:37], v[162:163] neg_lo:[0,1] neg_hi:[0,1]
	v_mov_b32_e32 v165, v36
	v_pk_add_f32 v[36:37], v[166:167], v[164:165] neg_lo:[0,1] neg_hi:[0,1]
	v_add_f32_e32 v37, v177, v37
	v_add_f32_e32 v36, v36, v37
	;; [unrolled: 1-line block ×4, first 2 shown]
	v_sub_f32_e32 v37, v163, v180
	v_mul_f32_e32 v36, v179, v36
	v_sub_f32_e32 v37, v161, v37
	v_add_f32_e32 v36, v37, v36
	v_add_f32_e32 v161, v163, v36
	v_mul_f32_e32 v164, v161, v161
	v_mov_b32_e32 v162, 0x3ecc95a3
	v_fmac_f32_e32 v162, 0x3e9b6dac, v164
	v_mov_b32_e32 v37, 0x3f2aaada
	v_fmac_f32_e32 v37, v164, v162
	v_cvt_f32_i32_e32 v162, v176
	v_sub_f32_e32 v163, v161, v163
	v_sub_f32_e32 v36, v36, v163
	v_ldexp_f32 v166, v36, 1
	v_mul_f32_e32 v163, v161, v164
	v_mov_b32_e32 v36, 0x3f317218
	s_mov_b32 s69, 0x3f317218
	v_pk_mul_f32 v[36:37], v[162:163], v[36:37]
	v_fma_f32 v164, v162, s69, -v36
	v_ldexp_f32 v165, v161, 1
	v_fmac_f32_e32 v164, 0xb102e308, v162
	v_pk_add_f32 v[162:163], v[36:37], v[164:165]
	v_sub_f32_e32 v161, v163, v165
	v_sub_f32_e32 v161, v37, v161
	v_add_f32_e32 v167, v166, v161
	v_mov_b32_e32 v166, v36
	v_pk_add_f32 v[36:37], v[162:163], v[36:37] neg_lo:[0,1] neg_hi:[0,1]
	v_pk_add_f32 v[176:177], v[162:163], v[166:167]
	v_mov_b32_e32 v37, v177
	v_mov_b32_e32 v165, v162
	v_pk_add_f32 v[178:179], v[164:165], v[36:37] neg_lo:[0,1] neg_hi:[0,1]
	v_pk_add_f32 v[36:37], v[164:165], v[36:37]
	v_mov_b32_e32 v164, v37
	v_pk_add_f32 v[180:181], v[164:165], v[162:163] neg_lo:[0,1] neg_hi:[0,1]
	v_mov_b32_e32 v161, v180
	v_pk_add_f32 v[182:183], v[176:177], v[160:161] neg_lo:[0,1] neg_hi:[0,1]
	v_mov_b32_e32 v36, v177
	v_mov_b32_e32 v176, v163
	;; [unrolled: 1-line block ×4, first 2 shown]
	v_pk_add_f32 v[36:37], v[36:37], v[176:177] neg_lo:[0,1] neg_hi:[0,1]
	v_mov_b32_e32 v166, v167
	v_mov_b32_e32 v167, v162
	v_pk_add_f32 v[36:37], v[166:167], v[36:37] neg_lo:[0,1] neg_hi:[0,1]
	v_mov_b32_e32 v182, v178
	v_pk_add_f32 v[162:163], v[182:183], v[36:37]
	v_mov_b32_e32 v166, v163
	v_pk_add_f32 v[166:167], v[162:163], v[166:167]
	v_pk_add_f32 v[164:165], v[164:165], v[166:167]
	v_mov_b32_e32 v163, v164
	v_pk_add_f32 v[176:177], v[162:163], v[178:179] neg_lo:[0,1] neg_hi:[0,1]
	v_mov_b32_e32 v37, v166
	v_sub_f32_e32 v161, v162, v176
	v_pk_add_f32 v[36:37], v[36:37], v[176:177] neg_lo:[0,1] neg_hi:[0,1]
	v_sub_f32_e32 v161, v178, v161
	s_mov_b32 s70, 0x7f800000
	v_add_f32_e32 v36, v36, v161
	s_mov_b32 s69, 0x33800000
	v_add_f32_e32 v36, v36, v37
	v_cmp_eq_f32_e32 vcc, s70, v192
	v_cmp_lt_f32_e64 s[70:71], |v192|, s69
	v_add_f32_e32 v36, v164, v36
	s_or_b64 vcc, vcc, s[70:71]
	v_cndmask_b32_e32 v36, v36, v192, vcc
	v_add_f32_e32 v36, v35, v36
.LBB472_143:
	s_or_b64 exec, exec, s[62:63]
	v_bfe_u32 v35, v36, 16, 1
	s_movk_i32 vcc_lo, 0x7fff
	v_add3_u32 v35, v36, v35, vcc_lo
	v_lshrrev_b32_e32 v35, 16, v35
	v_mov_b32_e32 v37, 0x7fc0
	v_cmp_o_f32_e32 vcc, v36, v36
	v_cndmask_b32_e32 v36, v37, v35, vcc
	v_and_b32_e32 v35, 0xffff, v36
.LBB472_144:
	s_or_b64 exec, exec, s[66:67]
	v_cmp_gt_u32_e32 vcc, 60, v148
	s_waitcnt lgkmcnt(0)
	v_cndmask_b32_e64 v37, 0, 1, vcc
	v_lshlrev_b32_e32 v37, 2, v37
	v_add_lshl_u32 v161, v37, v31, 2
	ds_bpermute_b32 v37, v161, v35
	v_add_u32_e32 v162, 4, v148
	v_cmp_le_u32_e32 vcc, v162, v34
	s_and_saveexec_b64 s[66:67], vcc
	s_cbranch_execz .LBB472_148
; %bb.145:
	s_waitcnt lgkmcnt(0)
	v_lshlrev_b32_e32 v36, 16, v37
	v_lshlrev_b32_e32 v35, 16, v35
	v_max_f32_e32 v163, v35, v35
	v_max_f32_e32 v164, v36, v36
	v_min_f32_e32 v37, v164, v163
	v_cmp_u_f32_e32 vcc, v36, v36
	v_max_f32_e32 v163, v164, v163
	v_cndmask_b32_e32 v37, v37, v36, vcc
	v_cmp_u_f32_e64 s[62:63], v35, v35
	v_cndmask_b32_e32 v163, v163, v36, vcc
	v_cndmask_b32_e64 v37, v37, v35, s[62:63]
	v_cndmask_b32_e64 v35, v163, v35, s[62:63]
	s_movk_i32 s62, 0x1f8
	v_cmp_neq_f32_e32 vcc, v37, v35
	v_cmp_class_f32_e64 s[62:63], v37, s62
	s_or_b64 vcc, vcc, s[62:63]
	s_and_saveexec_b64 s[62:63], vcc
	s_cbranch_execz .LBB472_147
; %bb.146:
	v_sub_f32_e32 v36, v37, v35
	s_mov_b32 s69, 0x3fb8aa3b
	v_mul_f32_e32 v37, 0x3fb8aa3b, v36
	v_fma_f32 v163, v36, s69, -v37
	v_rndne_f32_e32 v164, v37
	v_fmac_f32_e32 v163, 0x32a5705f, v36
	v_sub_f32_e32 v37, v37, v164
	v_add_f32_e32 v37, v37, v163
	v_exp_f32_e32 v37, v37
	v_cvt_i32_f32_e32 v163, v164
	s_mov_b32 s69, 0xc2ce8ed0
	v_cmp_ngt_f32_e32 vcc, s69, v36
	s_mov_b32 s69, 0x42b17218
	v_ldexp_f32 v37, v37, v163
	v_cndmask_b32_e32 v37, 0, v37, vcc
	v_mov_b32_e32 v163, 0x7f800000
	v_cmp_nlt_f32_e32 vcc, s69, v36
	v_cndmask_b32_e32 v194, v163, v37, vcc
	v_add_f32_e32 v163, 1.0, v194
	v_add_f32_e32 v36, -1.0, v163
	v_sub_f32_e32 v37, v36, v163
	v_add_f32_e32 v37, 1.0, v37
	v_sub_f32_e32 v36, v194, v36
	v_add_f32_e32 v164, v36, v37
	v_frexp_mant_f32_e32 v165, v163
	s_mov_b32 s69, 0x3f2aaaab
	v_cvt_f64_f32_e32 v[36:37], v163
	v_frexp_exp_i32_f64_e32 v36, v[36:37]
	v_cmp_gt_f32_e32 vcc, s69, v165
	v_subbrev_co_u32_e32 v178, vcc, 0, v36, vcc
	v_sub_u32_e32 v36, 0, v178
	v_ldexp_f32 v37, v163, v36
	v_add_f32_e32 v163, -1.0, v37
	v_add_f32_e32 v165, 1.0, v37
	v_ldexp_f32 v36, v164, v36
	v_add_f32_e32 v164, 1.0, v163
	v_add_f32_e32 v166, -1.0, v165
	v_sub_f32_e32 v164, v37, v164
	v_sub_f32_e32 v37, v37, v166
	v_add_f32_e32 v164, v36, v164
	v_add_f32_e32 v36, v36, v37
	;; [unrolled: 1-line block ×3, first 2 shown]
	v_rcp_f32_e32 v181, v179
	v_sub_f32_e32 v37, v165, v179
	v_add_f32_e32 v180, v36, v37
	v_add_f32_e32 v37, v163, v164
	v_sub_f32_e32 v36, v163, v37
	v_mul_f32_e32 v182, v37, v181
	v_add_f32_e32 v163, v164, v36
	v_mul_f32_e32 v164, v179, v182
	v_fma_f32 v166, v182, v179, -v164
	v_fmac_f32_e32 v166, v182, v180
	v_add_f32_e32 v36, v164, v166
	v_sub_f32_e32 v165, v37, v36
	v_pk_add_f32 v[176:177], v[36:37], v[164:165] neg_lo:[0,1] neg_hi:[0,1]
	v_mov_b32_e32 v167, v36
	v_pk_add_f32 v[36:37], v[176:177], v[166:167] neg_lo:[0,1] neg_hi:[0,1]
	v_add_f32_e32 v37, v163, v37
	v_add_f32_e32 v36, v36, v37
	;; [unrolled: 1-line block ×3, first 2 shown]
	v_mul_f32_e32 v163, v181, v37
	v_mul_f32_e32 v164, v179, v163
	v_fma_f32 v166, v163, v179, -v164
	v_fmac_f32_e32 v166, v163, v180
	v_sub_f32_e32 v165, v165, v37
	v_add_f32_e32 v179, v36, v165
	v_add_f32_e32 v36, v164, v166
	v_sub_f32_e32 v165, v37, v36
	v_pk_add_f32 v[176:177], v[36:37], v[164:165] neg_lo:[0,1] neg_hi:[0,1]
	v_mov_b32_e32 v167, v36
	v_pk_add_f32 v[36:37], v[176:177], v[166:167] neg_lo:[0,1] neg_hi:[0,1]
	v_add_f32_e32 v37, v179, v37
	v_add_f32_e32 v36, v36, v37
	;; [unrolled: 1-line block ×4, first 2 shown]
	v_sub_f32_e32 v37, v165, v182
	v_mul_f32_e32 v36, v181, v36
	v_sub_f32_e32 v37, v163, v37
	v_add_f32_e32 v36, v37, v36
	v_add_f32_e32 v163, v165, v36
	v_mul_f32_e32 v166, v163, v163
	v_mov_b32_e32 v164, 0x3ecc95a3
	v_fmac_f32_e32 v164, 0x3e9b6dac, v166
	v_mov_b32_e32 v37, 0x3f2aaada
	v_fmac_f32_e32 v37, v166, v164
	v_cvt_f32_i32_e32 v164, v178
	v_sub_f32_e32 v165, v163, v165
	v_sub_f32_e32 v36, v36, v165
	v_ldexp_f32 v176, v36, 1
	v_mul_f32_e32 v165, v163, v166
	v_mov_b32_e32 v36, 0x3f317218
	s_mov_b32 s69, 0x3f317218
	v_pk_mul_f32 v[36:37], v[164:165], v[36:37]
	v_fma_f32 v166, v164, s69, -v36
	v_ldexp_f32 v167, v163, 1
	v_fmac_f32_e32 v166, 0xb102e308, v164
	v_pk_add_f32 v[164:165], v[36:37], v[166:167]
	v_sub_f32_e32 v163, v165, v167
	v_sub_f32_e32 v163, v37, v163
	v_add_f32_e32 v177, v176, v163
	v_mov_b32_e32 v176, v36
	v_pk_add_f32 v[36:37], v[164:165], v[36:37] neg_lo:[0,1] neg_hi:[0,1]
	v_pk_add_f32 v[178:179], v[164:165], v[176:177]
	v_mov_b32_e32 v37, v179
	v_mov_b32_e32 v167, v164
	v_pk_add_f32 v[180:181], v[166:167], v[36:37] neg_lo:[0,1] neg_hi:[0,1]
	v_pk_add_f32 v[36:37], v[166:167], v[36:37]
	v_mov_b32_e32 v166, v37
	v_pk_add_f32 v[182:183], v[166:167], v[164:165] neg_lo:[0,1] neg_hi:[0,1]
	v_mov_b32_e32 v163, v182
	v_pk_add_f32 v[192:193], v[178:179], v[162:163] neg_lo:[0,1] neg_hi:[0,1]
	v_mov_b32_e32 v36, v179
	v_mov_b32_e32 v178, v165
	v_mov_b32_e32 v179, v182
	v_mov_b32_e32 v181, v37
	v_pk_add_f32 v[36:37], v[36:37], v[178:179] neg_lo:[0,1] neg_hi:[0,1]
	v_mov_b32_e32 v176, v177
	v_mov_b32_e32 v177, v164
	v_pk_add_f32 v[36:37], v[176:177], v[36:37] neg_lo:[0,1] neg_hi:[0,1]
	v_mov_b32_e32 v192, v180
	v_pk_add_f32 v[164:165], v[192:193], v[36:37]
	v_mov_b32_e32 v176, v165
	v_pk_add_f32 v[176:177], v[164:165], v[176:177]
	v_pk_add_f32 v[166:167], v[166:167], v[176:177]
	v_mov_b32_e32 v165, v166
	v_pk_add_f32 v[178:179], v[164:165], v[180:181] neg_lo:[0,1] neg_hi:[0,1]
	v_mov_b32_e32 v37, v176
	v_sub_f32_e32 v163, v164, v178
	v_pk_add_f32 v[36:37], v[36:37], v[178:179] neg_lo:[0,1] neg_hi:[0,1]
	v_sub_f32_e32 v163, v180, v163
	s_mov_b32 s70, 0x7f800000
	v_add_f32_e32 v36, v36, v163
	s_mov_b32 s69, 0x33800000
	v_add_f32_e32 v36, v36, v37
	v_cmp_eq_f32_e32 vcc, s70, v194
	v_cmp_lt_f32_e64 s[70:71], |v194|, s69
	v_add_f32_e32 v36, v166, v36
	s_or_b64 vcc, vcc, s[70:71]
	v_cndmask_b32_e32 v36, v36, v194, vcc
	v_add_f32_e32 v36, v35, v36
.LBB472_147:
	s_or_b64 exec, exec, s[62:63]
	v_bfe_u32 v35, v36, 16, 1
	s_movk_i32 vcc_lo, 0x7fff
	v_add3_u32 v35, v36, v35, vcc_lo
	v_lshrrev_b32_e32 v35, 16, v35
	v_mov_b32_e32 v37, 0x7fc0
	v_cmp_o_f32_e32 vcc, v36, v36
	v_cndmask_b32_e32 v36, v37, v35, vcc
	v_and_b32_e32 v35, 0xffff, v36
.LBB472_148:
	s_or_b64 exec, exec, s[66:67]
	v_cmp_gt_u32_e32 vcc, 56, v148
	s_waitcnt lgkmcnt(0)
	v_cndmask_b32_e64 v37, 0, 1, vcc
	v_lshlrev_b32_e32 v37, 3, v37
	v_add_lshl_u32 v163, v37, v31, 2
	ds_bpermute_b32 v37, v163, v35
	v_add_u32_e32 v164, 8, v148
	v_cmp_le_u32_e32 vcc, v164, v34
	s_and_saveexec_b64 s[66:67], vcc
	s_cbranch_execz .LBB472_152
; %bb.149:
	s_waitcnt lgkmcnt(0)
	v_lshlrev_b32_e32 v36, 16, v37
	v_lshlrev_b32_e32 v35, 16, v35
	v_max_f32_e32 v165, v35, v35
	v_max_f32_e32 v166, v36, v36
	v_min_f32_e32 v37, v166, v165
	v_cmp_u_f32_e32 vcc, v36, v36
	v_max_f32_e32 v165, v166, v165
	v_cndmask_b32_e32 v37, v37, v36, vcc
	v_cmp_u_f32_e64 s[62:63], v35, v35
	v_cndmask_b32_e32 v165, v165, v36, vcc
	v_cndmask_b32_e64 v37, v37, v35, s[62:63]
	v_cndmask_b32_e64 v35, v165, v35, s[62:63]
	s_movk_i32 s62, 0x1f8
	v_cmp_neq_f32_e32 vcc, v37, v35
	v_cmp_class_f32_e64 s[62:63], v37, s62
	s_or_b64 vcc, vcc, s[62:63]
	s_and_saveexec_b64 s[62:63], vcc
	s_cbranch_execz .LBB472_151
; %bb.150:
	v_sub_f32_e32 v36, v37, v35
	s_mov_b32 s69, 0x3fb8aa3b
	v_mul_f32_e32 v37, 0x3fb8aa3b, v36
	v_fma_f32 v165, v36, s69, -v37
	v_rndne_f32_e32 v166, v37
	v_fmac_f32_e32 v165, 0x32a5705f, v36
	v_sub_f32_e32 v37, v37, v166
	v_add_f32_e32 v37, v37, v165
	v_exp_f32_e32 v37, v37
	v_cvt_i32_f32_e32 v165, v166
	s_mov_b32 s69, 0xc2ce8ed0
	v_cmp_ngt_f32_e32 vcc, s69, v36
	s_mov_b32 s69, 0x42b17218
	v_ldexp_f32 v37, v37, v165
	v_cndmask_b32_e32 v37, 0, v37, vcc
	v_mov_b32_e32 v165, 0x7f800000
	v_cmp_nlt_f32_e32 vcc, s69, v36
	v_cndmask_b32_e32 v196, v165, v37, vcc
	v_add_f32_e32 v165, 1.0, v196
	v_add_f32_e32 v36, -1.0, v165
	v_sub_f32_e32 v37, v36, v165
	v_add_f32_e32 v37, 1.0, v37
	v_sub_f32_e32 v36, v196, v36
	v_add_f32_e32 v166, v36, v37
	v_frexp_mant_f32_e32 v167, v165
	s_mov_b32 s69, 0x3f2aaaab
	v_cvt_f64_f32_e32 v[36:37], v165
	v_frexp_exp_i32_f64_e32 v36, v[36:37]
	v_cmp_gt_f32_e32 vcc, s69, v167
	v_subbrev_co_u32_e32 v180, vcc, 0, v36, vcc
	v_sub_u32_e32 v36, 0, v180
	v_ldexp_f32 v37, v165, v36
	v_add_f32_e32 v165, -1.0, v37
	v_add_f32_e32 v167, 1.0, v37
	v_ldexp_f32 v36, v166, v36
	v_add_f32_e32 v166, 1.0, v165
	v_add_f32_e32 v176, -1.0, v167
	v_sub_f32_e32 v166, v37, v166
	v_sub_f32_e32 v37, v37, v176
	v_add_f32_e32 v166, v36, v166
	v_add_f32_e32 v36, v36, v37
	;; [unrolled: 1-line block ×3, first 2 shown]
	v_rcp_f32_e32 v183, v181
	v_sub_f32_e32 v37, v167, v181
	v_add_f32_e32 v182, v36, v37
	v_add_f32_e32 v37, v165, v166
	v_sub_f32_e32 v36, v165, v37
	v_mul_f32_e32 v192, v37, v183
	v_add_f32_e32 v165, v166, v36
	v_mul_f32_e32 v166, v181, v192
	v_fma_f32 v176, v192, v181, -v166
	v_fmac_f32_e32 v176, v192, v182
	v_add_f32_e32 v36, v166, v176
	v_sub_f32_e32 v167, v37, v36
	v_pk_add_f32 v[178:179], v[36:37], v[166:167] neg_lo:[0,1] neg_hi:[0,1]
	v_mov_b32_e32 v177, v36
	v_pk_add_f32 v[36:37], v[178:179], v[176:177] neg_lo:[0,1] neg_hi:[0,1]
	v_add_f32_e32 v37, v165, v37
	v_add_f32_e32 v36, v36, v37
	;; [unrolled: 1-line block ×3, first 2 shown]
	v_mul_f32_e32 v165, v183, v37
	v_mul_f32_e32 v166, v181, v165
	v_fma_f32 v176, v165, v181, -v166
	v_fmac_f32_e32 v176, v165, v182
	v_sub_f32_e32 v167, v167, v37
	v_add_f32_e32 v181, v36, v167
	v_add_f32_e32 v36, v166, v176
	v_sub_f32_e32 v167, v37, v36
	v_pk_add_f32 v[178:179], v[36:37], v[166:167] neg_lo:[0,1] neg_hi:[0,1]
	v_mov_b32_e32 v177, v36
	v_pk_add_f32 v[36:37], v[178:179], v[176:177] neg_lo:[0,1] neg_hi:[0,1]
	v_add_f32_e32 v37, v181, v37
	v_add_f32_e32 v36, v36, v37
	;; [unrolled: 1-line block ×4, first 2 shown]
	v_sub_f32_e32 v37, v167, v192
	v_mul_f32_e32 v36, v183, v36
	v_sub_f32_e32 v37, v165, v37
	v_add_f32_e32 v36, v37, v36
	v_add_f32_e32 v165, v167, v36
	v_mul_f32_e32 v176, v165, v165
	v_mov_b32_e32 v166, 0x3ecc95a3
	v_fmac_f32_e32 v166, 0x3e9b6dac, v176
	v_mov_b32_e32 v37, 0x3f2aaada
	v_fmac_f32_e32 v37, v176, v166
	v_cvt_f32_i32_e32 v166, v180
	v_sub_f32_e32 v167, v165, v167
	v_sub_f32_e32 v36, v36, v167
	v_ldexp_f32 v178, v36, 1
	v_mul_f32_e32 v167, v165, v176
	v_mov_b32_e32 v36, 0x3f317218
	s_mov_b32 s69, 0x3f317218
	v_pk_mul_f32 v[36:37], v[166:167], v[36:37]
	v_fma_f32 v176, v166, s69, -v36
	v_ldexp_f32 v177, v165, 1
	v_fmac_f32_e32 v176, 0xb102e308, v166
	v_pk_add_f32 v[166:167], v[36:37], v[176:177]
	v_sub_f32_e32 v165, v167, v177
	v_sub_f32_e32 v165, v37, v165
	v_add_f32_e32 v179, v178, v165
	v_mov_b32_e32 v178, v36
	v_pk_add_f32 v[36:37], v[166:167], v[36:37] neg_lo:[0,1] neg_hi:[0,1]
	v_pk_add_f32 v[180:181], v[166:167], v[178:179]
	v_mov_b32_e32 v37, v181
	v_mov_b32_e32 v177, v166
	v_pk_add_f32 v[182:183], v[176:177], v[36:37] neg_lo:[0,1] neg_hi:[0,1]
	v_pk_add_f32 v[36:37], v[176:177], v[36:37]
	v_mov_b32_e32 v176, v37
	v_pk_add_f32 v[192:193], v[176:177], v[166:167] neg_lo:[0,1] neg_hi:[0,1]
	v_mov_b32_e32 v165, v192
	v_pk_add_f32 v[194:195], v[180:181], v[164:165] neg_lo:[0,1] neg_hi:[0,1]
	v_mov_b32_e32 v36, v181
	v_mov_b32_e32 v180, v167
	;; [unrolled: 1-line block ×4, first 2 shown]
	v_pk_add_f32 v[36:37], v[36:37], v[180:181] neg_lo:[0,1] neg_hi:[0,1]
	v_mov_b32_e32 v178, v179
	v_mov_b32_e32 v179, v166
	v_pk_add_f32 v[36:37], v[178:179], v[36:37] neg_lo:[0,1] neg_hi:[0,1]
	v_mov_b32_e32 v194, v182
	v_pk_add_f32 v[166:167], v[194:195], v[36:37]
	v_mov_b32_e32 v178, v167
	v_pk_add_f32 v[178:179], v[166:167], v[178:179]
	v_pk_add_f32 v[176:177], v[176:177], v[178:179]
	v_mov_b32_e32 v167, v176
	v_pk_add_f32 v[180:181], v[166:167], v[182:183] neg_lo:[0,1] neg_hi:[0,1]
	v_mov_b32_e32 v37, v178
	v_sub_f32_e32 v165, v166, v180
	v_pk_add_f32 v[36:37], v[36:37], v[180:181] neg_lo:[0,1] neg_hi:[0,1]
	v_sub_f32_e32 v165, v182, v165
	s_mov_b32 s70, 0x7f800000
	v_add_f32_e32 v36, v36, v165
	s_mov_b32 s69, 0x33800000
	v_add_f32_e32 v36, v36, v37
	v_cmp_eq_f32_e32 vcc, s70, v196
	v_cmp_lt_f32_e64 s[70:71], |v196|, s69
	v_add_f32_e32 v36, v176, v36
	s_or_b64 vcc, vcc, s[70:71]
	v_cndmask_b32_e32 v36, v36, v196, vcc
	v_add_f32_e32 v36, v35, v36
.LBB472_151:
	s_or_b64 exec, exec, s[62:63]
	v_bfe_u32 v35, v36, 16, 1
	s_movk_i32 vcc_lo, 0x7fff
	v_add3_u32 v35, v36, v35, vcc_lo
	v_lshrrev_b32_e32 v35, 16, v35
	v_mov_b32_e32 v37, 0x7fc0
	v_cmp_o_f32_e32 vcc, v36, v36
	v_cndmask_b32_e32 v36, v37, v35, vcc
	v_and_b32_e32 v35, 0xffff, v36
.LBB472_152:
	s_or_b64 exec, exec, s[66:67]
	v_cmp_gt_u32_e32 vcc, 48, v148
	s_waitcnt lgkmcnt(0)
	v_cndmask_b32_e64 v37, 0, 1, vcc
	v_lshlrev_b32_e32 v37, 4, v37
	v_add_lshl_u32 v165, v37, v31, 2
	ds_bpermute_b32 v37, v165, v35
	v_add_u32_e32 v166, 16, v148
	v_cmp_le_u32_e32 vcc, v166, v34
	s_and_saveexec_b64 s[66:67], vcc
	s_cbranch_execz .LBB472_156
; %bb.153:
	s_waitcnt lgkmcnt(0)
	v_lshlrev_b32_e32 v36, 16, v37
	v_lshlrev_b32_e32 v35, 16, v35
	v_max_f32_e32 v167, v35, v35
	v_max_f32_e32 v176, v36, v36
	v_min_f32_e32 v37, v176, v167
	v_cmp_u_f32_e32 vcc, v36, v36
	v_max_f32_e32 v167, v176, v167
	v_cndmask_b32_e32 v37, v37, v36, vcc
	v_cmp_u_f32_e64 s[62:63], v35, v35
	v_cndmask_b32_e32 v167, v167, v36, vcc
	v_cndmask_b32_e64 v37, v37, v35, s[62:63]
	v_cndmask_b32_e64 v35, v167, v35, s[62:63]
	s_movk_i32 s62, 0x1f8
	v_cmp_neq_f32_e32 vcc, v37, v35
	v_cmp_class_f32_e64 s[62:63], v37, s62
	s_or_b64 vcc, vcc, s[62:63]
	s_and_saveexec_b64 s[62:63], vcc
	s_cbranch_execz .LBB472_155
; %bb.154:
	v_sub_f32_e32 v36, v37, v35
	s_mov_b32 s69, 0x3fb8aa3b
	v_mul_f32_e32 v37, 0x3fb8aa3b, v36
	v_fma_f32 v167, v36, s69, -v37
	v_rndne_f32_e32 v176, v37
	v_fmac_f32_e32 v167, 0x32a5705f, v36
	v_sub_f32_e32 v37, v37, v176
	v_add_f32_e32 v37, v37, v167
	v_exp_f32_e32 v37, v37
	v_cvt_i32_f32_e32 v167, v176
	s_mov_b32 s69, 0xc2ce8ed0
	v_cmp_ngt_f32_e32 vcc, s69, v36
	s_mov_b32 s69, 0x42b17218
	v_ldexp_f32 v37, v37, v167
	v_cndmask_b32_e32 v37, 0, v37, vcc
	v_mov_b32_e32 v167, 0x7f800000
	v_cmp_nlt_f32_e32 vcc, s69, v36
	v_cndmask_b32_e32 v198, v167, v37, vcc
	v_add_f32_e32 v167, 1.0, v198
	v_add_f32_e32 v36, -1.0, v167
	v_sub_f32_e32 v37, v36, v167
	v_add_f32_e32 v37, 1.0, v37
	v_sub_f32_e32 v36, v198, v36
	v_add_f32_e32 v176, v36, v37
	v_frexp_mant_f32_e32 v177, v167
	s_mov_b32 s69, 0x3f2aaaab
	v_cvt_f64_f32_e32 v[36:37], v167
	v_frexp_exp_i32_f64_e32 v36, v[36:37]
	v_cmp_gt_f32_e32 vcc, s69, v177
	v_subbrev_co_u32_e32 v182, vcc, 0, v36, vcc
	v_sub_u32_e32 v36, 0, v182
	v_ldexp_f32 v37, v167, v36
	v_add_f32_e32 v167, -1.0, v37
	v_add_f32_e32 v177, 1.0, v37
	v_ldexp_f32 v36, v176, v36
	v_add_f32_e32 v176, 1.0, v167
	v_add_f32_e32 v178, -1.0, v177
	v_sub_f32_e32 v176, v37, v176
	v_sub_f32_e32 v37, v37, v178
	v_add_f32_e32 v176, v36, v176
	v_add_f32_e32 v36, v36, v37
	;; [unrolled: 1-line block ×3, first 2 shown]
	v_rcp_f32_e32 v193, v183
	v_sub_f32_e32 v37, v177, v183
	v_add_f32_e32 v192, v36, v37
	v_add_f32_e32 v37, v167, v176
	v_sub_f32_e32 v36, v167, v37
	v_mul_f32_e32 v194, v37, v193
	v_add_f32_e32 v167, v176, v36
	v_mul_f32_e32 v176, v183, v194
	v_fma_f32 v178, v194, v183, -v176
	v_fmac_f32_e32 v178, v194, v192
	v_add_f32_e32 v36, v176, v178
	v_sub_f32_e32 v177, v37, v36
	v_pk_add_f32 v[180:181], v[36:37], v[176:177] neg_lo:[0,1] neg_hi:[0,1]
	v_mov_b32_e32 v179, v36
	v_pk_add_f32 v[36:37], v[180:181], v[178:179] neg_lo:[0,1] neg_hi:[0,1]
	v_add_f32_e32 v37, v167, v37
	v_add_f32_e32 v36, v36, v37
	;; [unrolled: 1-line block ×3, first 2 shown]
	v_mul_f32_e32 v167, v193, v37
	v_mul_f32_e32 v176, v183, v167
	v_fma_f32 v178, v167, v183, -v176
	v_fmac_f32_e32 v178, v167, v192
	v_sub_f32_e32 v177, v177, v37
	v_add_f32_e32 v183, v36, v177
	v_add_f32_e32 v36, v176, v178
	v_sub_f32_e32 v177, v37, v36
	v_pk_add_f32 v[180:181], v[36:37], v[176:177] neg_lo:[0,1] neg_hi:[0,1]
	v_mov_b32_e32 v179, v36
	v_pk_add_f32 v[36:37], v[180:181], v[178:179] neg_lo:[0,1] neg_hi:[0,1]
	v_add_f32_e32 v37, v183, v37
	v_add_f32_e32 v36, v36, v37
	;; [unrolled: 1-line block ×4, first 2 shown]
	v_sub_f32_e32 v37, v177, v194
	v_mul_f32_e32 v36, v193, v36
	v_sub_f32_e32 v37, v167, v37
	v_add_f32_e32 v36, v37, v36
	v_add_f32_e32 v167, v177, v36
	v_mul_f32_e32 v178, v167, v167
	v_mov_b32_e32 v176, 0x3ecc95a3
	v_fmac_f32_e32 v176, 0x3e9b6dac, v178
	v_mov_b32_e32 v37, 0x3f2aaada
	v_fmac_f32_e32 v37, v178, v176
	v_cvt_f32_i32_e32 v176, v182
	v_sub_f32_e32 v177, v167, v177
	v_sub_f32_e32 v36, v36, v177
	v_ldexp_f32 v180, v36, 1
	v_mul_f32_e32 v177, v167, v178
	v_mov_b32_e32 v36, 0x3f317218
	s_mov_b32 s69, 0x3f317218
	v_pk_mul_f32 v[36:37], v[176:177], v[36:37]
	v_fma_f32 v178, v176, s69, -v36
	v_ldexp_f32 v179, v167, 1
	v_fmac_f32_e32 v178, 0xb102e308, v176
	v_pk_add_f32 v[176:177], v[36:37], v[178:179]
	v_sub_f32_e32 v167, v177, v179
	v_sub_f32_e32 v167, v37, v167
	v_add_f32_e32 v181, v180, v167
	v_mov_b32_e32 v180, v36
	v_pk_add_f32 v[36:37], v[176:177], v[36:37] neg_lo:[0,1] neg_hi:[0,1]
	v_pk_add_f32 v[182:183], v[176:177], v[180:181]
	v_mov_b32_e32 v37, v183
	v_mov_b32_e32 v179, v176
	v_pk_add_f32 v[192:193], v[178:179], v[36:37] neg_lo:[0,1] neg_hi:[0,1]
	v_pk_add_f32 v[36:37], v[178:179], v[36:37]
	v_mov_b32_e32 v178, v37
	v_pk_add_f32 v[194:195], v[178:179], v[176:177] neg_lo:[0,1] neg_hi:[0,1]
	v_mov_b32_e32 v167, v194
	v_pk_add_f32 v[196:197], v[182:183], v[166:167] neg_lo:[0,1] neg_hi:[0,1]
	v_mov_b32_e32 v36, v183
	v_mov_b32_e32 v182, v177
	;; [unrolled: 1-line block ×4, first 2 shown]
	v_pk_add_f32 v[36:37], v[36:37], v[182:183] neg_lo:[0,1] neg_hi:[0,1]
	v_mov_b32_e32 v180, v181
	v_mov_b32_e32 v181, v176
	v_pk_add_f32 v[36:37], v[180:181], v[36:37] neg_lo:[0,1] neg_hi:[0,1]
	v_mov_b32_e32 v196, v192
	v_pk_add_f32 v[176:177], v[196:197], v[36:37]
	v_mov_b32_e32 v180, v177
	v_pk_add_f32 v[180:181], v[176:177], v[180:181]
	v_pk_add_f32 v[178:179], v[178:179], v[180:181]
	v_mov_b32_e32 v177, v178
	v_pk_add_f32 v[182:183], v[176:177], v[192:193] neg_lo:[0,1] neg_hi:[0,1]
	v_mov_b32_e32 v37, v180
	v_sub_f32_e32 v167, v176, v182
	v_pk_add_f32 v[36:37], v[36:37], v[182:183] neg_lo:[0,1] neg_hi:[0,1]
	v_sub_f32_e32 v167, v192, v167
	s_mov_b32 s70, 0x7f800000
	v_add_f32_e32 v36, v36, v167
	s_mov_b32 s69, 0x33800000
	v_add_f32_e32 v36, v36, v37
	v_cmp_eq_f32_e32 vcc, s70, v198
	v_cmp_lt_f32_e64 s[70:71], |v198|, s69
	v_add_f32_e32 v36, v178, v36
	s_or_b64 vcc, vcc, s[70:71]
	v_cndmask_b32_e32 v36, v36, v198, vcc
	v_add_f32_e32 v36, v35, v36
.LBB472_155:
	s_or_b64 exec, exec, s[62:63]
	v_bfe_u32 v35, v36, 16, 1
	s_movk_i32 vcc_lo, 0x7fff
	v_add3_u32 v35, v36, v35, vcc_lo
	v_lshrrev_b32_e32 v35, 16, v35
	v_mov_b32_e32 v37, 0x7fc0
	v_cmp_o_f32_e32 vcc, v36, v36
	v_cndmask_b32_e32 v36, v37, v35, vcc
	v_and_b32_e32 v35, 0xffff, v36
.LBB472_156:
	s_or_b64 exec, exec, s[66:67]
	v_cmp_gt_u32_e32 vcc, 32, v148
	s_waitcnt lgkmcnt(0)
	v_cndmask_b32_e64 v37, 0, 1, vcc
	v_lshlrev_b32_e32 v37, 5, v37
	v_add_lshl_u32 v167, v37, v31, 2
	ds_bpermute_b32 v31, v167, v35
	v_add_u32_e32 v176, 32, v148
	v_cmp_le_u32_e32 vcc, v176, v34
	s_and_saveexec_b64 s[66:67], vcc
	s_cbranch_execz .LBB472_160
; %bb.157:
	s_waitcnt lgkmcnt(0)
	v_lshlrev_b32_e32 v34, 16, v31
	v_lshlrev_b32_e32 v31, 16, v35
	v_max_f32_e32 v36, v31, v31
	v_max_f32_e32 v37, v34, v34
	v_min_f32_e32 v35, v37, v36
	v_cmp_u_f32_e32 vcc, v34, v34
	v_max_f32_e32 v36, v37, v36
	v_cndmask_b32_e32 v35, v35, v34, vcc
	v_cmp_u_f32_e64 s[62:63], v31, v31
	v_cndmask_b32_e32 v36, v36, v34, vcc
	v_cndmask_b32_e64 v35, v35, v31, s[62:63]
	v_cndmask_b32_e64 v31, v36, v31, s[62:63]
	s_movk_i32 s62, 0x1f8
	v_cmp_neq_f32_e32 vcc, v35, v31
	v_cmp_class_f32_e64 s[62:63], v35, s62
	s_or_b64 vcc, vcc, s[62:63]
	s_and_saveexec_b64 s[62:63], vcc
	s_cbranch_execz .LBB472_159
; %bb.158:
	v_sub_f32_e32 v34, v35, v31
	s_mov_b32 s69, 0x3fb8aa3b
	v_mul_f32_e32 v35, 0x3fb8aa3b, v34
	v_fma_f32 v36, v34, s69, -v35
	v_rndne_f32_e32 v37, v35
	v_fmac_f32_e32 v36, 0x32a5705f, v34
	v_sub_f32_e32 v35, v35, v37
	v_add_f32_e32 v35, v35, v36
	v_exp_f32_e32 v35, v35
	v_cvt_i32_f32_e32 v36, v37
	s_mov_b32 s69, 0xc2ce8ed0
	v_cmp_ngt_f32_e32 vcc, s69, v34
	s_mov_b32 s69, 0x42b17218
	v_ldexp_f32 v35, v35, v36
	v_cndmask_b32_e32 v35, 0, v35, vcc
	v_mov_b32_e32 v36, 0x7f800000
	v_cmp_nlt_f32_e32 vcc, s69, v34
	v_cndmask_b32_e32 v198, v36, v35, vcc
	v_add_f32_e32 v36, 1.0, v198
	v_add_f32_e32 v34, -1.0, v36
	v_sub_f32_e32 v35, v34, v36
	v_add_f32_e32 v35, 1.0, v35
	v_sub_f32_e32 v34, v198, v34
	v_add_f32_e32 v37, v34, v35
	v_frexp_mant_f32_e32 v177, v36
	s_mov_b32 s69, 0x3f2aaaab
	v_cvt_f64_f32_e32 v[34:35], v36
	v_frexp_exp_i32_f64_e32 v34, v[34:35]
	v_cmp_gt_f32_e32 vcc, s69, v177
	v_subbrev_co_u32_e32 v177, vcc, 0, v34, vcc
	v_sub_u32_e32 v34, 0, v177
	v_ldexp_f32 v35, v36, v34
	v_add_f32_e32 v36, -1.0, v35
	v_add_f32_e32 v178, 1.0, v35
	v_ldexp_f32 v34, v37, v34
	v_add_f32_e32 v37, 1.0, v36
	v_add_f32_e32 v179, -1.0, v178
	v_sub_f32_e32 v37, v35, v37
	v_sub_f32_e32 v35, v35, v179
	v_add_f32_e32 v37, v34, v37
	v_add_f32_e32 v34, v34, v35
	v_add_f32_e32 v182, v178, v34
	v_rcp_f32_e32 v192, v182
	v_sub_f32_e32 v35, v178, v182
	v_add_f32_e32 v183, v34, v35
	v_add_f32_e32 v35, v36, v37
	v_mul_f32_e32 v194, v35, v192
	v_sub_f32_e32 v34, v36, v35
	v_mul_f32_e32 v36, v182, v194
	v_fma_f32 v178, v194, v182, -v36
	v_fmac_f32_e32 v178, v194, v183
	v_add_f32_e32 v193, v37, v34
	v_add_f32_e32 v34, v36, v178
	v_sub_f32_e32 v37, v35, v34
	v_pk_add_f32 v[180:181], v[34:35], v[36:37] neg_lo:[0,1] neg_hi:[0,1]
	v_mov_b32_e32 v179, v34
	v_pk_add_f32 v[34:35], v[180:181], v[178:179] neg_lo:[0,1] neg_hi:[0,1]
	v_add_f32_e32 v35, v193, v35
	v_add_f32_e32 v34, v34, v35
	;; [unrolled: 1-line block ×3, first 2 shown]
	v_mul_f32_e32 v193, v192, v35
	v_mul_f32_e32 v36, v182, v193
	v_fma_f32 v178, v193, v182, -v36
	v_fmac_f32_e32 v178, v193, v183
	v_sub_f32_e32 v37, v37, v35
	v_add_f32_e32 v182, v34, v37
	v_add_f32_e32 v34, v36, v178
	v_sub_f32_e32 v37, v35, v34
	v_pk_add_f32 v[180:181], v[34:35], v[36:37] neg_lo:[0,1] neg_hi:[0,1]
	v_mov_b32_e32 v179, v34
	v_pk_add_f32 v[34:35], v[180:181], v[178:179] neg_lo:[0,1] neg_hi:[0,1]
	v_add_f32_e32 v35, v182, v35
	v_add_f32_e32 v34, v34, v35
	;; [unrolled: 1-line block ×4, first 2 shown]
	v_sub_f32_e32 v35, v37, v194
	v_mul_f32_e32 v34, v192, v34
	v_sub_f32_e32 v35, v193, v35
	v_add_f32_e32 v34, v35, v34
	v_add_f32_e32 v178, v37, v34
	v_mul_f32_e32 v180, v178, v178
	v_mov_b32_e32 v36, 0x3ecc95a3
	v_fmac_f32_e32 v36, 0x3e9b6dac, v180
	v_mov_b32_e32 v35, 0x3f2aaada
	v_fmac_f32_e32 v35, v180, v36
	v_cvt_f32_i32_e32 v36, v177
	v_sub_f32_e32 v37, v178, v37
	v_sub_f32_e32 v34, v34, v37
	v_ldexp_f32 v177, v34, 1
	v_mul_f32_e32 v37, v178, v180
	v_mov_b32_e32 v34, 0x3f317218
	s_mov_b32 s69, 0x3f317218
	v_pk_mul_f32 v[34:35], v[36:37], v[34:35]
	v_ldexp_f32 v179, v178, 1
	v_fma_f32 v178, v36, s69, -v34
	v_fmac_f32_e32 v178, 0xb102e308, v36
	v_pk_add_f32 v[36:37], v[34:35], v[178:179]
	v_sub_f32_e32 v179, v37, v179
	v_sub_f32_e32 v179, v35, v179
	v_add_f32_e32 v181, v177, v179
	v_mov_b32_e32 v180, v34
	v_pk_add_f32 v[34:35], v[36:37], v[34:35] neg_lo:[0,1] neg_hi:[0,1]
	v_pk_add_f32 v[182:183], v[36:37], v[180:181]
	v_mov_b32_e32 v35, v183
	v_mov_b32_e32 v179, v36
	v_pk_add_f32 v[192:193], v[178:179], v[34:35] neg_lo:[0,1] neg_hi:[0,1]
	v_pk_add_f32 v[34:35], v[178:179], v[34:35]
	v_mov_b32_e32 v178, v35
	v_pk_add_f32 v[194:195], v[178:179], v[36:37] neg_lo:[0,1] neg_hi:[0,1]
	v_mov_b32_e32 v177, v194
	v_pk_add_f32 v[196:197], v[182:183], v[176:177] neg_lo:[0,1] neg_hi:[0,1]
	v_mov_b32_e32 v34, v183
	v_mov_b32_e32 v182, v37
	;; [unrolled: 1-line block ×4, first 2 shown]
	v_pk_add_f32 v[34:35], v[34:35], v[182:183] neg_lo:[0,1] neg_hi:[0,1]
	v_mov_b32_e32 v180, v181
	v_mov_b32_e32 v181, v36
	v_pk_add_f32 v[34:35], v[180:181], v[34:35] neg_lo:[0,1] neg_hi:[0,1]
	v_mov_b32_e32 v196, v192
	v_pk_add_f32 v[36:37], v[196:197], v[34:35]
	v_mov_b32_e32 v180, v37
	v_pk_add_f32 v[180:181], v[36:37], v[180:181]
	v_pk_add_f32 v[178:179], v[178:179], v[180:181]
	v_mov_b32_e32 v37, v178
	v_pk_add_f32 v[182:183], v[36:37], v[192:193] neg_lo:[0,1] neg_hi:[0,1]
	v_mov_b32_e32 v35, v180
	v_sub_f32_e32 v36, v36, v182
	v_pk_add_f32 v[34:35], v[34:35], v[182:183] neg_lo:[0,1] neg_hi:[0,1]
	v_sub_f32_e32 v36, v192, v36
	s_mov_b32 s70, 0x7f800000
	v_add_f32_e32 v34, v34, v36
	s_mov_b32 s69, 0x33800000
	v_add_f32_e32 v34, v34, v35
	v_cmp_eq_f32_e32 vcc, s70, v198
	v_cmp_lt_f32_e64 s[70:71], |v198|, s69
	v_add_f32_e32 v34, v178, v34
	s_or_b64 vcc, vcc, s[70:71]
	v_cndmask_b32_e32 v34, v34, v198, vcc
	v_add_f32_e32 v34, v31, v34
.LBB472_159:
	s_or_b64 exec, exec, s[62:63]
	v_bfe_u32 v31, v34, 16, 1
	s_movk_i32 vcc_lo, 0x7fff
	v_add3_u32 v31, v34, v31, vcc_lo
	v_lshrrev_b32_e32 v31, 16, v31
	v_mov_b32_e32 v35, 0x7fc0
	v_cmp_o_f32_e32 vcc, v34, v34
	v_cndmask_b32_e32 v36, v35, v31, vcc
.LBB472_160:
	s_or_b64 exec, exec, s[66:67]
	s_waitcnt lgkmcnt(0)
	v_mov_b32_e32 v31, 0
	s_movk_i32 s69, 0x1f8
	s_mov_b32 s70, 0x3fb8aa3b
	s_mov_b32 s71, 0xc2ce8ed0
	s_mov_b32 s72, 0x42b17218
	s_mov_b32 s73, 0x7f800000
	s_mov_b32 s74, 0x3f2aaaab
	v_mov_b32_e32 v178, 0x3f2aaada
	s_mov_b32 s75, 0x3f317218
	s_mov_b32 s76, 0x33800000
	s_movk_i32 s77, 0x7fff
	v_mov_b32_e32 v179, 2
	v_mov_b32_e32 v180, 0x7f800000
	;; [unrolled: 1-line block ×4, first 2 shown]
	s_branch .LBB472_162
.LBB472_161:                            ;   in Loop: Header=BB472_162 Depth=1
                                        ; implicit-def: $vgpr36
                                        ; implicit-def: $vgpr150
	s_cbranch_execnz .LBB472_196
.LBB472_162:                            ; =>This Loop Header: Depth=1
                                        ;     Child Loop BB472_165 Depth 2
                                        ;       Child Loop BB472_166 Depth 3
	v_cmp_ne_u16_sdwa vcc, v150, v179 src0_sel:BYTE_0 src1_sel:DWORD
	v_cndmask_b32_e64 v35, 0, 1, vcc
	;;#ASMSTART
	;;#ASMEND
	v_cmp_ne_u32_e32 vcc, 0, v35
	s_cmp_lg_u64 vcc, exec
	v_mov_b32_e32 v177, v36
	s_cbranch_scc1 .LBB472_161
; %bb.163:                              ;   in Loop: Header=BB472_162 Depth=1
	v_lshlrev_b64 v[36:37], 2, v[30:31]
	v_add_co_u32_e32 v36, vcc, v24, v36
	v_addc_co_u32_e32 v37, vcc, v25, v37, vcc
	flat_load_dword v35, v[36:37] glc
	s_waitcnt vmcnt(0) lgkmcnt(0)
	v_lshrrev_b32_e32 v150, 16, v35
	v_cmp_eq_u16_sdwa s[62:63], v150, v31 src0_sel:BYTE_0 src1_sel:DWORD
	s_and_saveexec_b64 vcc, s[62:63]
	s_cbranch_execz .LBB472_169
; %bb.164:                              ;   in Loop: Header=BB472_162 Depth=1
	s_mov_b32 s66, 1
	s_mov_b64 s[62:63], 0
.LBB472_165:                            ;   Parent Loop BB472_162 Depth=1
                                        ; =>  This Loop Header: Depth=2
                                        ;       Child Loop BB472_166 Depth 3
	s_max_u32 s67, s66, 1
.LBB472_166:                            ;   Parent Loop BB472_162 Depth=1
                                        ;     Parent Loop BB472_165 Depth=2
                                        ; =>    This Inner Loop Header: Depth=3
	s_add_i32 s67, s67, -1
	s_cmp_eq_u32 s67, 0
	s_sleep 1
	s_cbranch_scc0 .LBB472_166
; %bb.167:                              ;   in Loop: Header=BB472_165 Depth=2
	flat_load_dword v35, v[36:37] glc
	s_cmp_lt_u32 s66, 32
	s_cselect_b64 s[78:79], -1, 0
	s_cmp_lg_u64 s[78:79], 0
	s_addc_u32 s66, s66, 0
	s_waitcnt vmcnt(0) lgkmcnt(0)
	v_lshrrev_b32_e32 v150, 16, v35
	v_cmp_ne_u16_sdwa s[78:79], v150, v31 src0_sel:BYTE_0 src1_sel:DWORD
	s_or_b64 s[62:63], s[78:79], s[62:63]
	s_andn2_b64 exec, exec, s[62:63]
	s_cbranch_execnz .LBB472_165
; %bb.168:                              ;   in Loop: Header=BB472_162 Depth=1
	s_or_b64 exec, exec, s[62:63]
.LBB472_169:                            ;   in Loop: Header=BB472_162 Depth=1
	s_or_b64 exec, exec, vcc
	v_cmp_eq_u16_sdwa vcc, v150, v179 src0_sel:BYTE_0 src1_sel:DWORD
	v_and_b32_e32 v36, vcc_hi, v33
	v_and_b32_e32 v37, 0xffff, v35
	v_or_b32_e32 v36, 0x80000000, v36
	ds_bpermute_b32 v182, v149, v37
	v_and_b32_e32 v183, vcc_lo, v32
	v_ffbl_b32_e32 v36, v36
	v_add_u32_e32 v36, 32, v36
	v_ffbl_b32_e32 v183, v183
	v_min_u32_e32 v36, v183, v36
	v_cmp_lt_u32_e32 vcc, v148, v36
	s_and_saveexec_b64 s[66:67], vcc
	s_cbranch_execz .LBB472_173
; %bb.170:                              ;   in Loop: Header=BB472_162 Depth=1
	s_waitcnt lgkmcnt(0)
	v_lshlrev_b32_e32 v35, 16, v182
	v_lshlrev_b32_e32 v37, 16, v37
	v_max_f32_e32 v183, v37, v37
	v_max_f32_e32 v192, v35, v35
	v_min_f32_e32 v182, v192, v183
	v_cmp_u_f32_e32 vcc, v35, v35
	v_max_f32_e32 v183, v192, v183
	v_cndmask_b32_e32 v182, v182, v35, vcc
	v_cmp_u_f32_e64 s[62:63], v37, v37
	v_cndmask_b32_e32 v183, v183, v35, vcc
	v_cndmask_b32_e64 v182, v182, v37, s[62:63]
	v_cndmask_b32_e64 v37, v183, v37, s[62:63]
	v_cmp_neq_f32_e32 vcc, v182, v37
	v_cmp_class_f32_e64 s[62:63], v182, s69
	s_or_b64 vcc, vcc, s[62:63]
	s_and_saveexec_b64 s[62:63], vcc
	s_cbranch_execz .LBB472_172
; %bb.171:                              ;   in Loop: Header=BB472_162 Depth=1
	v_sub_f32_e32 v35, v182, v37
	v_mul_f32_e32 v182, 0x3fb8aa3b, v35
	v_fma_f32 v183, v35, s70, -v182
	v_rndne_f32_e32 v192, v182
	v_fmac_f32_e32 v183, 0x32a5705f, v35
	v_sub_f32_e32 v182, v182, v192
	v_add_f32_e32 v182, v182, v183
	v_cvt_i32_f32_e32 v183, v192
	v_exp_f32_e32 v182, v182
	v_cmp_ngt_f32_e32 vcc, s71, v35
	v_ldexp_f32 v182, v182, v183
	v_cndmask_b32_e32 v182, 0, v182, vcc
	v_cmp_nlt_f32_e32 vcc, s72, v35
	v_cndmask_b32_e32 v214, v180, v182, vcc
	v_add_f32_e32 v35, 1.0, v214
	v_add_f32_e32 v182, -1.0, v35
	v_sub_f32_e32 v183, v182, v35
	v_add_f32_e32 v183, 1.0, v183
	v_sub_f32_e32 v182, v214, v182
	v_add_f32_e32 v192, v182, v183
	v_frexp_mant_f32_e32 v193, v35
	v_cvt_f64_f32_e32 v[182:183], v35
	v_frexp_exp_i32_f64_e32 v182, v[182:183]
	v_cmp_gt_f32_e32 vcc, s74, v193
	v_subbrev_co_u32_e32 v198, vcc, 0, v182, vcc
	v_sub_u32_e32 v182, 0, v198
	v_ldexp_f32 v35, v35, v182
	v_ldexp_f32 v182, v192, v182
	v_add_f32_e32 v192, -1.0, v35
	v_add_f32_e32 v183, 1.0, v192
	v_sub_f32_e32 v183, v35, v183
	v_add_f32_e32 v193, v182, v183
	v_add_f32_e32 v183, 1.0, v35
	v_add_f32_e32 v194, -1.0, v183
	v_sub_f32_e32 v35, v35, v194
	v_add_f32_e32 v35, v182, v35
	v_add_f32_e32 v199, v183, v35
	v_rcp_f32_e32 v208, v199
	v_sub_f32_e32 v182, v183, v199
	v_add_f32_e32 v183, v192, v193
	v_add_f32_e32 v35, v35, v182
	v_mul_f32_e32 v210, v183, v208
	v_sub_f32_e32 v182, v192, v183
	v_mul_f32_e32 v192, v199, v210
	v_fma_f32 v194, v210, v199, -v192
	v_fmac_f32_e32 v194, v210, v35
	v_add_f32_e32 v209, v193, v182
	v_add_f32_e32 v182, v192, v194
	v_sub_f32_e32 v193, v183, v182
	v_pk_add_f32 v[196:197], v[182:183], v[192:193] neg_lo:[0,1] neg_hi:[0,1]
	v_mov_b32_e32 v195, v182
	v_pk_add_f32 v[182:183], v[196:197], v[194:195] neg_lo:[0,1] neg_hi:[0,1]
	v_add_f32_e32 v183, v209, v183
	v_add_f32_e32 v182, v182, v183
	;; [unrolled: 1-line block ×3, first 2 shown]
	v_mul_f32_e32 v209, v208, v183
	v_mul_f32_e32 v192, v199, v209
	v_fma_f32 v194, v209, v199, -v192
	v_fmac_f32_e32 v194, v209, v35
	v_sub_f32_e32 v35, v193, v183
	v_add_f32_e32 v35, v182, v35
	v_add_f32_e32 v182, v192, v194
	v_sub_f32_e32 v193, v183, v182
	v_pk_add_f32 v[196:197], v[182:183], v[192:193] neg_lo:[0,1] neg_hi:[0,1]
	v_mov_b32_e32 v195, v182
	v_pk_add_f32 v[182:183], v[196:197], v[194:195] neg_lo:[0,1] neg_hi:[0,1]
	v_add_f32_e32 v35, v35, v183
	v_add_f32_e32 v35, v182, v35
	;; [unrolled: 1-line block ×4, first 2 shown]
	v_sub_f32_e32 v182, v183, v210
	v_mul_f32_e32 v35, v208, v35
	v_sub_f32_e32 v182, v209, v182
	v_add_f32_e32 v192, v182, v35
	v_add_f32_e32 v194, v183, v192
	v_cvt_f32_i32_e32 v182, v198
	v_mul_f32_e32 v195, v194, v194
	v_mov_b32_e32 v35, 0x3ecc95a3
	v_sub_f32_e32 v183, v194, v183
	v_fmac_f32_e32 v35, 0x3e9b6dac, v195
	v_sub_f32_e32 v183, v192, v183
	v_fma_f32 v35, v195, v35, v178
	v_ldexp_f32 v196, v183, 1
	v_mul_f32_e32 v183, v194, v195
	v_ldexp_f32 v193, v194, 1
	v_pk_mul_f32 v[194:195], v[182:183], v[34:35]
	v_fma_f32 v192, v182, s75, -v194
	v_fmac_f32_e32 v192, 0xb102e308, v182
	v_pk_add_f32 v[182:183], v[194:195], v[192:193]
	v_sub_f32_e32 v35, v183, v193
	v_sub_f32_e32 v35, v195, v35
	v_add_f32_e32 v197, v196, v35
	v_mov_b32_e32 v196, v194
	v_pk_add_f32 v[194:195], v[182:183], v[194:195] neg_lo:[0,1] neg_hi:[0,1]
	v_pk_add_f32 v[198:199], v[182:183], v[196:197]
	v_mov_b32_e32 v195, v199
	v_mov_b32_e32 v193, v182
	v_pk_add_f32 v[208:209], v[192:193], v[194:195] neg_lo:[0,1] neg_hi:[0,1]
	v_pk_add_f32 v[192:193], v[192:193], v[194:195]
	v_mov_b32_e32 v194, v193
	v_pk_add_f32 v[210:211], v[194:195], v[182:183] neg_lo:[0,1] neg_hi:[0,1]
	v_mov_b32_e32 v35, v210
	v_pk_add_f32 v[212:213], v[198:199], v[34:35] neg_lo:[0,1] neg_hi:[0,1]
	v_mov_b32_e32 v192, v199
	v_mov_b32_e32 v198, v183
	;; [unrolled: 1-line block ×4, first 2 shown]
	v_pk_add_f32 v[192:193], v[192:193], v[198:199] neg_lo:[0,1] neg_hi:[0,1]
	v_mov_b32_e32 v196, v197
	v_mov_b32_e32 v197, v182
	v_pk_add_f32 v[182:183], v[196:197], v[192:193] neg_lo:[0,1] neg_hi:[0,1]
	v_mov_b32_e32 v212, v208
	v_pk_add_f32 v[192:193], v[212:213], v[182:183]
	v_mov_b32_e32 v196, v193
	v_pk_add_f32 v[196:197], v[192:193], v[196:197]
	v_pk_add_f32 v[194:195], v[194:195], v[196:197]
	v_mov_b32_e32 v193, v194
	v_pk_add_f32 v[198:199], v[192:193], v[208:209] neg_lo:[0,1] neg_hi:[0,1]
	v_mov_b32_e32 v183, v196
	v_sub_f32_e32 v35, v192, v198
	v_pk_add_f32 v[182:183], v[182:183], v[198:199] neg_lo:[0,1] neg_hi:[0,1]
	v_sub_f32_e32 v35, v208, v35
	v_add_f32_e32 v35, v182, v35
	v_add_f32_e32 v35, v35, v183
	v_cmp_eq_f32_e32 vcc, s73, v214
	v_cmp_lt_f32_e64 s[78:79], |v214|, s76
	v_add_f32_e32 v35, v194, v35
	s_or_b64 vcc, vcc, s[78:79]
	v_cndmask_b32_e32 v35, v35, v214, vcc
	v_add_f32_e32 v35, v37, v35
.LBB472_172:                            ;   in Loop: Header=BB472_162 Depth=1
	s_or_b64 exec, exec, s[62:63]
	v_bfe_u32 v37, v35, 16, 1
	v_add3_u32 v37, v35, v37, s77
	v_lshrrev_b32_e32 v37, 16, v37
	v_cmp_o_f32_e32 vcc, v35, v35
	v_cndmask_b32_e32 v35, v181, v37, vcc
	v_and_b32_e32 v37, 0xffff, v35
.LBB472_173:                            ;   in Loop: Header=BB472_162 Depth=1
	s_or_b64 exec, exec, s[66:67]
	s_waitcnt lgkmcnt(0)
	ds_bpermute_b32 v182, v151, v37
	v_cmp_le_u32_e32 vcc, v160, v36
	s_and_saveexec_b64 s[66:67], vcc
	s_cbranch_execz .LBB472_177
; %bb.174:                              ;   in Loop: Header=BB472_162 Depth=1
	s_waitcnt lgkmcnt(0)
	v_lshlrev_b32_e32 v35, 16, v182
	v_lshlrev_b32_e32 v37, 16, v37
	v_max_f32_e32 v183, v37, v37
	v_max_f32_e32 v192, v35, v35
	v_min_f32_e32 v182, v192, v183
	v_cmp_u_f32_e32 vcc, v35, v35
	v_max_f32_e32 v183, v192, v183
	v_cndmask_b32_e32 v182, v182, v35, vcc
	v_cmp_u_f32_e64 s[62:63], v37, v37
	v_cndmask_b32_e32 v183, v183, v35, vcc
	v_cndmask_b32_e64 v182, v182, v37, s[62:63]
	v_cndmask_b32_e64 v37, v183, v37, s[62:63]
	v_cmp_neq_f32_e32 vcc, v182, v37
	v_cmp_class_f32_e64 s[62:63], v182, s69
	s_or_b64 vcc, vcc, s[62:63]
	s_and_saveexec_b64 s[62:63], vcc
	s_cbranch_execz .LBB472_176
; %bb.175:                              ;   in Loop: Header=BB472_162 Depth=1
	v_sub_f32_e32 v35, v182, v37
	v_mul_f32_e32 v182, 0x3fb8aa3b, v35
	v_fma_f32 v183, v35, s70, -v182
	v_rndne_f32_e32 v192, v182
	v_fmac_f32_e32 v183, 0x32a5705f, v35
	v_sub_f32_e32 v182, v182, v192
	v_add_f32_e32 v182, v182, v183
	v_cvt_i32_f32_e32 v183, v192
	v_exp_f32_e32 v182, v182
	v_cmp_ngt_f32_e32 vcc, s71, v35
	v_ldexp_f32 v182, v182, v183
	v_cndmask_b32_e32 v182, 0, v182, vcc
	v_cmp_nlt_f32_e32 vcc, s72, v35
	v_cndmask_b32_e32 v214, v180, v182, vcc
	v_add_f32_e32 v35, 1.0, v214
	v_add_f32_e32 v182, -1.0, v35
	v_sub_f32_e32 v183, v182, v35
	v_add_f32_e32 v183, 1.0, v183
	v_sub_f32_e32 v182, v214, v182
	v_add_f32_e32 v192, v182, v183
	v_frexp_mant_f32_e32 v193, v35
	v_cvt_f64_f32_e32 v[182:183], v35
	v_frexp_exp_i32_f64_e32 v182, v[182:183]
	v_cmp_gt_f32_e32 vcc, s74, v193
	v_subbrev_co_u32_e32 v198, vcc, 0, v182, vcc
	v_sub_u32_e32 v182, 0, v198
	v_ldexp_f32 v35, v35, v182
	v_ldexp_f32 v182, v192, v182
	v_add_f32_e32 v192, -1.0, v35
	v_add_f32_e32 v183, 1.0, v192
	v_sub_f32_e32 v183, v35, v183
	v_add_f32_e32 v193, v182, v183
	v_add_f32_e32 v183, 1.0, v35
	v_add_f32_e32 v194, -1.0, v183
	v_sub_f32_e32 v35, v35, v194
	v_add_f32_e32 v35, v182, v35
	v_add_f32_e32 v199, v183, v35
	v_rcp_f32_e32 v208, v199
	v_sub_f32_e32 v182, v183, v199
	v_add_f32_e32 v183, v192, v193
	v_add_f32_e32 v35, v35, v182
	v_mul_f32_e32 v210, v183, v208
	v_sub_f32_e32 v182, v192, v183
	v_mul_f32_e32 v192, v199, v210
	v_fma_f32 v194, v210, v199, -v192
	v_fmac_f32_e32 v194, v210, v35
	v_add_f32_e32 v209, v193, v182
	v_add_f32_e32 v182, v192, v194
	v_sub_f32_e32 v193, v183, v182
	v_pk_add_f32 v[196:197], v[182:183], v[192:193] neg_lo:[0,1] neg_hi:[0,1]
	v_mov_b32_e32 v195, v182
	v_pk_add_f32 v[182:183], v[196:197], v[194:195] neg_lo:[0,1] neg_hi:[0,1]
	v_add_f32_e32 v183, v209, v183
	v_add_f32_e32 v182, v182, v183
	;; [unrolled: 1-line block ×3, first 2 shown]
	v_mul_f32_e32 v209, v208, v183
	v_mul_f32_e32 v192, v199, v209
	v_fma_f32 v194, v209, v199, -v192
	v_fmac_f32_e32 v194, v209, v35
	v_sub_f32_e32 v35, v193, v183
	v_add_f32_e32 v35, v182, v35
	v_add_f32_e32 v182, v192, v194
	v_sub_f32_e32 v193, v183, v182
	v_pk_add_f32 v[196:197], v[182:183], v[192:193] neg_lo:[0,1] neg_hi:[0,1]
	v_mov_b32_e32 v195, v182
	v_pk_add_f32 v[182:183], v[196:197], v[194:195] neg_lo:[0,1] neg_hi:[0,1]
	v_add_f32_e32 v35, v35, v183
	v_add_f32_e32 v35, v182, v35
	;; [unrolled: 1-line block ×4, first 2 shown]
	v_sub_f32_e32 v182, v183, v210
	v_mul_f32_e32 v35, v208, v35
	v_sub_f32_e32 v182, v209, v182
	v_add_f32_e32 v192, v182, v35
	v_add_f32_e32 v194, v183, v192
	v_cvt_f32_i32_e32 v182, v198
	v_mul_f32_e32 v195, v194, v194
	v_mov_b32_e32 v35, 0x3ecc95a3
	v_sub_f32_e32 v183, v194, v183
	v_fmac_f32_e32 v35, 0x3e9b6dac, v195
	v_sub_f32_e32 v183, v192, v183
	v_fma_f32 v35, v195, v35, v178
	v_ldexp_f32 v196, v183, 1
	v_mul_f32_e32 v183, v194, v195
	v_ldexp_f32 v193, v194, 1
	v_pk_mul_f32 v[194:195], v[182:183], v[34:35]
	v_fma_f32 v192, v182, s75, -v194
	v_fmac_f32_e32 v192, 0xb102e308, v182
	v_pk_add_f32 v[182:183], v[194:195], v[192:193]
	v_sub_f32_e32 v35, v183, v193
	v_sub_f32_e32 v35, v195, v35
	v_add_f32_e32 v197, v196, v35
	v_mov_b32_e32 v196, v194
	v_pk_add_f32 v[194:195], v[182:183], v[194:195] neg_lo:[0,1] neg_hi:[0,1]
	v_pk_add_f32 v[198:199], v[182:183], v[196:197]
	v_mov_b32_e32 v195, v199
	v_mov_b32_e32 v193, v182
	v_pk_add_f32 v[208:209], v[192:193], v[194:195] neg_lo:[0,1] neg_hi:[0,1]
	v_pk_add_f32 v[192:193], v[192:193], v[194:195]
	v_mov_b32_e32 v194, v193
	v_pk_add_f32 v[210:211], v[194:195], v[182:183] neg_lo:[0,1] neg_hi:[0,1]
	v_mov_b32_e32 v35, v210
	v_pk_add_f32 v[212:213], v[198:199], v[34:35] neg_lo:[0,1] neg_hi:[0,1]
	v_mov_b32_e32 v192, v199
	v_mov_b32_e32 v198, v183
	;; [unrolled: 1-line block ×4, first 2 shown]
	v_pk_add_f32 v[192:193], v[192:193], v[198:199] neg_lo:[0,1] neg_hi:[0,1]
	v_mov_b32_e32 v196, v197
	v_mov_b32_e32 v197, v182
	v_pk_add_f32 v[182:183], v[196:197], v[192:193] neg_lo:[0,1] neg_hi:[0,1]
	v_mov_b32_e32 v212, v208
	v_pk_add_f32 v[192:193], v[212:213], v[182:183]
	v_mov_b32_e32 v196, v193
	v_pk_add_f32 v[196:197], v[192:193], v[196:197]
	v_pk_add_f32 v[194:195], v[194:195], v[196:197]
	v_mov_b32_e32 v193, v194
	v_pk_add_f32 v[198:199], v[192:193], v[208:209] neg_lo:[0,1] neg_hi:[0,1]
	v_mov_b32_e32 v183, v196
	v_sub_f32_e32 v35, v192, v198
	v_pk_add_f32 v[182:183], v[182:183], v[198:199] neg_lo:[0,1] neg_hi:[0,1]
	v_sub_f32_e32 v35, v208, v35
	v_add_f32_e32 v35, v182, v35
	v_add_f32_e32 v35, v35, v183
	v_cmp_eq_f32_e32 vcc, s73, v214
	v_cmp_lt_f32_e64 s[78:79], |v214|, s76
	v_add_f32_e32 v35, v194, v35
	s_or_b64 vcc, vcc, s[78:79]
	v_cndmask_b32_e32 v35, v35, v214, vcc
	v_add_f32_e32 v35, v37, v35
.LBB472_176:                            ;   in Loop: Header=BB472_162 Depth=1
	s_or_b64 exec, exec, s[62:63]
	v_bfe_u32 v37, v35, 16, 1
	v_add3_u32 v37, v35, v37, s77
	v_lshrrev_b32_e32 v37, 16, v37
	v_cmp_o_f32_e32 vcc, v35, v35
	v_cndmask_b32_e32 v35, v181, v37, vcc
	v_and_b32_e32 v37, 0xffff, v35
.LBB472_177:                            ;   in Loop: Header=BB472_162 Depth=1
	s_or_b64 exec, exec, s[66:67]
	s_waitcnt lgkmcnt(0)
	ds_bpermute_b32 v182, v161, v37
	v_cmp_le_u32_e32 vcc, v162, v36
	s_and_saveexec_b64 s[66:67], vcc
	s_cbranch_execz .LBB472_181
; %bb.178:                              ;   in Loop: Header=BB472_162 Depth=1
	s_waitcnt lgkmcnt(0)
	v_lshlrev_b32_e32 v35, 16, v182
	v_lshlrev_b32_e32 v37, 16, v37
	v_max_f32_e32 v183, v37, v37
	v_max_f32_e32 v192, v35, v35
	v_min_f32_e32 v182, v192, v183
	v_cmp_u_f32_e32 vcc, v35, v35
	v_max_f32_e32 v183, v192, v183
	v_cndmask_b32_e32 v182, v182, v35, vcc
	v_cmp_u_f32_e64 s[62:63], v37, v37
	v_cndmask_b32_e32 v183, v183, v35, vcc
	v_cndmask_b32_e64 v182, v182, v37, s[62:63]
	v_cndmask_b32_e64 v37, v183, v37, s[62:63]
	v_cmp_neq_f32_e32 vcc, v182, v37
	v_cmp_class_f32_e64 s[62:63], v182, s69
	s_or_b64 vcc, vcc, s[62:63]
	s_and_saveexec_b64 s[62:63], vcc
	s_cbranch_execz .LBB472_180
; %bb.179:                              ;   in Loop: Header=BB472_162 Depth=1
	v_sub_f32_e32 v35, v182, v37
	v_mul_f32_e32 v182, 0x3fb8aa3b, v35
	v_fma_f32 v183, v35, s70, -v182
	v_rndne_f32_e32 v192, v182
	v_fmac_f32_e32 v183, 0x32a5705f, v35
	v_sub_f32_e32 v182, v182, v192
	v_add_f32_e32 v182, v182, v183
	v_cvt_i32_f32_e32 v183, v192
	v_exp_f32_e32 v182, v182
	v_cmp_ngt_f32_e32 vcc, s71, v35
	v_ldexp_f32 v182, v182, v183
	v_cndmask_b32_e32 v182, 0, v182, vcc
	v_cmp_nlt_f32_e32 vcc, s72, v35
	v_cndmask_b32_e32 v214, v180, v182, vcc
	v_add_f32_e32 v35, 1.0, v214
	v_add_f32_e32 v182, -1.0, v35
	v_sub_f32_e32 v183, v182, v35
	v_add_f32_e32 v183, 1.0, v183
	v_sub_f32_e32 v182, v214, v182
	v_add_f32_e32 v192, v182, v183
	v_frexp_mant_f32_e32 v193, v35
	v_cvt_f64_f32_e32 v[182:183], v35
	v_frexp_exp_i32_f64_e32 v182, v[182:183]
	v_cmp_gt_f32_e32 vcc, s74, v193
	v_subbrev_co_u32_e32 v198, vcc, 0, v182, vcc
	v_sub_u32_e32 v182, 0, v198
	v_ldexp_f32 v35, v35, v182
	v_ldexp_f32 v182, v192, v182
	v_add_f32_e32 v192, -1.0, v35
	v_add_f32_e32 v183, 1.0, v192
	v_sub_f32_e32 v183, v35, v183
	v_add_f32_e32 v193, v182, v183
	v_add_f32_e32 v183, 1.0, v35
	v_add_f32_e32 v194, -1.0, v183
	v_sub_f32_e32 v35, v35, v194
	v_add_f32_e32 v35, v182, v35
	v_add_f32_e32 v199, v183, v35
	v_rcp_f32_e32 v208, v199
	v_sub_f32_e32 v182, v183, v199
	v_add_f32_e32 v183, v192, v193
	v_add_f32_e32 v35, v35, v182
	v_mul_f32_e32 v210, v183, v208
	v_sub_f32_e32 v182, v192, v183
	v_mul_f32_e32 v192, v199, v210
	v_fma_f32 v194, v210, v199, -v192
	v_fmac_f32_e32 v194, v210, v35
	v_add_f32_e32 v209, v193, v182
	v_add_f32_e32 v182, v192, v194
	v_sub_f32_e32 v193, v183, v182
	v_pk_add_f32 v[196:197], v[182:183], v[192:193] neg_lo:[0,1] neg_hi:[0,1]
	v_mov_b32_e32 v195, v182
	v_pk_add_f32 v[182:183], v[196:197], v[194:195] neg_lo:[0,1] neg_hi:[0,1]
	v_add_f32_e32 v183, v209, v183
	v_add_f32_e32 v182, v182, v183
	;; [unrolled: 1-line block ×3, first 2 shown]
	v_mul_f32_e32 v209, v208, v183
	v_mul_f32_e32 v192, v199, v209
	v_fma_f32 v194, v209, v199, -v192
	v_fmac_f32_e32 v194, v209, v35
	v_sub_f32_e32 v35, v193, v183
	v_add_f32_e32 v35, v182, v35
	v_add_f32_e32 v182, v192, v194
	v_sub_f32_e32 v193, v183, v182
	v_pk_add_f32 v[196:197], v[182:183], v[192:193] neg_lo:[0,1] neg_hi:[0,1]
	v_mov_b32_e32 v195, v182
	v_pk_add_f32 v[182:183], v[196:197], v[194:195] neg_lo:[0,1] neg_hi:[0,1]
	v_add_f32_e32 v35, v35, v183
	v_add_f32_e32 v35, v182, v35
	;; [unrolled: 1-line block ×4, first 2 shown]
	v_sub_f32_e32 v182, v183, v210
	v_mul_f32_e32 v35, v208, v35
	v_sub_f32_e32 v182, v209, v182
	v_add_f32_e32 v192, v182, v35
	v_add_f32_e32 v194, v183, v192
	v_cvt_f32_i32_e32 v182, v198
	v_mul_f32_e32 v195, v194, v194
	v_mov_b32_e32 v35, 0x3ecc95a3
	v_sub_f32_e32 v183, v194, v183
	v_fmac_f32_e32 v35, 0x3e9b6dac, v195
	v_sub_f32_e32 v183, v192, v183
	v_fma_f32 v35, v195, v35, v178
	v_ldexp_f32 v196, v183, 1
	v_mul_f32_e32 v183, v194, v195
	v_ldexp_f32 v193, v194, 1
	v_pk_mul_f32 v[194:195], v[182:183], v[34:35]
	v_fma_f32 v192, v182, s75, -v194
	v_fmac_f32_e32 v192, 0xb102e308, v182
	v_pk_add_f32 v[182:183], v[194:195], v[192:193]
	v_sub_f32_e32 v35, v183, v193
	v_sub_f32_e32 v35, v195, v35
	v_add_f32_e32 v197, v196, v35
	v_mov_b32_e32 v196, v194
	v_pk_add_f32 v[194:195], v[182:183], v[194:195] neg_lo:[0,1] neg_hi:[0,1]
	v_pk_add_f32 v[198:199], v[182:183], v[196:197]
	v_mov_b32_e32 v195, v199
	v_mov_b32_e32 v193, v182
	v_pk_add_f32 v[208:209], v[192:193], v[194:195] neg_lo:[0,1] neg_hi:[0,1]
	v_pk_add_f32 v[192:193], v[192:193], v[194:195]
	v_mov_b32_e32 v194, v193
	v_pk_add_f32 v[210:211], v[194:195], v[182:183] neg_lo:[0,1] neg_hi:[0,1]
	v_mov_b32_e32 v35, v210
	v_pk_add_f32 v[212:213], v[198:199], v[34:35] neg_lo:[0,1] neg_hi:[0,1]
	v_mov_b32_e32 v192, v199
	v_mov_b32_e32 v198, v183
	;; [unrolled: 1-line block ×4, first 2 shown]
	v_pk_add_f32 v[192:193], v[192:193], v[198:199] neg_lo:[0,1] neg_hi:[0,1]
	v_mov_b32_e32 v196, v197
	v_mov_b32_e32 v197, v182
	v_pk_add_f32 v[182:183], v[196:197], v[192:193] neg_lo:[0,1] neg_hi:[0,1]
	v_mov_b32_e32 v212, v208
	v_pk_add_f32 v[192:193], v[212:213], v[182:183]
	v_mov_b32_e32 v196, v193
	v_pk_add_f32 v[196:197], v[192:193], v[196:197]
	v_pk_add_f32 v[194:195], v[194:195], v[196:197]
	v_mov_b32_e32 v193, v194
	v_pk_add_f32 v[198:199], v[192:193], v[208:209] neg_lo:[0,1] neg_hi:[0,1]
	v_mov_b32_e32 v183, v196
	v_sub_f32_e32 v35, v192, v198
	v_pk_add_f32 v[182:183], v[182:183], v[198:199] neg_lo:[0,1] neg_hi:[0,1]
	v_sub_f32_e32 v35, v208, v35
	v_add_f32_e32 v35, v182, v35
	v_add_f32_e32 v35, v35, v183
	v_cmp_eq_f32_e32 vcc, s73, v214
	v_cmp_lt_f32_e64 s[78:79], |v214|, s76
	v_add_f32_e32 v35, v194, v35
	s_or_b64 vcc, vcc, s[78:79]
	v_cndmask_b32_e32 v35, v35, v214, vcc
	v_add_f32_e32 v35, v37, v35
.LBB472_180:                            ;   in Loop: Header=BB472_162 Depth=1
	s_or_b64 exec, exec, s[62:63]
	v_bfe_u32 v37, v35, 16, 1
	v_add3_u32 v37, v35, v37, s77
	v_lshrrev_b32_e32 v37, 16, v37
	v_cmp_o_f32_e32 vcc, v35, v35
	v_cndmask_b32_e32 v35, v181, v37, vcc
	v_and_b32_e32 v37, 0xffff, v35
.LBB472_181:                            ;   in Loop: Header=BB472_162 Depth=1
	s_or_b64 exec, exec, s[66:67]
	s_waitcnt lgkmcnt(0)
	ds_bpermute_b32 v182, v163, v37
	v_cmp_le_u32_e32 vcc, v164, v36
	s_and_saveexec_b64 s[66:67], vcc
	s_cbranch_execz .LBB472_185
; %bb.182:                              ;   in Loop: Header=BB472_162 Depth=1
	s_waitcnt lgkmcnt(0)
	v_lshlrev_b32_e32 v35, 16, v182
	v_lshlrev_b32_e32 v37, 16, v37
	v_max_f32_e32 v183, v37, v37
	v_max_f32_e32 v192, v35, v35
	v_min_f32_e32 v182, v192, v183
	v_cmp_u_f32_e32 vcc, v35, v35
	v_max_f32_e32 v183, v192, v183
	v_cndmask_b32_e32 v182, v182, v35, vcc
	v_cmp_u_f32_e64 s[62:63], v37, v37
	v_cndmask_b32_e32 v183, v183, v35, vcc
	v_cndmask_b32_e64 v182, v182, v37, s[62:63]
	v_cndmask_b32_e64 v37, v183, v37, s[62:63]
	v_cmp_neq_f32_e32 vcc, v182, v37
	v_cmp_class_f32_e64 s[62:63], v182, s69
	s_or_b64 vcc, vcc, s[62:63]
	s_and_saveexec_b64 s[62:63], vcc
	s_cbranch_execz .LBB472_184
; %bb.183:                              ;   in Loop: Header=BB472_162 Depth=1
	v_sub_f32_e32 v35, v182, v37
	v_mul_f32_e32 v182, 0x3fb8aa3b, v35
	v_fma_f32 v183, v35, s70, -v182
	v_rndne_f32_e32 v192, v182
	v_fmac_f32_e32 v183, 0x32a5705f, v35
	v_sub_f32_e32 v182, v182, v192
	v_add_f32_e32 v182, v182, v183
	v_cvt_i32_f32_e32 v183, v192
	v_exp_f32_e32 v182, v182
	v_cmp_ngt_f32_e32 vcc, s71, v35
	v_ldexp_f32 v182, v182, v183
	v_cndmask_b32_e32 v182, 0, v182, vcc
	v_cmp_nlt_f32_e32 vcc, s72, v35
	v_cndmask_b32_e32 v214, v180, v182, vcc
	v_add_f32_e32 v35, 1.0, v214
	v_add_f32_e32 v182, -1.0, v35
	v_sub_f32_e32 v183, v182, v35
	v_add_f32_e32 v183, 1.0, v183
	v_sub_f32_e32 v182, v214, v182
	v_add_f32_e32 v192, v182, v183
	v_frexp_mant_f32_e32 v193, v35
	v_cvt_f64_f32_e32 v[182:183], v35
	v_frexp_exp_i32_f64_e32 v182, v[182:183]
	v_cmp_gt_f32_e32 vcc, s74, v193
	v_subbrev_co_u32_e32 v198, vcc, 0, v182, vcc
	v_sub_u32_e32 v182, 0, v198
	v_ldexp_f32 v35, v35, v182
	v_ldexp_f32 v182, v192, v182
	v_add_f32_e32 v192, -1.0, v35
	v_add_f32_e32 v183, 1.0, v192
	v_sub_f32_e32 v183, v35, v183
	v_add_f32_e32 v193, v182, v183
	v_add_f32_e32 v183, 1.0, v35
	v_add_f32_e32 v194, -1.0, v183
	v_sub_f32_e32 v35, v35, v194
	v_add_f32_e32 v35, v182, v35
	v_add_f32_e32 v199, v183, v35
	v_rcp_f32_e32 v208, v199
	v_sub_f32_e32 v182, v183, v199
	v_add_f32_e32 v183, v192, v193
	v_add_f32_e32 v35, v35, v182
	v_mul_f32_e32 v210, v183, v208
	v_sub_f32_e32 v182, v192, v183
	v_mul_f32_e32 v192, v199, v210
	v_fma_f32 v194, v210, v199, -v192
	v_fmac_f32_e32 v194, v210, v35
	v_add_f32_e32 v209, v193, v182
	v_add_f32_e32 v182, v192, v194
	v_sub_f32_e32 v193, v183, v182
	v_pk_add_f32 v[196:197], v[182:183], v[192:193] neg_lo:[0,1] neg_hi:[0,1]
	v_mov_b32_e32 v195, v182
	v_pk_add_f32 v[182:183], v[196:197], v[194:195] neg_lo:[0,1] neg_hi:[0,1]
	v_add_f32_e32 v183, v209, v183
	v_add_f32_e32 v182, v182, v183
	;; [unrolled: 1-line block ×3, first 2 shown]
	v_mul_f32_e32 v209, v208, v183
	v_mul_f32_e32 v192, v199, v209
	v_fma_f32 v194, v209, v199, -v192
	v_fmac_f32_e32 v194, v209, v35
	v_sub_f32_e32 v35, v193, v183
	v_add_f32_e32 v35, v182, v35
	v_add_f32_e32 v182, v192, v194
	v_sub_f32_e32 v193, v183, v182
	v_pk_add_f32 v[196:197], v[182:183], v[192:193] neg_lo:[0,1] neg_hi:[0,1]
	v_mov_b32_e32 v195, v182
	v_pk_add_f32 v[182:183], v[196:197], v[194:195] neg_lo:[0,1] neg_hi:[0,1]
	v_add_f32_e32 v35, v35, v183
	v_add_f32_e32 v35, v182, v35
	;; [unrolled: 1-line block ×4, first 2 shown]
	v_sub_f32_e32 v182, v183, v210
	v_mul_f32_e32 v35, v208, v35
	v_sub_f32_e32 v182, v209, v182
	v_add_f32_e32 v192, v182, v35
	v_add_f32_e32 v194, v183, v192
	v_cvt_f32_i32_e32 v182, v198
	v_mul_f32_e32 v195, v194, v194
	v_mov_b32_e32 v35, 0x3ecc95a3
	v_sub_f32_e32 v183, v194, v183
	v_fmac_f32_e32 v35, 0x3e9b6dac, v195
	v_sub_f32_e32 v183, v192, v183
	v_fma_f32 v35, v195, v35, v178
	v_ldexp_f32 v196, v183, 1
	v_mul_f32_e32 v183, v194, v195
	v_ldexp_f32 v193, v194, 1
	v_pk_mul_f32 v[194:195], v[182:183], v[34:35]
	v_fma_f32 v192, v182, s75, -v194
	v_fmac_f32_e32 v192, 0xb102e308, v182
	v_pk_add_f32 v[182:183], v[194:195], v[192:193]
	v_sub_f32_e32 v35, v183, v193
	v_sub_f32_e32 v35, v195, v35
	v_add_f32_e32 v197, v196, v35
	v_mov_b32_e32 v196, v194
	v_pk_add_f32 v[194:195], v[182:183], v[194:195] neg_lo:[0,1] neg_hi:[0,1]
	v_pk_add_f32 v[198:199], v[182:183], v[196:197]
	v_mov_b32_e32 v195, v199
	v_mov_b32_e32 v193, v182
	v_pk_add_f32 v[208:209], v[192:193], v[194:195] neg_lo:[0,1] neg_hi:[0,1]
	v_pk_add_f32 v[192:193], v[192:193], v[194:195]
	v_mov_b32_e32 v194, v193
	v_pk_add_f32 v[210:211], v[194:195], v[182:183] neg_lo:[0,1] neg_hi:[0,1]
	v_mov_b32_e32 v35, v210
	v_pk_add_f32 v[212:213], v[198:199], v[34:35] neg_lo:[0,1] neg_hi:[0,1]
	v_mov_b32_e32 v192, v199
	v_mov_b32_e32 v198, v183
	;; [unrolled: 1-line block ×4, first 2 shown]
	v_pk_add_f32 v[192:193], v[192:193], v[198:199] neg_lo:[0,1] neg_hi:[0,1]
	v_mov_b32_e32 v196, v197
	v_mov_b32_e32 v197, v182
	v_pk_add_f32 v[182:183], v[196:197], v[192:193] neg_lo:[0,1] neg_hi:[0,1]
	v_mov_b32_e32 v212, v208
	v_pk_add_f32 v[192:193], v[212:213], v[182:183]
	v_mov_b32_e32 v196, v193
	v_pk_add_f32 v[196:197], v[192:193], v[196:197]
	v_pk_add_f32 v[194:195], v[194:195], v[196:197]
	v_mov_b32_e32 v193, v194
	v_pk_add_f32 v[198:199], v[192:193], v[208:209] neg_lo:[0,1] neg_hi:[0,1]
	v_mov_b32_e32 v183, v196
	v_sub_f32_e32 v35, v192, v198
	v_pk_add_f32 v[182:183], v[182:183], v[198:199] neg_lo:[0,1] neg_hi:[0,1]
	v_sub_f32_e32 v35, v208, v35
	v_add_f32_e32 v35, v182, v35
	v_add_f32_e32 v35, v35, v183
	v_cmp_eq_f32_e32 vcc, s73, v214
	v_cmp_lt_f32_e64 s[78:79], |v214|, s76
	v_add_f32_e32 v35, v194, v35
	s_or_b64 vcc, vcc, s[78:79]
	v_cndmask_b32_e32 v35, v35, v214, vcc
	v_add_f32_e32 v35, v37, v35
.LBB472_184:                            ;   in Loop: Header=BB472_162 Depth=1
	s_or_b64 exec, exec, s[62:63]
	v_bfe_u32 v37, v35, 16, 1
	v_add3_u32 v37, v35, v37, s77
	v_lshrrev_b32_e32 v37, 16, v37
	v_cmp_o_f32_e32 vcc, v35, v35
	v_cndmask_b32_e32 v35, v181, v37, vcc
	v_and_b32_e32 v37, 0xffff, v35
.LBB472_185:                            ;   in Loop: Header=BB472_162 Depth=1
	s_or_b64 exec, exec, s[66:67]
	s_waitcnt lgkmcnt(0)
	ds_bpermute_b32 v182, v165, v37
	v_cmp_le_u32_e32 vcc, v166, v36
	s_and_saveexec_b64 s[66:67], vcc
	s_cbranch_execz .LBB472_189
; %bb.186:                              ;   in Loop: Header=BB472_162 Depth=1
	s_waitcnt lgkmcnt(0)
	v_lshlrev_b32_e32 v35, 16, v182
	v_lshlrev_b32_e32 v37, 16, v37
	v_max_f32_e32 v183, v37, v37
	v_max_f32_e32 v192, v35, v35
	v_min_f32_e32 v182, v192, v183
	v_cmp_u_f32_e32 vcc, v35, v35
	v_max_f32_e32 v183, v192, v183
	v_cndmask_b32_e32 v182, v182, v35, vcc
	v_cmp_u_f32_e64 s[62:63], v37, v37
	v_cndmask_b32_e32 v183, v183, v35, vcc
	v_cndmask_b32_e64 v182, v182, v37, s[62:63]
	v_cndmask_b32_e64 v37, v183, v37, s[62:63]
	v_cmp_neq_f32_e32 vcc, v182, v37
	v_cmp_class_f32_e64 s[62:63], v182, s69
	s_or_b64 vcc, vcc, s[62:63]
	s_and_saveexec_b64 s[62:63], vcc
	s_cbranch_execz .LBB472_188
; %bb.187:                              ;   in Loop: Header=BB472_162 Depth=1
	v_sub_f32_e32 v35, v182, v37
	v_mul_f32_e32 v182, 0x3fb8aa3b, v35
	v_fma_f32 v183, v35, s70, -v182
	v_rndne_f32_e32 v192, v182
	v_fmac_f32_e32 v183, 0x32a5705f, v35
	v_sub_f32_e32 v182, v182, v192
	v_add_f32_e32 v182, v182, v183
	v_cvt_i32_f32_e32 v183, v192
	v_exp_f32_e32 v182, v182
	v_cmp_ngt_f32_e32 vcc, s71, v35
	v_ldexp_f32 v182, v182, v183
	v_cndmask_b32_e32 v182, 0, v182, vcc
	v_cmp_nlt_f32_e32 vcc, s72, v35
	v_cndmask_b32_e32 v214, v180, v182, vcc
	v_add_f32_e32 v35, 1.0, v214
	v_add_f32_e32 v182, -1.0, v35
	v_sub_f32_e32 v183, v182, v35
	v_add_f32_e32 v183, 1.0, v183
	v_sub_f32_e32 v182, v214, v182
	v_add_f32_e32 v192, v182, v183
	v_frexp_mant_f32_e32 v193, v35
	v_cvt_f64_f32_e32 v[182:183], v35
	v_frexp_exp_i32_f64_e32 v182, v[182:183]
	v_cmp_gt_f32_e32 vcc, s74, v193
	v_subbrev_co_u32_e32 v198, vcc, 0, v182, vcc
	v_sub_u32_e32 v182, 0, v198
	v_ldexp_f32 v35, v35, v182
	v_ldexp_f32 v182, v192, v182
	v_add_f32_e32 v192, -1.0, v35
	v_add_f32_e32 v183, 1.0, v192
	v_sub_f32_e32 v183, v35, v183
	v_add_f32_e32 v193, v182, v183
	v_add_f32_e32 v183, 1.0, v35
	v_add_f32_e32 v194, -1.0, v183
	v_sub_f32_e32 v35, v35, v194
	v_add_f32_e32 v35, v182, v35
	v_add_f32_e32 v199, v183, v35
	v_rcp_f32_e32 v208, v199
	v_sub_f32_e32 v182, v183, v199
	v_add_f32_e32 v183, v192, v193
	v_add_f32_e32 v35, v35, v182
	v_mul_f32_e32 v210, v183, v208
	v_sub_f32_e32 v182, v192, v183
	v_mul_f32_e32 v192, v199, v210
	v_fma_f32 v194, v210, v199, -v192
	v_fmac_f32_e32 v194, v210, v35
	v_add_f32_e32 v209, v193, v182
	v_add_f32_e32 v182, v192, v194
	v_sub_f32_e32 v193, v183, v182
	v_pk_add_f32 v[196:197], v[182:183], v[192:193] neg_lo:[0,1] neg_hi:[0,1]
	v_mov_b32_e32 v195, v182
	v_pk_add_f32 v[182:183], v[196:197], v[194:195] neg_lo:[0,1] neg_hi:[0,1]
	v_add_f32_e32 v183, v209, v183
	v_add_f32_e32 v182, v182, v183
	;; [unrolled: 1-line block ×3, first 2 shown]
	v_mul_f32_e32 v209, v208, v183
	v_mul_f32_e32 v192, v199, v209
	v_fma_f32 v194, v209, v199, -v192
	v_fmac_f32_e32 v194, v209, v35
	v_sub_f32_e32 v35, v193, v183
	v_add_f32_e32 v35, v182, v35
	v_add_f32_e32 v182, v192, v194
	v_sub_f32_e32 v193, v183, v182
	v_pk_add_f32 v[196:197], v[182:183], v[192:193] neg_lo:[0,1] neg_hi:[0,1]
	v_mov_b32_e32 v195, v182
	v_pk_add_f32 v[182:183], v[196:197], v[194:195] neg_lo:[0,1] neg_hi:[0,1]
	v_add_f32_e32 v35, v35, v183
	v_add_f32_e32 v35, v182, v35
	;; [unrolled: 1-line block ×4, first 2 shown]
	v_sub_f32_e32 v182, v183, v210
	v_mul_f32_e32 v35, v208, v35
	v_sub_f32_e32 v182, v209, v182
	v_add_f32_e32 v192, v182, v35
	v_add_f32_e32 v194, v183, v192
	v_cvt_f32_i32_e32 v182, v198
	v_mul_f32_e32 v195, v194, v194
	v_mov_b32_e32 v35, 0x3ecc95a3
	v_sub_f32_e32 v183, v194, v183
	v_fmac_f32_e32 v35, 0x3e9b6dac, v195
	v_sub_f32_e32 v183, v192, v183
	v_fma_f32 v35, v195, v35, v178
	v_ldexp_f32 v196, v183, 1
	v_mul_f32_e32 v183, v194, v195
	v_ldexp_f32 v193, v194, 1
	v_pk_mul_f32 v[194:195], v[182:183], v[34:35]
	v_fma_f32 v192, v182, s75, -v194
	v_fmac_f32_e32 v192, 0xb102e308, v182
	v_pk_add_f32 v[182:183], v[194:195], v[192:193]
	v_sub_f32_e32 v35, v183, v193
	v_sub_f32_e32 v35, v195, v35
	v_add_f32_e32 v197, v196, v35
	v_mov_b32_e32 v196, v194
	v_pk_add_f32 v[194:195], v[182:183], v[194:195] neg_lo:[0,1] neg_hi:[0,1]
	v_pk_add_f32 v[198:199], v[182:183], v[196:197]
	v_mov_b32_e32 v195, v199
	v_mov_b32_e32 v193, v182
	v_pk_add_f32 v[208:209], v[192:193], v[194:195] neg_lo:[0,1] neg_hi:[0,1]
	v_pk_add_f32 v[192:193], v[192:193], v[194:195]
	v_mov_b32_e32 v194, v193
	v_pk_add_f32 v[210:211], v[194:195], v[182:183] neg_lo:[0,1] neg_hi:[0,1]
	v_mov_b32_e32 v35, v210
	v_pk_add_f32 v[212:213], v[198:199], v[34:35] neg_lo:[0,1] neg_hi:[0,1]
	v_mov_b32_e32 v192, v199
	v_mov_b32_e32 v198, v183
	;; [unrolled: 1-line block ×4, first 2 shown]
	v_pk_add_f32 v[192:193], v[192:193], v[198:199] neg_lo:[0,1] neg_hi:[0,1]
	v_mov_b32_e32 v196, v197
	v_mov_b32_e32 v197, v182
	v_pk_add_f32 v[182:183], v[196:197], v[192:193] neg_lo:[0,1] neg_hi:[0,1]
	v_mov_b32_e32 v212, v208
	v_pk_add_f32 v[192:193], v[212:213], v[182:183]
	v_mov_b32_e32 v196, v193
	v_pk_add_f32 v[196:197], v[192:193], v[196:197]
	v_pk_add_f32 v[194:195], v[194:195], v[196:197]
	v_mov_b32_e32 v193, v194
	v_pk_add_f32 v[198:199], v[192:193], v[208:209] neg_lo:[0,1] neg_hi:[0,1]
	v_mov_b32_e32 v183, v196
	v_sub_f32_e32 v35, v192, v198
	v_pk_add_f32 v[182:183], v[182:183], v[198:199] neg_lo:[0,1] neg_hi:[0,1]
	v_sub_f32_e32 v35, v208, v35
	v_add_f32_e32 v35, v182, v35
	v_add_f32_e32 v35, v35, v183
	v_cmp_eq_f32_e32 vcc, s73, v214
	v_cmp_lt_f32_e64 s[78:79], |v214|, s76
	v_add_f32_e32 v35, v194, v35
	s_or_b64 vcc, vcc, s[78:79]
	v_cndmask_b32_e32 v35, v35, v214, vcc
	v_add_f32_e32 v35, v37, v35
.LBB472_188:                            ;   in Loop: Header=BB472_162 Depth=1
	s_or_b64 exec, exec, s[62:63]
	v_bfe_u32 v37, v35, 16, 1
	v_add3_u32 v37, v35, v37, s77
	v_lshrrev_b32_e32 v37, 16, v37
	v_cmp_o_f32_e32 vcc, v35, v35
	v_cndmask_b32_e32 v35, v181, v37, vcc
	v_and_b32_e32 v37, 0xffff, v35
.LBB472_189:                            ;   in Loop: Header=BB472_162 Depth=1
	s_or_b64 exec, exec, s[66:67]
	s_waitcnt lgkmcnt(0)
	ds_bpermute_b32 v182, v167, v37
	v_cmp_le_u32_e32 vcc, v176, v36
	s_and_saveexec_b64 s[66:67], vcc
	s_cbranch_execz .LBB472_193
; %bb.190:                              ;   in Loop: Header=BB472_162 Depth=1
	s_waitcnt lgkmcnt(0)
	v_lshlrev_b32_e32 v35, 16, v182
	v_lshlrev_b32_e32 v36, 16, v37
	v_max_f32_e32 v182, v36, v36
	v_max_f32_e32 v183, v35, v35
	v_min_f32_e32 v37, v183, v182
	v_cmp_u_f32_e32 vcc, v35, v35
	v_max_f32_e32 v182, v183, v182
	v_cndmask_b32_e32 v37, v37, v35, vcc
	v_cmp_u_f32_e64 s[62:63], v36, v36
	v_cndmask_b32_e32 v182, v182, v35, vcc
	v_cndmask_b32_e64 v37, v37, v36, s[62:63]
	v_cndmask_b32_e64 v36, v182, v36, s[62:63]
	v_cmp_neq_f32_e32 vcc, v37, v36
	v_cmp_class_f32_e64 s[62:63], v37, s69
	s_or_b64 vcc, vcc, s[62:63]
	s_and_saveexec_b64 s[62:63], vcc
	s_cbranch_execz .LBB472_192
; %bb.191:                              ;   in Loop: Header=BB472_162 Depth=1
	v_sub_f32_e32 v35, v37, v36
	v_mul_f32_e32 v37, 0x3fb8aa3b, v35
	v_fma_f32 v182, v35, s70, -v37
	v_rndne_f32_e32 v183, v37
	v_fmac_f32_e32 v182, 0x32a5705f, v35
	v_sub_f32_e32 v37, v37, v183
	v_add_f32_e32 v37, v37, v182
	v_cvt_i32_f32_e32 v182, v183
	v_exp_f32_e32 v37, v37
	v_cmp_ngt_f32_e32 vcc, s71, v35
	v_ldexp_f32 v37, v37, v182
	v_cndmask_b32_e32 v37, 0, v37, vcc
	v_cmp_nlt_f32_e32 vcc, s72, v35
	v_cndmask_b32_e32 v37, v180, v37, vcc
	v_add_f32_e32 v35, 1.0, v37
	v_add_f32_e32 v182, -1.0, v35
	v_sub_f32_e32 v183, v182, v35
	v_add_f32_e32 v183, 1.0, v183
	v_sub_f32_e32 v182, v37, v182
	v_add_f32_e32 v192, v182, v183
	v_frexp_mant_f32_e32 v193, v35
	v_cvt_f64_f32_e32 v[182:183], v35
	v_frexp_exp_i32_f64_e32 v182, v[182:183]
	v_cmp_gt_f32_e32 vcc, s74, v193
	v_subbrev_co_u32_e32 v198, vcc, 0, v182, vcc
	v_sub_u32_e32 v182, 0, v198
	v_ldexp_f32 v35, v35, v182
	v_ldexp_f32 v182, v192, v182
	v_add_f32_e32 v192, -1.0, v35
	v_add_f32_e32 v183, 1.0, v192
	v_sub_f32_e32 v183, v35, v183
	v_add_f32_e32 v193, v182, v183
	v_add_f32_e32 v183, 1.0, v35
	v_add_f32_e32 v194, -1.0, v183
	v_sub_f32_e32 v35, v35, v194
	v_add_f32_e32 v35, v182, v35
	v_add_f32_e32 v199, v183, v35
	v_rcp_f32_e32 v208, v199
	v_sub_f32_e32 v182, v183, v199
	v_add_f32_e32 v183, v192, v193
	v_add_f32_e32 v35, v35, v182
	v_mul_f32_e32 v210, v183, v208
	v_sub_f32_e32 v182, v192, v183
	v_mul_f32_e32 v192, v199, v210
	v_fma_f32 v194, v210, v199, -v192
	v_fmac_f32_e32 v194, v210, v35
	v_add_f32_e32 v209, v193, v182
	v_add_f32_e32 v182, v192, v194
	v_sub_f32_e32 v193, v183, v182
	v_pk_add_f32 v[196:197], v[182:183], v[192:193] neg_lo:[0,1] neg_hi:[0,1]
	v_mov_b32_e32 v195, v182
	v_pk_add_f32 v[182:183], v[196:197], v[194:195] neg_lo:[0,1] neg_hi:[0,1]
	v_add_f32_e32 v183, v209, v183
	v_add_f32_e32 v182, v182, v183
	;; [unrolled: 1-line block ×3, first 2 shown]
	v_mul_f32_e32 v209, v208, v183
	v_mul_f32_e32 v192, v199, v209
	v_fma_f32 v194, v209, v199, -v192
	v_fmac_f32_e32 v194, v209, v35
	v_sub_f32_e32 v35, v193, v183
	v_add_f32_e32 v35, v182, v35
	v_add_f32_e32 v182, v192, v194
	v_sub_f32_e32 v193, v183, v182
	v_pk_add_f32 v[196:197], v[182:183], v[192:193] neg_lo:[0,1] neg_hi:[0,1]
	v_mov_b32_e32 v195, v182
	v_pk_add_f32 v[182:183], v[196:197], v[194:195] neg_lo:[0,1] neg_hi:[0,1]
	v_add_f32_e32 v35, v35, v183
	v_add_f32_e32 v35, v182, v35
	;; [unrolled: 1-line block ×4, first 2 shown]
	v_sub_f32_e32 v182, v183, v210
	v_mul_f32_e32 v35, v208, v35
	v_sub_f32_e32 v182, v209, v182
	v_add_f32_e32 v192, v182, v35
	v_add_f32_e32 v194, v183, v192
	v_cvt_f32_i32_e32 v182, v198
	v_mul_f32_e32 v195, v194, v194
	v_mov_b32_e32 v35, 0x3ecc95a3
	v_sub_f32_e32 v183, v194, v183
	v_fmac_f32_e32 v35, 0x3e9b6dac, v195
	v_sub_f32_e32 v183, v192, v183
	v_fma_f32 v35, v195, v35, v178
	v_ldexp_f32 v196, v183, 1
	v_mul_f32_e32 v183, v194, v195
	v_ldexp_f32 v193, v194, 1
	v_pk_mul_f32 v[194:195], v[182:183], v[34:35]
	v_fma_f32 v192, v182, s75, -v194
	v_fmac_f32_e32 v192, 0xb102e308, v182
	v_pk_add_f32 v[182:183], v[194:195], v[192:193]
	v_sub_f32_e32 v35, v183, v193
	v_sub_f32_e32 v35, v195, v35
	v_add_f32_e32 v197, v196, v35
	v_mov_b32_e32 v196, v194
	v_pk_add_f32 v[194:195], v[182:183], v[194:195] neg_lo:[0,1] neg_hi:[0,1]
	v_pk_add_f32 v[198:199], v[182:183], v[196:197]
	v_mov_b32_e32 v195, v199
	v_mov_b32_e32 v193, v182
	v_pk_add_f32 v[208:209], v[192:193], v[194:195] neg_lo:[0,1] neg_hi:[0,1]
	v_pk_add_f32 v[192:193], v[192:193], v[194:195]
	v_mov_b32_e32 v194, v193
	v_pk_add_f32 v[210:211], v[194:195], v[182:183] neg_lo:[0,1] neg_hi:[0,1]
	v_mov_b32_e32 v35, v210
	v_pk_add_f32 v[212:213], v[198:199], v[34:35] neg_lo:[0,1] neg_hi:[0,1]
	v_mov_b32_e32 v192, v199
	v_mov_b32_e32 v198, v183
	;; [unrolled: 1-line block ×4, first 2 shown]
	v_pk_add_f32 v[192:193], v[192:193], v[198:199] neg_lo:[0,1] neg_hi:[0,1]
	v_mov_b32_e32 v196, v197
	v_mov_b32_e32 v197, v182
	v_pk_add_f32 v[182:183], v[196:197], v[192:193] neg_lo:[0,1] neg_hi:[0,1]
	v_mov_b32_e32 v212, v208
	v_pk_add_f32 v[192:193], v[212:213], v[182:183]
	v_mov_b32_e32 v196, v193
	v_pk_add_f32 v[196:197], v[192:193], v[196:197]
	v_pk_add_f32 v[194:195], v[194:195], v[196:197]
	v_mov_b32_e32 v193, v194
	v_pk_add_f32 v[198:199], v[192:193], v[208:209] neg_lo:[0,1] neg_hi:[0,1]
	v_mov_b32_e32 v183, v196
	v_sub_f32_e32 v35, v192, v198
	v_pk_add_f32 v[182:183], v[182:183], v[198:199] neg_lo:[0,1] neg_hi:[0,1]
	v_sub_f32_e32 v35, v208, v35
	v_add_f32_e32 v35, v182, v35
	v_add_f32_e32 v35, v35, v183
	v_cmp_eq_f32_e32 vcc, s73, v37
	v_cmp_lt_f32_e64 s[78:79], |v37|, s76
	v_add_f32_e32 v35, v194, v35
	s_or_b64 vcc, vcc, s[78:79]
	v_cndmask_b32_e32 v35, v35, v37, vcc
	v_add_f32_e32 v35, v36, v35
.LBB472_192:                            ;   in Loop: Header=BB472_162 Depth=1
	s_or_b64 exec, exec, s[62:63]
	v_bfe_u32 v36, v35, 16, 1
	v_add3_u32 v36, v35, v36, s77
	v_lshrrev_b32_e32 v36, 16, v36
	v_cmp_o_f32_e32 vcc, v35, v35
	v_cndmask_b32_e32 v35, v181, v36, vcc
.LBB472_193:                            ;   in Loop: Header=BB472_162 Depth=1
	s_or_b64 exec, exec, s[66:67]
	v_lshlrev_b32_e32 v35, 16, v35
	v_lshlrev_b32_e32 v36, 16, v177
	s_waitcnt lgkmcnt(0)
	v_max_f32_e32 v182, v36, v36
	v_max_f32_e32 v183, v35, v35
	v_min_f32_e32 v37, v183, v182
	v_cmp_u_f32_e32 vcc, v35, v35
	v_max_f32_e32 v182, v183, v182
	v_cndmask_b32_e32 v37, v37, v35, vcc
	v_cmp_u_f32_e64 s[62:63], v36, v36
	v_cndmask_b32_e32 v182, v182, v35, vcc
	v_cndmask_b32_e64 v37, v37, v36, s[62:63]
	v_cndmask_b32_e64 v36, v182, v36, s[62:63]
	v_cmp_neq_f32_e32 vcc, v37, v36
	v_cmp_class_f32_e64 s[62:63], v37, s69
	s_or_b64 vcc, vcc, s[62:63]
	s_and_saveexec_b64 s[62:63], vcc
	s_cbranch_execz .LBB472_195
; %bb.194:                              ;   in Loop: Header=BB472_162 Depth=1
	v_sub_f32_e32 v35, v37, v36
	v_mul_f32_e32 v37, 0x3fb8aa3b, v35
	v_fma_f32 v182, v35, s70, -v37
	v_rndne_f32_e32 v183, v37
	v_fmac_f32_e32 v182, 0x32a5705f, v35
	v_sub_f32_e32 v37, v37, v183
	v_add_f32_e32 v37, v37, v182
	v_cvt_i32_f32_e32 v182, v183
	v_exp_f32_e32 v37, v37
	v_cmp_ngt_f32_e32 vcc, s71, v35
	v_ldexp_f32 v37, v37, v182
	v_cndmask_b32_e32 v37, 0, v37, vcc
	v_cmp_nlt_f32_e32 vcc, s72, v35
	v_cndmask_b32_e32 v37, v180, v37, vcc
	v_add_f32_e32 v35, 1.0, v37
	v_add_f32_e32 v182, -1.0, v35
	v_sub_f32_e32 v183, v182, v35
	v_add_f32_e32 v183, 1.0, v183
	v_sub_f32_e32 v182, v37, v182
	v_add_f32_e32 v192, v182, v183
	v_frexp_mant_f32_e32 v193, v35
	v_cvt_f64_f32_e32 v[182:183], v35
	v_frexp_exp_i32_f64_e32 v182, v[182:183]
	v_cmp_gt_f32_e32 vcc, s74, v193
	v_subbrev_co_u32_e32 v198, vcc, 0, v182, vcc
	v_sub_u32_e32 v182, 0, v198
	v_ldexp_f32 v35, v35, v182
	v_ldexp_f32 v182, v192, v182
	v_add_f32_e32 v192, -1.0, v35
	v_add_f32_e32 v183, 1.0, v192
	v_sub_f32_e32 v183, v35, v183
	v_add_f32_e32 v193, v182, v183
	v_add_f32_e32 v183, 1.0, v35
	v_add_f32_e32 v194, -1.0, v183
	v_sub_f32_e32 v35, v35, v194
	v_add_f32_e32 v35, v182, v35
	v_add_f32_e32 v199, v183, v35
	v_rcp_f32_e32 v208, v199
	v_sub_f32_e32 v182, v183, v199
	v_add_f32_e32 v183, v192, v193
	v_add_f32_e32 v35, v35, v182
	v_mul_f32_e32 v210, v183, v208
	v_sub_f32_e32 v182, v192, v183
	v_mul_f32_e32 v192, v199, v210
	v_fma_f32 v194, v210, v199, -v192
	v_fmac_f32_e32 v194, v210, v35
	v_add_f32_e32 v209, v193, v182
	v_add_f32_e32 v182, v192, v194
	v_sub_f32_e32 v193, v183, v182
	v_pk_add_f32 v[196:197], v[182:183], v[192:193] neg_lo:[0,1] neg_hi:[0,1]
	v_mov_b32_e32 v195, v182
	v_pk_add_f32 v[182:183], v[196:197], v[194:195] neg_lo:[0,1] neg_hi:[0,1]
	v_add_f32_e32 v183, v209, v183
	v_add_f32_e32 v182, v182, v183
	;; [unrolled: 1-line block ×3, first 2 shown]
	v_mul_f32_e32 v209, v208, v183
	v_mul_f32_e32 v192, v199, v209
	v_fma_f32 v194, v209, v199, -v192
	v_fmac_f32_e32 v194, v209, v35
	v_sub_f32_e32 v35, v193, v183
	v_add_f32_e32 v35, v182, v35
	v_add_f32_e32 v182, v192, v194
	v_sub_f32_e32 v193, v183, v182
	v_pk_add_f32 v[196:197], v[182:183], v[192:193] neg_lo:[0,1] neg_hi:[0,1]
	v_mov_b32_e32 v195, v182
	v_pk_add_f32 v[182:183], v[196:197], v[194:195] neg_lo:[0,1] neg_hi:[0,1]
	v_add_f32_e32 v35, v35, v183
	v_add_f32_e32 v35, v182, v35
	;; [unrolled: 1-line block ×4, first 2 shown]
	v_sub_f32_e32 v182, v183, v210
	v_mul_f32_e32 v35, v208, v35
	v_sub_f32_e32 v182, v209, v182
	v_add_f32_e32 v192, v182, v35
	v_add_f32_e32 v194, v183, v192
	v_cvt_f32_i32_e32 v182, v198
	v_mul_f32_e32 v195, v194, v194
	v_mov_b32_e32 v35, 0x3ecc95a3
	v_sub_f32_e32 v183, v194, v183
	v_fmac_f32_e32 v35, 0x3e9b6dac, v195
	v_sub_f32_e32 v183, v192, v183
	v_fma_f32 v35, v195, v35, v178
	v_ldexp_f32 v196, v183, 1
	v_mul_f32_e32 v183, v194, v195
	v_ldexp_f32 v193, v194, 1
	v_pk_mul_f32 v[194:195], v[182:183], v[34:35]
	v_fma_f32 v192, v182, s75, -v194
	v_fmac_f32_e32 v192, 0xb102e308, v182
	v_pk_add_f32 v[182:183], v[194:195], v[192:193]
	v_sub_f32_e32 v35, v183, v193
	v_sub_f32_e32 v35, v195, v35
	v_add_f32_e32 v197, v196, v35
	v_mov_b32_e32 v196, v194
	v_pk_add_f32 v[194:195], v[182:183], v[194:195] neg_lo:[0,1] neg_hi:[0,1]
	v_pk_add_f32 v[198:199], v[182:183], v[196:197]
	v_mov_b32_e32 v195, v199
	v_mov_b32_e32 v193, v182
	v_pk_add_f32 v[208:209], v[192:193], v[194:195] neg_lo:[0,1] neg_hi:[0,1]
	v_pk_add_f32 v[192:193], v[192:193], v[194:195]
	v_mov_b32_e32 v194, v193
	v_pk_add_f32 v[210:211], v[194:195], v[182:183] neg_lo:[0,1] neg_hi:[0,1]
	v_mov_b32_e32 v35, v210
	v_pk_add_f32 v[212:213], v[198:199], v[34:35] neg_lo:[0,1] neg_hi:[0,1]
	v_mov_b32_e32 v192, v199
	v_mov_b32_e32 v198, v183
	;; [unrolled: 1-line block ×4, first 2 shown]
	v_pk_add_f32 v[192:193], v[192:193], v[198:199] neg_lo:[0,1] neg_hi:[0,1]
	v_mov_b32_e32 v196, v197
	v_mov_b32_e32 v197, v182
	v_pk_add_f32 v[182:183], v[196:197], v[192:193] neg_lo:[0,1] neg_hi:[0,1]
	v_mov_b32_e32 v212, v208
	v_pk_add_f32 v[192:193], v[212:213], v[182:183]
	v_mov_b32_e32 v196, v193
	v_pk_add_f32 v[196:197], v[192:193], v[196:197]
	v_pk_add_f32 v[194:195], v[194:195], v[196:197]
	v_mov_b32_e32 v193, v194
	v_pk_add_f32 v[198:199], v[192:193], v[208:209] neg_lo:[0,1] neg_hi:[0,1]
	v_mov_b32_e32 v183, v196
	v_sub_f32_e32 v35, v192, v198
	v_pk_add_f32 v[182:183], v[182:183], v[198:199] neg_lo:[0,1] neg_hi:[0,1]
	v_sub_f32_e32 v35, v208, v35
	v_add_f32_e32 v35, v182, v35
	v_add_f32_e32 v35, v35, v183
	v_cmp_eq_f32_e32 vcc, s73, v37
	v_cmp_lt_f32_e64 s[66:67], |v37|, s76
	v_add_f32_e32 v35, v194, v35
	s_or_b64 vcc, vcc, s[66:67]
	v_cndmask_b32_e32 v35, v35, v37, vcc
	v_add_f32_e32 v35, v36, v35
.LBB472_195:                            ;   in Loop: Header=BB472_162 Depth=1
	s_or_b64 exec, exec, s[62:63]
	v_bfe_u32 v36, v35, 16, 1
	v_add3_u32 v36, v35, v36, s77
	v_lshrrev_b32_e32 v36, 16, v36
	v_cmp_o_f32_e32 vcc, v35, v35
	v_subrev_u32_e32 v30, 64, v30
	v_cndmask_b32_e32 v36, v181, v36, vcc
	s_branch .LBB472_162
.LBB472_196:
	s_and_saveexec_b64 s[62:63], s[60:61]
	s_cbranch_execz .LBB472_200
; %bb.197:
	v_lshlrev_b32_e32 v31, 16, v177
	v_lshlrev_b32_e32 v30, 16, v147
	v_max_f32_e32 v33, v30, v30
	v_max_f32_e32 v34, v31, v31
	v_min_f32_e32 v32, v34, v33
	v_cmp_u_f32_e32 vcc, v31, v31
	v_max_f32_e32 v33, v34, v33
	v_cndmask_b32_e32 v32, v32, v31, vcc
	v_cmp_u_f32_e64 s[60:61], v30, v30
	v_cndmask_b32_e32 v33, v33, v31, vcc
	v_cndmask_b32_e64 v32, v32, v30, s[60:61]
	v_cndmask_b32_e64 v30, v33, v30, s[60:61]
	s_movk_i32 s60, 0x1f8
	v_cmp_neq_f32_e32 vcc, v32, v30
	v_cmp_class_f32_e64 s[60:61], v32, s60
	s_or_b64 vcc, vcc, s[60:61]
	s_and_saveexec_b64 s[60:61], vcc
	s_cbranch_execz .LBB472_199
; %bb.198:
	v_sub_f32_e32 v31, v32, v30
	s_mov_b32 s66, 0x3fb8aa3b
	v_mul_f32_e32 v32, 0x3fb8aa3b, v31
	v_fma_f32 v33, v31, s66, -v32
	v_rndne_f32_e32 v34, v32
	v_fmac_f32_e32 v33, 0x32a5705f, v31
	v_sub_f32_e32 v32, v32, v34
	v_add_f32_e32 v32, v32, v33
	v_exp_f32_e32 v32, v32
	v_cvt_i32_f32_e32 v33, v34
	s_mov_b32 s66, 0xc2ce8ed0
	v_cmp_ngt_f32_e32 vcc, s66, v31
	s_mov_b32 s66, 0x42b17218
	v_ldexp_f32 v32, v32, v33
	v_cndmask_b32_e32 v32, 0, v32, vcc
	v_mov_b32_e32 v33, 0x7f800000
	v_cmp_nlt_f32_e32 vcc, s66, v31
	v_cndmask_b32_e32 v147, v33, v32, vcc
	v_add_f32_e32 v31, 1.0, v147
	v_add_f32_e32 v32, -1.0, v31
	v_sub_f32_e32 v33, v32, v31
	v_add_f32_e32 v33, 1.0, v33
	v_sub_f32_e32 v32, v147, v32
	v_add_f32_e32 v34, v32, v33
	v_frexp_mant_f32_e32 v35, v31
	s_mov_b32 s66, 0x3f2aaaab
	v_cvt_f64_f32_e32 v[32:33], v31
	v_frexp_exp_i32_f64_e32 v32, v[32:33]
	v_cmp_gt_f32_e32 vcc, s66, v35
	v_subbrev_co_u32_e32 v150, vcc, 0, v32, vcc
	v_sub_u32_e32 v32, 0, v150
	v_ldexp_f32 v31, v31, v32
	v_ldexp_f32 v32, v34, v32
	v_add_f32_e32 v34, -1.0, v31
	v_add_f32_e32 v33, 1.0, v34
	v_sub_f32_e32 v33, v31, v33
	v_add_f32_e32 v35, v32, v33
	v_add_f32_e32 v33, 1.0, v31
	v_add_f32_e32 v36, -1.0, v33
	v_sub_f32_e32 v31, v31, v36
	v_add_f32_e32 v31, v32, v31
	v_add_f32_e32 v151, v33, v31
	v_rcp_f32_e32 v160, v151
	v_sub_f32_e32 v32, v33, v151
	v_add_f32_e32 v33, v34, v35
	v_add_f32_e32 v31, v31, v32
	v_mul_f32_e32 v162, v33, v160
	v_sub_f32_e32 v32, v34, v33
	v_mul_f32_e32 v34, v151, v162
	v_fma_f32 v36, v162, v151, -v34
	v_fmac_f32_e32 v36, v162, v31
	v_add_f32_e32 v161, v35, v32
	v_add_f32_e32 v32, v34, v36
	v_sub_f32_e32 v35, v33, v32
	v_pk_add_f32 v[148:149], v[32:33], v[34:35] neg_lo:[0,1] neg_hi:[0,1]
	v_mov_b32_e32 v37, v32
	v_pk_add_f32 v[32:33], v[148:149], v[36:37] neg_lo:[0,1] neg_hi:[0,1]
	v_add_f32_e32 v33, v161, v33
	v_add_f32_e32 v32, v32, v33
	;; [unrolled: 1-line block ×3, first 2 shown]
	v_mul_f32_e32 v161, v160, v33
	v_mul_f32_e32 v34, v151, v161
	v_fma_f32 v36, v161, v151, -v34
	v_fmac_f32_e32 v36, v161, v31
	v_sub_f32_e32 v31, v35, v33
	v_add_f32_e32 v31, v32, v31
	v_add_f32_e32 v32, v34, v36
	v_sub_f32_e32 v35, v33, v32
	v_pk_add_f32 v[148:149], v[32:33], v[34:35] neg_lo:[0,1] neg_hi:[0,1]
	v_mov_b32_e32 v37, v32
	v_pk_add_f32 v[32:33], v[148:149], v[36:37] neg_lo:[0,1] neg_hi:[0,1]
	v_add_f32_e32 v31, v31, v33
	v_add_f32_e32 v31, v32, v31
	;; [unrolled: 1-line block ×4, first 2 shown]
	v_sub_f32_e32 v33, v32, v162
	v_mul_f32_e32 v31, v160, v31
	v_sub_f32_e32 v33, v161, v33
	v_add_f32_e32 v31, v33, v31
	v_add_f32_e32 v35, v32, v31
	v_mul_f32_e32 v36, v35, v35
	v_mov_b32_e32 v34, 0x3ecc95a3
	v_fmac_f32_e32 v34, 0x3e9b6dac, v36
	v_mov_b32_e32 v33, 0x3f2aaada
	v_fmac_f32_e32 v33, v36, v34
	v_cvt_f32_i32_e32 v34, v150
	v_sub_f32_e32 v32, v35, v32
	v_sub_f32_e32 v31, v31, v32
	v_ldexp_f32 v37, v35, 1
	v_mul_f32_e32 v35, v35, v36
	v_mov_b32_e32 v32, 0x3f317218
	s_mov_b32 s66, 0x3f317218
	v_pk_mul_f32 v[32:33], v[34:35], v[32:33]
	v_fma_f32 v36, v34, s66, -v32
	v_fmac_f32_e32 v36, 0xb102e308, v34
	v_pk_add_f32 v[34:35], v[32:33], v[36:37]
	v_sub_f32_e32 v37, v35, v37
	v_ldexp_f32 v31, v31, 1
	v_sub_f32_e32 v37, v33, v37
	v_add_f32_e32 v149, v31, v37
	v_mov_b32_e32 v148, v32
	v_pk_add_f32 v[32:33], v[34:35], v[32:33] neg_lo:[0,1] neg_hi:[0,1]
	v_pk_add_f32 v[150:151], v[34:35], v[148:149]
	v_mov_b32_e32 v33, v151
	v_mov_b32_e32 v37, v34
	v_pk_add_f32 v[160:161], v[36:37], v[32:33] neg_lo:[0,1] neg_hi:[0,1]
	v_pk_add_f32 v[32:33], v[36:37], v[32:33]
	v_mov_b32_e32 v36, v33
	v_pk_add_f32 v[162:163], v[36:37], v[34:35] neg_lo:[0,1] neg_hi:[0,1]
	v_mov_b32_e32 v31, v162
	v_pk_add_f32 v[164:165], v[150:151], v[30:31] neg_lo:[0,1] neg_hi:[0,1]
	v_mov_b32_e32 v32, v151
	v_mov_b32_e32 v150, v35
	;; [unrolled: 1-line block ×4, first 2 shown]
	v_pk_add_f32 v[32:33], v[32:33], v[150:151] neg_lo:[0,1] neg_hi:[0,1]
	v_mov_b32_e32 v148, v149
	v_mov_b32_e32 v149, v34
	v_pk_add_f32 v[32:33], v[148:149], v[32:33] neg_lo:[0,1] neg_hi:[0,1]
	v_mov_b32_e32 v164, v160
	v_pk_add_f32 v[34:35], v[164:165], v[32:33]
	v_mov_b32_e32 v148, v35
	v_pk_add_f32 v[148:149], v[34:35], v[148:149]
	v_pk_add_f32 v[36:37], v[36:37], v[148:149]
	v_mov_b32_e32 v35, v36
	v_pk_add_f32 v[150:151], v[34:35], v[160:161] neg_lo:[0,1] neg_hi:[0,1]
	v_mov_b32_e32 v33, v148
	v_sub_f32_e32 v31, v34, v150
	v_pk_add_f32 v[32:33], v[32:33], v[150:151] neg_lo:[0,1] neg_hi:[0,1]
	v_sub_f32_e32 v31, v160, v31
	s_mov_b32 s67, 0x7f800000
	v_add_f32_e32 v31, v32, v31
	s_mov_b32 s66, 0x33800000
	v_add_f32_e32 v31, v31, v33
	v_cmp_eq_f32_e32 vcc, s67, v147
	v_cmp_lt_f32_e64 s[66:67], |v147|, s66
	v_add_f32_e32 v31, v36, v31
	s_or_b64 vcc, vcc, s[66:67]
	v_cndmask_b32_e32 v31, v31, v147, vcc
	v_add_f32_e32 v31, v30, v31
.LBB472_199:
	s_or_b64 exec, exec, s[60:61]
	v_bfe_u32 v30, v31, 16, 1
	s_movk_i32 vcc_lo, 0x7fff
	v_add3_u32 v30, v31, v30, vcc_lo
	s_add_i32 vcc_lo, s68, 64
	s_mov_b32 vcc_hi, 0
	s_lshl_b64 vcc, vcc, 2
	v_mov_b32_e32 v33, vcc_hi
	v_add_co_u32_e32 v32, vcc, vcc_lo, v24
	v_addc_co_u32_e32 v33, vcc, v25, v33, vcc
	s_mov_b32 vcc_lo, 0x20000
	v_or_b32_sdwa v30, v30, vcc_lo dst_sel:DWORD dst_unused:UNUSED_PAD src0_sel:WORD_1 src1_sel:DWORD
	v_mov_b32_e32 v34, 0x27fc0
	v_cmp_o_f32_e32 vcc, v31, v31
	v_cndmask_b32_e32 v30, v34, v30, vcc
	flat_store_dword v[32:33], v30
.LBB472_200:
	s_or_b64 exec, exec, s[62:63]
	s_and_b64 exec, exec, s[8:9]
	s_cbranch_execz .LBB472_202
; %bb.201:
	v_mov_b32_e32 v30, 0
	ds_write_b16 v30, v177
.LBB472_202:
	s_or_b64 exec, exec, s[64:65]
	v_mov_b32_e32 v30, 0
	s_waitcnt lgkmcnt(0)
	; wave barrier
	s_waitcnt lgkmcnt(0)
	ds_read_u16 v30, v30
	s_and_saveexec_b64 s[60:61], s[6:7]
	s_cbranch_execz .LBB472_206
; %bb.203:
	v_lshlrev_b32_e32 v32, 16, v146
	v_max_f32_e32 v31, v32, v32
	v_min_f32_e32 v33, v31, v145
	v_cmp_u_f32_e32 vcc, v32, v32
	v_max_f32_e32 v31, v31, v145
	v_cndmask_b32_e32 v33, v33, v32, vcc
	v_cndmask_b32_e32 v31, v31, v32, vcc
	v_cndmask_b32_e64 v33, v33, v144, s[58:59]
	v_cndmask_b32_e64 v31, v31, v144, s[58:59]
	s_movk_i32 s58, 0x1f8
	v_cmp_neq_f32_e32 vcc, v33, v31
	v_cmp_class_f32_e64 s[58:59], v33, s58
	s_or_b64 vcc, vcc, s[58:59]
	s_and_saveexec_b64 s[58:59], vcc
	s_cbranch_execz .LBB472_205
; %bb.204:
	v_sub_f32_e32 v32, v33, v31
	s_mov_b32 s62, 0x3fb8aa3b
	v_mul_f32_e32 v33, 0x3fb8aa3b, v32
	v_fma_f32 v34, v32, s62, -v33
	v_rndne_f32_e32 v35, v33
	v_fmac_f32_e32 v34, 0x32a5705f, v32
	v_sub_f32_e32 v33, v33, v35
	v_add_f32_e32 v33, v33, v34
	v_exp_f32_e32 v33, v33
	v_cvt_i32_f32_e32 v34, v35
	s_mov_b32 s62, 0xc2ce8ed0
	v_cmp_ngt_f32_e32 vcc, s62, v32
	s_mov_b32 s62, 0x42b17218
	v_ldexp_f32 v33, v33, v34
	v_cndmask_b32_e32 v33, 0, v33, vcc
	v_mov_b32_e32 v34, 0x7f800000
	v_cmp_nlt_f32_e32 vcc, s62, v32
	v_cndmask_b32_e32 v162, v34, v33, vcc
	v_add_f32_e32 v34, 1.0, v162
	v_add_f32_e32 v32, -1.0, v34
	v_sub_f32_e32 v33, v32, v34
	v_add_f32_e32 v33, 1.0, v33
	v_sub_f32_e32 v32, v162, v32
	v_add_f32_e32 v35, v32, v33
	v_frexp_mant_f32_e32 v36, v34
	s_mov_b32 s62, 0x3f2aaaab
	v_cvt_f64_f32_e32 v[32:33], v34
	v_frexp_exp_i32_f64_e32 v32, v[32:33]
	v_cmp_gt_f32_e32 vcc, s62, v36
	v_subbrev_co_u32_e32 v146, vcc, 0, v32, vcc
	v_sub_u32_e32 v32, 0, v146
	v_ldexp_f32 v33, v34, v32
	v_add_f32_e32 v34, -1.0, v33
	v_add_f32_e32 v36, 1.0, v33
	v_ldexp_f32 v32, v35, v32
	v_add_f32_e32 v35, 1.0, v34
	v_add_f32_e32 v37, -1.0, v36
	v_sub_f32_e32 v35, v33, v35
	v_sub_f32_e32 v33, v33, v37
	v_add_f32_e32 v35, v32, v35
	v_add_f32_e32 v32, v32, v33
	;; [unrolled: 1-line block ×3, first 2 shown]
	v_rcp_f32_e32 v149, v147
	v_sub_f32_e32 v33, v36, v147
	v_add_f32_e32 v148, v32, v33
	v_add_f32_e32 v33, v34, v35
	v_mul_f32_e32 v151, v33, v149
	v_sub_f32_e32 v32, v34, v33
	v_mul_f32_e32 v34, v147, v151
	v_fma_f32 v36, v151, v147, -v34
	v_fmac_f32_e32 v36, v151, v148
	v_add_f32_e32 v150, v35, v32
	v_add_f32_e32 v32, v34, v36
	v_sub_f32_e32 v35, v33, v32
	v_pk_add_f32 v[144:145], v[32:33], v[34:35] neg_lo:[0,1] neg_hi:[0,1]
	v_mov_b32_e32 v37, v32
	v_pk_add_f32 v[32:33], v[144:145], v[36:37] neg_lo:[0,1] neg_hi:[0,1]
	v_add_f32_e32 v33, v150, v33
	v_add_f32_e32 v32, v32, v33
	;; [unrolled: 1-line block ×3, first 2 shown]
	v_mul_f32_e32 v150, v149, v33
	v_mul_f32_e32 v34, v147, v150
	v_fma_f32 v36, v150, v147, -v34
	v_fmac_f32_e32 v36, v150, v148
	v_sub_f32_e32 v35, v35, v33
	v_add_f32_e32 v147, v32, v35
	v_add_f32_e32 v32, v34, v36
	v_sub_f32_e32 v35, v33, v32
	v_pk_add_f32 v[144:145], v[32:33], v[34:35] neg_lo:[0,1] neg_hi:[0,1]
	v_mov_b32_e32 v37, v32
	v_pk_add_f32 v[32:33], v[144:145], v[36:37] neg_lo:[0,1] neg_hi:[0,1]
	v_add_f32_e32 v33, v147, v33
	v_add_f32_e32 v32, v32, v33
	;; [unrolled: 1-line block ×4, first 2 shown]
	v_sub_f32_e32 v33, v35, v151
	v_mul_f32_e32 v32, v149, v32
	v_sub_f32_e32 v33, v150, v33
	v_add_f32_e32 v32, v33, v32
	v_add_f32_e32 v36, v35, v32
	v_mul_f32_e32 v144, v36, v36
	v_mov_b32_e32 v34, 0x3ecc95a3
	v_fmac_f32_e32 v34, 0x3e9b6dac, v144
	v_mov_b32_e32 v33, 0x3f2aaada
	v_fmac_f32_e32 v33, v144, v34
	v_cvt_f32_i32_e32 v34, v146
	v_sub_f32_e32 v35, v36, v35
	v_sub_f32_e32 v32, v32, v35
	v_ldexp_f32 v145, v32, 1
	v_mul_f32_e32 v35, v36, v144
	v_mov_b32_e32 v32, 0x3f317218
	s_mov_b32 s62, 0x3f317218
	v_pk_mul_f32 v[32:33], v[34:35], v[32:33]
	v_ldexp_f32 v37, v36, 1
	v_fma_f32 v36, v34, s62, -v32
	v_fmac_f32_e32 v36, 0xb102e308, v34
	v_pk_add_f32 v[34:35], v[32:33], v[36:37]
	v_sub_f32_e32 v37, v35, v37
	v_sub_f32_e32 v37, v33, v37
	v_add_f32_e32 v145, v145, v37
	v_mov_b32_e32 v144, v32
	v_pk_add_f32 v[32:33], v[34:35], v[32:33] neg_lo:[0,1] neg_hi:[0,1]
	v_pk_add_f32 v[146:147], v[34:35], v[144:145]
	v_mov_b32_e32 v33, v147
	v_mov_b32_e32 v37, v34
	v_pk_add_f32 v[148:149], v[36:37], v[32:33] neg_lo:[0,1] neg_hi:[0,1]
	v_pk_add_f32 v[32:33], v[36:37], v[32:33]
	v_mov_b32_e32 v36, v33
	v_pk_add_f32 v[150:151], v[36:37], v[34:35] neg_lo:[0,1] neg_hi:[0,1]
	v_mov_b32_e32 v37, v150
	v_pk_add_f32 v[160:161], v[146:147], v[36:37] neg_lo:[0,1] neg_hi:[0,1]
	v_mov_b32_e32 v32, v147
	v_mov_b32_e32 v146, v35
	;; [unrolled: 1-line block ×4, first 2 shown]
	v_pk_add_f32 v[32:33], v[32:33], v[146:147] neg_lo:[0,1] neg_hi:[0,1]
	v_mov_b32_e32 v144, v145
	v_mov_b32_e32 v145, v34
	v_pk_add_f32 v[32:33], v[144:145], v[32:33] neg_lo:[0,1] neg_hi:[0,1]
	v_mov_b32_e32 v160, v148
	v_pk_add_f32 v[34:35], v[160:161], v[32:33]
	v_mov_b32_e32 v144, v35
	v_pk_add_f32 v[144:145], v[34:35], v[144:145]
	v_pk_add_f32 v[36:37], v[36:37], v[144:145]
	v_mov_b32_e32 v35, v36
	v_pk_add_f32 v[146:147], v[34:35], v[148:149] neg_lo:[0,1] neg_hi:[0,1]
	v_mov_b32_e32 v33, v144
	v_sub_f32_e32 v34, v34, v146
	v_pk_add_f32 v[32:33], v[32:33], v[146:147] neg_lo:[0,1] neg_hi:[0,1]
	v_sub_f32_e32 v34, v148, v34
	s_mov_b32 s63, 0x7f800000
	v_add_f32_e32 v32, v32, v34
	s_mov_b32 s62, 0x33800000
	v_add_f32_e32 v32, v32, v33
	v_cmp_eq_f32_e32 vcc, s63, v162
	v_cmp_lt_f32_e64 s[62:63], |v162|, s62
	v_add_f32_e32 v32, v36, v32
	s_or_b64 vcc, vcc, s[62:63]
	v_cndmask_b32_e32 v32, v32, v162, vcc
	v_add_f32_e32 v32, v31, v32
.LBB472_205:
	s_or_b64 exec, exec, s[58:59]
	v_bfe_u32 v31, v32, 16, 1
	s_movk_i32 vcc_lo, 0x7fff
	v_add3_u32 v31, v32, v31, vcc_lo
	v_and_b32_e32 v31, 0xffff0000, v31
	v_mov_b32_e32 v33, 0x7fc00000
	v_cmp_o_f32_e32 vcc, v32, v32
	v_cndmask_b32_e32 v144, v33, v31, vcc
.LBB472_206:
	s_or_b64 exec, exec, s[60:61]
	s_waitcnt lgkmcnt(0)
	v_lshlrev_b32_e32 v32, 16, v30
	v_max_f32_e32 v30, v144, v144
	v_max_f32_e32 v33, v32, v32
	v_min_f32_e32 v31, v33, v30
	v_cmp_u_f32_e32 vcc, v32, v32
	v_max_f32_e32 v30, v33, v30
	v_cndmask_b32_e32 v31, v31, v32, vcc
	v_cmp_u_f32_e64 s[58:59], v144, v144
	v_cndmask_b32_e32 v30, v30, v32, vcc
	v_cndmask_b32_e64 v31, v31, v144, s[58:59]
	v_cndmask_b32_e64 v30, v30, v144, s[58:59]
	s_movk_i32 s60, 0x1f8
	v_cmp_neq_f32_e32 vcc, v31, v30
	v_cmp_class_f32_e64 s[58:59], v31, s60
	s_or_b64 vcc, vcc, s[58:59]
	s_and_saveexec_b64 s[58:59], vcc
	s_cbranch_execz .LBB472_208
; %bb.207:
	v_sub_f32_e32 v31, v31, v30
	s_mov_b32 s61, 0x3fb8aa3b
	v_mul_f32_e32 v32, 0x3fb8aa3b, v31
	v_fma_f32 v33, v31, s61, -v32
	v_rndne_f32_e32 v34, v32
	v_fmac_f32_e32 v33, 0x32a5705f, v31
	v_sub_f32_e32 v32, v32, v34
	v_add_f32_e32 v32, v32, v33
	v_exp_f32_e32 v32, v32
	v_cvt_i32_f32_e32 v33, v34
	s_mov_b32 s61, 0xc2ce8ed0
	v_cmp_ngt_f32_e32 vcc, s61, v31
	s_mov_b32 s61, 0x42b17218
	v_ldexp_f32 v32, v32, v33
	v_cndmask_b32_e32 v32, 0, v32, vcc
	v_mov_b32_e32 v33, 0x7f800000
	v_cmp_nlt_f32_e32 vcc, s61, v31
	v_cndmask_b32_e32 v162, v33, v32, vcc
	v_add_f32_e32 v31, 1.0, v162
	v_add_f32_e32 v32, -1.0, v31
	v_sub_f32_e32 v33, v32, v31
	v_add_f32_e32 v33, 1.0, v33
	v_sub_f32_e32 v32, v162, v32
	v_add_f32_e32 v34, v32, v33
	v_frexp_mant_f32_e32 v35, v31
	s_mov_b32 s61, 0x3f2aaaab
	v_cvt_f64_f32_e32 v[32:33], v31
	v_frexp_exp_i32_f64_e32 v32, v[32:33]
	v_cmp_gt_f32_e32 vcc, s61, v35
	v_subbrev_co_u32_e32 v146, vcc, 0, v32, vcc
	v_sub_u32_e32 v32, 0, v146
	v_ldexp_f32 v31, v31, v32
	v_ldexp_f32 v32, v34, v32
	v_add_f32_e32 v34, -1.0, v31
	v_add_f32_e32 v33, 1.0, v34
	v_sub_f32_e32 v33, v31, v33
	v_add_f32_e32 v35, v32, v33
	v_add_f32_e32 v33, 1.0, v31
	v_add_f32_e32 v36, -1.0, v33
	v_sub_f32_e32 v31, v31, v36
	v_add_f32_e32 v31, v32, v31
	v_add_f32_e32 v147, v33, v31
	v_rcp_f32_e32 v148, v147
	v_sub_f32_e32 v32, v33, v147
	v_add_f32_e32 v33, v34, v35
	v_add_f32_e32 v31, v31, v32
	v_mul_f32_e32 v150, v33, v148
	v_sub_f32_e32 v32, v34, v33
	v_mul_f32_e32 v34, v147, v150
	v_fma_f32 v36, v150, v147, -v34
	v_fmac_f32_e32 v36, v150, v31
	v_add_f32_e32 v149, v35, v32
	v_add_f32_e32 v32, v34, v36
	v_sub_f32_e32 v35, v33, v32
	v_pk_add_f32 v[144:145], v[32:33], v[34:35] neg_lo:[0,1] neg_hi:[0,1]
	v_mov_b32_e32 v37, v32
	v_pk_add_f32 v[32:33], v[144:145], v[36:37] neg_lo:[0,1] neg_hi:[0,1]
	v_add_f32_e32 v33, v149, v33
	v_add_f32_e32 v32, v32, v33
	;; [unrolled: 1-line block ×3, first 2 shown]
	v_mul_f32_e32 v149, v148, v33
	v_mul_f32_e32 v34, v147, v149
	v_fma_f32 v36, v149, v147, -v34
	v_fmac_f32_e32 v36, v149, v31
	v_sub_f32_e32 v31, v35, v33
	v_add_f32_e32 v31, v32, v31
	v_add_f32_e32 v32, v34, v36
	v_sub_f32_e32 v35, v33, v32
	v_pk_add_f32 v[144:145], v[32:33], v[34:35] neg_lo:[0,1] neg_hi:[0,1]
	v_mov_b32_e32 v37, v32
	v_pk_add_f32 v[32:33], v[144:145], v[36:37] neg_lo:[0,1] neg_hi:[0,1]
	v_add_f32_e32 v31, v31, v33
	v_add_f32_e32 v31, v32, v31
	;; [unrolled: 1-line block ×4, first 2 shown]
	v_sub_f32_e32 v33, v32, v150
	v_mul_f32_e32 v31, v148, v31
	v_sub_f32_e32 v33, v149, v33
	v_add_f32_e32 v31, v33, v31
	v_add_f32_e32 v35, v32, v31
	v_mul_f32_e32 v36, v35, v35
	v_mov_b32_e32 v34, 0x3ecc95a3
	v_fmac_f32_e32 v34, 0x3e9b6dac, v36
	v_mov_b32_e32 v33, 0x3f2aaada
	v_fmac_f32_e32 v33, v36, v34
	v_cvt_f32_i32_e32 v34, v146
	v_sub_f32_e32 v32, v35, v32
	v_sub_f32_e32 v31, v31, v32
	v_ldexp_f32 v37, v35, 1
	v_mul_f32_e32 v35, v35, v36
	v_mov_b32_e32 v32, 0x3f317218
	s_mov_b32 s61, 0x3f317218
	v_pk_mul_f32 v[32:33], v[34:35], v[32:33]
	v_fma_f32 v36, v34, s61, -v32
	v_fmac_f32_e32 v36, 0xb102e308, v34
	v_pk_add_f32 v[34:35], v[32:33], v[36:37]
	v_sub_f32_e32 v37, v35, v37
	v_ldexp_f32 v31, v31, 1
	v_sub_f32_e32 v37, v33, v37
	v_add_f32_e32 v145, v31, v37
	v_mov_b32_e32 v144, v32
	v_pk_add_f32 v[32:33], v[34:35], v[32:33] neg_lo:[0,1] neg_hi:[0,1]
	v_pk_add_f32 v[146:147], v[34:35], v[144:145]
	v_mov_b32_e32 v33, v147
	v_mov_b32_e32 v37, v34
	v_pk_add_f32 v[148:149], v[36:37], v[32:33] neg_lo:[0,1] neg_hi:[0,1]
	v_pk_add_f32 v[32:33], v[36:37], v[32:33]
	v_mov_b32_e32 v36, v33
	v_pk_add_f32 v[150:151], v[36:37], v[34:35] neg_lo:[0,1] neg_hi:[0,1]
	v_mov_b32_e32 v31, v150
	v_pk_add_f32 v[160:161], v[146:147], v[30:31] neg_lo:[0,1] neg_hi:[0,1]
	v_mov_b32_e32 v32, v147
	v_mov_b32_e32 v146, v35
	;; [unrolled: 1-line block ×4, first 2 shown]
	v_pk_add_f32 v[32:33], v[32:33], v[146:147] neg_lo:[0,1] neg_hi:[0,1]
	v_mov_b32_e32 v144, v145
	v_mov_b32_e32 v145, v34
	v_pk_add_f32 v[32:33], v[144:145], v[32:33] neg_lo:[0,1] neg_hi:[0,1]
	v_mov_b32_e32 v160, v148
	v_pk_add_f32 v[34:35], v[160:161], v[32:33]
	v_mov_b32_e32 v144, v35
	v_pk_add_f32 v[144:145], v[34:35], v[144:145]
	v_pk_add_f32 v[36:37], v[36:37], v[144:145]
	v_mov_b32_e32 v35, v36
	v_pk_add_f32 v[146:147], v[34:35], v[148:149] neg_lo:[0,1] neg_hi:[0,1]
	v_mov_b32_e32 v33, v144
	v_sub_f32_e32 v31, v34, v146
	v_pk_add_f32 v[32:33], v[32:33], v[146:147] neg_lo:[0,1] neg_hi:[0,1]
	v_sub_f32_e32 v31, v148, v31
	s_mov_b32 s62, 0x7f800000
	v_add_f32_e32 v31, v32, v31
	s_mov_b32 s61, 0x33800000
	v_add_f32_e32 v31, v31, v33
	v_cmp_eq_f32_e32 vcc, s62, v162
	v_cmp_lt_f32_e64 s[62:63], |v162|, s61
	v_add_f32_e32 v31, v36, v31
	s_or_b64 vcc, vcc, s[62:63]
	v_cndmask_b32_e32 v31, v31, v162, vcc
	v_add_f32_e32 v32, v30, v31
.LBB472_208:
	s_or_b64 exec, exec, s[58:59]
	v_bfe_u32 v30, v32, 16, 1
	s_movk_i32 s58, 0x7fff
	v_add3_u32 v30, v32, v30, s58
	v_lshrrev_b32_e32 v30, 16, v30
	v_mov_b32_e32 v31, 0x7fc0
	v_cmp_o_f32_e32 vcc, v32, v32
	v_cndmask_b32_e32 v30, v31, v30, vcc
	v_lshlrev_b32_e32 v33, 16, v30
	v_max_f32_e32 v32, v33, v33
	v_min_f32_e32 v34, v32, v51
	v_cmp_u_f32_e32 vcc, v33, v33
	v_max_f32_e32 v32, v32, v51
	v_cndmask_b32_e32 v34, v34, v33, vcc
	v_cndmask_b32_e32 v32, v32, v33, vcc
	v_cndmask_b32_e64 v34, v34, v50, s[10:11]
	v_cndmask_b32_e64 v32, v32, v50, s[10:11]
	v_cmp_neq_f32_e32 vcc, v34, v32
	v_cmp_class_f32_e64 s[10:11], v34, s60
	s_or_b64 vcc, vcc, s[10:11]
	s_and_saveexec_b64 s[10:11], vcc
	s_cbranch_execz .LBB472_210
; %bb.209:
	v_sub_f32_e32 v33, v34, v32
	s_mov_b32 s59, 0x3fb8aa3b
	v_mul_f32_e32 v34, 0x3fb8aa3b, v33
	v_fma_f32 v35, v33, s59, -v34
	v_rndne_f32_e32 v36, v34
	v_fmac_f32_e32 v35, 0x32a5705f, v33
	v_sub_f32_e32 v34, v34, v36
	v_add_f32_e32 v34, v34, v35
	v_exp_f32_e32 v34, v34
	v_cvt_i32_f32_e32 v35, v36
	s_mov_b32 s59, 0xc2ce8ed0
	v_cmp_ngt_f32_e32 vcc, s59, v33
	s_mov_b32 s59, 0x42b17218
	v_ldexp_f32 v34, v34, v35
	v_cndmask_b32_e32 v34, 0, v34, vcc
	v_mov_b32_e32 v35, 0x7f800000
	v_cmp_nlt_f32_e32 vcc, s59, v33
	v_cndmask_b32_e32 v162, v35, v34, vcc
	v_add_f32_e32 v33, 1.0, v162
	v_add_f32_e32 v34, -1.0, v33
	v_sub_f32_e32 v35, v34, v33
	v_add_f32_e32 v35, 1.0, v35
	v_sub_f32_e32 v34, v162, v34
	v_add_f32_e32 v36, v34, v35
	v_frexp_mant_f32_e32 v37, v33
	s_mov_b32 s59, 0x3f2aaaab
	v_cvt_f64_f32_e32 v[34:35], v33
	v_frexp_exp_i32_f64_e32 v34, v[34:35]
	v_cmp_gt_f32_e32 vcc, s59, v37
	v_subbrev_co_u32_e32 v146, vcc, 0, v34, vcc
	v_sub_u32_e32 v34, 0, v146
	v_ldexp_f32 v33, v33, v34
	v_ldexp_f32 v34, v36, v34
	v_add_f32_e32 v36, -1.0, v33
	v_add_f32_e32 v35, 1.0, v36
	v_sub_f32_e32 v35, v33, v35
	v_add_f32_e32 v37, v34, v35
	v_add_f32_e32 v35, 1.0, v33
	v_add_f32_e32 v50, -1.0, v35
	v_sub_f32_e32 v33, v33, v50
	v_add_f32_e32 v33, v34, v33
	v_add_f32_e32 v147, v35, v33
	v_rcp_f32_e32 v148, v147
	v_sub_f32_e32 v34, v35, v147
	v_add_f32_e32 v35, v36, v37
	v_add_f32_e32 v33, v33, v34
	v_mul_f32_e32 v150, v35, v148
	v_sub_f32_e32 v34, v36, v35
	v_mul_f32_e32 v36, v147, v150
	v_fma_f32 v50, v150, v147, -v36
	v_fmac_f32_e32 v50, v150, v33
	v_add_f32_e32 v149, v37, v34
	v_add_f32_e32 v34, v36, v50
	v_sub_f32_e32 v37, v35, v34
	v_pk_add_f32 v[144:145], v[34:35], v[36:37] neg_lo:[0,1] neg_hi:[0,1]
	v_mov_b32_e32 v51, v34
	v_pk_add_f32 v[34:35], v[144:145], v[50:51] neg_lo:[0,1] neg_hi:[0,1]
	v_add_f32_e32 v35, v149, v35
	v_add_f32_e32 v34, v34, v35
	;; [unrolled: 1-line block ×3, first 2 shown]
	v_mul_f32_e32 v149, v148, v35
	v_mul_f32_e32 v36, v147, v149
	v_fma_f32 v50, v149, v147, -v36
	v_fmac_f32_e32 v50, v149, v33
	v_sub_f32_e32 v33, v37, v35
	v_add_f32_e32 v33, v34, v33
	v_add_f32_e32 v34, v36, v50
	v_sub_f32_e32 v37, v35, v34
	v_pk_add_f32 v[144:145], v[34:35], v[36:37] neg_lo:[0,1] neg_hi:[0,1]
	v_mov_b32_e32 v51, v34
	v_pk_add_f32 v[34:35], v[144:145], v[50:51] neg_lo:[0,1] neg_hi:[0,1]
	v_add_f32_e32 v33, v33, v35
	v_add_f32_e32 v33, v34, v33
	;; [unrolled: 1-line block ×4, first 2 shown]
	v_sub_f32_e32 v35, v34, v150
	v_mul_f32_e32 v33, v148, v33
	v_sub_f32_e32 v35, v149, v35
	v_add_f32_e32 v33, v35, v33
	v_add_f32_e32 v37, v34, v33
	v_mul_f32_e32 v50, v37, v37
	v_mov_b32_e32 v36, 0x3ecc95a3
	v_fmac_f32_e32 v36, 0x3e9b6dac, v50
	v_mov_b32_e32 v35, 0x3f2aaada
	v_fmac_f32_e32 v35, v50, v36
	v_cvt_f32_i32_e32 v36, v146
	v_sub_f32_e32 v34, v37, v34
	v_sub_f32_e32 v33, v33, v34
	v_ldexp_f32 v51, v37, 1
	v_mul_f32_e32 v37, v37, v50
	v_mov_b32_e32 v34, 0x3f317218
	s_mov_b32 s59, 0x3f317218
	v_pk_mul_f32 v[34:35], v[36:37], v[34:35]
	v_fma_f32 v50, v36, s59, -v34
	v_fmac_f32_e32 v50, 0xb102e308, v36
	v_pk_add_f32 v[36:37], v[34:35], v[50:51]
	v_sub_f32_e32 v51, v37, v51
	v_ldexp_f32 v33, v33, 1
	v_sub_f32_e32 v51, v35, v51
	v_add_f32_e32 v145, v33, v51
	v_mov_b32_e32 v144, v34
	v_pk_add_f32 v[34:35], v[36:37], v[34:35] neg_lo:[0,1] neg_hi:[0,1]
	v_pk_add_f32 v[146:147], v[36:37], v[144:145]
	v_mov_b32_e32 v35, v147
	v_mov_b32_e32 v51, v36
	v_pk_add_f32 v[148:149], v[50:51], v[34:35] neg_lo:[0,1] neg_hi:[0,1]
	v_pk_add_f32 v[34:35], v[50:51], v[34:35]
	v_mov_b32_e32 v50, v35
	v_pk_add_f32 v[150:151], v[50:51], v[36:37] neg_lo:[0,1] neg_hi:[0,1]
	v_mov_b32_e32 v33, v150
	v_pk_add_f32 v[160:161], v[146:147], v[32:33] neg_lo:[0,1] neg_hi:[0,1]
	v_mov_b32_e32 v34, v147
	v_mov_b32_e32 v146, v37
	;; [unrolled: 1-line block ×4, first 2 shown]
	v_pk_add_f32 v[34:35], v[34:35], v[146:147] neg_lo:[0,1] neg_hi:[0,1]
	v_mov_b32_e32 v144, v145
	v_mov_b32_e32 v145, v36
	v_pk_add_f32 v[34:35], v[144:145], v[34:35] neg_lo:[0,1] neg_hi:[0,1]
	v_mov_b32_e32 v160, v148
	v_pk_add_f32 v[36:37], v[160:161], v[34:35]
	v_mov_b32_e32 v144, v37
	v_pk_add_f32 v[144:145], v[36:37], v[144:145]
	v_pk_add_f32 v[50:51], v[50:51], v[144:145]
	v_mov_b32_e32 v37, v50
	v_pk_add_f32 v[146:147], v[36:37], v[148:149] neg_lo:[0,1] neg_hi:[0,1]
	v_mov_b32_e32 v35, v144
	v_sub_f32_e32 v33, v36, v146
	v_pk_add_f32 v[34:35], v[34:35], v[146:147] neg_lo:[0,1] neg_hi:[0,1]
	v_sub_f32_e32 v33, v148, v33
	s_mov_b32 s60, 0x7f800000
	v_add_f32_e32 v33, v34, v33
	s_mov_b32 s59, 0x33800000
	v_add_f32_e32 v33, v33, v35
	v_cmp_eq_f32_e32 vcc, s60, v162
	v_cmp_lt_f32_e64 s[60:61], |v162|, s59
	v_add_f32_e32 v33, v50, v33
	s_or_b64 vcc, vcc, s[60:61]
	v_cndmask_b32_e32 v33, v33, v162, vcc
	v_add_f32_e32 v33, v32, v33
.LBB472_210:
	s_or_b64 exec, exec, s[10:11]
	v_bfe_u32 v32, v33, 16, 1
	v_add3_u32 v32, v33, v32, s58
	v_lshrrev_b32_e32 v32, 16, v32
	v_cmp_o_f32_e32 vcc, v33, v33
	v_cndmask_b32_e32 v31, v31, v32, vcc
	v_lshlrev_b32_e32 v34, 16, v31
	v_max_f32_e32 v32, v34, v34
	v_min_f32_e32 v33, v32, v64
	v_cmp_u_f32_e32 vcc, v34, v34
	v_max_f32_e32 v32, v32, v64
	v_cndmask_b32_e32 v33, v33, v34, vcc
	v_cndmask_b32_e32 v32, v32, v34, vcc
	v_cndmask_b32_e64 v33, v33, v52, s[12:13]
	v_cndmask_b32_e64 v32, v32, v52, s[12:13]
	s_movk_i32 s12, 0x1f8
	v_cmp_neq_f32_e32 vcc, v33, v32
	v_cmp_class_f32_e64 s[10:11], v33, s12
	s_or_b64 vcc, vcc, s[10:11]
	s_and_saveexec_b64 s[10:11], vcc
	s_cbranch_execz .LBB472_212
; %bb.211:
	v_sub_f32_e32 v33, v33, v32
	s_mov_b32 s13, 0x3fb8aa3b
	v_mul_f32_e32 v34, 0x3fb8aa3b, v33
	v_fma_f32 v35, v33, s13, -v34
	v_rndne_f32_e32 v36, v34
	v_fmac_f32_e32 v35, 0x32a5705f, v33
	v_sub_f32_e32 v34, v34, v36
	v_add_f32_e32 v34, v34, v35
	v_exp_f32_e32 v34, v34
	v_cvt_i32_f32_e32 v35, v36
	s_mov_b32 s13, 0xc2ce8ed0
	v_cmp_ngt_f32_e32 vcc, s13, v33
	s_mov_b32 s13, 0x42b17218
	v_ldexp_f32 v34, v34, v35
	v_cndmask_b32_e32 v34, 0, v34, vcc
	v_mov_b32_e32 v35, 0x7f800000
	v_cmp_nlt_f32_e32 vcc, s13, v33
	v_cndmask_b32_e32 v64, v35, v34, vcc
	v_add_f32_e32 v33, 1.0, v64
	v_add_f32_e32 v34, -1.0, v33
	v_sub_f32_e32 v35, v34, v33
	v_add_f32_e32 v35, 1.0, v35
	v_sub_f32_e32 v34, v64, v34
	v_add_f32_e32 v36, v34, v35
	v_frexp_mant_f32_e32 v37, v33
	s_mov_b32 s13, 0x3f2aaaab
	v_cvt_f64_f32_e32 v[34:35], v33
	v_frexp_exp_i32_f64_e32 v34, v[34:35]
	v_cmp_gt_f32_e32 vcc, s13, v37
	v_subbrev_co_u32_e32 v52, vcc, 0, v34, vcc
	v_sub_u32_e32 v34, 0, v52
	v_ldexp_f32 v33, v33, v34
	v_ldexp_f32 v34, v36, v34
	v_add_f32_e32 v36, -1.0, v33
	v_add_f32_e32 v35, 1.0, v36
	v_sub_f32_e32 v35, v33, v35
	v_add_f32_e32 v37, v34, v35
	v_add_f32_e32 v35, 1.0, v33
	v_add_f32_e32 v50, -1.0, v35
	v_sub_f32_e32 v33, v33, v50
	v_add_f32_e32 v33, v34, v33
	v_add_f32_e32 v146, v35, v33
	v_rcp_f32_e32 v147, v146
	v_sub_f32_e32 v34, v35, v146
	v_add_f32_e32 v35, v36, v37
	v_add_f32_e32 v33, v33, v34
	v_mul_f32_e32 v149, v35, v147
	v_sub_f32_e32 v34, v36, v35
	v_mul_f32_e32 v36, v146, v149
	v_fma_f32 v50, v149, v146, -v36
	v_fmac_f32_e32 v50, v149, v33
	v_add_f32_e32 v148, v37, v34
	v_add_f32_e32 v34, v36, v50
	v_sub_f32_e32 v37, v35, v34
	v_pk_add_f32 v[144:145], v[34:35], v[36:37] neg_lo:[0,1] neg_hi:[0,1]
	v_mov_b32_e32 v51, v34
	v_pk_add_f32 v[34:35], v[144:145], v[50:51] neg_lo:[0,1] neg_hi:[0,1]
	v_add_f32_e32 v35, v148, v35
	v_add_f32_e32 v34, v34, v35
	;; [unrolled: 1-line block ×3, first 2 shown]
	v_mul_f32_e32 v148, v147, v35
	v_mul_f32_e32 v36, v146, v148
	v_fma_f32 v50, v148, v146, -v36
	v_fmac_f32_e32 v50, v148, v33
	v_sub_f32_e32 v33, v37, v35
	v_add_f32_e32 v33, v34, v33
	v_add_f32_e32 v34, v36, v50
	v_sub_f32_e32 v37, v35, v34
	v_pk_add_f32 v[144:145], v[34:35], v[36:37] neg_lo:[0,1] neg_hi:[0,1]
	v_mov_b32_e32 v51, v34
	v_pk_add_f32 v[34:35], v[144:145], v[50:51] neg_lo:[0,1] neg_hi:[0,1]
	v_add_f32_e32 v33, v33, v35
	v_add_f32_e32 v33, v34, v33
	;; [unrolled: 1-line block ×4, first 2 shown]
	v_sub_f32_e32 v35, v34, v149
	v_mul_f32_e32 v33, v147, v33
	v_sub_f32_e32 v35, v148, v35
	v_add_f32_e32 v33, v35, v33
	v_add_f32_e32 v37, v34, v33
	v_mul_f32_e32 v50, v37, v37
	v_mov_b32_e32 v36, 0x3ecc95a3
	v_fmac_f32_e32 v36, 0x3e9b6dac, v50
	v_mov_b32_e32 v35, 0x3f2aaada
	v_fmac_f32_e32 v35, v50, v36
	v_cvt_f32_i32_e32 v36, v52
	v_sub_f32_e32 v34, v37, v34
	v_sub_f32_e32 v33, v33, v34
	v_ldexp_f32 v51, v37, 1
	v_mul_f32_e32 v37, v37, v50
	v_mov_b32_e32 v34, 0x3f317218
	s_mov_b32 s13, 0x3f317218
	v_pk_mul_f32 v[34:35], v[36:37], v[34:35]
	v_fma_f32 v50, v36, s13, -v34
	v_fmac_f32_e32 v50, 0xb102e308, v36
	v_pk_add_f32 v[36:37], v[34:35], v[50:51]
	v_sub_f32_e32 v51, v37, v51
	v_ldexp_f32 v33, v33, 1
	v_sub_f32_e32 v51, v35, v51
	v_add_f32_e32 v145, v33, v51
	v_mov_b32_e32 v144, v34
	v_pk_add_f32 v[34:35], v[36:37], v[34:35] neg_lo:[0,1] neg_hi:[0,1]
	v_pk_add_f32 v[146:147], v[36:37], v[144:145]
	v_mov_b32_e32 v35, v147
	v_mov_b32_e32 v51, v36
	v_pk_add_f32 v[148:149], v[50:51], v[34:35] neg_lo:[0,1] neg_hi:[0,1]
	v_pk_add_f32 v[34:35], v[50:51], v[34:35]
	v_mov_b32_e32 v50, v35
	v_pk_add_f32 v[150:151], v[50:51], v[36:37] neg_lo:[0,1] neg_hi:[0,1]
	v_mov_b32_e32 v33, v150
	v_pk_add_f32 v[160:161], v[146:147], v[32:33] neg_lo:[0,1] neg_hi:[0,1]
	v_mov_b32_e32 v34, v147
	v_mov_b32_e32 v146, v37
	;; [unrolled: 1-line block ×4, first 2 shown]
	v_pk_add_f32 v[34:35], v[34:35], v[146:147] neg_lo:[0,1] neg_hi:[0,1]
	v_mov_b32_e32 v144, v145
	v_mov_b32_e32 v145, v36
	v_pk_add_f32 v[34:35], v[144:145], v[34:35] neg_lo:[0,1] neg_hi:[0,1]
	v_mov_b32_e32 v160, v148
	v_pk_add_f32 v[36:37], v[160:161], v[34:35]
	v_mov_b32_e32 v52, v37
	v_pk_add_f32 v[144:145], v[36:37], v[52:53]
	v_pk_add_f32 v[50:51], v[50:51], v[144:145]
	v_mov_b32_e32 v37, v50
	v_pk_add_f32 v[146:147], v[36:37], v[148:149] neg_lo:[0,1] neg_hi:[0,1]
	v_mov_b32_e32 v35, v144
	v_sub_f32_e32 v33, v36, v146
	v_pk_add_f32 v[34:35], v[34:35], v[146:147] neg_lo:[0,1] neg_hi:[0,1]
	v_sub_f32_e32 v33, v148, v33
	s_mov_b32 s58, 0x7f800000
	v_add_f32_e32 v33, v34, v33
	s_mov_b32 s13, 0x33800000
	v_add_f32_e32 v33, v33, v35
	v_cmp_eq_f32_e32 vcc, s58, v64
	v_cmp_lt_f32_e64 s[58:59], |v64|, s13
	v_add_f32_e32 v33, v50, v33
	s_or_b64 vcc, vcc, s[58:59]
	v_cndmask_b32_e32 v33, v33, v64, vcc
	v_add_f32_e32 v34, v32, v33
.LBB472_212:
	s_or_b64 exec, exec, s[10:11]
	v_bfe_u32 v32, v34, 16, 1
	s_movk_i32 s13, 0x7fff
	v_add3_u32 v32, v34, v32, s13
	v_lshrrev_b32_e32 v32, 16, v32
	v_mov_b32_e32 v33, 0x7fc0
	v_cmp_o_f32_e32 vcc, v34, v34
	v_cndmask_b32_e32 v32, v33, v32, vcc
	v_lshlrev_b32_e32 v35, 16, v32
	v_max_f32_e32 v34, v35, v35
	v_min_f32_e32 v36, v34, v65
	v_cmp_u_f32_e32 vcc, v35, v35
	v_max_f32_e32 v34, v34, v65
	v_cndmask_b32_e32 v36, v36, v35, vcc
	v_cndmask_b32_e32 v34, v34, v35, vcc
	v_cndmask_b32_e64 v36, v36, v53, s[14:15]
	v_cndmask_b32_e64 v34, v34, v53, s[14:15]
	v_cmp_neq_f32_e32 vcc, v36, v34
	v_cmp_class_f32_e64 s[10:11], v36, s12
	s_or_b64 s[14:15], vcc, s[10:11]
	s_and_saveexec_b64 s[10:11], s[14:15]
	s_cbranch_execz .LBB472_214
; %bb.213:
	v_sub_f32_e32 v35, v36, v34
	s_mov_b32 s12, 0x3fb8aa3b
	v_mul_f32_e32 v36, 0x3fb8aa3b, v35
	v_fma_f32 v37, v35, s12, -v36
	v_rndne_f32_e32 v50, v36
	v_fmac_f32_e32 v37, 0x32a5705f, v35
	v_sub_f32_e32 v36, v36, v50
	v_add_f32_e32 v36, v36, v37
	v_exp_f32_e32 v36, v36
	v_cvt_i32_f32_e32 v37, v50
	s_mov_b32 s12, 0xc2ce8ed0
	v_cmp_ngt_f32_e32 vcc, s12, v35
	s_mov_b32 s12, 0x42b17218
	v_ldexp_f32 v36, v36, v37
	v_cndmask_b32_e32 v36, 0, v36, vcc
	v_mov_b32_e32 v37, 0x7f800000
	v_cmp_nlt_f32_e32 vcc, s12, v35
	v_cndmask_b32_e32 v160, v37, v36, vcc
	v_add_f32_e32 v35, 1.0, v160
	v_add_f32_e32 v36, -1.0, v35
	v_sub_f32_e32 v37, v36, v35
	v_add_f32_e32 v37, 1.0, v37
	v_sub_f32_e32 v36, v160, v36
	v_add_f32_e32 v50, v36, v37
	v_frexp_mant_f32_e32 v51, v35
	s_mov_b32 s12, 0x3f2aaaab
	v_cvt_f64_f32_e32 v[36:37], v35
	v_frexp_exp_i32_f64_e32 v36, v[36:37]
	v_cmp_gt_f32_e32 vcc, s12, v51
	v_subbrev_co_u32_e32 v144, vcc, 0, v36, vcc
	v_sub_u32_e32 v36, 0, v144
	v_ldexp_f32 v35, v35, v36
	v_ldexp_f32 v36, v50, v36
	v_add_f32_e32 v50, -1.0, v35
	v_add_f32_e32 v37, 1.0, v50
	v_sub_f32_e32 v37, v35, v37
	v_add_f32_e32 v51, v36, v37
	v_add_f32_e32 v37, 1.0, v35
	v_add_f32_e32 v52, -1.0, v37
	v_sub_f32_e32 v35, v35, v52
	v_add_f32_e32 v35, v36, v35
	v_add_f32_e32 v145, v37, v35
	v_rcp_f32_e32 v146, v145
	v_sub_f32_e32 v36, v37, v145
	v_add_f32_e32 v37, v50, v51
	v_add_f32_e32 v35, v35, v36
	v_mul_f32_e32 v148, v37, v146
	v_sub_f32_e32 v36, v50, v37
	v_mul_f32_e32 v50, v145, v148
	v_fma_f32 v52, v148, v145, -v50
	v_fmac_f32_e32 v52, v148, v35
	v_add_f32_e32 v147, v51, v36
	v_add_f32_e32 v36, v50, v52
	v_sub_f32_e32 v51, v37, v36
	v_pk_add_f32 v[64:65], v[36:37], v[50:51] neg_lo:[0,1] neg_hi:[0,1]
	v_mov_b32_e32 v53, v36
	v_pk_add_f32 v[36:37], v[64:65], v[52:53] neg_lo:[0,1] neg_hi:[0,1]
	v_add_f32_e32 v37, v147, v37
	v_add_f32_e32 v36, v36, v37
	;; [unrolled: 1-line block ×3, first 2 shown]
	v_mul_f32_e32 v147, v146, v37
	v_mul_f32_e32 v50, v145, v147
	v_fma_f32 v52, v147, v145, -v50
	v_fmac_f32_e32 v52, v147, v35
	v_sub_f32_e32 v35, v51, v37
	v_add_f32_e32 v35, v36, v35
	v_add_f32_e32 v36, v50, v52
	v_sub_f32_e32 v51, v37, v36
	v_pk_add_f32 v[64:65], v[36:37], v[50:51] neg_lo:[0,1] neg_hi:[0,1]
	v_mov_b32_e32 v53, v36
	v_pk_add_f32 v[36:37], v[64:65], v[52:53] neg_lo:[0,1] neg_hi:[0,1]
	v_add_f32_e32 v35, v35, v37
	v_add_f32_e32 v35, v36, v35
	;; [unrolled: 1-line block ×4, first 2 shown]
	v_sub_f32_e32 v37, v36, v148
	v_mul_f32_e32 v35, v146, v35
	v_sub_f32_e32 v37, v147, v37
	v_add_f32_e32 v35, v37, v35
	v_add_f32_e32 v51, v36, v35
	v_mul_f32_e32 v52, v51, v51
	v_mov_b32_e32 v50, 0x3ecc95a3
	v_fmac_f32_e32 v50, 0x3e9b6dac, v52
	v_mov_b32_e32 v37, 0x3f2aaada
	v_fmac_f32_e32 v37, v52, v50
	v_cvt_f32_i32_e32 v50, v144
	v_sub_f32_e32 v36, v51, v36
	v_sub_f32_e32 v35, v35, v36
	v_ldexp_f32 v53, v51, 1
	v_mul_f32_e32 v51, v51, v52
	v_mov_b32_e32 v36, 0x3f317218
	s_mov_b32 s12, 0x3f317218
	v_pk_mul_f32 v[36:37], v[50:51], v[36:37]
	v_fma_f32 v52, v50, s12, -v36
	v_fmac_f32_e32 v52, 0xb102e308, v50
	v_pk_add_f32 v[50:51], v[36:37], v[52:53]
	v_sub_f32_e32 v53, v51, v53
	v_ldexp_f32 v35, v35, 1
	v_sub_f32_e32 v53, v37, v53
	v_add_f32_e32 v65, v35, v53
	v_mov_b32_e32 v64, v36
	v_pk_add_f32 v[36:37], v[50:51], v[36:37] neg_lo:[0,1] neg_hi:[0,1]
	v_pk_add_f32 v[144:145], v[50:51], v[64:65]
	v_mov_b32_e32 v37, v145
	v_mov_b32_e32 v53, v50
	v_pk_add_f32 v[146:147], v[52:53], v[36:37] neg_lo:[0,1] neg_hi:[0,1]
	v_pk_add_f32 v[36:37], v[52:53], v[36:37]
	v_mov_b32_e32 v52, v37
	v_pk_add_f32 v[148:149], v[52:53], v[50:51] neg_lo:[0,1] neg_hi:[0,1]
	v_mov_b32_e32 v35, v148
	v_pk_add_f32 v[150:151], v[144:145], v[34:35] neg_lo:[0,1] neg_hi:[0,1]
	v_mov_b32_e32 v36, v145
	v_mov_b32_e32 v144, v51
	;; [unrolled: 1-line block ×4, first 2 shown]
	v_pk_add_f32 v[36:37], v[36:37], v[144:145] neg_lo:[0,1] neg_hi:[0,1]
	v_mov_b32_e32 v64, v65
	v_mov_b32_e32 v65, v50
	v_pk_add_f32 v[36:37], v[64:65], v[36:37] neg_lo:[0,1] neg_hi:[0,1]
	v_mov_b32_e32 v150, v146
	v_pk_add_f32 v[50:51], v[150:151], v[36:37]
	v_mov_b32_e32 v64, v51
	v_pk_add_f32 v[64:65], v[50:51], v[64:65]
	v_pk_add_f32 v[52:53], v[52:53], v[64:65]
	v_mov_b32_e32 v51, v52
	v_pk_add_f32 v[144:145], v[50:51], v[146:147] neg_lo:[0,1] neg_hi:[0,1]
	v_mov_b32_e32 v37, v64
	v_sub_f32_e32 v35, v50, v144
	v_pk_add_f32 v[36:37], v[36:37], v[144:145] neg_lo:[0,1] neg_hi:[0,1]
	v_sub_f32_e32 v35, v146, v35
	s_mov_b32 s14, 0x7f800000
	v_add_f32_e32 v35, v36, v35
	s_mov_b32 s12, 0x33800000
	v_add_f32_e32 v35, v35, v37
	v_cmp_eq_f32_e32 vcc, s14, v160
	v_cmp_lt_f32_e64 s[14:15], |v160|, s12
	v_add_f32_e32 v35, v52, v35
	s_or_b64 vcc, vcc, s[14:15]
	v_cndmask_b32_e32 v35, v35, v160, vcc
	v_add_f32_e32 v35, v34, v35
.LBB472_214:
	s_or_b64 exec, exec, s[10:11]
	v_bfe_u32 v34, v35, 16, 1
	v_add3_u32 v34, v35, v34, s13
	v_lshrrev_b32_e32 v34, 16, v34
	v_cmp_o_f32_e32 vcc, v35, v35
	v_cndmask_b32_e32 v33, v33, v34, vcc
	v_lshlrev_b32_e32 v36, 16, v33
	v_max_f32_e32 v34, v36, v36
	v_min_f32_e32 v35, v34, v68
	v_cmp_u_f32_e32 vcc, v36, v36
	v_max_f32_e32 v34, v34, v68
	v_cndmask_b32_e32 v35, v35, v36, vcc
	v_cndmask_b32_e32 v34, v34, v36, vcc
	v_cndmask_b32_e64 v35, v35, v54, s[16:17]
	v_cndmask_b32_e64 v34, v34, v54, s[16:17]
	s_movk_i32 s12, 0x1f8
	v_cmp_neq_f32_e32 vcc, v35, v34
	v_cmp_class_f32_e64 s[10:11], v35, s12
	s_or_b64 s[14:15], vcc, s[10:11]
	s_and_saveexec_b64 s[10:11], s[14:15]
	s_cbranch_execz .LBB472_216
; %bb.215:
	v_sub_f32_e32 v35, v35, v34
	s_mov_b32 s13, 0x3fb8aa3b
	v_mul_f32_e32 v36, 0x3fb8aa3b, v35
	v_fma_f32 v37, v35, s13, -v36
	v_rndne_f32_e32 v50, v36
	v_fmac_f32_e32 v37, 0x32a5705f, v35
	v_sub_f32_e32 v36, v36, v50
	v_add_f32_e32 v36, v36, v37
	v_exp_f32_e32 v36, v36
	v_cvt_i32_f32_e32 v37, v50
	s_mov_b32 s13, 0xc2ce8ed0
	v_cmp_ngt_f32_e32 vcc, s13, v35
	s_mov_b32 s13, 0x42b17218
	v_ldexp_f32 v36, v36, v37
	v_cndmask_b32_e32 v36, 0, v36, vcc
	v_mov_b32_e32 v37, 0x7f800000
	v_cmp_nlt_f32_e32 vcc, s13, v35
	v_cndmask_b32_e32 v68, v37, v36, vcc
	v_add_f32_e32 v35, 1.0, v68
	v_add_f32_e32 v36, -1.0, v35
	v_sub_f32_e32 v37, v36, v35
	v_add_f32_e32 v37, 1.0, v37
	v_sub_f32_e32 v36, v68, v36
	v_add_f32_e32 v50, v36, v37
	v_frexp_mant_f32_e32 v51, v35
	s_mov_b32 s13, 0x3f2aaaab
	v_cvt_f64_f32_e32 v[36:37], v35
	v_frexp_exp_i32_f64_e32 v36, v[36:37]
	v_cmp_gt_f32_e32 vcc, s13, v51
	v_subbrev_co_u32_e32 v54, vcc, 0, v36, vcc
	v_sub_u32_e32 v36, 0, v54
	v_ldexp_f32 v35, v35, v36
	v_ldexp_f32 v36, v50, v36
	v_add_f32_e32 v50, -1.0, v35
	v_add_f32_e32 v37, 1.0, v50
	v_sub_f32_e32 v37, v35, v37
	v_add_f32_e32 v51, v36, v37
	v_add_f32_e32 v37, 1.0, v35
	v_add_f32_e32 v52, -1.0, v37
	v_sub_f32_e32 v35, v35, v52
	v_add_f32_e32 v35, v36, v35
	v_add_f32_e32 v144, v37, v35
	v_rcp_f32_e32 v145, v144
	v_sub_f32_e32 v36, v37, v144
	v_add_f32_e32 v37, v50, v51
	v_add_f32_e32 v35, v35, v36
	v_mul_f32_e32 v147, v37, v145
	v_sub_f32_e32 v36, v50, v37
	v_mul_f32_e32 v50, v144, v147
	v_fma_f32 v52, v147, v144, -v50
	v_fmac_f32_e32 v52, v147, v35
	v_add_f32_e32 v146, v51, v36
	v_add_f32_e32 v36, v50, v52
	v_sub_f32_e32 v51, v37, v36
	v_pk_add_f32 v[64:65], v[36:37], v[50:51] neg_lo:[0,1] neg_hi:[0,1]
	v_mov_b32_e32 v53, v36
	v_pk_add_f32 v[36:37], v[64:65], v[52:53] neg_lo:[0,1] neg_hi:[0,1]
	v_add_f32_e32 v37, v146, v37
	v_add_f32_e32 v36, v36, v37
	;; [unrolled: 1-line block ×3, first 2 shown]
	v_mul_f32_e32 v146, v145, v37
	v_mul_f32_e32 v50, v144, v146
	v_fma_f32 v52, v146, v144, -v50
	v_fmac_f32_e32 v52, v146, v35
	v_sub_f32_e32 v35, v51, v37
	v_add_f32_e32 v35, v36, v35
	v_add_f32_e32 v36, v50, v52
	v_sub_f32_e32 v51, v37, v36
	v_pk_add_f32 v[64:65], v[36:37], v[50:51] neg_lo:[0,1] neg_hi:[0,1]
	v_mov_b32_e32 v53, v36
	v_pk_add_f32 v[36:37], v[64:65], v[52:53] neg_lo:[0,1] neg_hi:[0,1]
	v_add_f32_e32 v35, v35, v37
	v_add_f32_e32 v35, v36, v35
	;; [unrolled: 1-line block ×4, first 2 shown]
	v_sub_f32_e32 v37, v36, v147
	v_mul_f32_e32 v35, v145, v35
	v_sub_f32_e32 v37, v146, v37
	v_add_f32_e32 v35, v37, v35
	v_add_f32_e32 v51, v36, v35
	v_mul_f32_e32 v52, v51, v51
	v_mov_b32_e32 v50, 0x3ecc95a3
	v_fmac_f32_e32 v50, 0x3e9b6dac, v52
	v_mov_b32_e32 v37, 0x3f2aaada
	v_fmac_f32_e32 v37, v52, v50
	v_cvt_f32_i32_e32 v50, v54
	v_sub_f32_e32 v36, v51, v36
	v_sub_f32_e32 v35, v35, v36
	v_ldexp_f32 v53, v51, 1
	v_mul_f32_e32 v51, v51, v52
	v_mov_b32_e32 v36, 0x3f317218
	s_mov_b32 s13, 0x3f317218
	v_pk_mul_f32 v[36:37], v[50:51], v[36:37]
	v_fma_f32 v52, v50, s13, -v36
	v_fmac_f32_e32 v52, 0xb102e308, v50
	v_pk_add_f32 v[50:51], v[36:37], v[52:53]
	v_sub_f32_e32 v53, v51, v53
	v_ldexp_f32 v35, v35, 1
	v_sub_f32_e32 v53, v37, v53
	v_add_f32_e32 v65, v35, v53
	v_mov_b32_e32 v64, v36
	v_pk_add_f32 v[36:37], v[50:51], v[36:37] neg_lo:[0,1] neg_hi:[0,1]
	v_pk_add_f32 v[144:145], v[50:51], v[64:65]
	v_mov_b32_e32 v37, v145
	v_mov_b32_e32 v53, v50
	v_pk_add_f32 v[146:147], v[52:53], v[36:37] neg_lo:[0,1] neg_hi:[0,1]
	v_pk_add_f32 v[36:37], v[52:53], v[36:37]
	v_mov_b32_e32 v52, v37
	v_pk_add_f32 v[148:149], v[52:53], v[50:51] neg_lo:[0,1] neg_hi:[0,1]
	v_mov_b32_e32 v35, v148
	v_pk_add_f32 v[150:151], v[144:145], v[34:35] neg_lo:[0,1] neg_hi:[0,1]
	v_mov_b32_e32 v36, v145
	v_mov_b32_e32 v144, v51
	;; [unrolled: 1-line block ×4, first 2 shown]
	v_pk_add_f32 v[36:37], v[36:37], v[144:145] neg_lo:[0,1] neg_hi:[0,1]
	v_mov_b32_e32 v64, v65
	v_mov_b32_e32 v65, v50
	v_pk_add_f32 v[36:37], v[64:65], v[36:37] neg_lo:[0,1] neg_hi:[0,1]
	v_mov_b32_e32 v150, v146
	v_pk_add_f32 v[50:51], v[150:151], v[36:37]
	v_mov_b32_e32 v54, v51
	v_pk_add_f32 v[64:65], v[50:51], v[54:55]
	v_pk_add_f32 v[52:53], v[52:53], v[64:65]
	v_mov_b32_e32 v51, v52
	v_pk_add_f32 v[144:145], v[50:51], v[146:147] neg_lo:[0,1] neg_hi:[0,1]
	v_mov_b32_e32 v37, v64
	v_sub_f32_e32 v35, v50, v144
	v_pk_add_f32 v[36:37], v[36:37], v[144:145] neg_lo:[0,1] neg_hi:[0,1]
	v_sub_f32_e32 v35, v146, v35
	s_mov_b32 s14, 0x7f800000
	v_add_f32_e32 v35, v36, v35
	s_mov_b32 s13, 0x33800000
	v_add_f32_e32 v35, v35, v37
	v_cmp_eq_f32_e32 vcc, s14, v68
	v_cmp_lt_f32_e64 s[14:15], |v68|, s13
	v_add_f32_e32 v35, v52, v35
	s_or_b64 vcc, vcc, s[14:15]
	v_cndmask_b32_e32 v35, v35, v68, vcc
	v_add_f32_e32 v36, v34, v35
.LBB472_216:
	s_or_b64 exec, exec, s[10:11]
	v_bfe_u32 v34, v36, 16, 1
	s_movk_i32 s13, 0x7fff
	v_add3_u32 v34, v36, v34, s13
	v_lshrrev_b32_e32 v34, 16, v34
	v_mov_b32_e32 v35, 0x7fc0
	v_cmp_o_f32_e32 vcc, v36, v36
	v_cndmask_b32_e32 v34, v35, v34, vcc
	v_lshlrev_b32_e32 v37, 16, v34
	v_max_f32_e32 v36, v37, v37
	v_min_f32_e32 v50, v36, v69
	v_cmp_u_f32_e32 vcc, v37, v37
	v_max_f32_e32 v36, v36, v69
	v_cndmask_b32_e32 v50, v50, v37, vcc
	v_cndmask_b32_e32 v36, v36, v37, vcc
	v_cndmask_b32_e64 v50, v50, v55, s[18:19]
	v_cndmask_b32_e64 v36, v36, v55, s[18:19]
	v_cmp_neq_f32_e32 vcc, v50, v36
	v_cmp_class_f32_e64 s[10:11], v50, s12
	s_or_b64 s[14:15], vcc, s[10:11]
	s_and_saveexec_b64 s[10:11], s[14:15]
	s_cbranch_execz .LBB472_218
; %bb.217:
	v_sub_f32_e32 v37, v50, v36
	s_mov_b32 s12, 0x3fb8aa3b
	v_mul_f32_e32 v50, 0x3fb8aa3b, v37
	v_fma_f32 v51, v37, s12, -v50
	v_rndne_f32_e32 v52, v50
	v_fmac_f32_e32 v51, 0x32a5705f, v37
	v_sub_f32_e32 v50, v50, v52
	v_add_f32_e32 v50, v50, v51
	v_exp_f32_e32 v50, v50
	v_cvt_i32_f32_e32 v51, v52
	s_mov_b32 s12, 0xc2ce8ed0
	v_cmp_ngt_f32_e32 vcc, s12, v37
	s_mov_b32 s12, 0x42b17218
	v_ldexp_f32 v50, v50, v51
	v_cndmask_b32_e32 v50, 0, v50, vcc
	v_mov_b32_e32 v51, 0x7f800000
	v_cmp_nlt_f32_e32 vcc, s12, v37
	v_cndmask_b32_e32 v150, v51, v50, vcc
	v_add_f32_e32 v37, 1.0, v150
	v_add_f32_e32 v50, -1.0, v37
	v_sub_f32_e32 v51, v50, v37
	v_add_f32_e32 v51, 1.0, v51
	v_sub_f32_e32 v50, v150, v50
	v_add_f32_e32 v52, v50, v51
	v_frexp_mant_f32_e32 v53, v37
	s_mov_b32 s12, 0x3f2aaaab
	v_cvt_f64_f32_e32 v[50:51], v37
	v_frexp_exp_i32_f64_e32 v50, v[50:51]
	v_cmp_gt_f32_e32 vcc, s12, v53
	v_subbrev_co_u32_e32 v68, vcc, 0, v50, vcc
	v_sub_u32_e32 v50, 0, v68
	v_ldexp_f32 v37, v37, v50
	v_ldexp_f32 v50, v52, v50
	v_add_f32_e32 v52, -1.0, v37
	v_add_f32_e32 v51, 1.0, v52
	v_sub_f32_e32 v51, v37, v51
	v_add_f32_e32 v53, v50, v51
	v_add_f32_e32 v51, 1.0, v37
	v_add_f32_e32 v54, -1.0, v51
	v_sub_f32_e32 v37, v37, v54
	v_add_f32_e32 v37, v50, v37
	v_add_f32_e32 v69, v51, v37
	v_rcp_f32_e32 v144, v69
	v_sub_f32_e32 v50, v51, v69
	v_add_f32_e32 v51, v52, v53
	v_add_f32_e32 v37, v37, v50
	v_mul_f32_e32 v146, v51, v144
	v_sub_f32_e32 v50, v52, v51
	v_mul_f32_e32 v52, v69, v146
	v_fma_f32 v54, v146, v69, -v52
	v_fmac_f32_e32 v54, v146, v37
	v_add_f32_e32 v145, v53, v50
	v_add_f32_e32 v50, v52, v54
	v_sub_f32_e32 v53, v51, v50
	v_pk_add_f32 v[64:65], v[50:51], v[52:53] neg_lo:[0,1] neg_hi:[0,1]
	v_mov_b32_e32 v55, v50
	v_pk_add_f32 v[50:51], v[64:65], v[54:55] neg_lo:[0,1] neg_hi:[0,1]
	v_add_f32_e32 v51, v145, v51
	v_add_f32_e32 v50, v50, v51
	v_add_f32_e32 v51, v53, v50
	v_mul_f32_e32 v145, v144, v51
	v_mul_f32_e32 v52, v69, v145
	v_fma_f32 v54, v145, v69, -v52
	v_fmac_f32_e32 v54, v145, v37
	v_sub_f32_e32 v37, v53, v51
	v_add_f32_e32 v37, v50, v37
	v_add_f32_e32 v50, v52, v54
	v_sub_f32_e32 v53, v51, v50
	v_pk_add_f32 v[64:65], v[50:51], v[52:53] neg_lo:[0,1] neg_hi:[0,1]
	v_mov_b32_e32 v55, v50
	v_pk_add_f32 v[50:51], v[64:65], v[54:55] neg_lo:[0,1] neg_hi:[0,1]
	v_add_f32_e32 v37, v37, v51
	v_add_f32_e32 v37, v50, v37
	;; [unrolled: 1-line block ×4, first 2 shown]
	v_sub_f32_e32 v51, v50, v146
	v_mul_f32_e32 v37, v144, v37
	v_sub_f32_e32 v51, v145, v51
	v_add_f32_e32 v37, v51, v37
	v_add_f32_e32 v53, v50, v37
	v_mul_f32_e32 v54, v53, v53
	v_mov_b32_e32 v52, 0x3ecc95a3
	v_fmac_f32_e32 v52, 0x3e9b6dac, v54
	v_mov_b32_e32 v51, 0x3f2aaada
	v_fmac_f32_e32 v51, v54, v52
	v_cvt_f32_i32_e32 v52, v68
	v_sub_f32_e32 v50, v53, v50
	v_sub_f32_e32 v37, v37, v50
	v_ldexp_f32 v55, v53, 1
	v_mul_f32_e32 v53, v53, v54
	v_mov_b32_e32 v50, 0x3f317218
	s_mov_b32 s12, 0x3f317218
	v_pk_mul_f32 v[50:51], v[52:53], v[50:51]
	v_fma_f32 v54, v52, s12, -v50
	v_fmac_f32_e32 v54, 0xb102e308, v52
	v_pk_add_f32 v[52:53], v[50:51], v[54:55]
	v_sub_f32_e32 v55, v53, v55
	v_ldexp_f32 v37, v37, 1
	v_sub_f32_e32 v55, v51, v55
	v_add_f32_e32 v65, v37, v55
	v_mov_b32_e32 v64, v50
	v_pk_add_f32 v[50:51], v[52:53], v[50:51] neg_lo:[0,1] neg_hi:[0,1]
	v_pk_add_f32 v[68:69], v[52:53], v[64:65]
	v_mov_b32_e32 v51, v69
	v_mov_b32_e32 v55, v52
	v_pk_add_f32 v[144:145], v[54:55], v[50:51] neg_lo:[0,1] neg_hi:[0,1]
	v_pk_add_f32 v[50:51], v[54:55], v[50:51]
	v_mov_b32_e32 v54, v51
	v_pk_add_f32 v[146:147], v[54:55], v[52:53] neg_lo:[0,1] neg_hi:[0,1]
	v_mov_b32_e32 v37, v146
	v_pk_add_f32 v[148:149], v[68:69], v[36:37] neg_lo:[0,1] neg_hi:[0,1]
	v_mov_b32_e32 v50, v69
	v_mov_b32_e32 v68, v53
	;; [unrolled: 1-line block ×4, first 2 shown]
	v_pk_add_f32 v[50:51], v[50:51], v[68:69] neg_lo:[0,1] neg_hi:[0,1]
	v_mov_b32_e32 v64, v65
	v_mov_b32_e32 v65, v52
	v_pk_add_f32 v[50:51], v[64:65], v[50:51] neg_lo:[0,1] neg_hi:[0,1]
	v_mov_b32_e32 v148, v144
	v_pk_add_f32 v[52:53], v[148:149], v[50:51]
	v_mov_b32_e32 v64, v53
	v_pk_add_f32 v[64:65], v[52:53], v[64:65]
	v_pk_add_f32 v[54:55], v[54:55], v[64:65]
	v_mov_b32_e32 v53, v54
	v_pk_add_f32 v[68:69], v[52:53], v[144:145] neg_lo:[0,1] neg_hi:[0,1]
	v_mov_b32_e32 v51, v64
	v_sub_f32_e32 v37, v52, v68
	v_pk_add_f32 v[50:51], v[50:51], v[68:69] neg_lo:[0,1] neg_hi:[0,1]
	v_sub_f32_e32 v37, v144, v37
	s_mov_b32 s14, 0x7f800000
	v_add_f32_e32 v37, v50, v37
	s_mov_b32 s12, 0x33800000
	v_add_f32_e32 v37, v37, v51
	v_cmp_eq_f32_e32 vcc, s14, v150
	v_cmp_lt_f32_e64 s[14:15], |v150|, s12
	v_add_f32_e32 v37, v54, v37
	s_or_b64 vcc, vcc, s[14:15]
	v_cndmask_b32_e32 v37, v37, v150, vcc
	v_add_f32_e32 v37, v36, v37
.LBB472_218:
	s_or_b64 exec, exec, s[10:11]
	v_bfe_u32 v36, v37, 16, 1
	v_add3_u32 v36, v37, v36, s13
	v_lshrrev_b32_e32 v36, 16, v36
	v_cmp_o_f32_e32 vcc, v37, v37
	v_cndmask_b32_e32 v35, v35, v36, vcc
	v_lshlrev_b32_e32 v50, 16, v35
	v_max_f32_e32 v36, v50, v50
	v_min_f32_e32 v37, v36, v80
	v_cmp_u_f32_e32 vcc, v50, v50
	v_max_f32_e32 v36, v36, v80
	v_cndmask_b32_e32 v37, v37, v50, vcc
	v_cndmask_b32_e32 v36, v36, v50, vcc
	v_cndmask_b32_e64 v37, v37, v66, s[20:21]
	v_cndmask_b32_e64 v36, v36, v66, s[20:21]
	s_movk_i32 s12, 0x1f8
	v_cmp_neq_f32_e32 vcc, v37, v36
	v_cmp_class_f32_e64 s[10:11], v37, s12
	s_or_b64 s[14:15], vcc, s[10:11]
	s_and_saveexec_b64 s[10:11], s[14:15]
	s_cbranch_execz .LBB472_220
; %bb.219:
	v_sub_f32_e32 v37, v37, v36
	s_mov_b32 s13, 0x3fb8aa3b
	v_mul_f32_e32 v50, 0x3fb8aa3b, v37
	v_fma_f32 v51, v37, s13, -v50
	v_rndne_f32_e32 v52, v50
	v_fmac_f32_e32 v51, 0x32a5705f, v37
	v_sub_f32_e32 v50, v50, v52
	v_add_f32_e32 v50, v50, v51
	v_exp_f32_e32 v50, v50
	v_cvt_i32_f32_e32 v51, v52
	s_mov_b32 s13, 0xc2ce8ed0
	v_cmp_ngt_f32_e32 vcc, s13, v37
	s_mov_b32 s13, 0x42b17218
	v_ldexp_f32 v50, v50, v51
	v_cndmask_b32_e32 v50, 0, v50, vcc
	v_mov_b32_e32 v51, 0x7f800000
	v_cmp_nlt_f32_e32 vcc, s13, v37
	v_cndmask_b32_e32 v66, v51, v50, vcc
	v_add_f32_e32 v37, 1.0, v66
	v_add_f32_e32 v50, -1.0, v37
	v_sub_f32_e32 v51, v50, v37
	v_add_f32_e32 v51, 1.0, v51
	v_sub_f32_e32 v50, v66, v50
	v_add_f32_e32 v52, v50, v51
	v_frexp_mant_f32_e32 v53, v37
	s_mov_b32 s13, 0x3f2aaaab
	v_cvt_f64_f32_e32 v[50:51], v37
	v_frexp_exp_i32_f64_e32 v50, v[50:51]
	v_cmp_gt_f32_e32 vcc, s13, v53
	v_subbrev_co_u32_e32 v68, vcc, 0, v50, vcc
	v_sub_u32_e32 v50, 0, v68
	v_ldexp_f32 v37, v37, v50
	v_ldexp_f32 v50, v52, v50
	v_add_f32_e32 v52, -1.0, v37
	v_add_f32_e32 v51, 1.0, v52
	v_sub_f32_e32 v51, v37, v51
	v_add_f32_e32 v53, v50, v51
	v_add_f32_e32 v51, 1.0, v37
	v_add_f32_e32 v54, -1.0, v51
	v_sub_f32_e32 v37, v37, v54
	v_add_f32_e32 v37, v50, v37
	v_add_f32_e32 v69, v51, v37
	v_rcp_f32_e32 v80, v69
	v_sub_f32_e32 v50, v51, v69
	v_add_f32_e32 v51, v52, v53
	v_add_f32_e32 v37, v37, v50
	v_mul_f32_e32 v145, v51, v80
	v_sub_f32_e32 v50, v52, v51
	v_mul_f32_e32 v52, v69, v145
	v_fma_f32 v54, v145, v69, -v52
	v_fmac_f32_e32 v54, v145, v37
	v_add_f32_e32 v144, v53, v50
	v_add_f32_e32 v50, v52, v54
	v_sub_f32_e32 v53, v51, v50
	v_pk_add_f32 v[64:65], v[50:51], v[52:53] neg_lo:[0,1] neg_hi:[0,1]
	v_mov_b32_e32 v55, v50
	v_pk_add_f32 v[50:51], v[64:65], v[54:55] neg_lo:[0,1] neg_hi:[0,1]
	v_add_f32_e32 v51, v144, v51
	v_add_f32_e32 v50, v50, v51
	;; [unrolled: 1-line block ×3, first 2 shown]
	v_mul_f32_e32 v144, v80, v51
	v_mul_f32_e32 v52, v69, v144
	v_fma_f32 v54, v144, v69, -v52
	v_fmac_f32_e32 v54, v144, v37
	v_sub_f32_e32 v37, v53, v51
	v_add_f32_e32 v37, v50, v37
	v_add_f32_e32 v50, v52, v54
	v_sub_f32_e32 v53, v51, v50
	v_pk_add_f32 v[64:65], v[50:51], v[52:53] neg_lo:[0,1] neg_hi:[0,1]
	v_mov_b32_e32 v55, v50
	v_pk_add_f32 v[50:51], v[64:65], v[54:55] neg_lo:[0,1] neg_hi:[0,1]
	v_add_f32_e32 v37, v37, v51
	v_add_f32_e32 v37, v50, v37
	;; [unrolled: 1-line block ×4, first 2 shown]
	v_sub_f32_e32 v51, v50, v145
	v_mul_f32_e32 v37, v80, v37
	v_sub_f32_e32 v51, v144, v51
	v_add_f32_e32 v37, v51, v37
	v_add_f32_e32 v53, v50, v37
	v_mul_f32_e32 v54, v53, v53
	v_mov_b32_e32 v52, 0x3ecc95a3
	v_fmac_f32_e32 v52, 0x3e9b6dac, v54
	v_mov_b32_e32 v51, 0x3f2aaada
	v_fmac_f32_e32 v51, v54, v52
	v_cvt_f32_i32_e32 v52, v68
	v_sub_f32_e32 v50, v53, v50
	v_sub_f32_e32 v37, v37, v50
	v_ldexp_f32 v55, v53, 1
	v_mul_f32_e32 v53, v53, v54
	v_mov_b32_e32 v50, 0x3f317218
	s_mov_b32 s13, 0x3f317218
	v_pk_mul_f32 v[50:51], v[52:53], v[50:51]
	v_fma_f32 v54, v52, s13, -v50
	v_fmac_f32_e32 v54, 0xb102e308, v52
	v_pk_add_f32 v[52:53], v[50:51], v[54:55]
	v_sub_f32_e32 v55, v53, v55
	v_ldexp_f32 v37, v37, 1
	v_sub_f32_e32 v55, v51, v55
	v_add_f32_e32 v65, v37, v55
	v_mov_b32_e32 v64, v50
	v_pk_add_f32 v[50:51], v[52:53], v[50:51] neg_lo:[0,1] neg_hi:[0,1]
	v_pk_add_f32 v[68:69], v[52:53], v[64:65]
	v_mov_b32_e32 v51, v69
	v_mov_b32_e32 v55, v52
	v_pk_add_f32 v[144:145], v[54:55], v[50:51] neg_lo:[0,1] neg_hi:[0,1]
	v_pk_add_f32 v[50:51], v[54:55], v[50:51]
	v_mov_b32_e32 v54, v51
	v_pk_add_f32 v[146:147], v[54:55], v[52:53] neg_lo:[0,1] neg_hi:[0,1]
	v_mov_b32_e32 v37, v146
	v_pk_add_f32 v[148:149], v[68:69], v[36:37] neg_lo:[0,1] neg_hi:[0,1]
	v_mov_b32_e32 v50, v69
	v_mov_b32_e32 v68, v53
	;; [unrolled: 1-line block ×4, first 2 shown]
	v_pk_add_f32 v[50:51], v[50:51], v[68:69] neg_lo:[0,1] neg_hi:[0,1]
	v_mov_b32_e32 v64, v65
	v_mov_b32_e32 v65, v52
	v_pk_add_f32 v[50:51], v[64:65], v[50:51] neg_lo:[0,1] neg_hi:[0,1]
	v_mov_b32_e32 v148, v144
	v_pk_add_f32 v[52:53], v[148:149], v[50:51]
	v_mov_b32_e32 v64, v53
	v_pk_add_f32 v[64:65], v[52:53], v[64:65]
	v_pk_add_f32 v[54:55], v[54:55], v[64:65]
	v_mov_b32_e32 v53, v54
	v_pk_add_f32 v[68:69], v[52:53], v[144:145] neg_lo:[0,1] neg_hi:[0,1]
	v_mov_b32_e32 v51, v64
	v_sub_f32_e32 v37, v52, v68
	v_pk_add_f32 v[50:51], v[50:51], v[68:69] neg_lo:[0,1] neg_hi:[0,1]
	v_sub_f32_e32 v37, v144, v37
	s_mov_b32 s14, 0x7f800000
	v_add_f32_e32 v37, v50, v37
	s_mov_b32 s13, 0x33800000
	v_add_f32_e32 v37, v37, v51
	v_cmp_eq_f32_e32 vcc, s14, v66
	v_cmp_lt_f32_e64 s[14:15], |v66|, s13
	v_add_f32_e32 v37, v54, v37
	s_or_b64 vcc, vcc, s[14:15]
	v_cndmask_b32_e32 v37, v37, v66, vcc
	v_add_f32_e32 v50, v36, v37
.LBB472_220:
	s_or_b64 exec, exec, s[10:11]
	v_bfe_u32 v36, v50, 16, 1
	s_movk_i32 s13, 0x7fff
	v_add3_u32 v36, v50, v36, s13
	v_lshrrev_b32_e32 v36, 16, v36
	v_mov_b32_e32 v37, 0x7fc0
	v_cmp_o_f32_e32 vcc, v50, v50
	v_cndmask_b32_e32 v36, v37, v36, vcc
	v_lshlrev_b32_e32 v51, 16, v36
	v_max_f32_e32 v50, v51, v51
	v_min_f32_e32 v52, v50, v81
	v_cmp_u_f32_e32 vcc, v51, v51
	v_max_f32_e32 v50, v50, v81
	v_cndmask_b32_e32 v52, v52, v51, vcc
	v_cndmask_b32_e32 v50, v50, v51, vcc
	v_cndmask_b32_e64 v52, v52, v67, s[22:23]
	v_cndmask_b32_e64 v50, v50, v67, s[22:23]
	v_cmp_neq_f32_e32 vcc, v52, v50
	v_cmp_class_f32_e64 s[10:11], v52, s12
	s_or_b64 s[14:15], vcc, s[10:11]
	s_and_saveexec_b64 s[10:11], s[14:15]
	s_cbranch_execz .LBB472_222
; %bb.221:
	v_sub_f32_e32 v51, v52, v50
	s_mov_b32 s12, 0x3fb8aa3b
	v_mul_f32_e32 v52, 0x3fb8aa3b, v51
	v_fma_f32 v53, v51, s12, -v52
	v_rndne_f32_e32 v54, v52
	v_fmac_f32_e32 v53, 0x32a5705f, v51
	v_sub_f32_e32 v52, v52, v54
	v_add_f32_e32 v52, v52, v53
	v_exp_f32_e32 v52, v52
	v_cvt_i32_f32_e32 v53, v54
	s_mov_b32 s12, 0xc2ce8ed0
	v_cmp_ngt_f32_e32 vcc, s12, v51
	s_mov_b32 s12, 0x42b17218
	v_ldexp_f32 v52, v52, v53
	v_cndmask_b32_e32 v52, 0, v52, vcc
	v_mov_b32_e32 v53, 0x7f800000
	v_cmp_nlt_f32_e32 vcc, s12, v51
	v_cndmask_b32_e32 v148, v53, v52, vcc
	v_add_f32_e32 v51, 1.0, v148
	v_add_f32_e32 v52, -1.0, v51
	v_sub_f32_e32 v53, v52, v51
	v_add_f32_e32 v53, 1.0, v53
	v_sub_f32_e32 v52, v148, v52
	v_add_f32_e32 v54, v52, v53
	v_frexp_mant_f32_e32 v55, v51
	s_mov_b32 s12, 0x3f2aaaab
	v_cvt_f64_f32_e32 v[52:53], v51
	v_frexp_exp_i32_f64_e32 v52, v[52:53]
	v_cmp_gt_f32_e32 vcc, s12, v55
	v_subbrev_co_u32_e32 v68, vcc, 0, v52, vcc
	v_sub_u32_e32 v52, 0, v68
	v_ldexp_f32 v51, v51, v52
	v_ldexp_f32 v52, v54, v52
	v_add_f32_e32 v54, -1.0, v51
	v_add_f32_e32 v53, 1.0, v54
	v_sub_f32_e32 v53, v51, v53
	v_add_f32_e32 v55, v52, v53
	v_add_f32_e32 v53, 1.0, v51
	v_add_f32_e32 v64, -1.0, v53
	v_sub_f32_e32 v51, v51, v64
	v_add_f32_e32 v51, v52, v51
	v_add_f32_e32 v69, v53, v51
	v_rcp_f32_e32 v80, v69
	v_sub_f32_e32 v52, v53, v69
	v_add_f32_e32 v53, v54, v55
	v_add_f32_e32 v51, v51, v52
	v_mul_f32_e32 v144, v53, v80
	v_sub_f32_e32 v52, v54, v53
	v_mul_f32_e32 v54, v69, v144
	v_fma_f32 v64, v144, v69, -v54
	v_fmac_f32_e32 v64, v144, v51
	v_add_f32_e32 v81, v55, v52
	v_add_f32_e32 v52, v54, v64
	v_sub_f32_e32 v55, v53, v52
	v_pk_add_f32 v[66:67], v[52:53], v[54:55] neg_lo:[0,1] neg_hi:[0,1]
	v_mov_b32_e32 v65, v52
	v_pk_add_f32 v[52:53], v[66:67], v[64:65] neg_lo:[0,1] neg_hi:[0,1]
	v_add_f32_e32 v53, v81, v53
	v_add_f32_e32 v52, v52, v53
	;; [unrolled: 1-line block ×3, first 2 shown]
	v_mul_f32_e32 v81, v80, v53
	v_mul_f32_e32 v54, v69, v81
	v_fma_f32 v64, v81, v69, -v54
	v_fmac_f32_e32 v64, v81, v51
	v_sub_f32_e32 v51, v55, v53
	v_add_f32_e32 v51, v52, v51
	v_add_f32_e32 v52, v54, v64
	v_sub_f32_e32 v55, v53, v52
	v_pk_add_f32 v[66:67], v[52:53], v[54:55] neg_lo:[0,1] neg_hi:[0,1]
	v_mov_b32_e32 v65, v52
	v_pk_add_f32 v[52:53], v[66:67], v[64:65] neg_lo:[0,1] neg_hi:[0,1]
	v_add_f32_e32 v51, v51, v53
	v_add_f32_e32 v51, v52, v51
	;; [unrolled: 1-line block ×4, first 2 shown]
	v_sub_f32_e32 v53, v52, v144
	v_mul_f32_e32 v51, v80, v51
	v_sub_f32_e32 v53, v81, v53
	v_add_f32_e32 v51, v53, v51
	v_add_f32_e32 v55, v52, v51
	v_mul_f32_e32 v64, v55, v55
	v_mov_b32_e32 v54, 0x3ecc95a3
	v_fmac_f32_e32 v54, 0x3e9b6dac, v64
	v_mov_b32_e32 v53, 0x3f2aaada
	v_fmac_f32_e32 v53, v64, v54
	v_cvt_f32_i32_e32 v54, v68
	v_sub_f32_e32 v52, v55, v52
	v_sub_f32_e32 v51, v51, v52
	v_ldexp_f32 v65, v55, 1
	v_mul_f32_e32 v55, v55, v64
	v_mov_b32_e32 v52, 0x3f317218
	s_mov_b32 s12, 0x3f317218
	v_pk_mul_f32 v[52:53], v[54:55], v[52:53]
	v_fma_f32 v64, v54, s12, -v52
	v_fmac_f32_e32 v64, 0xb102e308, v54
	v_pk_add_f32 v[54:55], v[52:53], v[64:65]
	v_sub_f32_e32 v65, v55, v65
	v_ldexp_f32 v51, v51, 1
	v_sub_f32_e32 v65, v53, v65
	v_add_f32_e32 v67, v51, v65
	v_mov_b32_e32 v66, v52
	v_pk_add_f32 v[52:53], v[54:55], v[52:53] neg_lo:[0,1] neg_hi:[0,1]
	v_pk_add_f32 v[68:69], v[54:55], v[66:67]
	v_mov_b32_e32 v53, v69
	v_mov_b32_e32 v65, v54
	v_pk_add_f32 v[80:81], v[64:65], v[52:53] neg_lo:[0,1] neg_hi:[0,1]
	v_pk_add_f32 v[52:53], v[64:65], v[52:53]
	v_mov_b32_e32 v64, v53
	v_pk_add_f32 v[144:145], v[64:65], v[54:55] neg_lo:[0,1] neg_hi:[0,1]
	v_mov_b32_e32 v51, v144
	v_pk_add_f32 v[146:147], v[68:69], v[50:51] neg_lo:[0,1] neg_hi:[0,1]
	v_mov_b32_e32 v52, v69
	v_mov_b32_e32 v68, v55
	;; [unrolled: 1-line block ×4, first 2 shown]
	v_pk_add_f32 v[52:53], v[52:53], v[68:69] neg_lo:[0,1] neg_hi:[0,1]
	v_mov_b32_e32 v66, v67
	v_mov_b32_e32 v67, v54
	v_pk_add_f32 v[52:53], v[66:67], v[52:53] neg_lo:[0,1] neg_hi:[0,1]
	v_mov_b32_e32 v146, v80
	v_pk_add_f32 v[54:55], v[146:147], v[52:53]
	v_mov_b32_e32 v66, v55
	v_pk_add_f32 v[66:67], v[54:55], v[66:67]
	v_pk_add_f32 v[64:65], v[64:65], v[66:67]
	v_mov_b32_e32 v55, v64
	v_pk_add_f32 v[68:69], v[54:55], v[80:81] neg_lo:[0,1] neg_hi:[0,1]
	v_mov_b32_e32 v53, v66
	v_sub_f32_e32 v51, v54, v68
	v_pk_add_f32 v[52:53], v[52:53], v[68:69] neg_lo:[0,1] neg_hi:[0,1]
	v_sub_f32_e32 v51, v80, v51
	s_mov_b32 s14, 0x7f800000
	v_add_f32_e32 v51, v52, v51
	s_mov_b32 s12, 0x33800000
	v_add_f32_e32 v51, v51, v53
	v_cmp_eq_f32_e32 vcc, s14, v148
	v_cmp_lt_f32_e64 s[14:15], |v148|, s12
	v_add_f32_e32 v51, v64, v51
	s_or_b64 vcc, vcc, s[14:15]
	v_cndmask_b32_e32 v51, v51, v148, vcc
	v_add_f32_e32 v51, v50, v51
.LBB472_222:
	s_or_b64 exec, exec, s[10:11]
	v_bfe_u32 v50, v51, 16, 1
	v_add3_u32 v50, v51, v50, s13
	v_lshrrev_b32_e32 v50, 16, v50
	v_cmp_o_f32_e32 vcc, v51, v51
	v_cndmask_b32_e32 v37, v37, v50, vcc
	v_lshlrev_b32_e32 v52, 16, v37
	v_max_f32_e32 v50, v52, v52
	v_min_f32_e32 v51, v50, v84
	v_cmp_u_f32_e32 vcc, v52, v52
	v_max_f32_e32 v50, v50, v84
	v_cndmask_b32_e32 v51, v51, v52, vcc
	v_cndmask_b32_e32 v50, v50, v52, vcc
	v_cndmask_b32_e64 v51, v51, v70, s[24:25]
	v_cndmask_b32_e64 v50, v50, v70, s[24:25]
	s_movk_i32 s12, 0x1f8
	v_cmp_neq_f32_e32 vcc, v51, v50
	v_cmp_class_f32_e64 s[10:11], v51, s12
	s_or_b64 s[14:15], vcc, s[10:11]
	s_and_saveexec_b64 s[10:11], s[14:15]
	s_cbranch_execz .LBB472_224
; %bb.223:
	v_sub_f32_e32 v51, v51, v50
	s_mov_b32 s13, 0x3fb8aa3b
	v_mul_f32_e32 v52, 0x3fb8aa3b, v51
	v_fma_f32 v53, v51, s13, -v52
	v_rndne_f32_e32 v54, v52
	v_fmac_f32_e32 v53, 0x32a5705f, v51
	v_sub_f32_e32 v52, v52, v54
	v_add_f32_e32 v52, v52, v53
	v_exp_f32_e32 v52, v52
	v_cvt_i32_f32_e32 v53, v54
	s_mov_b32 s13, 0xc2ce8ed0
	v_cmp_ngt_f32_e32 vcc, s13, v51
	s_mov_b32 s13, 0x42b17218
	v_ldexp_f32 v52, v52, v53
	v_cndmask_b32_e32 v52, 0, v52, vcc
	v_mov_b32_e32 v53, 0x7f800000
	v_cmp_nlt_f32_e32 vcc, s13, v51
	v_cndmask_b32_e32 v70, v53, v52, vcc
	v_add_f32_e32 v51, 1.0, v70
	v_add_f32_e32 v52, -1.0, v51
	v_sub_f32_e32 v53, v52, v51
	v_add_f32_e32 v53, 1.0, v53
	v_sub_f32_e32 v52, v70, v52
	v_add_f32_e32 v54, v52, v53
	v_frexp_mant_f32_e32 v55, v51
	s_mov_b32 s13, 0x3f2aaaab
	v_cvt_f64_f32_e32 v[52:53], v51
	v_frexp_exp_i32_f64_e32 v52, v[52:53]
	v_cmp_gt_f32_e32 vcc, s13, v55
	v_subbrev_co_u32_e32 v68, vcc, 0, v52, vcc
	v_sub_u32_e32 v52, 0, v68
	v_ldexp_f32 v51, v51, v52
	v_ldexp_f32 v52, v54, v52
	v_add_f32_e32 v54, -1.0, v51
	v_add_f32_e32 v53, 1.0, v54
	v_sub_f32_e32 v53, v51, v53
	v_add_f32_e32 v55, v52, v53
	v_add_f32_e32 v53, 1.0, v51
	v_add_f32_e32 v64, -1.0, v53
	v_sub_f32_e32 v51, v51, v64
	v_add_f32_e32 v51, v52, v51
	v_add_f32_e32 v69, v53, v51
	v_rcp_f32_e32 v80, v69
	v_sub_f32_e32 v52, v53, v69
	v_add_f32_e32 v53, v54, v55
	v_add_f32_e32 v51, v51, v52
	v_mul_f32_e32 v84, v53, v80
	v_sub_f32_e32 v52, v54, v53
	v_mul_f32_e32 v54, v69, v84
	v_fma_f32 v64, v84, v69, -v54
	v_fmac_f32_e32 v64, v84, v51
	v_add_f32_e32 v81, v55, v52
	v_add_f32_e32 v52, v54, v64
	v_sub_f32_e32 v55, v53, v52
	v_pk_add_f32 v[66:67], v[52:53], v[54:55] neg_lo:[0,1] neg_hi:[0,1]
	v_mov_b32_e32 v65, v52
	v_pk_add_f32 v[52:53], v[66:67], v[64:65] neg_lo:[0,1] neg_hi:[0,1]
	v_add_f32_e32 v53, v81, v53
	v_add_f32_e32 v52, v52, v53
	;; [unrolled: 1-line block ×3, first 2 shown]
	v_mul_f32_e32 v81, v80, v53
	v_mul_f32_e32 v54, v69, v81
	v_fma_f32 v64, v81, v69, -v54
	v_fmac_f32_e32 v64, v81, v51
	v_sub_f32_e32 v51, v55, v53
	v_add_f32_e32 v51, v52, v51
	v_add_f32_e32 v52, v54, v64
	v_sub_f32_e32 v55, v53, v52
	v_pk_add_f32 v[66:67], v[52:53], v[54:55] neg_lo:[0,1] neg_hi:[0,1]
	v_mov_b32_e32 v65, v52
	v_pk_add_f32 v[52:53], v[66:67], v[64:65] neg_lo:[0,1] neg_hi:[0,1]
	v_add_f32_e32 v51, v51, v53
	v_add_f32_e32 v51, v52, v51
	;; [unrolled: 1-line block ×4, first 2 shown]
	v_sub_f32_e32 v53, v52, v84
	v_mul_f32_e32 v51, v80, v51
	v_sub_f32_e32 v53, v81, v53
	v_add_f32_e32 v51, v53, v51
	v_add_f32_e32 v55, v52, v51
	v_mul_f32_e32 v64, v55, v55
	v_mov_b32_e32 v54, 0x3ecc95a3
	v_fmac_f32_e32 v54, 0x3e9b6dac, v64
	v_mov_b32_e32 v53, 0x3f2aaada
	v_fmac_f32_e32 v53, v64, v54
	v_cvt_f32_i32_e32 v54, v68
	v_sub_f32_e32 v52, v55, v52
	v_sub_f32_e32 v51, v51, v52
	v_ldexp_f32 v65, v55, 1
	v_mul_f32_e32 v55, v55, v64
	v_mov_b32_e32 v52, 0x3f317218
	s_mov_b32 s13, 0x3f317218
	v_pk_mul_f32 v[52:53], v[54:55], v[52:53]
	v_fma_f32 v64, v54, s13, -v52
	v_fmac_f32_e32 v64, 0xb102e308, v54
	v_pk_add_f32 v[54:55], v[52:53], v[64:65]
	v_sub_f32_e32 v65, v55, v65
	v_ldexp_f32 v51, v51, 1
	v_sub_f32_e32 v65, v53, v65
	v_add_f32_e32 v67, v51, v65
	v_mov_b32_e32 v66, v52
	v_pk_add_f32 v[52:53], v[54:55], v[52:53] neg_lo:[0,1] neg_hi:[0,1]
	v_pk_add_f32 v[68:69], v[54:55], v[66:67]
	v_mov_b32_e32 v53, v69
	v_mov_b32_e32 v65, v54
	v_pk_add_f32 v[80:81], v[64:65], v[52:53] neg_lo:[0,1] neg_hi:[0,1]
	v_pk_add_f32 v[52:53], v[64:65], v[52:53]
	v_mov_b32_e32 v64, v53
	v_pk_add_f32 v[144:145], v[64:65], v[54:55] neg_lo:[0,1] neg_hi:[0,1]
	v_mov_b32_e32 v51, v144
	v_pk_add_f32 v[146:147], v[68:69], v[50:51] neg_lo:[0,1] neg_hi:[0,1]
	v_mov_b32_e32 v52, v69
	v_mov_b32_e32 v68, v55
	;; [unrolled: 1-line block ×4, first 2 shown]
	v_pk_add_f32 v[52:53], v[52:53], v[68:69] neg_lo:[0,1] neg_hi:[0,1]
	v_mov_b32_e32 v66, v67
	v_mov_b32_e32 v67, v54
	v_pk_add_f32 v[52:53], v[66:67], v[52:53] neg_lo:[0,1] neg_hi:[0,1]
	v_mov_b32_e32 v146, v80
	v_pk_add_f32 v[54:55], v[146:147], v[52:53]
	v_mov_b32_e32 v66, v55
	v_pk_add_f32 v[66:67], v[54:55], v[66:67]
	v_pk_add_f32 v[64:65], v[64:65], v[66:67]
	v_mov_b32_e32 v55, v64
	v_pk_add_f32 v[68:69], v[54:55], v[80:81] neg_lo:[0,1] neg_hi:[0,1]
	v_mov_b32_e32 v53, v66
	v_sub_f32_e32 v51, v54, v68
	v_pk_add_f32 v[52:53], v[52:53], v[68:69] neg_lo:[0,1] neg_hi:[0,1]
	v_sub_f32_e32 v51, v80, v51
	s_mov_b32 s14, 0x7f800000
	v_add_f32_e32 v51, v52, v51
	s_mov_b32 s13, 0x33800000
	v_add_f32_e32 v51, v51, v53
	v_cmp_eq_f32_e32 vcc, s14, v70
	v_cmp_lt_f32_e64 s[14:15], |v70|, s13
	v_add_f32_e32 v51, v64, v51
	s_or_b64 vcc, vcc, s[14:15]
	v_cndmask_b32_e32 v51, v51, v70, vcc
	v_add_f32_e32 v52, v50, v51
.LBB472_224:
	s_or_b64 exec, exec, s[10:11]
	v_bfe_u32 v50, v52, 16, 1
	s_movk_i32 s13, 0x7fff
	v_add3_u32 v50, v52, v50, s13
	v_lshrrev_b32_e32 v50, 16, v50
	v_mov_b32_e32 v51, 0x7fc0
	v_cmp_o_f32_e32 vcc, v52, v52
	v_cndmask_b32_e32 v50, v51, v50, vcc
	v_lshlrev_b32_e32 v53, 16, v50
	v_max_f32_e32 v52, v53, v53
	v_min_f32_e32 v54, v52, v85
	v_cmp_u_f32_e32 vcc, v53, v53
	v_max_f32_e32 v52, v52, v85
	v_cndmask_b32_e32 v54, v54, v53, vcc
	v_cndmask_b32_e32 v52, v52, v53, vcc
	v_cndmask_b32_e64 v54, v54, v71, s[26:27]
	v_cndmask_b32_e64 v52, v52, v71, s[26:27]
	v_cmp_neq_f32_e32 vcc, v54, v52
	v_cmp_class_f32_e64 s[10:11], v54, s12
	s_or_b64 s[14:15], vcc, s[10:11]
	s_and_saveexec_b64 s[10:11], s[14:15]
	s_cbranch_execz .LBB472_226
; %bb.225:
	v_sub_f32_e32 v53, v54, v52
	s_mov_b32 s12, 0x3fb8aa3b
	v_mul_f32_e32 v54, 0x3fb8aa3b, v53
	v_fma_f32 v55, v53, s12, -v54
	v_rndne_f32_e32 v64, v54
	v_fmac_f32_e32 v55, 0x32a5705f, v53
	v_sub_f32_e32 v54, v54, v64
	v_add_f32_e32 v54, v54, v55
	v_exp_f32_e32 v54, v54
	v_cvt_i32_f32_e32 v55, v64
	s_mov_b32 s12, 0xc2ce8ed0
	v_cmp_ngt_f32_e32 vcc, s12, v53
	s_mov_b32 s12, 0x42b17218
	v_ldexp_f32 v54, v54, v55
	v_cndmask_b32_e32 v54, 0, v54, vcc
	v_mov_b32_e32 v55, 0x7f800000
	v_cmp_nlt_f32_e32 vcc, s12, v53
	v_cndmask_b32_e32 v146, v55, v54, vcc
	v_add_f32_e32 v53, 1.0, v146
	v_add_f32_e32 v54, -1.0, v53
	v_sub_f32_e32 v55, v54, v53
	v_add_f32_e32 v55, 1.0, v55
	v_sub_f32_e32 v54, v146, v54
	v_add_f32_e32 v64, v54, v55
	v_frexp_mant_f32_e32 v65, v53
	s_mov_b32 s12, 0x3f2aaaab
	v_cvt_f64_f32_e32 v[54:55], v53
	v_frexp_exp_i32_f64_e32 v54, v[54:55]
	v_cmp_gt_f32_e32 vcc, s12, v65
	v_subbrev_co_u32_e32 v70, vcc, 0, v54, vcc
	v_sub_u32_e32 v54, 0, v70
	v_ldexp_f32 v53, v53, v54
	v_ldexp_f32 v54, v64, v54
	v_add_f32_e32 v64, -1.0, v53
	v_add_f32_e32 v55, 1.0, v64
	v_sub_f32_e32 v55, v53, v55
	v_add_f32_e32 v65, v54, v55
	v_add_f32_e32 v55, 1.0, v53
	v_add_f32_e32 v66, -1.0, v55
	v_sub_f32_e32 v53, v53, v66
	v_add_f32_e32 v53, v54, v53
	v_add_f32_e32 v71, v55, v53
	v_rcp_f32_e32 v80, v71
	v_sub_f32_e32 v54, v55, v71
	v_add_f32_e32 v55, v64, v65
	v_add_f32_e32 v53, v53, v54
	v_mul_f32_e32 v84, v55, v80
	v_sub_f32_e32 v54, v64, v55
	v_mul_f32_e32 v64, v71, v84
	v_fma_f32 v66, v84, v71, -v64
	v_fmac_f32_e32 v66, v84, v53
	v_add_f32_e32 v81, v65, v54
	v_add_f32_e32 v54, v64, v66
	v_sub_f32_e32 v65, v55, v54
	v_pk_add_f32 v[68:69], v[54:55], v[64:65] neg_lo:[0,1] neg_hi:[0,1]
	v_mov_b32_e32 v67, v54
	v_pk_add_f32 v[54:55], v[68:69], v[66:67] neg_lo:[0,1] neg_hi:[0,1]
	v_add_f32_e32 v55, v81, v55
	v_add_f32_e32 v54, v54, v55
	;; [unrolled: 1-line block ×3, first 2 shown]
	v_mul_f32_e32 v81, v80, v55
	v_mul_f32_e32 v64, v71, v81
	v_fma_f32 v66, v81, v71, -v64
	v_fmac_f32_e32 v66, v81, v53
	v_sub_f32_e32 v53, v65, v55
	v_add_f32_e32 v53, v54, v53
	v_add_f32_e32 v54, v64, v66
	v_sub_f32_e32 v65, v55, v54
	v_pk_add_f32 v[68:69], v[54:55], v[64:65] neg_lo:[0,1] neg_hi:[0,1]
	v_mov_b32_e32 v67, v54
	v_pk_add_f32 v[54:55], v[68:69], v[66:67] neg_lo:[0,1] neg_hi:[0,1]
	v_add_f32_e32 v53, v53, v55
	v_add_f32_e32 v53, v54, v53
	;; [unrolled: 1-line block ×4, first 2 shown]
	v_sub_f32_e32 v55, v54, v84
	v_mul_f32_e32 v53, v80, v53
	v_sub_f32_e32 v55, v81, v55
	v_add_f32_e32 v53, v55, v53
	v_add_f32_e32 v65, v54, v53
	v_mul_f32_e32 v66, v65, v65
	v_mov_b32_e32 v64, 0x3ecc95a3
	v_fmac_f32_e32 v64, 0x3e9b6dac, v66
	v_mov_b32_e32 v55, 0x3f2aaada
	v_fmac_f32_e32 v55, v66, v64
	v_cvt_f32_i32_e32 v64, v70
	v_sub_f32_e32 v54, v65, v54
	v_sub_f32_e32 v53, v53, v54
	v_ldexp_f32 v67, v65, 1
	v_mul_f32_e32 v65, v65, v66
	v_mov_b32_e32 v54, 0x3f317218
	s_mov_b32 s12, 0x3f317218
	v_pk_mul_f32 v[54:55], v[64:65], v[54:55]
	v_fma_f32 v66, v64, s12, -v54
	v_fmac_f32_e32 v66, 0xb102e308, v64
	v_pk_add_f32 v[64:65], v[54:55], v[66:67]
	v_sub_f32_e32 v67, v65, v67
	v_ldexp_f32 v53, v53, 1
	v_sub_f32_e32 v67, v55, v67
	v_add_f32_e32 v69, v53, v67
	v_mov_b32_e32 v68, v54
	v_pk_add_f32 v[54:55], v[64:65], v[54:55] neg_lo:[0,1] neg_hi:[0,1]
	v_pk_add_f32 v[70:71], v[64:65], v[68:69]
	v_mov_b32_e32 v55, v71
	v_mov_b32_e32 v67, v64
	v_pk_add_f32 v[80:81], v[66:67], v[54:55] neg_lo:[0,1] neg_hi:[0,1]
	v_pk_add_f32 v[54:55], v[66:67], v[54:55]
	v_mov_b32_e32 v66, v55
	v_pk_add_f32 v[84:85], v[66:67], v[64:65] neg_lo:[0,1] neg_hi:[0,1]
	v_mov_b32_e32 v53, v84
	v_pk_add_f32 v[144:145], v[70:71], v[52:53] neg_lo:[0,1] neg_hi:[0,1]
	v_mov_b32_e32 v54, v71
	v_mov_b32_e32 v70, v65
	;; [unrolled: 1-line block ×4, first 2 shown]
	v_pk_add_f32 v[54:55], v[54:55], v[70:71] neg_lo:[0,1] neg_hi:[0,1]
	v_mov_b32_e32 v68, v69
	v_mov_b32_e32 v69, v64
	v_pk_add_f32 v[54:55], v[68:69], v[54:55] neg_lo:[0,1] neg_hi:[0,1]
	v_mov_b32_e32 v144, v80
	v_pk_add_f32 v[64:65], v[144:145], v[54:55]
	v_mov_b32_e32 v68, v65
	v_pk_add_f32 v[68:69], v[64:65], v[68:69]
	v_pk_add_f32 v[66:67], v[66:67], v[68:69]
	v_mov_b32_e32 v65, v66
	v_pk_add_f32 v[70:71], v[64:65], v[80:81] neg_lo:[0,1] neg_hi:[0,1]
	v_mov_b32_e32 v55, v68
	v_sub_f32_e32 v53, v64, v70
	v_pk_add_f32 v[54:55], v[54:55], v[70:71] neg_lo:[0,1] neg_hi:[0,1]
	v_sub_f32_e32 v53, v80, v53
	s_mov_b32 s14, 0x7f800000
	v_add_f32_e32 v53, v54, v53
	s_mov_b32 s12, 0x33800000
	v_add_f32_e32 v53, v53, v55
	v_cmp_eq_f32_e32 vcc, s14, v146
	v_cmp_lt_f32_e64 s[14:15], |v146|, s12
	v_add_f32_e32 v53, v66, v53
	s_or_b64 vcc, vcc, s[14:15]
	v_cndmask_b32_e32 v53, v53, v146, vcc
	v_add_f32_e32 v53, v52, v53
.LBB472_226:
	s_or_b64 exec, exec, s[10:11]
	v_bfe_u32 v52, v53, 16, 1
	v_add3_u32 v52, v53, v52, s13
	v_lshrrev_b32_e32 v52, 16, v52
	v_cmp_o_f32_e32 vcc, v53, v53
	v_cndmask_b32_e32 v52, v51, v52, vcc
	v_lshlrev_b32_e32 v54, 16, v52
	v_max_f32_e32 v51, v54, v54
	v_min_f32_e32 v53, v51, v96
	v_cmp_u_f32_e32 vcc, v54, v54
	v_max_f32_e32 v51, v51, v96
	v_cndmask_b32_e32 v53, v53, v54, vcc
	v_cndmask_b32_e32 v51, v51, v54, vcc
	v_cndmask_b32_e64 v53, v53, v82, s[28:29]
	v_cndmask_b32_e64 v51, v51, v82, s[28:29]
	s_movk_i32 s12, 0x1f8
	v_cmp_neq_f32_e32 vcc, v53, v51
	v_cmp_class_f32_e64 s[10:11], v53, s12
	s_or_b64 s[14:15], vcc, s[10:11]
	s_and_saveexec_b64 s[10:11], s[14:15]
	s_cbranch_execz .LBB472_228
; %bb.227:
	v_sub_f32_e32 v53, v53, v51
	s_mov_b32 s13, 0x3fb8aa3b
	v_mul_f32_e32 v54, 0x3fb8aa3b, v53
	v_fma_f32 v55, v53, s13, -v54
	v_rndne_f32_e32 v64, v54
	v_fmac_f32_e32 v55, 0x32a5705f, v53
	v_sub_f32_e32 v54, v54, v64
	v_add_f32_e32 v54, v54, v55
	v_exp_f32_e32 v54, v54
	v_cvt_i32_f32_e32 v55, v64
	s_mov_b32 s13, 0xc2ce8ed0
	v_cmp_ngt_f32_e32 vcc, s13, v53
	s_mov_b32 s13, 0x42b17218
	v_ldexp_f32 v54, v54, v55
	v_cndmask_b32_e32 v54, 0, v54, vcc
	v_mov_b32_e32 v55, 0x7f800000
	v_cmp_nlt_f32_e32 vcc, s13, v53
	v_cndmask_b32_e32 v82, v55, v54, vcc
	v_add_f32_e32 v53, 1.0, v82
	v_add_f32_e32 v54, -1.0, v53
	v_sub_f32_e32 v55, v54, v53
	v_add_f32_e32 v55, 1.0, v55
	v_sub_f32_e32 v54, v82, v54
	v_add_f32_e32 v64, v54, v55
	v_frexp_mant_f32_e32 v65, v53
	s_mov_b32 s13, 0x3f2aaaab
	v_cvt_f64_f32_e32 v[54:55], v53
	v_frexp_exp_i32_f64_e32 v54, v[54:55]
	v_cmp_gt_f32_e32 vcc, s13, v65
	v_subbrev_co_u32_e32 v70, vcc, 0, v54, vcc
	v_sub_u32_e32 v54, 0, v70
	v_ldexp_f32 v53, v53, v54
	v_ldexp_f32 v54, v64, v54
	v_add_f32_e32 v64, -1.0, v53
	v_add_f32_e32 v55, 1.0, v64
	v_sub_f32_e32 v55, v53, v55
	v_add_f32_e32 v65, v54, v55
	v_add_f32_e32 v55, 1.0, v53
	v_add_f32_e32 v66, -1.0, v55
	v_sub_f32_e32 v53, v53, v66
	v_add_f32_e32 v53, v54, v53
	v_add_f32_e32 v71, v55, v53
	v_rcp_f32_e32 v80, v71
	v_sub_f32_e32 v54, v55, v71
	v_add_f32_e32 v55, v64, v65
	v_add_f32_e32 v53, v53, v54
	v_mul_f32_e32 v84, v55, v80
	v_sub_f32_e32 v54, v64, v55
	v_mul_f32_e32 v64, v71, v84
	v_fma_f32 v66, v84, v71, -v64
	v_fmac_f32_e32 v66, v84, v53
	v_add_f32_e32 v81, v65, v54
	v_add_f32_e32 v54, v64, v66
	v_sub_f32_e32 v65, v55, v54
	v_pk_add_f32 v[68:69], v[54:55], v[64:65] neg_lo:[0,1] neg_hi:[0,1]
	v_mov_b32_e32 v67, v54
	v_pk_add_f32 v[54:55], v[68:69], v[66:67] neg_lo:[0,1] neg_hi:[0,1]
	v_add_f32_e32 v55, v81, v55
	v_add_f32_e32 v54, v54, v55
	;; [unrolled: 1-line block ×3, first 2 shown]
	v_mul_f32_e32 v81, v80, v55
	v_mul_f32_e32 v64, v71, v81
	v_fma_f32 v66, v81, v71, -v64
	v_fmac_f32_e32 v66, v81, v53
	v_sub_f32_e32 v53, v65, v55
	v_add_f32_e32 v53, v54, v53
	v_add_f32_e32 v54, v64, v66
	v_sub_f32_e32 v65, v55, v54
	v_pk_add_f32 v[68:69], v[54:55], v[64:65] neg_lo:[0,1] neg_hi:[0,1]
	v_mov_b32_e32 v67, v54
	v_pk_add_f32 v[54:55], v[68:69], v[66:67] neg_lo:[0,1] neg_hi:[0,1]
	v_add_f32_e32 v53, v53, v55
	v_add_f32_e32 v53, v54, v53
	;; [unrolled: 1-line block ×4, first 2 shown]
	v_sub_f32_e32 v55, v54, v84
	v_mul_f32_e32 v53, v80, v53
	v_sub_f32_e32 v55, v81, v55
	v_add_f32_e32 v53, v55, v53
	v_add_f32_e32 v65, v54, v53
	v_mul_f32_e32 v66, v65, v65
	v_mov_b32_e32 v64, 0x3ecc95a3
	v_fmac_f32_e32 v64, 0x3e9b6dac, v66
	v_mov_b32_e32 v55, 0x3f2aaada
	v_fmac_f32_e32 v55, v66, v64
	v_cvt_f32_i32_e32 v64, v70
	v_sub_f32_e32 v54, v65, v54
	v_sub_f32_e32 v53, v53, v54
	v_ldexp_f32 v67, v65, 1
	v_mul_f32_e32 v65, v65, v66
	v_mov_b32_e32 v54, 0x3f317218
	s_mov_b32 s13, 0x3f317218
	v_pk_mul_f32 v[54:55], v[64:65], v[54:55]
	v_fma_f32 v66, v64, s13, -v54
	v_fmac_f32_e32 v66, 0xb102e308, v64
	v_pk_add_f32 v[64:65], v[54:55], v[66:67]
	v_sub_f32_e32 v67, v65, v67
	v_ldexp_f32 v53, v53, 1
	v_sub_f32_e32 v67, v55, v67
	v_add_f32_e32 v69, v53, v67
	v_mov_b32_e32 v68, v54
	v_pk_add_f32 v[54:55], v[64:65], v[54:55] neg_lo:[0,1] neg_hi:[0,1]
	v_pk_add_f32 v[70:71], v[64:65], v[68:69]
	v_mov_b32_e32 v55, v71
	v_mov_b32_e32 v67, v64
	v_pk_add_f32 v[80:81], v[66:67], v[54:55] neg_lo:[0,1] neg_hi:[0,1]
	v_pk_add_f32 v[54:55], v[66:67], v[54:55]
	v_mov_b32_e32 v66, v55
	v_pk_add_f32 v[84:85], v[66:67], v[64:65] neg_lo:[0,1] neg_hi:[0,1]
	v_mov_b32_e32 v53, v84
	v_pk_add_f32 v[144:145], v[70:71], v[52:53] neg_lo:[0,1] neg_hi:[0,1]
	v_mov_b32_e32 v54, v71
	v_mov_b32_e32 v70, v65
	;; [unrolled: 1-line block ×4, first 2 shown]
	v_pk_add_f32 v[54:55], v[54:55], v[70:71] neg_lo:[0,1] neg_hi:[0,1]
	v_mov_b32_e32 v68, v69
	v_mov_b32_e32 v69, v64
	v_pk_add_f32 v[54:55], v[68:69], v[54:55] neg_lo:[0,1] neg_hi:[0,1]
	v_mov_b32_e32 v144, v80
	v_pk_add_f32 v[64:65], v[144:145], v[54:55]
	v_mov_b32_e32 v68, v65
	v_pk_add_f32 v[68:69], v[64:65], v[68:69]
	v_pk_add_f32 v[66:67], v[66:67], v[68:69]
	v_mov_b32_e32 v65, v66
	v_pk_add_f32 v[70:71], v[64:65], v[80:81] neg_lo:[0,1] neg_hi:[0,1]
	v_mov_b32_e32 v55, v68
	v_sub_f32_e32 v53, v64, v70
	v_pk_add_f32 v[54:55], v[54:55], v[70:71] neg_lo:[0,1] neg_hi:[0,1]
	v_sub_f32_e32 v53, v80, v53
	s_mov_b32 s14, 0x7f800000
	v_add_f32_e32 v53, v54, v53
	s_mov_b32 s13, 0x33800000
	v_add_f32_e32 v53, v53, v55
	v_cmp_eq_f32_e32 vcc, s14, v82
	v_cmp_lt_f32_e64 s[14:15], |v82|, s13
	v_add_f32_e32 v53, v66, v53
	s_or_b64 vcc, vcc, s[14:15]
	v_cndmask_b32_e32 v53, v53, v82, vcc
	v_add_f32_e32 v54, v51, v53
.LBB472_228:
	s_or_b64 exec, exec, s[10:11]
	v_bfe_u32 v51, v54, 16, 1
	s_movk_i32 s13, 0x7fff
	v_add3_u32 v51, v54, v51, s13
	v_lshrrev_b32_e32 v51, 16, v51
	v_mov_b32_e32 v53, 0x7fc0
	v_cmp_o_f32_e32 vcc, v54, v54
	v_cndmask_b32_e32 v51, v53, v51, vcc
	v_lshlrev_b32_e32 v55, 16, v51
	v_max_f32_e32 v54, v55, v55
	v_min_f32_e32 v64, v54, v97
	v_cmp_u_f32_e32 vcc, v55, v55
	v_max_f32_e32 v54, v54, v97
	v_cndmask_b32_e32 v64, v64, v55, vcc
	v_cndmask_b32_e32 v54, v54, v55, vcc
	v_cndmask_b32_e64 v64, v64, v83, s[30:31]
	v_cndmask_b32_e64 v54, v54, v83, s[30:31]
	v_cmp_neq_f32_e32 vcc, v64, v54
	v_cmp_class_f32_e64 s[10:11], v64, s12
	s_or_b64 s[14:15], vcc, s[10:11]
	s_and_saveexec_b64 s[10:11], s[14:15]
	s_cbranch_execz .LBB472_230
; %bb.229:
	v_sub_f32_e32 v55, v64, v54
	s_mov_b32 s12, 0x3fb8aa3b
	v_mul_f32_e32 v64, 0x3fb8aa3b, v55
	v_fma_f32 v65, v55, s12, -v64
	v_rndne_f32_e32 v66, v64
	v_fmac_f32_e32 v65, 0x32a5705f, v55
	v_sub_f32_e32 v64, v64, v66
	v_add_f32_e32 v64, v64, v65
	v_exp_f32_e32 v64, v64
	v_cvt_i32_f32_e32 v65, v66
	s_mov_b32 s12, 0xc2ce8ed0
	v_cmp_ngt_f32_e32 vcc, s12, v55
	s_mov_b32 s12, 0x42b17218
	v_ldexp_f32 v64, v64, v65
	v_cndmask_b32_e32 v64, 0, v64, vcc
	v_mov_b32_e32 v65, 0x7f800000
	v_cmp_nlt_f32_e32 vcc, s12, v55
	v_cndmask_b32_e32 v144, v65, v64, vcc
	v_add_f32_e32 v55, 1.0, v144
	v_add_f32_e32 v64, -1.0, v55
	v_sub_f32_e32 v65, v64, v55
	v_add_f32_e32 v65, 1.0, v65
	v_sub_f32_e32 v64, v144, v64
	v_add_f32_e32 v66, v64, v65
	v_frexp_mant_f32_e32 v67, v55
	s_mov_b32 s12, 0x3f2aaaab
	v_cvt_f64_f32_e32 v[64:65], v55
	v_frexp_exp_i32_f64_e32 v64, v[64:65]
	v_cmp_gt_f32_e32 vcc, s12, v67
	v_subbrev_co_u32_e32 v80, vcc, 0, v64, vcc
	v_sub_u32_e32 v64, 0, v80
	v_ldexp_f32 v55, v55, v64
	v_ldexp_f32 v64, v66, v64
	v_add_f32_e32 v66, -1.0, v55
	v_add_f32_e32 v65, 1.0, v66
	v_sub_f32_e32 v65, v55, v65
	v_add_f32_e32 v67, v64, v65
	v_add_f32_e32 v65, 1.0, v55
	v_add_f32_e32 v68, -1.0, v65
	v_sub_f32_e32 v55, v55, v68
	v_add_f32_e32 v55, v64, v55
	v_add_f32_e32 v81, v65, v55
	v_rcp_f32_e32 v82, v81
	v_sub_f32_e32 v64, v65, v81
	v_add_f32_e32 v65, v66, v67
	v_add_f32_e32 v55, v55, v64
	v_mul_f32_e32 v84, v65, v82
	v_sub_f32_e32 v64, v66, v65
	v_mul_f32_e32 v66, v81, v84
	v_fma_f32 v68, v84, v81, -v66
	v_fmac_f32_e32 v68, v84, v55
	v_add_f32_e32 v83, v67, v64
	v_add_f32_e32 v64, v66, v68
	v_sub_f32_e32 v67, v65, v64
	v_pk_add_f32 v[70:71], v[64:65], v[66:67] neg_lo:[0,1] neg_hi:[0,1]
	v_mov_b32_e32 v69, v64
	v_pk_add_f32 v[64:65], v[70:71], v[68:69] neg_lo:[0,1] neg_hi:[0,1]
	v_add_f32_e32 v65, v83, v65
	v_add_f32_e32 v64, v64, v65
	;; [unrolled: 1-line block ×3, first 2 shown]
	v_mul_f32_e32 v83, v82, v65
	v_mul_f32_e32 v66, v81, v83
	v_fma_f32 v68, v83, v81, -v66
	v_fmac_f32_e32 v68, v83, v55
	v_sub_f32_e32 v55, v67, v65
	v_add_f32_e32 v55, v64, v55
	v_add_f32_e32 v64, v66, v68
	v_sub_f32_e32 v67, v65, v64
	v_pk_add_f32 v[70:71], v[64:65], v[66:67] neg_lo:[0,1] neg_hi:[0,1]
	v_mov_b32_e32 v69, v64
	v_pk_add_f32 v[64:65], v[70:71], v[68:69] neg_lo:[0,1] neg_hi:[0,1]
	v_add_f32_e32 v55, v55, v65
	v_add_f32_e32 v55, v64, v55
	;; [unrolled: 1-line block ×4, first 2 shown]
	v_sub_f32_e32 v65, v64, v84
	v_mul_f32_e32 v55, v82, v55
	v_sub_f32_e32 v65, v83, v65
	v_add_f32_e32 v55, v65, v55
	v_add_f32_e32 v67, v64, v55
	v_mul_f32_e32 v68, v67, v67
	v_mov_b32_e32 v66, 0x3ecc95a3
	v_fmac_f32_e32 v66, 0x3e9b6dac, v68
	v_mov_b32_e32 v65, 0x3f2aaada
	v_fmac_f32_e32 v65, v68, v66
	v_cvt_f32_i32_e32 v66, v80
	v_sub_f32_e32 v64, v67, v64
	v_sub_f32_e32 v55, v55, v64
	v_ldexp_f32 v69, v67, 1
	v_mul_f32_e32 v67, v67, v68
	v_mov_b32_e32 v64, 0x3f317218
	s_mov_b32 s12, 0x3f317218
	v_pk_mul_f32 v[64:65], v[66:67], v[64:65]
	v_fma_f32 v68, v66, s12, -v64
	v_fmac_f32_e32 v68, 0xb102e308, v66
	v_pk_add_f32 v[66:67], v[64:65], v[68:69]
	v_sub_f32_e32 v69, v67, v69
	v_ldexp_f32 v55, v55, 1
	v_sub_f32_e32 v69, v65, v69
	v_add_f32_e32 v71, v55, v69
	v_mov_b32_e32 v70, v64
	v_pk_add_f32 v[64:65], v[66:67], v[64:65] neg_lo:[0,1] neg_hi:[0,1]
	v_pk_add_f32 v[80:81], v[66:67], v[70:71]
	v_mov_b32_e32 v65, v81
	v_mov_b32_e32 v69, v66
	v_pk_add_f32 v[82:83], v[68:69], v[64:65] neg_lo:[0,1] neg_hi:[0,1]
	v_pk_add_f32 v[64:65], v[68:69], v[64:65]
	v_mov_b32_e32 v68, v65
	v_pk_add_f32 v[84:85], v[68:69], v[66:67] neg_lo:[0,1] neg_hi:[0,1]
	v_mov_b32_e32 v55, v84
	v_pk_add_f32 v[96:97], v[80:81], v[54:55] neg_lo:[0,1] neg_hi:[0,1]
	v_mov_b32_e32 v64, v81
	v_mov_b32_e32 v80, v67
	;; [unrolled: 1-line block ×4, first 2 shown]
	v_pk_add_f32 v[64:65], v[64:65], v[80:81] neg_lo:[0,1] neg_hi:[0,1]
	v_mov_b32_e32 v70, v71
	v_mov_b32_e32 v71, v66
	v_pk_add_f32 v[64:65], v[70:71], v[64:65] neg_lo:[0,1] neg_hi:[0,1]
	v_mov_b32_e32 v96, v82
	v_pk_add_f32 v[66:67], v[96:97], v[64:65]
	v_mov_b32_e32 v70, v67
	v_pk_add_f32 v[70:71], v[66:67], v[70:71]
	v_pk_add_f32 v[68:69], v[68:69], v[70:71]
	v_mov_b32_e32 v67, v68
	v_pk_add_f32 v[80:81], v[66:67], v[82:83] neg_lo:[0,1] neg_hi:[0,1]
	v_mov_b32_e32 v65, v70
	v_sub_f32_e32 v55, v66, v80
	v_pk_add_f32 v[64:65], v[64:65], v[80:81] neg_lo:[0,1] neg_hi:[0,1]
	v_sub_f32_e32 v55, v82, v55
	s_mov_b32 s14, 0x7f800000
	v_add_f32_e32 v55, v64, v55
	s_mov_b32 s12, 0x33800000
	v_add_f32_e32 v55, v55, v65
	v_cmp_eq_f32_e32 vcc, s14, v144
	v_cmp_lt_f32_e64 s[14:15], |v144|, s12
	v_add_f32_e32 v55, v68, v55
	s_or_b64 vcc, vcc, s[14:15]
	v_cndmask_b32_e32 v55, v55, v144, vcc
	v_add_f32_e32 v55, v54, v55
.LBB472_230:
	s_or_b64 exec, exec, s[10:11]
	v_bfe_u32 v54, v55, 16, 1
	v_add3_u32 v54, v55, v54, s13
	v_lshrrev_b32_e32 v54, 16, v54
	v_cmp_o_f32_e32 vcc, v55, v55
	v_cndmask_b32_e32 v53, v53, v54, vcc
	v_lshlrev_b32_e32 v64, 16, v53
	v_max_f32_e32 v54, v64, v64
	v_min_f32_e32 v55, v54, v100
	v_cmp_u_f32_e32 vcc, v64, v64
	v_max_f32_e32 v54, v54, v100
	v_cndmask_b32_e32 v55, v55, v64, vcc
	v_cndmask_b32_e32 v54, v54, v64, vcc
	v_cndmask_b32_e64 v55, v55, v86, s[34:35]
	v_cndmask_b32_e64 v54, v54, v86, s[34:35]
	s_movk_i32 s12, 0x1f8
	v_cmp_neq_f32_e32 vcc, v55, v54
	v_cmp_class_f32_e64 s[10:11], v55, s12
	s_or_b64 s[14:15], vcc, s[10:11]
	s_and_saveexec_b64 s[10:11], s[14:15]
	s_cbranch_execz .LBB472_232
; %bb.231:
	v_sub_f32_e32 v55, v55, v54
	s_mov_b32 s13, 0x3fb8aa3b
	v_mul_f32_e32 v64, 0x3fb8aa3b, v55
	v_fma_f32 v65, v55, s13, -v64
	v_rndne_f32_e32 v66, v64
	v_fmac_f32_e32 v65, 0x32a5705f, v55
	v_sub_f32_e32 v64, v64, v66
	v_add_f32_e32 v64, v64, v65
	v_exp_f32_e32 v64, v64
	v_cvt_i32_f32_e32 v65, v66
	s_mov_b32 s13, 0xc2ce8ed0
	v_cmp_ngt_f32_e32 vcc, s13, v55
	s_mov_b32 s13, 0x42b17218
	v_ldexp_f32 v64, v64, v65
	v_cndmask_b32_e32 v64, 0, v64, vcc
	v_mov_b32_e32 v65, 0x7f800000
	v_cmp_nlt_f32_e32 vcc, s13, v55
	v_cndmask_b32_e32 v86, v65, v64, vcc
	v_add_f32_e32 v55, 1.0, v86
	v_add_f32_e32 v64, -1.0, v55
	v_sub_f32_e32 v65, v64, v55
	v_add_f32_e32 v65, 1.0, v65
	v_sub_f32_e32 v64, v86, v64
	v_add_f32_e32 v66, v64, v65
	v_frexp_mant_f32_e32 v67, v55
	s_mov_b32 s13, 0x3f2aaaab
	v_cvt_f64_f32_e32 v[64:65], v55
	v_frexp_exp_i32_f64_e32 v64, v[64:65]
	v_cmp_gt_f32_e32 vcc, s13, v67
	v_subbrev_co_u32_e32 v80, vcc, 0, v64, vcc
	v_sub_u32_e32 v64, 0, v80
	v_ldexp_f32 v55, v55, v64
	v_ldexp_f32 v64, v66, v64
	v_add_f32_e32 v66, -1.0, v55
	v_add_f32_e32 v65, 1.0, v66
	v_sub_f32_e32 v65, v55, v65
	v_add_f32_e32 v67, v64, v65
	v_add_f32_e32 v65, 1.0, v55
	v_add_f32_e32 v68, -1.0, v65
	v_sub_f32_e32 v55, v55, v68
	v_add_f32_e32 v55, v64, v55
	v_add_f32_e32 v81, v65, v55
	v_rcp_f32_e32 v82, v81
	v_sub_f32_e32 v64, v65, v81
	v_add_f32_e32 v65, v66, v67
	v_add_f32_e32 v55, v55, v64
	v_mul_f32_e32 v84, v65, v82
	v_sub_f32_e32 v64, v66, v65
	v_mul_f32_e32 v66, v81, v84
	v_fma_f32 v68, v84, v81, -v66
	v_fmac_f32_e32 v68, v84, v55
	v_add_f32_e32 v83, v67, v64
	v_add_f32_e32 v64, v66, v68
	v_sub_f32_e32 v67, v65, v64
	v_pk_add_f32 v[70:71], v[64:65], v[66:67] neg_lo:[0,1] neg_hi:[0,1]
	v_mov_b32_e32 v69, v64
	v_pk_add_f32 v[64:65], v[70:71], v[68:69] neg_lo:[0,1] neg_hi:[0,1]
	v_add_f32_e32 v65, v83, v65
	v_add_f32_e32 v64, v64, v65
	;; [unrolled: 1-line block ×3, first 2 shown]
	v_mul_f32_e32 v83, v82, v65
	v_mul_f32_e32 v66, v81, v83
	v_fma_f32 v68, v83, v81, -v66
	v_fmac_f32_e32 v68, v83, v55
	v_sub_f32_e32 v55, v67, v65
	v_add_f32_e32 v55, v64, v55
	v_add_f32_e32 v64, v66, v68
	v_sub_f32_e32 v67, v65, v64
	v_pk_add_f32 v[70:71], v[64:65], v[66:67] neg_lo:[0,1] neg_hi:[0,1]
	v_mov_b32_e32 v69, v64
	v_pk_add_f32 v[64:65], v[70:71], v[68:69] neg_lo:[0,1] neg_hi:[0,1]
	v_add_f32_e32 v55, v55, v65
	v_add_f32_e32 v55, v64, v55
	;; [unrolled: 1-line block ×4, first 2 shown]
	v_sub_f32_e32 v65, v64, v84
	v_mul_f32_e32 v55, v82, v55
	v_sub_f32_e32 v65, v83, v65
	v_add_f32_e32 v55, v65, v55
	v_add_f32_e32 v67, v64, v55
	v_mul_f32_e32 v68, v67, v67
	v_mov_b32_e32 v66, 0x3ecc95a3
	v_fmac_f32_e32 v66, 0x3e9b6dac, v68
	v_mov_b32_e32 v65, 0x3f2aaada
	v_fmac_f32_e32 v65, v68, v66
	v_cvt_f32_i32_e32 v66, v80
	v_sub_f32_e32 v64, v67, v64
	v_sub_f32_e32 v55, v55, v64
	v_ldexp_f32 v69, v67, 1
	v_mul_f32_e32 v67, v67, v68
	v_mov_b32_e32 v64, 0x3f317218
	s_mov_b32 s13, 0x3f317218
	v_pk_mul_f32 v[64:65], v[66:67], v[64:65]
	v_fma_f32 v68, v66, s13, -v64
	v_fmac_f32_e32 v68, 0xb102e308, v66
	v_pk_add_f32 v[66:67], v[64:65], v[68:69]
	v_sub_f32_e32 v69, v67, v69
	v_ldexp_f32 v55, v55, 1
	v_sub_f32_e32 v69, v65, v69
	v_add_f32_e32 v71, v55, v69
	v_mov_b32_e32 v70, v64
	v_pk_add_f32 v[64:65], v[66:67], v[64:65] neg_lo:[0,1] neg_hi:[0,1]
	v_pk_add_f32 v[80:81], v[66:67], v[70:71]
	v_mov_b32_e32 v65, v81
	v_mov_b32_e32 v69, v66
	v_pk_add_f32 v[82:83], v[68:69], v[64:65] neg_lo:[0,1] neg_hi:[0,1]
	v_pk_add_f32 v[64:65], v[68:69], v[64:65]
	v_mov_b32_e32 v68, v65
	v_pk_add_f32 v[84:85], v[68:69], v[66:67] neg_lo:[0,1] neg_hi:[0,1]
	v_mov_b32_e32 v55, v84
	v_pk_add_f32 v[96:97], v[80:81], v[54:55] neg_lo:[0,1] neg_hi:[0,1]
	v_mov_b32_e32 v64, v81
	v_mov_b32_e32 v80, v67
	;; [unrolled: 1-line block ×4, first 2 shown]
	v_pk_add_f32 v[64:65], v[64:65], v[80:81] neg_lo:[0,1] neg_hi:[0,1]
	v_mov_b32_e32 v70, v71
	v_mov_b32_e32 v71, v66
	v_pk_add_f32 v[64:65], v[70:71], v[64:65] neg_lo:[0,1] neg_hi:[0,1]
	v_mov_b32_e32 v96, v82
	v_pk_add_f32 v[66:67], v[96:97], v[64:65]
	v_mov_b32_e32 v70, v67
	v_pk_add_f32 v[70:71], v[66:67], v[70:71]
	v_pk_add_f32 v[68:69], v[68:69], v[70:71]
	v_mov_b32_e32 v67, v68
	v_pk_add_f32 v[80:81], v[66:67], v[82:83] neg_lo:[0,1] neg_hi:[0,1]
	v_mov_b32_e32 v65, v70
	v_sub_f32_e32 v55, v66, v80
	v_pk_add_f32 v[64:65], v[64:65], v[80:81] neg_lo:[0,1] neg_hi:[0,1]
	v_sub_f32_e32 v55, v82, v55
	s_mov_b32 s14, 0x7f800000
	v_add_f32_e32 v55, v64, v55
	s_mov_b32 s13, 0x33800000
	v_add_f32_e32 v55, v55, v65
	v_cmp_eq_f32_e32 vcc, s14, v86
	v_cmp_lt_f32_e64 s[14:15], |v86|, s13
	v_add_f32_e32 v55, v68, v55
	s_or_b64 vcc, vcc, s[14:15]
	v_cndmask_b32_e32 v55, v55, v86, vcc
	v_add_f32_e32 v64, v54, v55
.LBB472_232:
	s_or_b64 exec, exec, s[10:11]
	v_bfe_u32 v54, v64, 16, 1
	s_movk_i32 s13, 0x7fff
	v_add3_u32 v54, v64, v54, s13
	v_lshrrev_b32_e32 v54, 16, v54
	v_mov_b32_e32 v55, 0x7fc0
	v_cmp_o_f32_e32 vcc, v64, v64
	v_cndmask_b32_e32 v54, v55, v54, vcc
	v_lshlrev_b32_e32 v65, 16, v54
	v_max_f32_e32 v64, v65, v65
	v_min_f32_e32 v66, v64, v101
	v_cmp_u_f32_e32 vcc, v65, v65
	v_max_f32_e32 v64, v64, v101
	v_cndmask_b32_e32 v66, v66, v65, vcc
	v_cndmask_b32_e32 v64, v64, v65, vcc
	v_cndmask_b32_e64 v66, v66, v87, s[36:37]
	v_cndmask_b32_e64 v64, v64, v87, s[36:37]
	v_cmp_neq_f32_e32 vcc, v66, v64
	v_cmp_class_f32_e64 s[10:11], v66, s12
	s_or_b64 s[14:15], vcc, s[10:11]
	s_and_saveexec_b64 s[10:11], s[14:15]
	s_cbranch_execz .LBB472_234
; %bb.233:
	v_sub_f32_e32 v65, v66, v64
	s_mov_b32 s12, 0x3fb8aa3b
	v_mul_f32_e32 v66, 0x3fb8aa3b, v65
	v_fma_f32 v67, v65, s12, -v66
	v_rndne_f32_e32 v68, v66
	v_fmac_f32_e32 v67, 0x32a5705f, v65
	v_sub_f32_e32 v66, v66, v68
	v_add_f32_e32 v66, v66, v67
	v_exp_f32_e32 v66, v66
	v_cvt_i32_f32_e32 v67, v68
	s_mov_b32 s12, 0xc2ce8ed0
	v_cmp_ngt_f32_e32 vcc, s12, v65
	s_mov_b32 s12, 0x42b17218
	v_ldexp_f32 v66, v66, v67
	v_cndmask_b32_e32 v66, 0, v66, vcc
	v_mov_b32_e32 v67, 0x7f800000
	v_cmp_nlt_f32_e32 vcc, s12, v65
	v_cndmask_b32_e32 v100, v67, v66, vcc
	v_add_f32_e32 v65, 1.0, v100
	v_add_f32_e32 v66, -1.0, v65
	v_sub_f32_e32 v67, v66, v65
	v_add_f32_e32 v67, 1.0, v67
	v_sub_f32_e32 v66, v100, v66
	v_add_f32_e32 v68, v66, v67
	v_frexp_mant_f32_e32 v69, v65
	s_mov_b32 s12, 0x3f2aaaab
	v_cvt_f64_f32_e32 v[66:67], v65
	v_frexp_exp_i32_f64_e32 v66, v[66:67]
	v_cmp_gt_f32_e32 vcc, s12, v69
	v_subbrev_co_u32_e32 v82, vcc, 0, v66, vcc
	v_sub_u32_e32 v66, 0, v82
	v_ldexp_f32 v65, v65, v66
	v_ldexp_f32 v66, v68, v66
	v_add_f32_e32 v68, -1.0, v65
	v_add_f32_e32 v67, 1.0, v68
	v_sub_f32_e32 v67, v65, v67
	v_add_f32_e32 v69, v66, v67
	v_add_f32_e32 v67, 1.0, v65
	v_add_f32_e32 v70, -1.0, v67
	v_sub_f32_e32 v65, v65, v70
	v_add_f32_e32 v65, v66, v65
	v_add_f32_e32 v83, v67, v65
	v_rcp_f32_e32 v84, v83
	v_sub_f32_e32 v66, v67, v83
	v_add_f32_e32 v67, v68, v69
	v_add_f32_e32 v65, v65, v66
	v_mul_f32_e32 v86, v67, v84
	v_sub_f32_e32 v66, v68, v67
	v_mul_f32_e32 v68, v83, v86
	v_fma_f32 v70, v86, v83, -v68
	v_fmac_f32_e32 v70, v86, v65
	v_add_f32_e32 v85, v69, v66
	v_add_f32_e32 v66, v68, v70
	v_sub_f32_e32 v69, v67, v66
	v_pk_add_f32 v[80:81], v[66:67], v[68:69] neg_lo:[0,1] neg_hi:[0,1]
	v_mov_b32_e32 v71, v66
	v_pk_add_f32 v[66:67], v[80:81], v[70:71] neg_lo:[0,1] neg_hi:[0,1]
	v_add_f32_e32 v67, v85, v67
	v_add_f32_e32 v66, v66, v67
	;; [unrolled: 1-line block ×3, first 2 shown]
	v_mul_f32_e32 v85, v84, v67
	v_mul_f32_e32 v68, v83, v85
	v_fma_f32 v70, v85, v83, -v68
	v_fmac_f32_e32 v70, v85, v65
	v_sub_f32_e32 v65, v69, v67
	v_add_f32_e32 v65, v66, v65
	v_add_f32_e32 v66, v68, v70
	v_sub_f32_e32 v69, v67, v66
	v_pk_add_f32 v[80:81], v[66:67], v[68:69] neg_lo:[0,1] neg_hi:[0,1]
	v_mov_b32_e32 v71, v66
	v_pk_add_f32 v[66:67], v[80:81], v[70:71] neg_lo:[0,1] neg_hi:[0,1]
	v_add_f32_e32 v65, v65, v67
	v_add_f32_e32 v65, v66, v65
	;; [unrolled: 1-line block ×4, first 2 shown]
	v_sub_f32_e32 v67, v66, v86
	v_mul_f32_e32 v65, v84, v65
	v_sub_f32_e32 v67, v85, v67
	v_add_f32_e32 v65, v67, v65
	v_add_f32_e32 v69, v66, v65
	v_mul_f32_e32 v70, v69, v69
	v_mov_b32_e32 v68, 0x3ecc95a3
	v_fmac_f32_e32 v68, 0x3e9b6dac, v70
	v_mov_b32_e32 v67, 0x3f2aaada
	v_fmac_f32_e32 v67, v70, v68
	v_cvt_f32_i32_e32 v68, v82
	v_sub_f32_e32 v66, v69, v66
	v_sub_f32_e32 v65, v65, v66
	v_ldexp_f32 v71, v69, 1
	v_mul_f32_e32 v69, v69, v70
	v_mov_b32_e32 v66, 0x3f317218
	s_mov_b32 s12, 0x3f317218
	v_pk_mul_f32 v[66:67], v[68:69], v[66:67]
	v_fma_f32 v70, v68, s12, -v66
	v_fmac_f32_e32 v70, 0xb102e308, v68
	v_pk_add_f32 v[68:69], v[66:67], v[70:71]
	v_sub_f32_e32 v71, v69, v71
	v_ldexp_f32 v65, v65, 1
	v_sub_f32_e32 v71, v67, v71
	v_add_f32_e32 v81, v65, v71
	v_mov_b32_e32 v80, v66
	v_pk_add_f32 v[66:67], v[68:69], v[66:67] neg_lo:[0,1] neg_hi:[0,1]
	v_pk_add_f32 v[82:83], v[68:69], v[80:81]
	v_mov_b32_e32 v67, v83
	v_mov_b32_e32 v71, v68
	v_pk_add_f32 v[84:85], v[70:71], v[66:67] neg_lo:[0,1] neg_hi:[0,1]
	v_pk_add_f32 v[66:67], v[70:71], v[66:67]
	v_mov_b32_e32 v70, v67
	v_pk_add_f32 v[86:87], v[70:71], v[68:69] neg_lo:[0,1] neg_hi:[0,1]
	v_mov_b32_e32 v65, v86
	v_pk_add_f32 v[96:97], v[82:83], v[64:65] neg_lo:[0,1] neg_hi:[0,1]
	v_mov_b32_e32 v66, v83
	v_mov_b32_e32 v82, v69
	;; [unrolled: 1-line block ×4, first 2 shown]
	v_pk_add_f32 v[66:67], v[66:67], v[82:83] neg_lo:[0,1] neg_hi:[0,1]
	v_mov_b32_e32 v80, v81
	v_mov_b32_e32 v81, v68
	v_pk_add_f32 v[66:67], v[80:81], v[66:67] neg_lo:[0,1] neg_hi:[0,1]
	v_mov_b32_e32 v96, v84
	v_pk_add_f32 v[68:69], v[96:97], v[66:67]
	v_mov_b32_e32 v80, v69
	v_pk_add_f32 v[80:81], v[68:69], v[80:81]
	v_pk_add_f32 v[70:71], v[70:71], v[80:81]
	v_mov_b32_e32 v69, v70
	v_pk_add_f32 v[82:83], v[68:69], v[84:85] neg_lo:[0,1] neg_hi:[0,1]
	v_mov_b32_e32 v67, v80
	v_sub_f32_e32 v65, v68, v82
	v_pk_add_f32 v[66:67], v[66:67], v[82:83] neg_lo:[0,1] neg_hi:[0,1]
	v_sub_f32_e32 v65, v84, v65
	s_mov_b32 s14, 0x7f800000
	v_add_f32_e32 v65, v66, v65
	s_mov_b32 s12, 0x33800000
	v_add_f32_e32 v65, v65, v67
	v_cmp_eq_f32_e32 vcc, s14, v100
	v_cmp_lt_f32_e64 s[14:15], |v100|, s12
	v_add_f32_e32 v65, v70, v65
	s_or_b64 vcc, vcc, s[14:15]
	v_cndmask_b32_e32 v65, v65, v100, vcc
	v_add_f32_e32 v65, v64, v65
.LBB472_234:
	s_or_b64 exec, exec, s[10:11]
	v_bfe_u32 v64, v65, 16, 1
	v_add3_u32 v64, v65, v64, s13
	v_lshrrev_b32_e32 v64, 16, v64
	v_cmp_o_f32_e32 vcc, v65, v65
	v_cndmask_b32_e32 v55, v55, v64, vcc
	v_lshlrev_b32_e32 v66, 16, v55
	v_max_f32_e32 v64, v66, v66
	v_min_f32_e32 v65, v64, v112
	v_cmp_u_f32_e32 vcc, v66, v66
	v_max_f32_e32 v64, v64, v112
	v_cndmask_b32_e32 v65, v65, v66, vcc
	v_cndmask_b32_e32 v64, v64, v66, vcc
	v_cndmask_b32_e64 v65, v65, v98, s[38:39]
	v_cndmask_b32_e64 v64, v64, v98, s[38:39]
	s_movk_i32 s12, 0x1f8
	v_cmp_neq_f32_e32 vcc, v65, v64
	v_cmp_class_f32_e64 s[10:11], v65, s12
	s_or_b64 s[14:15], vcc, s[10:11]
	s_and_saveexec_b64 s[10:11], s[14:15]
	s_cbranch_execz .LBB472_236
; %bb.235:
	v_sub_f32_e32 v65, v65, v64
	s_mov_b32 s13, 0x3fb8aa3b
	v_mul_f32_e32 v66, 0x3fb8aa3b, v65
	v_fma_f32 v67, v65, s13, -v66
	v_rndne_f32_e32 v68, v66
	v_fmac_f32_e32 v67, 0x32a5705f, v65
	v_sub_f32_e32 v66, v66, v68
	v_add_f32_e32 v66, v66, v67
	v_exp_f32_e32 v66, v66
	v_cvt_i32_f32_e32 v67, v68
	s_mov_b32 s13, 0xc2ce8ed0
	v_cmp_ngt_f32_e32 vcc, s13, v65
	s_mov_b32 s13, 0x42b17218
	v_ldexp_f32 v66, v66, v67
	v_cndmask_b32_e32 v66, 0, v66, vcc
	v_mov_b32_e32 v67, 0x7f800000
	v_cmp_nlt_f32_e32 vcc, s13, v65
	v_cndmask_b32_e32 v98, v67, v66, vcc
	v_add_f32_e32 v65, 1.0, v98
	v_add_f32_e32 v66, -1.0, v65
	v_sub_f32_e32 v67, v66, v65
	v_add_f32_e32 v67, 1.0, v67
	v_sub_f32_e32 v66, v98, v66
	v_add_f32_e32 v68, v66, v67
	v_frexp_mant_f32_e32 v69, v65
	s_mov_b32 s13, 0x3f2aaaab
	v_cvt_f64_f32_e32 v[66:67], v65
	v_frexp_exp_i32_f64_e32 v66, v[66:67]
	v_cmp_gt_f32_e32 vcc, s13, v69
	v_subbrev_co_u32_e32 v82, vcc, 0, v66, vcc
	v_sub_u32_e32 v66, 0, v82
	v_ldexp_f32 v65, v65, v66
	v_ldexp_f32 v66, v68, v66
	v_add_f32_e32 v68, -1.0, v65
	v_add_f32_e32 v67, 1.0, v68
	v_sub_f32_e32 v67, v65, v67
	v_add_f32_e32 v69, v66, v67
	v_add_f32_e32 v67, 1.0, v65
	v_add_f32_e32 v70, -1.0, v67
	v_sub_f32_e32 v65, v65, v70
	v_add_f32_e32 v65, v66, v65
	v_add_f32_e32 v83, v67, v65
	v_rcp_f32_e32 v84, v83
	v_sub_f32_e32 v66, v67, v83
	v_add_f32_e32 v67, v68, v69
	v_add_f32_e32 v65, v65, v66
	v_mul_f32_e32 v86, v67, v84
	v_sub_f32_e32 v66, v68, v67
	v_mul_f32_e32 v68, v83, v86
	v_fma_f32 v70, v86, v83, -v68
	v_fmac_f32_e32 v70, v86, v65
	v_add_f32_e32 v85, v69, v66
	v_add_f32_e32 v66, v68, v70
	v_sub_f32_e32 v69, v67, v66
	v_pk_add_f32 v[80:81], v[66:67], v[68:69] neg_lo:[0,1] neg_hi:[0,1]
	v_mov_b32_e32 v71, v66
	v_pk_add_f32 v[66:67], v[80:81], v[70:71] neg_lo:[0,1] neg_hi:[0,1]
	v_add_f32_e32 v67, v85, v67
	v_add_f32_e32 v66, v66, v67
	;; [unrolled: 1-line block ×3, first 2 shown]
	v_mul_f32_e32 v85, v84, v67
	v_mul_f32_e32 v68, v83, v85
	v_fma_f32 v70, v85, v83, -v68
	v_fmac_f32_e32 v70, v85, v65
	v_sub_f32_e32 v65, v69, v67
	v_add_f32_e32 v65, v66, v65
	v_add_f32_e32 v66, v68, v70
	v_sub_f32_e32 v69, v67, v66
	v_pk_add_f32 v[80:81], v[66:67], v[68:69] neg_lo:[0,1] neg_hi:[0,1]
	v_mov_b32_e32 v71, v66
	v_pk_add_f32 v[66:67], v[80:81], v[70:71] neg_lo:[0,1] neg_hi:[0,1]
	v_add_f32_e32 v65, v65, v67
	v_add_f32_e32 v65, v66, v65
	;; [unrolled: 1-line block ×4, first 2 shown]
	v_sub_f32_e32 v67, v66, v86
	v_mul_f32_e32 v65, v84, v65
	v_sub_f32_e32 v67, v85, v67
	v_add_f32_e32 v65, v67, v65
	v_add_f32_e32 v69, v66, v65
	v_mul_f32_e32 v70, v69, v69
	v_mov_b32_e32 v68, 0x3ecc95a3
	v_fmac_f32_e32 v68, 0x3e9b6dac, v70
	v_mov_b32_e32 v67, 0x3f2aaada
	v_fmac_f32_e32 v67, v70, v68
	v_cvt_f32_i32_e32 v68, v82
	v_sub_f32_e32 v66, v69, v66
	v_sub_f32_e32 v65, v65, v66
	v_ldexp_f32 v71, v69, 1
	v_mul_f32_e32 v69, v69, v70
	v_mov_b32_e32 v66, 0x3f317218
	s_mov_b32 s13, 0x3f317218
	v_pk_mul_f32 v[66:67], v[68:69], v[66:67]
	v_fma_f32 v70, v68, s13, -v66
	v_fmac_f32_e32 v70, 0xb102e308, v68
	v_pk_add_f32 v[68:69], v[66:67], v[70:71]
	v_sub_f32_e32 v71, v69, v71
	v_ldexp_f32 v65, v65, 1
	v_sub_f32_e32 v71, v67, v71
	v_add_f32_e32 v81, v65, v71
	v_mov_b32_e32 v80, v66
	v_pk_add_f32 v[66:67], v[68:69], v[66:67] neg_lo:[0,1] neg_hi:[0,1]
	v_pk_add_f32 v[82:83], v[68:69], v[80:81]
	v_mov_b32_e32 v67, v83
	v_mov_b32_e32 v71, v68
	v_pk_add_f32 v[84:85], v[70:71], v[66:67] neg_lo:[0,1] neg_hi:[0,1]
	v_pk_add_f32 v[66:67], v[70:71], v[66:67]
	v_mov_b32_e32 v70, v67
	v_pk_add_f32 v[86:87], v[70:71], v[68:69] neg_lo:[0,1] neg_hi:[0,1]
	v_mov_b32_e32 v65, v86
	v_pk_add_f32 v[96:97], v[82:83], v[64:65] neg_lo:[0,1] neg_hi:[0,1]
	v_mov_b32_e32 v66, v83
	v_mov_b32_e32 v82, v69
	;; [unrolled: 1-line block ×4, first 2 shown]
	v_pk_add_f32 v[66:67], v[66:67], v[82:83] neg_lo:[0,1] neg_hi:[0,1]
	v_mov_b32_e32 v80, v81
	v_mov_b32_e32 v81, v68
	v_pk_add_f32 v[66:67], v[80:81], v[66:67] neg_lo:[0,1] neg_hi:[0,1]
	v_mov_b32_e32 v96, v84
	v_pk_add_f32 v[68:69], v[96:97], v[66:67]
	v_mov_b32_e32 v80, v69
	v_pk_add_f32 v[80:81], v[68:69], v[80:81]
	v_pk_add_f32 v[70:71], v[70:71], v[80:81]
	v_mov_b32_e32 v69, v70
	v_pk_add_f32 v[82:83], v[68:69], v[84:85] neg_lo:[0,1] neg_hi:[0,1]
	v_mov_b32_e32 v67, v80
	v_sub_f32_e32 v65, v68, v82
	v_pk_add_f32 v[66:67], v[66:67], v[82:83] neg_lo:[0,1] neg_hi:[0,1]
	v_sub_f32_e32 v65, v84, v65
	s_mov_b32 s14, 0x7f800000
	v_add_f32_e32 v65, v66, v65
	s_mov_b32 s13, 0x33800000
	v_add_f32_e32 v65, v65, v67
	v_cmp_eq_f32_e32 vcc, s14, v98
	v_cmp_lt_f32_e64 s[14:15], |v98|, s13
	v_add_f32_e32 v65, v70, v65
	s_or_b64 vcc, vcc, s[14:15]
	v_cndmask_b32_e32 v65, v65, v98, vcc
	v_add_f32_e32 v66, v64, v65
.LBB472_236:
	s_or_b64 exec, exec, s[10:11]
	v_bfe_u32 v64, v66, 16, 1
	s_movk_i32 s13, 0x7fff
	v_add3_u32 v64, v66, v64, s13
	v_lshrrev_b32_e32 v64, 16, v64
	v_mov_b32_e32 v65, 0x7fc0
	v_cmp_o_f32_e32 vcc, v66, v66
	v_cndmask_b32_e32 v64, v65, v64, vcc
	v_lshlrev_b32_e32 v67, 16, v64
	v_max_f32_e32 v66, v67, v67
	v_min_f32_e32 v68, v66, v113
	v_cmp_u_f32_e32 vcc, v67, v67
	v_max_f32_e32 v66, v66, v113
	v_cndmask_b32_e32 v68, v68, v67, vcc
	v_cndmask_b32_e32 v66, v66, v67, vcc
	v_cndmask_b32_e64 v68, v68, v99, s[40:41]
	v_cndmask_b32_e64 v66, v66, v99, s[40:41]
	v_cmp_neq_f32_e32 vcc, v68, v66
	v_cmp_class_f32_e64 s[10:11], v68, s12
	s_or_b64 s[14:15], vcc, s[10:11]
	s_and_saveexec_b64 s[10:11], s[14:15]
	s_cbranch_execz .LBB472_238
; %bb.237:
	v_sub_f32_e32 v67, v68, v66
	s_mov_b32 s12, 0x3fb8aa3b
	v_mul_f32_e32 v68, 0x3fb8aa3b, v67
	v_fma_f32 v69, v67, s12, -v68
	v_rndne_f32_e32 v70, v68
	v_fmac_f32_e32 v69, 0x32a5705f, v67
	v_sub_f32_e32 v68, v68, v70
	v_add_f32_e32 v68, v68, v69
	v_exp_f32_e32 v68, v68
	v_cvt_i32_f32_e32 v69, v70
	s_mov_b32 s12, 0xc2ce8ed0
	v_cmp_ngt_f32_e32 vcc, s12, v67
	s_mov_b32 s12, 0x42b17218
	v_ldexp_f32 v68, v68, v69
	v_cndmask_b32_e32 v68, 0, v68, vcc
	v_mov_b32_e32 v69, 0x7f800000
	v_cmp_nlt_f32_e32 vcc, s12, v67
	v_cndmask_b32_e32 v100, v69, v68, vcc
	v_add_f32_e32 v67, 1.0, v100
	v_add_f32_e32 v68, -1.0, v67
	v_sub_f32_e32 v69, v68, v67
	v_add_f32_e32 v69, 1.0, v69
	v_sub_f32_e32 v68, v100, v68
	v_add_f32_e32 v70, v68, v69
	v_frexp_mant_f32_e32 v71, v67
	s_mov_b32 s12, 0x3f2aaaab
	v_cvt_f64_f32_e32 v[68:69], v67
	v_frexp_exp_i32_f64_e32 v68, v[68:69]
	v_cmp_gt_f32_e32 vcc, s12, v71
	v_subbrev_co_u32_e32 v84, vcc, 0, v68, vcc
	v_sub_u32_e32 v68, 0, v84
	v_ldexp_f32 v67, v67, v68
	v_ldexp_f32 v68, v70, v68
	v_add_f32_e32 v70, -1.0, v67
	v_add_f32_e32 v69, 1.0, v70
	v_sub_f32_e32 v69, v67, v69
	v_add_f32_e32 v71, v68, v69
	v_add_f32_e32 v69, 1.0, v67
	v_add_f32_e32 v80, -1.0, v69
	v_sub_f32_e32 v67, v67, v80
	v_add_f32_e32 v67, v68, v67
	v_add_f32_e32 v85, v69, v67
	v_rcp_f32_e32 v86, v85
	v_sub_f32_e32 v68, v69, v85
	v_add_f32_e32 v69, v70, v71
	v_add_f32_e32 v67, v67, v68
	v_mul_f32_e32 v96, v69, v86
	v_sub_f32_e32 v68, v70, v69
	v_mul_f32_e32 v70, v85, v96
	v_fma_f32 v80, v96, v85, -v70
	v_fmac_f32_e32 v80, v96, v67
	v_add_f32_e32 v87, v71, v68
	v_add_f32_e32 v68, v70, v80
	v_sub_f32_e32 v71, v69, v68
	v_pk_add_f32 v[82:83], v[68:69], v[70:71] neg_lo:[0,1] neg_hi:[0,1]
	v_mov_b32_e32 v81, v68
	v_pk_add_f32 v[68:69], v[82:83], v[80:81] neg_lo:[0,1] neg_hi:[0,1]
	v_add_f32_e32 v69, v87, v69
	v_add_f32_e32 v68, v68, v69
	v_add_f32_e32 v69, v71, v68
	v_mul_f32_e32 v87, v86, v69
	v_mul_f32_e32 v70, v85, v87
	v_fma_f32 v80, v87, v85, -v70
	v_fmac_f32_e32 v80, v87, v67
	v_sub_f32_e32 v67, v71, v69
	v_add_f32_e32 v67, v68, v67
	v_add_f32_e32 v68, v70, v80
	v_sub_f32_e32 v71, v69, v68
	v_pk_add_f32 v[82:83], v[68:69], v[70:71] neg_lo:[0,1] neg_hi:[0,1]
	v_mov_b32_e32 v81, v68
	v_pk_add_f32 v[68:69], v[82:83], v[80:81] neg_lo:[0,1] neg_hi:[0,1]
	v_add_f32_e32 v67, v67, v69
	v_add_f32_e32 v67, v68, v67
	;; [unrolled: 1-line block ×4, first 2 shown]
	v_sub_f32_e32 v69, v68, v96
	v_mul_f32_e32 v67, v86, v67
	v_sub_f32_e32 v69, v87, v69
	v_add_f32_e32 v67, v69, v67
	v_add_f32_e32 v71, v68, v67
	v_mul_f32_e32 v80, v71, v71
	v_mov_b32_e32 v70, 0x3ecc95a3
	v_fmac_f32_e32 v70, 0x3e9b6dac, v80
	v_mov_b32_e32 v69, 0x3f2aaada
	v_fmac_f32_e32 v69, v80, v70
	v_cvt_f32_i32_e32 v70, v84
	v_sub_f32_e32 v68, v71, v68
	v_sub_f32_e32 v67, v67, v68
	v_ldexp_f32 v81, v71, 1
	v_mul_f32_e32 v71, v71, v80
	v_mov_b32_e32 v68, 0x3f317218
	s_mov_b32 s12, 0x3f317218
	v_pk_mul_f32 v[68:69], v[70:71], v[68:69]
	v_fma_f32 v80, v70, s12, -v68
	v_fmac_f32_e32 v80, 0xb102e308, v70
	v_pk_add_f32 v[70:71], v[68:69], v[80:81]
	v_sub_f32_e32 v81, v71, v81
	v_ldexp_f32 v67, v67, 1
	v_sub_f32_e32 v81, v69, v81
	v_add_f32_e32 v83, v67, v81
	v_mov_b32_e32 v82, v68
	v_pk_add_f32 v[68:69], v[70:71], v[68:69] neg_lo:[0,1] neg_hi:[0,1]
	v_pk_add_f32 v[84:85], v[70:71], v[82:83]
	v_mov_b32_e32 v69, v85
	v_mov_b32_e32 v81, v70
	v_pk_add_f32 v[86:87], v[80:81], v[68:69] neg_lo:[0,1] neg_hi:[0,1]
	v_pk_add_f32 v[68:69], v[80:81], v[68:69]
	v_mov_b32_e32 v80, v69
	v_pk_add_f32 v[96:97], v[80:81], v[70:71] neg_lo:[0,1] neg_hi:[0,1]
	v_mov_b32_e32 v67, v96
	v_pk_add_f32 v[98:99], v[84:85], v[66:67] neg_lo:[0,1] neg_hi:[0,1]
	v_mov_b32_e32 v68, v85
	v_mov_b32_e32 v84, v71
	;; [unrolled: 1-line block ×4, first 2 shown]
	v_pk_add_f32 v[68:69], v[68:69], v[84:85] neg_lo:[0,1] neg_hi:[0,1]
	v_mov_b32_e32 v82, v83
	v_mov_b32_e32 v83, v70
	v_pk_add_f32 v[68:69], v[82:83], v[68:69] neg_lo:[0,1] neg_hi:[0,1]
	v_mov_b32_e32 v98, v86
	v_pk_add_f32 v[70:71], v[98:99], v[68:69]
	v_mov_b32_e32 v82, v71
	v_pk_add_f32 v[82:83], v[70:71], v[82:83]
	v_pk_add_f32 v[80:81], v[80:81], v[82:83]
	v_mov_b32_e32 v71, v80
	v_pk_add_f32 v[84:85], v[70:71], v[86:87] neg_lo:[0,1] neg_hi:[0,1]
	v_mov_b32_e32 v69, v82
	v_sub_f32_e32 v67, v70, v84
	v_pk_add_f32 v[68:69], v[68:69], v[84:85] neg_lo:[0,1] neg_hi:[0,1]
	v_sub_f32_e32 v67, v86, v67
	s_mov_b32 s14, 0x7f800000
	v_add_f32_e32 v67, v68, v67
	s_mov_b32 s12, 0x33800000
	v_add_f32_e32 v67, v67, v69
	v_cmp_eq_f32_e32 vcc, s14, v100
	v_cmp_lt_f32_e64 s[14:15], |v100|, s12
	v_add_f32_e32 v67, v80, v67
	s_or_b64 vcc, vcc, s[14:15]
	v_cndmask_b32_e32 v67, v67, v100, vcc
	v_add_f32_e32 v67, v66, v67
.LBB472_238:
	s_or_b64 exec, exec, s[10:11]
	v_bfe_u32 v66, v67, 16, 1
	v_add3_u32 v66, v67, v66, s13
	v_lshrrev_b32_e32 v66, 16, v66
	v_cmp_o_f32_e32 vcc, v67, v67
	v_cndmask_b32_e32 v65, v65, v66, vcc
	v_lshlrev_b32_e32 v68, 16, v65
	v_max_f32_e32 v66, v68, v68
	v_min_f32_e32 v67, v66, v116
	v_cmp_u_f32_e32 vcc, v68, v68
	v_max_f32_e32 v66, v66, v116
	v_cndmask_b32_e32 v67, v67, v68, vcc
	v_cndmask_b32_e32 v66, v66, v68, vcc
	v_cndmask_b32_e64 v67, v67, v102, s[42:43]
	v_cndmask_b32_e64 v66, v66, v102, s[42:43]
	s_movk_i32 s12, 0x1f8
	v_cmp_neq_f32_e32 vcc, v67, v66
	v_cmp_class_f32_e64 s[10:11], v67, s12
	s_or_b64 s[14:15], vcc, s[10:11]
	s_and_saveexec_b64 s[10:11], s[14:15]
	s_cbranch_execz .LBB472_240
; %bb.239:
	v_sub_f32_e32 v67, v67, v66
	s_mov_b32 s13, 0x3fb8aa3b
	v_mul_f32_e32 v68, 0x3fb8aa3b, v67
	v_fma_f32 v69, v67, s13, -v68
	v_rndne_f32_e32 v70, v68
	v_fmac_f32_e32 v69, 0x32a5705f, v67
	v_sub_f32_e32 v68, v68, v70
	v_add_f32_e32 v68, v68, v69
	v_exp_f32_e32 v68, v68
	v_cvt_i32_f32_e32 v69, v70
	s_mov_b32 s13, 0xc2ce8ed0
	v_cmp_ngt_f32_e32 vcc, s13, v67
	s_mov_b32 s13, 0x42b17218
	v_ldexp_f32 v68, v68, v69
	v_cndmask_b32_e32 v68, 0, v68, vcc
	v_mov_b32_e32 v69, 0x7f800000
	v_cmp_nlt_f32_e32 vcc, s13, v67
	v_cndmask_b32_e32 v100, v69, v68, vcc
	v_add_f32_e32 v67, 1.0, v100
	v_add_f32_e32 v68, -1.0, v67
	v_sub_f32_e32 v69, v68, v67
	v_add_f32_e32 v69, 1.0, v69
	v_sub_f32_e32 v68, v100, v68
	v_add_f32_e32 v70, v68, v69
	v_frexp_mant_f32_e32 v71, v67
	s_mov_b32 s13, 0x3f2aaaab
	v_cvt_f64_f32_e32 v[68:69], v67
	v_frexp_exp_i32_f64_e32 v68, v[68:69]
	v_cmp_gt_f32_e32 vcc, s13, v71
	v_subbrev_co_u32_e32 v84, vcc, 0, v68, vcc
	v_sub_u32_e32 v68, 0, v84
	v_ldexp_f32 v67, v67, v68
	v_ldexp_f32 v68, v70, v68
	v_add_f32_e32 v70, -1.0, v67
	v_add_f32_e32 v69, 1.0, v70
	v_sub_f32_e32 v69, v67, v69
	v_add_f32_e32 v71, v68, v69
	v_add_f32_e32 v69, 1.0, v67
	v_add_f32_e32 v80, -1.0, v69
	v_sub_f32_e32 v67, v67, v80
	v_add_f32_e32 v67, v68, v67
	v_add_f32_e32 v85, v69, v67
	v_rcp_f32_e32 v86, v85
	v_sub_f32_e32 v68, v69, v85
	v_add_f32_e32 v69, v70, v71
	v_add_f32_e32 v67, v67, v68
	v_mul_f32_e32 v96, v69, v86
	v_sub_f32_e32 v68, v70, v69
	v_mul_f32_e32 v70, v85, v96
	v_fma_f32 v80, v96, v85, -v70
	v_fmac_f32_e32 v80, v96, v67
	v_add_f32_e32 v87, v71, v68
	v_add_f32_e32 v68, v70, v80
	v_sub_f32_e32 v71, v69, v68
	v_pk_add_f32 v[82:83], v[68:69], v[70:71] neg_lo:[0,1] neg_hi:[0,1]
	v_mov_b32_e32 v81, v68
	v_pk_add_f32 v[68:69], v[82:83], v[80:81] neg_lo:[0,1] neg_hi:[0,1]
	v_add_f32_e32 v69, v87, v69
	v_add_f32_e32 v68, v68, v69
	;; [unrolled: 1-line block ×3, first 2 shown]
	v_mul_f32_e32 v87, v86, v69
	v_mul_f32_e32 v70, v85, v87
	v_fma_f32 v80, v87, v85, -v70
	v_fmac_f32_e32 v80, v87, v67
	v_sub_f32_e32 v67, v71, v69
	v_add_f32_e32 v67, v68, v67
	v_add_f32_e32 v68, v70, v80
	v_sub_f32_e32 v71, v69, v68
	v_pk_add_f32 v[82:83], v[68:69], v[70:71] neg_lo:[0,1] neg_hi:[0,1]
	v_mov_b32_e32 v81, v68
	v_pk_add_f32 v[68:69], v[82:83], v[80:81] neg_lo:[0,1] neg_hi:[0,1]
	v_add_f32_e32 v67, v67, v69
	v_add_f32_e32 v67, v68, v67
	;; [unrolled: 1-line block ×4, first 2 shown]
	v_sub_f32_e32 v69, v68, v96
	v_mul_f32_e32 v67, v86, v67
	v_sub_f32_e32 v69, v87, v69
	v_add_f32_e32 v67, v69, v67
	v_add_f32_e32 v71, v68, v67
	v_mul_f32_e32 v80, v71, v71
	v_mov_b32_e32 v70, 0x3ecc95a3
	v_fmac_f32_e32 v70, 0x3e9b6dac, v80
	v_mov_b32_e32 v69, 0x3f2aaada
	v_fmac_f32_e32 v69, v80, v70
	v_cvt_f32_i32_e32 v70, v84
	v_sub_f32_e32 v68, v71, v68
	v_sub_f32_e32 v67, v67, v68
	v_ldexp_f32 v81, v71, 1
	v_mul_f32_e32 v71, v71, v80
	v_mov_b32_e32 v68, 0x3f317218
	s_mov_b32 s13, 0x3f317218
	v_pk_mul_f32 v[68:69], v[70:71], v[68:69]
	v_fma_f32 v80, v70, s13, -v68
	v_fmac_f32_e32 v80, 0xb102e308, v70
	v_pk_add_f32 v[70:71], v[68:69], v[80:81]
	v_sub_f32_e32 v81, v71, v81
	v_ldexp_f32 v67, v67, 1
	v_sub_f32_e32 v81, v69, v81
	v_add_f32_e32 v83, v67, v81
	v_mov_b32_e32 v82, v68
	v_pk_add_f32 v[68:69], v[70:71], v[68:69] neg_lo:[0,1] neg_hi:[0,1]
	v_pk_add_f32 v[84:85], v[70:71], v[82:83]
	v_mov_b32_e32 v69, v85
	v_mov_b32_e32 v81, v70
	v_pk_add_f32 v[86:87], v[80:81], v[68:69] neg_lo:[0,1] neg_hi:[0,1]
	v_pk_add_f32 v[68:69], v[80:81], v[68:69]
	v_mov_b32_e32 v80, v69
	v_pk_add_f32 v[96:97], v[80:81], v[70:71] neg_lo:[0,1] neg_hi:[0,1]
	v_mov_b32_e32 v67, v96
	v_pk_add_f32 v[98:99], v[84:85], v[66:67] neg_lo:[0,1] neg_hi:[0,1]
	v_mov_b32_e32 v68, v85
	v_mov_b32_e32 v84, v71
	;; [unrolled: 1-line block ×4, first 2 shown]
	v_pk_add_f32 v[68:69], v[68:69], v[84:85] neg_lo:[0,1] neg_hi:[0,1]
	v_mov_b32_e32 v82, v83
	v_mov_b32_e32 v83, v70
	v_pk_add_f32 v[68:69], v[82:83], v[68:69] neg_lo:[0,1] neg_hi:[0,1]
	v_mov_b32_e32 v98, v86
	v_pk_add_f32 v[70:71], v[98:99], v[68:69]
	v_mov_b32_e32 v82, v71
	v_pk_add_f32 v[82:83], v[70:71], v[82:83]
	v_pk_add_f32 v[80:81], v[80:81], v[82:83]
	v_mov_b32_e32 v71, v80
	v_pk_add_f32 v[84:85], v[70:71], v[86:87] neg_lo:[0,1] neg_hi:[0,1]
	v_mov_b32_e32 v69, v82
	v_sub_f32_e32 v67, v70, v84
	v_pk_add_f32 v[68:69], v[68:69], v[84:85] neg_lo:[0,1] neg_hi:[0,1]
	v_sub_f32_e32 v67, v86, v67
	s_mov_b32 s14, 0x7f800000
	v_add_f32_e32 v67, v68, v67
	s_mov_b32 s13, 0x33800000
	v_add_f32_e32 v67, v67, v69
	v_cmp_eq_f32_e32 vcc, s14, v100
	v_cmp_lt_f32_e64 s[14:15], |v100|, s13
	v_add_f32_e32 v67, v80, v67
	s_or_b64 vcc, vcc, s[14:15]
	v_cndmask_b32_e32 v67, v67, v100, vcc
	v_add_f32_e32 v68, v66, v67
.LBB472_240:
	s_or_b64 exec, exec, s[10:11]
	v_bfe_u32 v66, v68, 16, 1
	s_movk_i32 s13, 0x7fff
	v_add3_u32 v66, v68, v66, s13
	v_lshrrev_b32_e32 v66, 16, v66
	v_mov_b32_e32 v67, 0x7fc0
	v_cmp_o_f32_e32 vcc, v68, v68
	v_cndmask_b32_e32 v66, v67, v66, vcc
	v_lshlrev_b32_e32 v69, 16, v66
	v_max_f32_e32 v68, v69, v69
	v_min_f32_e32 v70, v68, v117
	v_cmp_u_f32_e32 vcc, v69, v69
	v_max_f32_e32 v68, v68, v117
	v_cndmask_b32_e32 v70, v70, v69, vcc
	v_cndmask_b32_e32 v68, v68, v69, vcc
	v_cndmask_b32_e64 v70, v70, v103, s[44:45]
	v_cndmask_b32_e64 v68, v68, v103, s[44:45]
	v_cmp_neq_f32_e32 vcc, v70, v68
	v_cmp_class_f32_e64 s[10:11], v70, s12
	s_or_b64 s[14:15], vcc, s[10:11]
	s_and_saveexec_b64 s[10:11], s[14:15]
	s_cbranch_execz .LBB472_242
; %bb.241:
	v_sub_f32_e32 v69, v70, v68
	s_mov_b32 s12, 0x3fb8aa3b
	v_mul_f32_e32 v70, 0x3fb8aa3b, v69
	v_fma_f32 v71, v69, s12, -v70
	v_rndne_f32_e32 v80, v70
	v_fmac_f32_e32 v71, 0x32a5705f, v69
	v_sub_f32_e32 v70, v70, v80
	v_add_f32_e32 v70, v70, v71
	v_exp_f32_e32 v70, v70
	v_cvt_i32_f32_e32 v71, v80
	s_mov_b32 s12, 0xc2ce8ed0
	v_cmp_ngt_f32_e32 vcc, s12, v69
	s_mov_b32 s12, 0x42b17218
	v_ldexp_f32 v70, v70, v71
	v_cndmask_b32_e32 v70, 0, v70, vcc
	v_mov_b32_e32 v71, 0x7f800000
	v_cmp_nlt_f32_e32 vcc, s12, v69
	v_cndmask_b32_e32 v102, v71, v70, vcc
	v_add_f32_e32 v69, 1.0, v102
	v_add_f32_e32 v70, -1.0, v69
	v_sub_f32_e32 v71, v70, v69
	v_add_f32_e32 v71, 1.0, v71
	v_sub_f32_e32 v70, v102, v70
	v_add_f32_e32 v80, v70, v71
	v_frexp_mant_f32_e32 v81, v69
	s_mov_b32 s12, 0x3f2aaaab
	v_cvt_f64_f32_e32 v[70:71], v69
	v_frexp_exp_i32_f64_e32 v70, v[70:71]
	v_cmp_gt_f32_e32 vcc, s12, v81
	v_subbrev_co_u32_e32 v86, vcc, 0, v70, vcc
	v_sub_u32_e32 v70, 0, v86
	v_ldexp_f32 v69, v69, v70
	v_ldexp_f32 v70, v80, v70
	v_add_f32_e32 v80, -1.0, v69
	v_add_f32_e32 v71, 1.0, v80
	v_sub_f32_e32 v71, v69, v71
	v_add_f32_e32 v81, v70, v71
	v_add_f32_e32 v71, 1.0, v69
	v_add_f32_e32 v82, -1.0, v71
	v_sub_f32_e32 v69, v69, v82
	v_add_f32_e32 v69, v70, v69
	v_add_f32_e32 v87, v71, v69
	v_rcp_f32_e32 v96, v87
	v_sub_f32_e32 v70, v71, v87
	v_add_f32_e32 v71, v80, v81
	v_add_f32_e32 v69, v69, v70
	v_mul_f32_e32 v98, v71, v96
	v_sub_f32_e32 v70, v80, v71
	v_mul_f32_e32 v80, v87, v98
	v_fma_f32 v82, v98, v87, -v80
	v_fmac_f32_e32 v82, v98, v69
	v_add_f32_e32 v97, v81, v70
	v_add_f32_e32 v70, v80, v82
	v_sub_f32_e32 v81, v71, v70
	v_pk_add_f32 v[84:85], v[70:71], v[80:81] neg_lo:[0,1] neg_hi:[0,1]
	v_mov_b32_e32 v83, v70
	v_pk_add_f32 v[70:71], v[84:85], v[82:83] neg_lo:[0,1] neg_hi:[0,1]
	v_add_f32_e32 v71, v97, v71
	v_add_f32_e32 v70, v70, v71
	;; [unrolled: 1-line block ×3, first 2 shown]
	v_mul_f32_e32 v97, v96, v71
	v_mul_f32_e32 v80, v87, v97
	v_fma_f32 v82, v97, v87, -v80
	v_fmac_f32_e32 v82, v97, v69
	v_sub_f32_e32 v69, v81, v71
	v_add_f32_e32 v69, v70, v69
	v_add_f32_e32 v70, v80, v82
	v_sub_f32_e32 v81, v71, v70
	v_pk_add_f32 v[84:85], v[70:71], v[80:81] neg_lo:[0,1] neg_hi:[0,1]
	v_mov_b32_e32 v83, v70
	v_pk_add_f32 v[70:71], v[84:85], v[82:83] neg_lo:[0,1] neg_hi:[0,1]
	v_add_f32_e32 v69, v69, v71
	v_add_f32_e32 v69, v70, v69
	;; [unrolled: 1-line block ×4, first 2 shown]
	v_sub_f32_e32 v71, v70, v98
	v_mul_f32_e32 v69, v96, v69
	v_sub_f32_e32 v71, v97, v71
	v_add_f32_e32 v69, v71, v69
	v_add_f32_e32 v81, v70, v69
	v_mul_f32_e32 v82, v81, v81
	v_mov_b32_e32 v80, 0x3ecc95a3
	v_fmac_f32_e32 v80, 0x3e9b6dac, v82
	v_mov_b32_e32 v71, 0x3f2aaada
	v_fmac_f32_e32 v71, v82, v80
	v_cvt_f32_i32_e32 v80, v86
	v_sub_f32_e32 v70, v81, v70
	v_sub_f32_e32 v69, v69, v70
	v_ldexp_f32 v83, v81, 1
	v_mul_f32_e32 v81, v81, v82
	v_mov_b32_e32 v70, 0x3f317218
	s_mov_b32 s12, 0x3f317218
	v_pk_mul_f32 v[70:71], v[80:81], v[70:71]
	v_fma_f32 v82, v80, s12, -v70
	v_fmac_f32_e32 v82, 0xb102e308, v80
	v_pk_add_f32 v[80:81], v[70:71], v[82:83]
	v_sub_f32_e32 v83, v81, v83
	v_ldexp_f32 v69, v69, 1
	v_sub_f32_e32 v83, v71, v83
	v_add_f32_e32 v85, v69, v83
	v_mov_b32_e32 v84, v70
	v_pk_add_f32 v[70:71], v[80:81], v[70:71] neg_lo:[0,1] neg_hi:[0,1]
	v_pk_add_f32 v[86:87], v[80:81], v[84:85]
	v_mov_b32_e32 v71, v87
	v_mov_b32_e32 v83, v80
	v_pk_add_f32 v[96:97], v[82:83], v[70:71] neg_lo:[0,1] neg_hi:[0,1]
	v_pk_add_f32 v[70:71], v[82:83], v[70:71]
	v_mov_b32_e32 v82, v71
	v_pk_add_f32 v[98:99], v[82:83], v[80:81] neg_lo:[0,1] neg_hi:[0,1]
	v_mov_b32_e32 v69, v98
	v_pk_add_f32 v[100:101], v[86:87], v[68:69] neg_lo:[0,1] neg_hi:[0,1]
	v_mov_b32_e32 v70, v87
	v_mov_b32_e32 v86, v81
	;; [unrolled: 1-line block ×4, first 2 shown]
	v_pk_add_f32 v[70:71], v[70:71], v[86:87] neg_lo:[0,1] neg_hi:[0,1]
	v_mov_b32_e32 v84, v85
	v_mov_b32_e32 v85, v80
	v_pk_add_f32 v[70:71], v[84:85], v[70:71] neg_lo:[0,1] neg_hi:[0,1]
	v_mov_b32_e32 v100, v96
	v_pk_add_f32 v[80:81], v[100:101], v[70:71]
	v_mov_b32_e32 v84, v81
	v_pk_add_f32 v[84:85], v[80:81], v[84:85]
	v_pk_add_f32 v[82:83], v[82:83], v[84:85]
	v_mov_b32_e32 v81, v82
	v_pk_add_f32 v[86:87], v[80:81], v[96:97] neg_lo:[0,1] neg_hi:[0,1]
	v_mov_b32_e32 v71, v84
	v_sub_f32_e32 v69, v80, v86
	v_pk_add_f32 v[70:71], v[70:71], v[86:87] neg_lo:[0,1] neg_hi:[0,1]
	v_sub_f32_e32 v69, v96, v69
	s_mov_b32 s14, 0x7f800000
	v_add_f32_e32 v69, v70, v69
	s_mov_b32 s12, 0x33800000
	v_add_f32_e32 v69, v69, v71
	v_cmp_eq_f32_e32 vcc, s14, v102
	v_cmp_lt_f32_e64 s[14:15], |v102|, s12
	v_add_f32_e32 v69, v82, v69
	s_or_b64 vcc, vcc, s[14:15]
	v_cndmask_b32_e32 v69, v69, v102, vcc
	v_add_f32_e32 v69, v68, v69
.LBB472_242:
	s_or_b64 exec, exec, s[10:11]
	v_bfe_u32 v68, v69, 16, 1
	v_add3_u32 v68, v69, v68, s13
	v_lshrrev_b32_e32 v68, 16, v68
	v_cmp_o_f32_e32 vcc, v69, v69
	v_cndmask_b32_e32 v67, v67, v68, vcc
	v_lshlrev_b32_e32 v70, 16, v67
	v_max_f32_e32 v68, v70, v70
	v_min_f32_e32 v69, v68, v128
	v_cmp_u_f32_e32 vcc, v70, v70
	v_max_f32_e32 v68, v68, v128
	v_cndmask_b32_e32 v69, v69, v70, vcc
	v_cndmask_b32_e32 v68, v68, v70, vcc
	v_cndmask_b32_e64 v69, v69, v114, s[46:47]
	v_cndmask_b32_e64 v68, v68, v114, s[46:47]
	s_movk_i32 s12, 0x1f8
	v_cmp_neq_f32_e32 vcc, v69, v68
	v_cmp_class_f32_e64 s[10:11], v69, s12
	s_or_b64 s[14:15], vcc, s[10:11]
	s_and_saveexec_b64 s[10:11], s[14:15]
	s_cbranch_execz .LBB472_244
; %bb.243:
	v_sub_f32_e32 v69, v69, v68
	s_mov_b32 s13, 0x3fb8aa3b
	v_mul_f32_e32 v70, 0x3fb8aa3b, v69
	v_fma_f32 v71, v69, s13, -v70
	v_rndne_f32_e32 v80, v70
	v_fmac_f32_e32 v71, 0x32a5705f, v69
	v_sub_f32_e32 v70, v70, v80
	v_add_f32_e32 v70, v70, v71
	v_exp_f32_e32 v70, v70
	v_cvt_i32_f32_e32 v71, v80
	s_mov_b32 s13, 0xc2ce8ed0
	v_cmp_ngt_f32_e32 vcc, s13, v69
	s_mov_b32 s13, 0x42b17218
	v_ldexp_f32 v70, v70, v71
	v_cndmask_b32_e32 v70, 0, v70, vcc
	v_mov_b32_e32 v71, 0x7f800000
	v_cmp_nlt_f32_e32 vcc, s13, v69
	v_cndmask_b32_e32 v102, v71, v70, vcc
	v_add_f32_e32 v69, 1.0, v102
	v_add_f32_e32 v70, -1.0, v69
	v_sub_f32_e32 v71, v70, v69
	v_add_f32_e32 v71, 1.0, v71
	v_sub_f32_e32 v70, v102, v70
	v_add_f32_e32 v80, v70, v71
	v_frexp_mant_f32_e32 v81, v69
	s_mov_b32 s13, 0x3f2aaaab
	v_cvt_f64_f32_e32 v[70:71], v69
	v_frexp_exp_i32_f64_e32 v70, v[70:71]
	v_cmp_gt_f32_e32 vcc, s13, v81
	v_subbrev_co_u32_e32 v86, vcc, 0, v70, vcc
	v_sub_u32_e32 v70, 0, v86
	v_ldexp_f32 v69, v69, v70
	v_ldexp_f32 v70, v80, v70
	v_add_f32_e32 v80, -1.0, v69
	v_add_f32_e32 v71, 1.0, v80
	v_sub_f32_e32 v71, v69, v71
	v_add_f32_e32 v81, v70, v71
	v_add_f32_e32 v71, 1.0, v69
	v_add_f32_e32 v82, -1.0, v71
	v_sub_f32_e32 v69, v69, v82
	v_add_f32_e32 v69, v70, v69
	v_add_f32_e32 v87, v71, v69
	v_rcp_f32_e32 v96, v87
	v_sub_f32_e32 v70, v71, v87
	v_add_f32_e32 v71, v80, v81
	v_add_f32_e32 v69, v69, v70
	v_mul_f32_e32 v98, v71, v96
	v_sub_f32_e32 v70, v80, v71
	v_mul_f32_e32 v80, v87, v98
	v_fma_f32 v82, v98, v87, -v80
	v_fmac_f32_e32 v82, v98, v69
	v_add_f32_e32 v97, v81, v70
	v_add_f32_e32 v70, v80, v82
	v_sub_f32_e32 v81, v71, v70
	v_pk_add_f32 v[84:85], v[70:71], v[80:81] neg_lo:[0,1] neg_hi:[0,1]
	v_mov_b32_e32 v83, v70
	v_pk_add_f32 v[70:71], v[84:85], v[82:83] neg_lo:[0,1] neg_hi:[0,1]
	v_add_f32_e32 v71, v97, v71
	v_add_f32_e32 v70, v70, v71
	;; [unrolled: 1-line block ×3, first 2 shown]
	v_mul_f32_e32 v97, v96, v71
	v_mul_f32_e32 v80, v87, v97
	v_fma_f32 v82, v97, v87, -v80
	v_fmac_f32_e32 v82, v97, v69
	v_sub_f32_e32 v69, v81, v71
	v_add_f32_e32 v69, v70, v69
	v_add_f32_e32 v70, v80, v82
	v_sub_f32_e32 v81, v71, v70
	v_pk_add_f32 v[84:85], v[70:71], v[80:81] neg_lo:[0,1] neg_hi:[0,1]
	v_mov_b32_e32 v83, v70
	v_pk_add_f32 v[70:71], v[84:85], v[82:83] neg_lo:[0,1] neg_hi:[0,1]
	v_add_f32_e32 v69, v69, v71
	v_add_f32_e32 v69, v70, v69
	;; [unrolled: 1-line block ×4, first 2 shown]
	v_sub_f32_e32 v71, v70, v98
	v_mul_f32_e32 v69, v96, v69
	v_sub_f32_e32 v71, v97, v71
	v_add_f32_e32 v69, v71, v69
	v_add_f32_e32 v81, v70, v69
	v_mul_f32_e32 v82, v81, v81
	v_mov_b32_e32 v80, 0x3ecc95a3
	v_fmac_f32_e32 v80, 0x3e9b6dac, v82
	v_mov_b32_e32 v71, 0x3f2aaada
	v_fmac_f32_e32 v71, v82, v80
	v_cvt_f32_i32_e32 v80, v86
	v_sub_f32_e32 v70, v81, v70
	v_sub_f32_e32 v69, v69, v70
	v_ldexp_f32 v83, v81, 1
	v_mul_f32_e32 v81, v81, v82
	v_mov_b32_e32 v70, 0x3f317218
	s_mov_b32 s13, 0x3f317218
	v_pk_mul_f32 v[70:71], v[80:81], v[70:71]
	v_fma_f32 v82, v80, s13, -v70
	v_fmac_f32_e32 v82, 0xb102e308, v80
	v_pk_add_f32 v[80:81], v[70:71], v[82:83]
	v_sub_f32_e32 v83, v81, v83
	v_ldexp_f32 v69, v69, 1
	v_sub_f32_e32 v83, v71, v83
	v_add_f32_e32 v85, v69, v83
	v_mov_b32_e32 v84, v70
	v_pk_add_f32 v[70:71], v[80:81], v[70:71] neg_lo:[0,1] neg_hi:[0,1]
	v_pk_add_f32 v[86:87], v[80:81], v[84:85]
	v_mov_b32_e32 v71, v87
	v_mov_b32_e32 v83, v80
	v_pk_add_f32 v[96:97], v[82:83], v[70:71] neg_lo:[0,1] neg_hi:[0,1]
	v_pk_add_f32 v[70:71], v[82:83], v[70:71]
	v_mov_b32_e32 v82, v71
	v_pk_add_f32 v[98:99], v[82:83], v[80:81] neg_lo:[0,1] neg_hi:[0,1]
	v_mov_b32_e32 v69, v98
	v_pk_add_f32 v[100:101], v[86:87], v[68:69] neg_lo:[0,1] neg_hi:[0,1]
	v_mov_b32_e32 v70, v87
	v_mov_b32_e32 v86, v81
	;; [unrolled: 1-line block ×4, first 2 shown]
	v_pk_add_f32 v[70:71], v[70:71], v[86:87] neg_lo:[0,1] neg_hi:[0,1]
	v_mov_b32_e32 v84, v85
	v_mov_b32_e32 v85, v80
	v_pk_add_f32 v[70:71], v[84:85], v[70:71] neg_lo:[0,1] neg_hi:[0,1]
	v_mov_b32_e32 v100, v96
	v_pk_add_f32 v[80:81], v[100:101], v[70:71]
	v_mov_b32_e32 v84, v81
	v_pk_add_f32 v[84:85], v[80:81], v[84:85]
	v_pk_add_f32 v[82:83], v[82:83], v[84:85]
	v_mov_b32_e32 v81, v82
	v_pk_add_f32 v[86:87], v[80:81], v[96:97] neg_lo:[0,1] neg_hi:[0,1]
	v_mov_b32_e32 v71, v84
	v_sub_f32_e32 v69, v80, v86
	v_pk_add_f32 v[70:71], v[70:71], v[86:87] neg_lo:[0,1] neg_hi:[0,1]
	v_sub_f32_e32 v69, v96, v69
	s_mov_b32 s14, 0x7f800000
	v_add_f32_e32 v69, v70, v69
	s_mov_b32 s13, 0x33800000
	v_add_f32_e32 v69, v69, v71
	v_cmp_eq_f32_e32 vcc, s14, v102
	v_cmp_lt_f32_e64 s[14:15], |v102|, s13
	v_add_f32_e32 v69, v82, v69
	s_or_b64 vcc, vcc, s[14:15]
	v_cndmask_b32_e32 v69, v69, v102, vcc
	v_add_f32_e32 v70, v68, v69
.LBB472_244:
	s_or_b64 exec, exec, s[10:11]
	v_bfe_u32 v68, v70, 16, 1
	s_movk_i32 s13, 0x7fff
	v_add3_u32 v68, v70, v68, s13
	v_lshrrev_b32_e32 v68, 16, v68
	v_mov_b32_e32 v69, 0x7fc0
	v_cmp_o_f32_e32 vcc, v70, v70
	v_cndmask_b32_e32 v68, v69, v68, vcc
	v_lshlrev_b32_e32 v71, 16, v68
	v_max_f32_e32 v70, v71, v71
	v_min_f32_e32 v80, v70, v129
	v_cmp_u_f32_e32 vcc, v71, v71
	v_max_f32_e32 v70, v70, v129
	v_cndmask_b32_e32 v80, v80, v71, vcc
	v_cndmask_b32_e32 v70, v70, v71, vcc
	v_cndmask_b32_e64 v80, v80, v115, s[48:49]
	v_cndmask_b32_e64 v70, v70, v115, s[48:49]
	v_cmp_neq_f32_e32 vcc, v80, v70
	v_cmp_class_f32_e64 s[10:11], v80, s12
	s_or_b64 s[14:15], vcc, s[10:11]
	s_and_saveexec_b64 s[10:11], s[14:15]
	s_cbranch_execz .LBB472_246
; %bb.245:
	v_sub_f32_e32 v71, v80, v70
	s_mov_b32 s12, 0x3fb8aa3b
	v_mul_f32_e32 v80, 0x3fb8aa3b, v71
	v_fma_f32 v81, v71, s12, -v80
	v_rndne_f32_e32 v82, v80
	v_fmac_f32_e32 v81, 0x32a5705f, v71
	v_sub_f32_e32 v80, v80, v82
	v_add_f32_e32 v80, v80, v81
	v_exp_f32_e32 v80, v80
	v_cvt_i32_f32_e32 v81, v82
	s_mov_b32 s12, 0xc2ce8ed0
	v_cmp_ngt_f32_e32 vcc, s12, v71
	s_mov_b32 s12, 0x42b17218
	v_ldexp_f32 v80, v80, v81
	v_cndmask_b32_e32 v80, 0, v80, vcc
	v_mov_b32_e32 v81, 0x7f800000
	v_cmp_nlt_f32_e32 vcc, s12, v71
	v_cndmask_b32_e32 v112, v81, v80, vcc
	v_add_f32_e32 v71, 1.0, v112
	v_add_f32_e32 v80, -1.0, v71
	v_sub_f32_e32 v81, v80, v71
	v_add_f32_e32 v81, 1.0, v81
	v_sub_f32_e32 v80, v112, v80
	v_add_f32_e32 v82, v80, v81
	v_frexp_mant_f32_e32 v83, v71
	s_mov_b32 s12, 0x3f2aaaab
	v_cvt_f64_f32_e32 v[80:81], v71
	v_frexp_exp_i32_f64_e32 v80, v[80:81]
	v_cmp_gt_f32_e32 vcc, s12, v83
	v_subbrev_co_u32_e32 v96, vcc, 0, v80, vcc
	v_sub_u32_e32 v80, 0, v96
	v_ldexp_f32 v71, v71, v80
	v_ldexp_f32 v80, v82, v80
	v_add_f32_e32 v82, -1.0, v71
	v_add_f32_e32 v81, 1.0, v82
	v_sub_f32_e32 v81, v71, v81
	v_add_f32_e32 v83, v80, v81
	v_add_f32_e32 v81, 1.0, v71
	v_add_f32_e32 v84, -1.0, v81
	v_sub_f32_e32 v71, v71, v84
	v_add_f32_e32 v71, v80, v71
	v_add_f32_e32 v97, v81, v71
	v_rcp_f32_e32 v98, v97
	v_sub_f32_e32 v80, v81, v97
	v_add_f32_e32 v81, v82, v83
	v_add_f32_e32 v71, v71, v80
	v_mul_f32_e32 v100, v81, v98
	v_sub_f32_e32 v80, v82, v81
	v_mul_f32_e32 v82, v97, v100
	v_fma_f32 v84, v100, v97, -v82
	v_fmac_f32_e32 v84, v100, v71
	v_add_f32_e32 v99, v83, v80
	v_add_f32_e32 v80, v82, v84
	v_sub_f32_e32 v83, v81, v80
	v_pk_add_f32 v[86:87], v[80:81], v[82:83] neg_lo:[0,1] neg_hi:[0,1]
	v_mov_b32_e32 v85, v80
	v_pk_add_f32 v[80:81], v[86:87], v[84:85] neg_lo:[0,1] neg_hi:[0,1]
	v_add_f32_e32 v81, v99, v81
	v_add_f32_e32 v80, v80, v81
	;; [unrolled: 1-line block ×3, first 2 shown]
	v_mul_f32_e32 v99, v98, v81
	v_mul_f32_e32 v82, v97, v99
	v_fma_f32 v84, v99, v97, -v82
	v_fmac_f32_e32 v84, v99, v71
	v_sub_f32_e32 v71, v83, v81
	v_add_f32_e32 v71, v80, v71
	v_add_f32_e32 v80, v82, v84
	v_sub_f32_e32 v83, v81, v80
	v_pk_add_f32 v[86:87], v[80:81], v[82:83] neg_lo:[0,1] neg_hi:[0,1]
	v_mov_b32_e32 v85, v80
	v_pk_add_f32 v[80:81], v[86:87], v[84:85] neg_lo:[0,1] neg_hi:[0,1]
	v_add_f32_e32 v71, v71, v81
	v_add_f32_e32 v71, v80, v71
	;; [unrolled: 1-line block ×4, first 2 shown]
	v_sub_f32_e32 v81, v80, v100
	v_mul_f32_e32 v71, v98, v71
	v_sub_f32_e32 v81, v99, v81
	v_add_f32_e32 v71, v81, v71
	v_add_f32_e32 v83, v80, v71
	v_mul_f32_e32 v84, v83, v83
	v_mov_b32_e32 v82, 0x3ecc95a3
	v_fmac_f32_e32 v82, 0x3e9b6dac, v84
	v_mov_b32_e32 v81, 0x3f2aaada
	v_fmac_f32_e32 v81, v84, v82
	v_cvt_f32_i32_e32 v82, v96
	v_sub_f32_e32 v80, v83, v80
	v_sub_f32_e32 v71, v71, v80
	v_ldexp_f32 v85, v83, 1
	v_mul_f32_e32 v83, v83, v84
	v_mov_b32_e32 v80, 0x3f317218
	s_mov_b32 s12, 0x3f317218
	v_pk_mul_f32 v[80:81], v[82:83], v[80:81]
	v_fma_f32 v84, v82, s12, -v80
	v_fmac_f32_e32 v84, 0xb102e308, v82
	v_pk_add_f32 v[82:83], v[80:81], v[84:85]
	v_sub_f32_e32 v85, v83, v85
	v_ldexp_f32 v71, v71, 1
	v_sub_f32_e32 v85, v81, v85
	v_add_f32_e32 v87, v71, v85
	v_mov_b32_e32 v86, v80
	v_pk_add_f32 v[80:81], v[82:83], v[80:81] neg_lo:[0,1] neg_hi:[0,1]
	v_pk_add_f32 v[96:97], v[82:83], v[86:87]
	v_mov_b32_e32 v81, v97
	v_mov_b32_e32 v85, v82
	v_pk_add_f32 v[98:99], v[84:85], v[80:81] neg_lo:[0,1] neg_hi:[0,1]
	v_pk_add_f32 v[80:81], v[84:85], v[80:81]
	v_mov_b32_e32 v84, v81
	v_pk_add_f32 v[100:101], v[84:85], v[82:83] neg_lo:[0,1] neg_hi:[0,1]
	v_mov_b32_e32 v71, v100
	v_pk_add_f32 v[102:103], v[96:97], v[70:71] neg_lo:[0,1] neg_hi:[0,1]
	v_mov_b32_e32 v80, v97
	v_mov_b32_e32 v96, v83
	;; [unrolled: 1-line block ×4, first 2 shown]
	v_pk_add_f32 v[80:81], v[80:81], v[96:97] neg_lo:[0,1] neg_hi:[0,1]
	v_mov_b32_e32 v86, v87
	v_mov_b32_e32 v87, v82
	v_pk_add_f32 v[80:81], v[86:87], v[80:81] neg_lo:[0,1] neg_hi:[0,1]
	v_mov_b32_e32 v102, v98
	v_pk_add_f32 v[82:83], v[102:103], v[80:81]
	v_mov_b32_e32 v86, v83
	v_pk_add_f32 v[86:87], v[82:83], v[86:87]
	v_pk_add_f32 v[84:85], v[84:85], v[86:87]
	v_mov_b32_e32 v83, v84
	v_pk_add_f32 v[96:97], v[82:83], v[98:99] neg_lo:[0,1] neg_hi:[0,1]
	v_mov_b32_e32 v81, v86
	v_sub_f32_e32 v71, v82, v96
	v_pk_add_f32 v[80:81], v[80:81], v[96:97] neg_lo:[0,1] neg_hi:[0,1]
	v_sub_f32_e32 v71, v98, v71
	s_mov_b32 s14, 0x7f800000
	v_add_f32_e32 v71, v80, v71
	s_mov_b32 s12, 0x33800000
	v_add_f32_e32 v71, v71, v81
	v_cmp_eq_f32_e32 vcc, s14, v112
	v_cmp_lt_f32_e64 s[14:15], |v112|, s12
	v_add_f32_e32 v71, v84, v71
	s_or_b64 vcc, vcc, s[14:15]
	v_cndmask_b32_e32 v71, v71, v112, vcc
	v_add_f32_e32 v71, v70, v71
.LBB472_246:
	s_or_b64 exec, exec, s[10:11]
	v_bfe_u32 v70, v71, 16, 1
	v_add3_u32 v70, v71, v70, s13
	v_lshrrev_b32_e32 v70, 16, v70
	v_cmp_o_f32_e32 vcc, v71, v71
	v_cndmask_b32_e32 v69, v69, v70, vcc
	v_lshlrev_b32_e32 v80, 16, v69
	v_max_f32_e32 v70, v80, v80
	v_min_f32_e32 v71, v70, v132
	v_cmp_u_f32_e32 vcc, v80, v80
	v_max_f32_e32 v70, v70, v132
	v_cndmask_b32_e32 v71, v71, v80, vcc
	v_cndmask_b32_e32 v70, v70, v80, vcc
	v_cndmask_b32_e64 v71, v71, v118, s[50:51]
	v_cndmask_b32_e64 v70, v70, v118, s[50:51]
	s_movk_i32 s12, 0x1f8
	v_cmp_neq_f32_e32 vcc, v71, v70
	v_cmp_class_f32_e64 s[10:11], v71, s12
	s_or_b64 s[14:15], vcc, s[10:11]
	s_and_saveexec_b64 s[10:11], s[14:15]
	s_cbranch_execz .LBB472_248
; %bb.247:
	v_sub_f32_e32 v71, v71, v70
	s_mov_b32 s13, 0x3fb8aa3b
	v_mul_f32_e32 v80, 0x3fb8aa3b, v71
	v_fma_f32 v81, v71, s13, -v80
	v_rndne_f32_e32 v82, v80
	v_fmac_f32_e32 v81, 0x32a5705f, v71
	v_sub_f32_e32 v80, v80, v82
	v_add_f32_e32 v80, v80, v81
	v_exp_f32_e32 v80, v80
	v_cvt_i32_f32_e32 v81, v82
	s_mov_b32 s13, 0xc2ce8ed0
	v_cmp_ngt_f32_e32 vcc, s13, v71
	s_mov_b32 s13, 0x42b17218
	v_ldexp_f32 v80, v80, v81
	v_cndmask_b32_e32 v80, 0, v80, vcc
	v_mov_b32_e32 v81, 0x7f800000
	v_cmp_nlt_f32_e32 vcc, s13, v71
	v_cndmask_b32_e32 v112, v81, v80, vcc
	v_add_f32_e32 v71, 1.0, v112
	v_add_f32_e32 v80, -1.0, v71
	v_sub_f32_e32 v81, v80, v71
	v_add_f32_e32 v81, 1.0, v81
	v_sub_f32_e32 v80, v112, v80
	v_add_f32_e32 v82, v80, v81
	v_frexp_mant_f32_e32 v83, v71
	s_mov_b32 s13, 0x3f2aaaab
	v_cvt_f64_f32_e32 v[80:81], v71
	v_frexp_exp_i32_f64_e32 v80, v[80:81]
	v_cmp_gt_f32_e32 vcc, s13, v83
	v_subbrev_co_u32_e32 v96, vcc, 0, v80, vcc
	v_sub_u32_e32 v80, 0, v96
	v_ldexp_f32 v71, v71, v80
	v_ldexp_f32 v80, v82, v80
	v_add_f32_e32 v82, -1.0, v71
	v_add_f32_e32 v81, 1.0, v82
	v_sub_f32_e32 v81, v71, v81
	v_add_f32_e32 v83, v80, v81
	v_add_f32_e32 v81, 1.0, v71
	v_add_f32_e32 v84, -1.0, v81
	v_sub_f32_e32 v71, v71, v84
	v_add_f32_e32 v71, v80, v71
	v_add_f32_e32 v97, v81, v71
	v_rcp_f32_e32 v98, v97
	v_sub_f32_e32 v80, v81, v97
	v_add_f32_e32 v81, v82, v83
	v_add_f32_e32 v71, v71, v80
	v_mul_f32_e32 v100, v81, v98
	v_sub_f32_e32 v80, v82, v81
	v_mul_f32_e32 v82, v97, v100
	v_fma_f32 v84, v100, v97, -v82
	v_fmac_f32_e32 v84, v100, v71
	v_add_f32_e32 v99, v83, v80
	v_add_f32_e32 v80, v82, v84
	v_sub_f32_e32 v83, v81, v80
	v_pk_add_f32 v[86:87], v[80:81], v[82:83] neg_lo:[0,1] neg_hi:[0,1]
	v_mov_b32_e32 v85, v80
	v_pk_add_f32 v[80:81], v[86:87], v[84:85] neg_lo:[0,1] neg_hi:[0,1]
	v_add_f32_e32 v81, v99, v81
	v_add_f32_e32 v80, v80, v81
	;; [unrolled: 1-line block ×3, first 2 shown]
	v_mul_f32_e32 v99, v98, v81
	v_mul_f32_e32 v82, v97, v99
	v_fma_f32 v84, v99, v97, -v82
	v_fmac_f32_e32 v84, v99, v71
	v_sub_f32_e32 v71, v83, v81
	v_add_f32_e32 v71, v80, v71
	v_add_f32_e32 v80, v82, v84
	v_sub_f32_e32 v83, v81, v80
	v_pk_add_f32 v[86:87], v[80:81], v[82:83] neg_lo:[0,1] neg_hi:[0,1]
	v_mov_b32_e32 v85, v80
	v_pk_add_f32 v[80:81], v[86:87], v[84:85] neg_lo:[0,1] neg_hi:[0,1]
	v_add_f32_e32 v71, v71, v81
	v_add_f32_e32 v71, v80, v71
	;; [unrolled: 1-line block ×4, first 2 shown]
	v_sub_f32_e32 v81, v80, v100
	v_mul_f32_e32 v71, v98, v71
	v_sub_f32_e32 v81, v99, v81
	v_add_f32_e32 v71, v81, v71
	v_add_f32_e32 v83, v80, v71
	v_mul_f32_e32 v84, v83, v83
	v_mov_b32_e32 v82, 0x3ecc95a3
	v_fmac_f32_e32 v82, 0x3e9b6dac, v84
	v_mov_b32_e32 v81, 0x3f2aaada
	v_fmac_f32_e32 v81, v84, v82
	v_cvt_f32_i32_e32 v82, v96
	v_sub_f32_e32 v80, v83, v80
	v_sub_f32_e32 v71, v71, v80
	v_ldexp_f32 v85, v83, 1
	v_mul_f32_e32 v83, v83, v84
	v_mov_b32_e32 v80, 0x3f317218
	s_mov_b32 s13, 0x3f317218
	v_pk_mul_f32 v[80:81], v[82:83], v[80:81]
	v_fma_f32 v84, v82, s13, -v80
	v_fmac_f32_e32 v84, 0xb102e308, v82
	v_pk_add_f32 v[82:83], v[80:81], v[84:85]
	v_sub_f32_e32 v85, v83, v85
	v_ldexp_f32 v71, v71, 1
	v_sub_f32_e32 v85, v81, v85
	v_add_f32_e32 v87, v71, v85
	v_mov_b32_e32 v86, v80
	v_pk_add_f32 v[80:81], v[82:83], v[80:81] neg_lo:[0,1] neg_hi:[0,1]
	v_pk_add_f32 v[96:97], v[82:83], v[86:87]
	v_mov_b32_e32 v81, v97
	v_mov_b32_e32 v85, v82
	v_pk_add_f32 v[98:99], v[84:85], v[80:81] neg_lo:[0,1] neg_hi:[0,1]
	v_pk_add_f32 v[80:81], v[84:85], v[80:81]
	v_mov_b32_e32 v84, v81
	v_pk_add_f32 v[100:101], v[84:85], v[82:83] neg_lo:[0,1] neg_hi:[0,1]
	v_mov_b32_e32 v71, v100
	v_pk_add_f32 v[102:103], v[96:97], v[70:71] neg_lo:[0,1] neg_hi:[0,1]
	v_mov_b32_e32 v80, v97
	v_mov_b32_e32 v96, v83
	;; [unrolled: 1-line block ×4, first 2 shown]
	v_pk_add_f32 v[80:81], v[80:81], v[96:97] neg_lo:[0,1] neg_hi:[0,1]
	v_mov_b32_e32 v86, v87
	v_mov_b32_e32 v87, v82
	v_pk_add_f32 v[80:81], v[86:87], v[80:81] neg_lo:[0,1] neg_hi:[0,1]
	v_mov_b32_e32 v102, v98
	v_pk_add_f32 v[82:83], v[102:103], v[80:81]
	v_mov_b32_e32 v86, v83
	v_pk_add_f32 v[86:87], v[82:83], v[86:87]
	v_pk_add_f32 v[84:85], v[84:85], v[86:87]
	v_mov_b32_e32 v83, v84
	v_pk_add_f32 v[96:97], v[82:83], v[98:99] neg_lo:[0,1] neg_hi:[0,1]
	v_mov_b32_e32 v81, v86
	v_sub_f32_e32 v71, v82, v96
	v_pk_add_f32 v[80:81], v[80:81], v[96:97] neg_lo:[0,1] neg_hi:[0,1]
	v_sub_f32_e32 v71, v98, v71
	s_mov_b32 s14, 0x7f800000
	v_add_f32_e32 v71, v80, v71
	s_mov_b32 s13, 0x33800000
	v_add_f32_e32 v71, v71, v81
	v_cmp_eq_f32_e32 vcc, s14, v112
	v_cmp_lt_f32_e64 s[14:15], |v112|, s13
	v_add_f32_e32 v71, v84, v71
	s_or_b64 vcc, vcc, s[14:15]
	v_cndmask_b32_e32 v71, v71, v112, vcc
	v_add_f32_e32 v80, v70, v71
.LBB472_248:
	s_or_b64 exec, exec, s[10:11]
	v_bfe_u32 v70, v80, 16, 1
	s_movk_i32 s13, 0x7fff
	v_add3_u32 v70, v80, v70, s13
	v_lshrrev_b32_e32 v70, 16, v70
	v_mov_b32_e32 v71, 0x7fc0
	v_cmp_o_f32_e32 vcc, v80, v80
	v_cndmask_b32_e32 v70, v71, v70, vcc
	v_lshlrev_b32_e32 v81, 16, v70
	v_max_f32_e32 v80, v81, v81
	v_min_f32_e32 v82, v80, v133
	v_cmp_u_f32_e32 vcc, v81, v81
	v_max_f32_e32 v80, v80, v133
	v_cndmask_b32_e32 v82, v82, v81, vcc
	v_cndmask_b32_e32 v80, v80, v81, vcc
	v_cndmask_b32_e64 v82, v82, v119, s[52:53]
	v_cndmask_b32_e64 v80, v80, v119, s[52:53]
	v_cmp_neq_f32_e32 vcc, v82, v80
	v_cmp_class_f32_e64 s[10:11], v82, s12
	s_or_b64 s[14:15], vcc, s[10:11]
	s_and_saveexec_b64 s[10:11], s[14:15]
	s_cbranch_execz .LBB472_250
; %bb.249:
	v_sub_f32_e32 v81, v82, v80
	s_mov_b32 s12, 0x3fb8aa3b
	v_mul_f32_e32 v82, 0x3fb8aa3b, v81
	v_fma_f32 v83, v81, s12, -v82
	v_rndne_f32_e32 v84, v82
	v_fmac_f32_e32 v83, 0x32a5705f, v81
	v_sub_f32_e32 v82, v82, v84
	v_add_f32_e32 v82, v82, v83
	v_exp_f32_e32 v82, v82
	v_cvt_i32_f32_e32 v83, v84
	s_mov_b32 s12, 0xc2ce8ed0
	v_cmp_ngt_f32_e32 vcc, s12, v81
	s_mov_b32 s12, 0x42b17218
	v_ldexp_f32 v82, v82, v83
	v_cndmask_b32_e32 v82, 0, v82, vcc
	v_mov_b32_e32 v83, 0x7f800000
	v_cmp_nlt_f32_e32 vcc, s12, v81
	v_cndmask_b32_e32 v114, v83, v82, vcc
	v_add_f32_e32 v81, 1.0, v114
	v_add_f32_e32 v82, -1.0, v81
	v_sub_f32_e32 v83, v82, v81
	v_add_f32_e32 v83, 1.0, v83
	v_sub_f32_e32 v82, v114, v82
	v_add_f32_e32 v84, v82, v83
	v_frexp_mant_f32_e32 v85, v81
	s_mov_b32 s12, 0x3f2aaaab
	v_cvt_f64_f32_e32 v[82:83], v81
	v_frexp_exp_i32_f64_e32 v82, v[82:83]
	v_cmp_gt_f32_e32 vcc, s12, v85
	v_subbrev_co_u32_e32 v98, vcc, 0, v82, vcc
	v_sub_u32_e32 v82, 0, v98
	v_ldexp_f32 v81, v81, v82
	v_ldexp_f32 v82, v84, v82
	v_add_f32_e32 v84, -1.0, v81
	v_add_f32_e32 v83, 1.0, v84
	v_sub_f32_e32 v83, v81, v83
	v_add_f32_e32 v85, v82, v83
	v_add_f32_e32 v83, 1.0, v81
	v_add_f32_e32 v86, -1.0, v83
	v_sub_f32_e32 v81, v81, v86
	v_add_f32_e32 v81, v82, v81
	v_add_f32_e32 v99, v83, v81
	v_rcp_f32_e32 v100, v99
	v_sub_f32_e32 v82, v83, v99
	v_add_f32_e32 v83, v84, v85
	v_add_f32_e32 v81, v81, v82
	v_mul_f32_e32 v102, v83, v100
	v_sub_f32_e32 v82, v84, v83
	v_mul_f32_e32 v84, v99, v102
	v_fma_f32 v86, v102, v99, -v84
	v_fmac_f32_e32 v86, v102, v81
	v_add_f32_e32 v101, v85, v82
	v_add_f32_e32 v82, v84, v86
	v_sub_f32_e32 v85, v83, v82
	v_pk_add_f32 v[96:97], v[82:83], v[84:85] neg_lo:[0,1] neg_hi:[0,1]
	v_mov_b32_e32 v87, v82
	v_pk_add_f32 v[82:83], v[96:97], v[86:87] neg_lo:[0,1] neg_hi:[0,1]
	v_add_f32_e32 v83, v101, v83
	v_add_f32_e32 v82, v82, v83
	;; [unrolled: 1-line block ×3, first 2 shown]
	v_mul_f32_e32 v101, v100, v83
	v_mul_f32_e32 v84, v99, v101
	v_fma_f32 v86, v101, v99, -v84
	v_fmac_f32_e32 v86, v101, v81
	v_sub_f32_e32 v81, v85, v83
	v_add_f32_e32 v81, v82, v81
	v_add_f32_e32 v82, v84, v86
	v_sub_f32_e32 v85, v83, v82
	v_pk_add_f32 v[96:97], v[82:83], v[84:85] neg_lo:[0,1] neg_hi:[0,1]
	v_mov_b32_e32 v87, v82
	v_pk_add_f32 v[82:83], v[96:97], v[86:87] neg_lo:[0,1] neg_hi:[0,1]
	v_add_f32_e32 v81, v81, v83
	v_add_f32_e32 v81, v82, v81
	;; [unrolled: 1-line block ×4, first 2 shown]
	v_sub_f32_e32 v83, v82, v102
	v_mul_f32_e32 v81, v100, v81
	v_sub_f32_e32 v83, v101, v83
	v_add_f32_e32 v81, v83, v81
	v_add_f32_e32 v85, v82, v81
	v_mul_f32_e32 v86, v85, v85
	v_mov_b32_e32 v84, 0x3ecc95a3
	v_fmac_f32_e32 v84, 0x3e9b6dac, v86
	v_mov_b32_e32 v83, 0x3f2aaada
	v_fmac_f32_e32 v83, v86, v84
	v_cvt_f32_i32_e32 v84, v98
	v_sub_f32_e32 v82, v85, v82
	v_sub_f32_e32 v81, v81, v82
	v_ldexp_f32 v87, v85, 1
	v_mul_f32_e32 v85, v85, v86
	v_mov_b32_e32 v82, 0x3f317218
	s_mov_b32 s12, 0x3f317218
	v_pk_mul_f32 v[82:83], v[84:85], v[82:83]
	v_fma_f32 v86, v84, s12, -v82
	v_fmac_f32_e32 v86, 0xb102e308, v84
	v_pk_add_f32 v[84:85], v[82:83], v[86:87]
	v_sub_f32_e32 v87, v85, v87
	v_ldexp_f32 v81, v81, 1
	v_sub_f32_e32 v87, v83, v87
	v_add_f32_e32 v97, v81, v87
	v_mov_b32_e32 v96, v82
	v_pk_add_f32 v[82:83], v[84:85], v[82:83] neg_lo:[0,1] neg_hi:[0,1]
	v_pk_add_f32 v[98:99], v[84:85], v[96:97]
	v_mov_b32_e32 v83, v99
	v_mov_b32_e32 v87, v84
	v_pk_add_f32 v[100:101], v[86:87], v[82:83] neg_lo:[0,1] neg_hi:[0,1]
	v_pk_add_f32 v[82:83], v[86:87], v[82:83]
	v_mov_b32_e32 v86, v83
	v_pk_add_f32 v[102:103], v[86:87], v[84:85] neg_lo:[0,1] neg_hi:[0,1]
	v_mov_b32_e32 v81, v102
	v_pk_add_f32 v[112:113], v[98:99], v[80:81] neg_lo:[0,1] neg_hi:[0,1]
	v_mov_b32_e32 v82, v99
	v_mov_b32_e32 v98, v85
	;; [unrolled: 1-line block ×4, first 2 shown]
	v_pk_add_f32 v[82:83], v[82:83], v[98:99] neg_lo:[0,1] neg_hi:[0,1]
	v_mov_b32_e32 v96, v97
	v_mov_b32_e32 v97, v84
	v_pk_add_f32 v[82:83], v[96:97], v[82:83] neg_lo:[0,1] neg_hi:[0,1]
	v_mov_b32_e32 v112, v100
	v_pk_add_f32 v[84:85], v[112:113], v[82:83]
	v_mov_b32_e32 v96, v85
	v_pk_add_f32 v[96:97], v[84:85], v[96:97]
	v_pk_add_f32 v[86:87], v[86:87], v[96:97]
	v_mov_b32_e32 v85, v86
	v_pk_add_f32 v[98:99], v[84:85], v[100:101] neg_lo:[0,1] neg_hi:[0,1]
	v_mov_b32_e32 v83, v96
	v_sub_f32_e32 v81, v84, v98
	v_pk_add_f32 v[82:83], v[82:83], v[98:99] neg_lo:[0,1] neg_hi:[0,1]
	v_sub_f32_e32 v81, v100, v81
	s_mov_b32 s14, 0x7f800000
	v_add_f32_e32 v81, v82, v81
	s_mov_b32 s12, 0x33800000
	v_add_f32_e32 v81, v81, v83
	v_cmp_eq_f32_e32 vcc, s14, v114
	v_cmp_lt_f32_e64 s[14:15], |v114|, s12
	v_add_f32_e32 v81, v86, v81
	s_or_b64 vcc, vcc, s[14:15]
	v_cndmask_b32_e32 v81, v81, v114, vcc
	v_add_f32_e32 v81, v80, v81
.LBB472_250:
	s_or_b64 exec, exec, s[10:11]
	v_bfe_u32 v80, v81, 16, 1
	v_add3_u32 v80, v81, v80, s13
	v_lshrrev_b32_e32 v80, 16, v80
	v_cmp_o_f32_e32 vcc, v81, v81
	v_cndmask_b32_e32 v71, v71, v80, vcc
	v_lshlrev_b32_e32 v82, 16, v71
	v_max_f32_e32 v80, v82, v82
	v_min_f32_e32 v81, v80, v134
	v_cmp_u_f32_e32 vcc, v82, v82
	v_max_f32_e32 v80, v80, v134
	v_cndmask_b32_e32 v81, v81, v82, vcc
	v_cndmask_b32_e32 v80, v80, v82, vcc
	v_cndmask_b32_e64 v81, v81, v130, s[54:55]
	v_cndmask_b32_e64 v80, v80, v130, s[54:55]
	s_movk_i32 s12, 0x1f8
	v_cmp_neq_f32_e32 vcc, v81, v80
	v_cmp_class_f32_e64 s[10:11], v81, s12
	s_or_b64 s[14:15], vcc, s[10:11]
	s_and_saveexec_b64 s[10:11], s[14:15]
	s_cbranch_execz .LBB472_252
; %bb.251:
	v_sub_f32_e32 v81, v81, v80
	s_mov_b32 s13, 0x3fb8aa3b
	v_mul_f32_e32 v82, 0x3fb8aa3b, v81
	v_fma_f32 v83, v81, s13, -v82
	v_rndne_f32_e32 v84, v82
	v_fmac_f32_e32 v83, 0x32a5705f, v81
	v_sub_f32_e32 v82, v82, v84
	v_add_f32_e32 v82, v82, v83
	v_exp_f32_e32 v82, v82
	v_cvt_i32_f32_e32 v83, v84
	s_mov_b32 s13, 0xc2ce8ed0
	v_cmp_ngt_f32_e32 vcc, s13, v81
	s_mov_b32 s13, 0x42b17218
	v_ldexp_f32 v82, v82, v83
	v_cndmask_b32_e32 v82, 0, v82, vcc
	v_mov_b32_e32 v83, 0x7f800000
	v_cmp_nlt_f32_e32 vcc, s13, v81
	v_cndmask_b32_e32 v114, v83, v82, vcc
	v_add_f32_e32 v81, 1.0, v114
	v_add_f32_e32 v82, -1.0, v81
	v_sub_f32_e32 v83, v82, v81
	v_add_f32_e32 v83, 1.0, v83
	v_sub_f32_e32 v82, v114, v82
	v_add_f32_e32 v84, v82, v83
	v_frexp_mant_f32_e32 v85, v81
	s_mov_b32 s13, 0x3f2aaaab
	v_cvt_f64_f32_e32 v[82:83], v81
	v_frexp_exp_i32_f64_e32 v82, v[82:83]
	v_cmp_gt_f32_e32 vcc, s13, v85
	v_subbrev_co_u32_e32 v98, vcc, 0, v82, vcc
	v_sub_u32_e32 v82, 0, v98
	v_ldexp_f32 v81, v81, v82
	v_ldexp_f32 v82, v84, v82
	v_add_f32_e32 v84, -1.0, v81
	v_add_f32_e32 v83, 1.0, v84
	v_sub_f32_e32 v83, v81, v83
	v_add_f32_e32 v85, v82, v83
	v_add_f32_e32 v83, 1.0, v81
	v_add_f32_e32 v86, -1.0, v83
	v_sub_f32_e32 v81, v81, v86
	v_add_f32_e32 v81, v82, v81
	v_add_f32_e32 v99, v83, v81
	v_rcp_f32_e32 v100, v99
	v_sub_f32_e32 v82, v83, v99
	v_add_f32_e32 v83, v84, v85
	v_add_f32_e32 v81, v81, v82
	v_mul_f32_e32 v102, v83, v100
	v_sub_f32_e32 v82, v84, v83
	v_mul_f32_e32 v84, v99, v102
	v_fma_f32 v86, v102, v99, -v84
	v_fmac_f32_e32 v86, v102, v81
	v_add_f32_e32 v101, v85, v82
	v_add_f32_e32 v82, v84, v86
	v_sub_f32_e32 v85, v83, v82
	v_pk_add_f32 v[96:97], v[82:83], v[84:85] neg_lo:[0,1] neg_hi:[0,1]
	v_mov_b32_e32 v87, v82
	v_pk_add_f32 v[82:83], v[96:97], v[86:87] neg_lo:[0,1] neg_hi:[0,1]
	v_add_f32_e32 v83, v101, v83
	v_add_f32_e32 v82, v82, v83
	;; [unrolled: 1-line block ×3, first 2 shown]
	v_mul_f32_e32 v101, v100, v83
	v_mul_f32_e32 v84, v99, v101
	v_fma_f32 v86, v101, v99, -v84
	v_fmac_f32_e32 v86, v101, v81
	v_sub_f32_e32 v81, v85, v83
	v_add_f32_e32 v81, v82, v81
	v_add_f32_e32 v82, v84, v86
	v_sub_f32_e32 v85, v83, v82
	v_pk_add_f32 v[96:97], v[82:83], v[84:85] neg_lo:[0,1] neg_hi:[0,1]
	v_mov_b32_e32 v87, v82
	v_pk_add_f32 v[82:83], v[96:97], v[86:87] neg_lo:[0,1] neg_hi:[0,1]
	v_add_f32_e32 v81, v81, v83
	v_add_f32_e32 v81, v82, v81
	;; [unrolled: 1-line block ×4, first 2 shown]
	v_sub_f32_e32 v83, v82, v102
	v_mul_f32_e32 v81, v100, v81
	v_sub_f32_e32 v83, v101, v83
	v_add_f32_e32 v81, v83, v81
	v_add_f32_e32 v85, v82, v81
	v_mul_f32_e32 v86, v85, v85
	v_mov_b32_e32 v84, 0x3ecc95a3
	v_fmac_f32_e32 v84, 0x3e9b6dac, v86
	v_mov_b32_e32 v83, 0x3f2aaada
	v_fmac_f32_e32 v83, v86, v84
	v_cvt_f32_i32_e32 v84, v98
	v_sub_f32_e32 v82, v85, v82
	v_sub_f32_e32 v81, v81, v82
	v_ldexp_f32 v87, v85, 1
	v_mul_f32_e32 v85, v85, v86
	v_mov_b32_e32 v82, 0x3f317218
	s_mov_b32 s13, 0x3f317218
	v_pk_mul_f32 v[82:83], v[84:85], v[82:83]
	v_fma_f32 v86, v84, s13, -v82
	v_fmac_f32_e32 v86, 0xb102e308, v84
	v_pk_add_f32 v[84:85], v[82:83], v[86:87]
	v_sub_f32_e32 v87, v85, v87
	v_ldexp_f32 v81, v81, 1
	v_sub_f32_e32 v87, v83, v87
	v_add_f32_e32 v97, v81, v87
	v_mov_b32_e32 v96, v82
	v_pk_add_f32 v[82:83], v[84:85], v[82:83] neg_lo:[0,1] neg_hi:[0,1]
	v_pk_add_f32 v[98:99], v[84:85], v[96:97]
	v_mov_b32_e32 v83, v99
	v_mov_b32_e32 v87, v84
	v_pk_add_f32 v[100:101], v[86:87], v[82:83] neg_lo:[0,1] neg_hi:[0,1]
	v_pk_add_f32 v[82:83], v[86:87], v[82:83]
	v_mov_b32_e32 v86, v83
	v_pk_add_f32 v[102:103], v[86:87], v[84:85] neg_lo:[0,1] neg_hi:[0,1]
	v_mov_b32_e32 v81, v102
	v_pk_add_f32 v[112:113], v[98:99], v[80:81] neg_lo:[0,1] neg_hi:[0,1]
	v_mov_b32_e32 v82, v99
	v_mov_b32_e32 v98, v85
	;; [unrolled: 1-line block ×4, first 2 shown]
	v_pk_add_f32 v[82:83], v[82:83], v[98:99] neg_lo:[0,1] neg_hi:[0,1]
	v_mov_b32_e32 v96, v97
	v_mov_b32_e32 v97, v84
	v_pk_add_f32 v[82:83], v[96:97], v[82:83] neg_lo:[0,1] neg_hi:[0,1]
	v_mov_b32_e32 v112, v100
	v_pk_add_f32 v[84:85], v[112:113], v[82:83]
	v_mov_b32_e32 v96, v85
	v_pk_add_f32 v[96:97], v[84:85], v[96:97]
	v_pk_add_f32 v[86:87], v[86:87], v[96:97]
	v_mov_b32_e32 v85, v86
	v_pk_add_f32 v[98:99], v[84:85], v[100:101] neg_lo:[0,1] neg_hi:[0,1]
	v_mov_b32_e32 v83, v96
	v_sub_f32_e32 v81, v84, v98
	v_pk_add_f32 v[82:83], v[82:83], v[98:99] neg_lo:[0,1] neg_hi:[0,1]
	v_sub_f32_e32 v81, v100, v81
	s_mov_b32 s14, 0x7f800000
	v_add_f32_e32 v81, v82, v81
	s_mov_b32 s13, 0x33800000
	v_add_f32_e32 v81, v81, v83
	v_cmp_eq_f32_e32 vcc, s14, v114
	v_cmp_lt_f32_e64 s[14:15], |v114|, s13
	v_add_f32_e32 v81, v86, v81
	s_or_b64 vcc, vcc, s[14:15]
	v_cndmask_b32_e32 v81, v81, v114, vcc
	v_add_f32_e32 v82, v80, v81
.LBB472_252:
	s_or_b64 exec, exec, s[10:11]
	v_bfe_u32 v80, v82, 16, 1
	s_movk_i32 s13, 0x7fff
	v_add3_u32 v80, v82, v80, s13
	v_lshrrev_b32_e32 v80, 16, v80
	v_mov_b32_e32 v81, 0x7fc0
	v_cmp_o_f32_e32 vcc, v82, v82
	v_cndmask_b32_e32 v80, v81, v80, vcc
	v_lshlrev_b32_e32 v83, 16, v80
	v_max_f32_e32 v82, v83, v83
	v_min_f32_e32 v84, v82, v135
	v_cmp_u_f32_e32 vcc, v83, v83
	v_max_f32_e32 v82, v82, v135
	v_cndmask_b32_e32 v84, v84, v83, vcc
	v_cndmask_b32_e32 v82, v82, v83, vcc
	v_cndmask_b32_e64 v84, v84, v131, s[56:57]
	v_cndmask_b32_e64 v82, v82, v131, s[56:57]
	v_cmp_neq_f32_e32 vcc, v84, v82
	v_cmp_class_f32_e64 s[10:11], v84, s12
	s_or_b64 s[14:15], vcc, s[10:11]
	s_and_saveexec_b64 s[10:11], s[14:15]
	s_cbranch_execz .LBB472_254
; %bb.253:
	v_sub_f32_e32 v83, v84, v82
	s_mov_b32 s12, 0x3fb8aa3b
	v_mul_f32_e32 v84, 0x3fb8aa3b, v83
	v_fma_f32 v85, v83, s12, -v84
	v_rndne_f32_e32 v86, v84
	v_fmac_f32_e32 v85, 0x32a5705f, v83
	v_sub_f32_e32 v84, v84, v86
	v_add_f32_e32 v84, v84, v85
	v_exp_f32_e32 v84, v84
	v_cvt_i32_f32_e32 v85, v86
	s_mov_b32 s12, 0xc2ce8ed0
	v_cmp_ngt_f32_e32 vcc, s12, v83
	s_mov_b32 s12, 0x42b17218
	v_ldexp_f32 v84, v84, v85
	v_cndmask_b32_e32 v84, 0, v84, vcc
	v_mov_b32_e32 v85, 0x7f800000
	v_cmp_nlt_f32_e32 vcc, s12, v83
	v_cndmask_b32_e32 v116, v85, v84, vcc
	v_add_f32_e32 v83, 1.0, v116
	v_add_f32_e32 v84, -1.0, v83
	v_sub_f32_e32 v85, v84, v83
	v_add_f32_e32 v85, 1.0, v85
	v_sub_f32_e32 v84, v116, v84
	v_add_f32_e32 v86, v84, v85
	v_frexp_mant_f32_e32 v87, v83
	s_mov_b32 s12, 0x3f2aaaab
	v_cvt_f64_f32_e32 v[84:85], v83
	v_frexp_exp_i32_f64_e32 v84, v[84:85]
	v_cmp_gt_f32_e32 vcc, s12, v87
	v_subbrev_co_u32_e32 v100, vcc, 0, v84, vcc
	v_sub_u32_e32 v84, 0, v100
	v_ldexp_f32 v83, v83, v84
	v_ldexp_f32 v84, v86, v84
	v_add_f32_e32 v86, -1.0, v83
	v_add_f32_e32 v85, 1.0, v86
	v_sub_f32_e32 v85, v83, v85
	v_add_f32_e32 v87, v84, v85
	v_add_f32_e32 v85, 1.0, v83
	v_add_f32_e32 v96, -1.0, v85
	v_sub_f32_e32 v83, v83, v96
	v_add_f32_e32 v83, v84, v83
	v_add_f32_e32 v101, v85, v83
	v_rcp_f32_e32 v102, v101
	v_sub_f32_e32 v84, v85, v101
	v_add_f32_e32 v85, v86, v87
	v_add_f32_e32 v83, v83, v84
	v_mul_f32_e32 v112, v85, v102
	v_sub_f32_e32 v84, v86, v85
	v_mul_f32_e32 v86, v101, v112
	v_fma_f32 v96, v112, v101, -v86
	v_fmac_f32_e32 v96, v112, v83
	v_add_f32_e32 v103, v87, v84
	v_add_f32_e32 v84, v86, v96
	v_sub_f32_e32 v87, v85, v84
	v_pk_add_f32 v[98:99], v[84:85], v[86:87] neg_lo:[0,1] neg_hi:[0,1]
	v_mov_b32_e32 v97, v84
	v_pk_add_f32 v[84:85], v[98:99], v[96:97] neg_lo:[0,1] neg_hi:[0,1]
	v_add_f32_e32 v85, v103, v85
	v_add_f32_e32 v84, v84, v85
	;; [unrolled: 1-line block ×3, first 2 shown]
	v_mul_f32_e32 v103, v102, v85
	v_mul_f32_e32 v86, v101, v103
	v_fma_f32 v96, v103, v101, -v86
	v_fmac_f32_e32 v96, v103, v83
	v_sub_f32_e32 v83, v87, v85
	v_add_f32_e32 v83, v84, v83
	v_add_f32_e32 v84, v86, v96
	v_sub_f32_e32 v87, v85, v84
	v_pk_add_f32 v[98:99], v[84:85], v[86:87] neg_lo:[0,1] neg_hi:[0,1]
	v_mov_b32_e32 v97, v84
	v_pk_add_f32 v[84:85], v[98:99], v[96:97] neg_lo:[0,1] neg_hi:[0,1]
	v_add_f32_e32 v83, v83, v85
	v_add_f32_e32 v83, v84, v83
	;; [unrolled: 1-line block ×4, first 2 shown]
	v_sub_f32_e32 v85, v84, v112
	v_mul_f32_e32 v83, v102, v83
	v_sub_f32_e32 v85, v103, v85
	v_add_f32_e32 v83, v85, v83
	v_add_f32_e32 v87, v84, v83
	v_mul_f32_e32 v96, v87, v87
	v_mov_b32_e32 v86, 0x3ecc95a3
	v_fmac_f32_e32 v86, 0x3e9b6dac, v96
	v_mov_b32_e32 v85, 0x3f2aaada
	v_fmac_f32_e32 v85, v96, v86
	v_cvt_f32_i32_e32 v86, v100
	v_sub_f32_e32 v84, v87, v84
	v_sub_f32_e32 v83, v83, v84
	v_ldexp_f32 v97, v87, 1
	v_mul_f32_e32 v87, v87, v96
	v_mov_b32_e32 v84, 0x3f317218
	s_mov_b32 s12, 0x3f317218
	v_pk_mul_f32 v[84:85], v[86:87], v[84:85]
	v_fma_f32 v96, v86, s12, -v84
	v_fmac_f32_e32 v96, 0xb102e308, v86
	v_pk_add_f32 v[86:87], v[84:85], v[96:97]
	v_sub_f32_e32 v97, v87, v97
	v_ldexp_f32 v83, v83, 1
	v_sub_f32_e32 v97, v85, v97
	v_add_f32_e32 v99, v83, v97
	v_mov_b32_e32 v98, v84
	v_pk_add_f32 v[84:85], v[86:87], v[84:85] neg_lo:[0,1] neg_hi:[0,1]
	v_pk_add_f32 v[100:101], v[86:87], v[98:99]
	v_mov_b32_e32 v85, v101
	v_mov_b32_e32 v97, v86
	v_pk_add_f32 v[102:103], v[96:97], v[84:85] neg_lo:[0,1] neg_hi:[0,1]
	v_pk_add_f32 v[84:85], v[96:97], v[84:85]
	v_mov_b32_e32 v96, v85
	v_pk_add_f32 v[112:113], v[96:97], v[86:87] neg_lo:[0,1] neg_hi:[0,1]
	v_mov_b32_e32 v83, v112
	v_pk_add_f32 v[114:115], v[100:101], v[82:83] neg_lo:[0,1] neg_hi:[0,1]
	v_mov_b32_e32 v84, v101
	v_mov_b32_e32 v100, v87
	v_mov_b32_e32 v101, v112
	v_mov_b32_e32 v103, v85
	v_pk_add_f32 v[84:85], v[84:85], v[100:101] neg_lo:[0,1] neg_hi:[0,1]
	v_mov_b32_e32 v98, v99
	v_mov_b32_e32 v99, v86
	v_pk_add_f32 v[84:85], v[98:99], v[84:85] neg_lo:[0,1] neg_hi:[0,1]
	v_mov_b32_e32 v114, v102
	v_pk_add_f32 v[86:87], v[114:115], v[84:85]
	v_mov_b32_e32 v98, v87
	v_pk_add_f32 v[98:99], v[86:87], v[98:99]
	v_pk_add_f32 v[96:97], v[96:97], v[98:99]
	v_mov_b32_e32 v87, v96
	v_pk_add_f32 v[100:101], v[86:87], v[102:103] neg_lo:[0,1] neg_hi:[0,1]
	v_mov_b32_e32 v85, v98
	v_sub_f32_e32 v83, v86, v100
	v_pk_add_f32 v[84:85], v[84:85], v[100:101] neg_lo:[0,1] neg_hi:[0,1]
	v_sub_f32_e32 v83, v102, v83
	s_mov_b32 s14, 0x7f800000
	v_add_f32_e32 v83, v84, v83
	s_mov_b32 s12, 0x33800000
	v_add_f32_e32 v83, v83, v85
	v_cmp_eq_f32_e32 vcc, s14, v116
	v_cmp_lt_f32_e64 s[14:15], |v116|, s12
	v_add_f32_e32 v83, v96, v83
	s_or_b64 vcc, vcc, s[14:15]
	v_cndmask_b32_e32 v83, v83, v116, vcc
	v_add_f32_e32 v83, v82, v83
.LBB472_254:
	s_or_b64 exec, exec, s[10:11]
	v_bfe_u32 v82, v83, 16, 1
	v_add3_u32 v82, v83, v82, s13
	v_lshrrev_b32_e32 v82, 16, v82
	v_cmp_o_f32_e32 vcc, v83, v83
	v_cndmask_b32_e32 v81, v81, v82, vcc
	s_branch .LBB472_385
.LBB472_255:
                                        ; implicit-def: $vgpr30
                                        ; implicit-def: $vgpr31
                                        ; implicit-def: $vgpr32
                                        ; implicit-def: $vgpr33
                                        ; implicit-def: $vgpr34
                                        ; implicit-def: $vgpr35
                                        ; implicit-def: $vgpr36
                                        ; implicit-def: $vgpr37
                                        ; implicit-def: $vgpr50
                                        ; implicit-def: $vgpr52
                                        ; implicit-def: $vgpr51
                                        ; implicit-def: $vgpr53
                                        ; implicit-def: $vgpr54
                                        ; implicit-def: $vgpr55
                                        ; implicit-def: $vgpr64
                                        ; implicit-def: $vgpr65
                                        ; implicit-def: $vgpr66
                                        ; implicit-def: $vgpr67
                                        ; implicit-def: $vgpr68
                                        ; implicit-def: $vgpr69
                                        ; implicit-def: $vgpr70
                                        ; implicit-def: $vgpr71
                                        ; implicit-def: $vgpr80
                                        ; implicit-def: $vgpr81
	s_cbranch_execz .LBB472_385
; %bb.256:
	v_cmp_ne_u64_e32 vcc, 0, v[6:7]
	s_and_b64 s[10:11], s[8:9], vcc
	v_mov_b32_e32 v30, v20
	s_and_saveexec_b64 s[8:9], s[10:11]
	s_cbranch_execz .LBB472_260
; %bb.257:
	flat_load_ushort v2, v[2:3]
	v_lshlrev_b32_e32 v7, 16, v20
	v_max_f32_e32 v6, v7, v7
	s_movk_i32 s10, 0x1f8
	s_waitcnt vmcnt(0) lgkmcnt(0)
	v_lshlrev_b32_e32 v3, 16, v2
	v_max_f32_e32 v2, v3, v3
	v_min_f32_e32 v30, v2, v6
	v_max_f32_e32 v2, v2, v6
	v_cmp_u_f32_e32 vcc, v3, v3
	v_cndmask_b32_e32 v6, v30, v3, vcc
	v_cndmask_b32_e32 v2, v2, v3, vcc
	v_cmp_u_f32_e32 vcc, v7, v7
	v_cndmask_b32_e32 v6, v6, v7, vcc
	v_cndmask_b32_e32 v2, v2, v7, vcc
	v_cmp_neq_f32_e32 vcc, v6, v2
	v_cmp_class_f32_e64 s[10:11], v6, s10
	s_or_b64 s[12:13], vcc, s[10:11]
	s_and_saveexec_b64 s[10:11], s[12:13]
	s_cbranch_execz .LBB472_259
; %bb.258:
	v_sub_f32_e32 v3, v6, v2
	s_mov_b32 s12, 0x3fb8aa3b
	v_mul_f32_e32 v6, 0x3fb8aa3b, v3
	v_fma_f32 v7, v3, s12, -v6
	v_rndne_f32_e32 v30, v6
	v_fmac_f32_e32 v7, 0x32a5705f, v3
	v_sub_f32_e32 v6, v6, v30
	v_add_f32_e32 v6, v6, v7
	v_exp_f32_e32 v6, v6
	v_cvt_i32_f32_e32 v7, v30
	s_mov_b32 s12, 0xc2ce8ed0
	v_cmp_ngt_f32_e32 vcc, s12, v3
	s_mov_b32 s12, 0x42b17218
	v_ldexp_f32 v6, v6, v7
	v_cndmask_b32_e32 v6, 0, v6, vcc
	v_mov_b32_e32 v7, 0x7f800000
	v_cmp_nlt_f32_e32 vcc, s12, v3
	v_cndmask_b32_e32 v64, v7, v6, vcc
	v_add_f32_e32 v3, 1.0, v64
	v_add_f32_e32 v6, -1.0, v3
	v_sub_f32_e32 v7, v6, v3
	v_add_f32_e32 v7, 1.0, v7
	v_sub_f32_e32 v6, v64, v6
	v_add_f32_e32 v30, v6, v7
	v_frexp_mant_f32_e32 v31, v3
	s_mov_b32 s12, 0x3f2aaaab
	v_cvt_f64_f32_e32 v[6:7], v3
	v_frexp_exp_i32_f64_e32 v6, v[6:7]
	v_cmp_gt_f32_e32 vcc, s12, v31
	v_subbrev_co_u32_e32 v36, vcc, 0, v6, vcc
	v_sub_u32_e32 v6, 0, v36
	v_ldexp_f32 v3, v3, v6
	v_ldexp_f32 v6, v30, v6
	v_add_f32_e32 v30, -1.0, v3
	v_add_f32_e32 v7, 1.0, v30
	v_sub_f32_e32 v7, v3, v7
	v_add_f32_e32 v31, v6, v7
	v_add_f32_e32 v7, 1.0, v3
	v_add_f32_e32 v32, -1.0, v7
	v_sub_f32_e32 v3, v3, v32
	v_add_f32_e32 v3, v6, v3
	v_add_f32_e32 v37, v7, v3
	v_rcp_f32_e32 v50, v37
	v_sub_f32_e32 v6, v7, v37
	v_add_f32_e32 v7, v30, v31
	v_add_f32_e32 v3, v3, v6
	v_mul_f32_e32 v52, v7, v50
	v_sub_f32_e32 v6, v30, v7
	v_mul_f32_e32 v30, v37, v52
	v_fma_f32 v32, v52, v37, -v30
	v_fmac_f32_e32 v32, v52, v3
	v_add_f32_e32 v51, v31, v6
	v_add_f32_e32 v6, v30, v32
	v_sub_f32_e32 v31, v7, v6
	v_pk_add_f32 v[34:35], v[6:7], v[30:31] neg_lo:[0,1] neg_hi:[0,1]
	v_mov_b32_e32 v33, v6
	v_pk_add_f32 v[6:7], v[34:35], v[32:33] neg_lo:[0,1] neg_hi:[0,1]
	v_add_f32_e32 v7, v51, v7
	v_add_f32_e32 v6, v6, v7
	;; [unrolled: 1-line block ×3, first 2 shown]
	v_mul_f32_e32 v51, v50, v7
	v_mul_f32_e32 v30, v37, v51
	v_fma_f32 v32, v51, v37, -v30
	v_fmac_f32_e32 v32, v51, v3
	v_sub_f32_e32 v3, v31, v7
	v_add_f32_e32 v3, v6, v3
	v_add_f32_e32 v6, v30, v32
	v_sub_f32_e32 v31, v7, v6
	v_pk_add_f32 v[34:35], v[6:7], v[30:31] neg_lo:[0,1] neg_hi:[0,1]
	v_mov_b32_e32 v33, v6
	v_pk_add_f32 v[6:7], v[34:35], v[32:33] neg_lo:[0,1] neg_hi:[0,1]
	v_add_f32_e32 v3, v3, v7
	v_add_f32_e32 v3, v6, v3
	;; [unrolled: 1-line block ×4, first 2 shown]
	v_sub_f32_e32 v7, v6, v52
	v_mul_f32_e32 v3, v50, v3
	v_sub_f32_e32 v7, v51, v7
	v_add_f32_e32 v3, v7, v3
	v_add_f32_e32 v31, v6, v3
	v_mul_f32_e32 v32, v31, v31
	v_mov_b32_e32 v30, 0x3ecc95a3
	v_fmac_f32_e32 v30, 0x3e9b6dac, v32
	v_mov_b32_e32 v7, 0x3f2aaada
	v_fmac_f32_e32 v7, v32, v30
	v_cvt_f32_i32_e32 v30, v36
	v_sub_f32_e32 v6, v31, v6
	v_sub_f32_e32 v3, v3, v6
	v_ldexp_f32 v33, v31, 1
	v_mul_f32_e32 v31, v31, v32
	v_mov_b32_e32 v6, 0x3f317218
	s_mov_b32 s12, 0x3f317218
	v_pk_mul_f32 v[6:7], v[30:31], v[6:7]
	v_fma_f32 v32, v30, s12, -v6
	v_fmac_f32_e32 v32, 0xb102e308, v30
	v_pk_add_f32 v[30:31], v[6:7], v[32:33]
	v_sub_f32_e32 v33, v31, v33
	v_ldexp_f32 v3, v3, 1
	v_sub_f32_e32 v33, v7, v33
	v_add_f32_e32 v35, v3, v33
	v_mov_b32_e32 v34, v6
	v_pk_add_f32 v[6:7], v[30:31], v[6:7] neg_lo:[0,1] neg_hi:[0,1]
	v_pk_add_f32 v[36:37], v[30:31], v[34:35]
	v_mov_b32_e32 v7, v37
	v_mov_b32_e32 v33, v30
	v_pk_add_f32 v[50:51], v[32:33], v[6:7] neg_lo:[0,1] neg_hi:[0,1]
	v_pk_add_f32 v[6:7], v[32:33], v[6:7]
	v_mov_b32_e32 v32, v7
	v_pk_add_f32 v[52:53], v[32:33], v[30:31] neg_lo:[0,1] neg_hi:[0,1]
	v_mov_b32_e32 v3, v52
	v_pk_add_f32 v[54:55], v[36:37], v[2:3] neg_lo:[0,1] neg_hi:[0,1]
	v_mov_b32_e32 v6, v37
	v_mov_b32_e32 v36, v31
	;; [unrolled: 1-line block ×4, first 2 shown]
	v_pk_add_f32 v[6:7], v[6:7], v[36:37] neg_lo:[0,1] neg_hi:[0,1]
	v_mov_b32_e32 v34, v35
	v_mov_b32_e32 v35, v30
	v_pk_add_f32 v[6:7], v[34:35], v[6:7] neg_lo:[0,1] neg_hi:[0,1]
	v_mov_b32_e32 v54, v50
	v_pk_add_f32 v[30:31], v[54:55], v[6:7]
	v_mov_b32_e32 v34, v31
	v_pk_add_f32 v[34:35], v[30:31], v[34:35]
	v_pk_add_f32 v[32:33], v[32:33], v[34:35]
	v_mov_b32_e32 v31, v32
	v_pk_add_f32 v[36:37], v[30:31], v[50:51] neg_lo:[0,1] neg_hi:[0,1]
	v_mov_b32_e32 v7, v34
	v_sub_f32_e32 v3, v30, v36
	v_pk_add_f32 v[6:7], v[6:7], v[36:37] neg_lo:[0,1] neg_hi:[0,1]
	v_sub_f32_e32 v3, v50, v3
	s_mov_b32 s13, 0x7f800000
	v_add_f32_e32 v3, v6, v3
	s_mov_b32 s12, 0x33800000
	v_add_f32_e32 v3, v3, v7
	v_cmp_eq_f32_e32 vcc, s13, v64
	v_cmp_lt_f32_e64 s[12:13], |v64|, s12
	v_add_f32_e32 v3, v32, v3
	s_or_b64 vcc, vcc, s[12:13]
	v_cndmask_b32_e32 v3, v3, v64, vcc
	v_add_f32_e32 v3, v2, v3
.LBB472_259:
	s_or_b64 exec, exec, s[10:11]
	v_bfe_u32 v2, v3, 16, 1
	s_movk_i32 s10, 0x7fff
	v_add3_u32 v2, v3, v2, s10
	v_lshrrev_b32_e32 v2, 16, v2
	v_mov_b32_e32 v6, 0x7fc0
	v_cmp_o_f32_e32 vcc, v3, v3
	v_cndmask_b32_e32 v30, v6, v2, vcc
.LBB472_260:
	s_or_b64 exec, exec, s[8:9]
	v_mov_b32_e32 v3, 16
	v_lshlrev_b32_e32 v32, 16, v30
	v_lshlrev_b32_sdwa v2, v3, v20 dst_sel:DWORD dst_unused:UNUSED_PAD src0_sel:DWORD src1_sel:WORD_1
	v_max_f32_e32 v31, v2, v2
	v_max_f32_e32 v100, v32, v32
	v_min_f32_e32 v98, v100, v31
	v_cmp_u_f32_e64 s[54:55], v32, v32
	v_cndmask_b32_e64 v6, v98, v32, s[54:55]
	v_cmp_u_f32_e32 vcc, v2, v2
	v_max_f32_e32 v99, v100, v31
	v_cndmask_b32_e32 v20, v6, v2, vcc
	v_cndmask_b32_e64 v6, v99, v32, s[54:55]
	v_cndmask_b32_e32 v6, v6, v2, vcc
	s_movk_i32 s12, 0x1f8
	v_cmp_neq_f32_e64 s[8:9], v20, v6
	v_cmp_class_f32_e64 s[10:11], v20, s12
	s_or_b64 s[8:9], s[8:9], s[10:11]
	v_mov_b32_e32 v7, v32
	s_and_saveexec_b64 s[10:11], s[8:9]
	s_cbranch_execz .LBB472_262
; %bb.261:
	v_sub_f32_e32 v7, v20, v6
	s_mov_b32 s8, 0x3fb8aa3b
	v_mul_f32_e32 v20, 0x3fb8aa3b, v7
	v_fma_f32 v33, v7, s8, -v20
	v_rndne_f32_e32 v34, v20
	v_fmac_f32_e32 v33, 0x32a5705f, v7
	v_sub_f32_e32 v20, v20, v34
	v_add_f32_e32 v20, v20, v33
	v_exp_f32_e32 v20, v20
	v_cvt_i32_f32_e32 v33, v34
	s_mov_b32 s8, 0xc2ce8ed0
	v_cmp_ngt_f32_e64 s[8:9], s8, v7
	s_mov_b32 s13, 0x7f800000
	v_ldexp_f32 v20, v20, v33
	v_cndmask_b32_e64 v20, 0, v20, s[8:9]
	s_mov_b32 s8, 0x42b17218
	v_mov_b32_e32 v33, 0x7f800000
	v_cmp_nlt_f32_e64 s[8:9], s8, v7
	v_cndmask_b32_e64 v33, v33, v20, s[8:9]
	v_add_f32_e32 v7, 1.0, v33
	v_add_f32_e32 v20, -1.0, v7
	v_sub_f32_e32 v34, v20, v7
	v_add_f32_e32 v34, 1.0, v34
	v_sub_f32_e32 v20, v33, v20
	v_add_f32_e32 v20, v20, v34
	v_frexp_mant_f32_e32 v36, v7
	s_mov_b32 s8, 0x3f2aaaab
	v_cvt_f64_f32_e32 v[34:35], v7
	v_frexp_exp_i32_f64_e32 v34, v[34:35]
	v_cmp_gt_f32_e64 s[8:9], s8, v36
	v_subbrev_co_u32_e64 v54, s[8:9], 0, v34, s[8:9]
	v_sub_u32_e32 v34, 0, v54
	v_ldexp_f32 v7, v7, v34
	v_ldexp_f32 v20, v20, v34
	v_add_f32_e32 v34, -1.0, v7
	v_add_f32_e32 v35, 1.0, v34
	v_sub_f32_e32 v35, v7, v35
	v_add_f32_e32 v36, v20, v35
	v_add_f32_e32 v35, 1.0, v7
	v_add_f32_e32 v37, -1.0, v35
	v_sub_f32_e32 v7, v7, v37
	v_add_f32_e32 v7, v20, v7
	v_add_f32_e32 v20, v35, v7
	v_rcp_f32_e32 v55, v20
	v_sub_f32_e32 v35, v35, v20
	v_add_f32_e32 v7, v7, v35
	v_add_f32_e32 v35, v34, v36
	v_sub_f32_e32 v34, v34, v35
	v_mul_f32_e32 v65, v35, v55
	v_add_f32_e32 v64, v36, v34
	v_mul_f32_e32 v36, v20, v65
	v_fma_f32 v50, v65, v20, -v36
	v_fmac_f32_e32 v50, v65, v7
	v_add_f32_e32 v34, v36, v50
	v_sub_f32_e32 v37, v35, v34
	v_pk_add_f32 v[52:53], v[34:35], v[36:37] neg_lo:[0,1] neg_hi:[0,1]
	v_mov_b32_e32 v51, v34
	v_pk_add_f32 v[34:35], v[52:53], v[50:51] neg_lo:[0,1] neg_hi:[0,1]
	v_add_f32_e32 v35, v64, v35
	v_add_f32_e32 v34, v34, v35
	;; [unrolled: 1-line block ×3, first 2 shown]
	v_mul_f32_e32 v64, v55, v35
	v_mul_f32_e32 v36, v20, v64
	v_fma_f32 v50, v64, v20, -v36
	v_fmac_f32_e32 v50, v64, v7
	v_sub_f32_e32 v7, v37, v35
	v_add_f32_e32 v7, v34, v7
	v_add_f32_e32 v34, v36, v50
	v_sub_f32_e32 v37, v35, v34
	v_pk_add_f32 v[52:53], v[34:35], v[36:37] neg_lo:[0,1] neg_hi:[0,1]
	v_mov_b32_e32 v51, v34
	v_pk_add_f32 v[34:35], v[52:53], v[50:51] neg_lo:[0,1] neg_hi:[0,1]
	v_add_f32_e32 v7, v7, v35
	v_add_f32_e32 v7, v34, v7
	;; [unrolled: 1-line block ×4, first 2 shown]
	v_sub_f32_e32 v34, v20, v65
	v_mul_f32_e32 v7, v55, v7
	v_sub_f32_e32 v34, v64, v34
	v_add_f32_e32 v7, v34, v7
	v_add_f32_e32 v34, v20, v7
	v_mul_f32_e32 v37, v34, v34
	v_mov_b32_e32 v36, 0x3ecc95a3
	v_fmac_f32_e32 v36, 0x3e9b6dac, v37
	v_mov_b32_e32 v35, 0x3f2aaada
	v_fmac_f32_e32 v35, v37, v36
	v_cvt_f32_i32_e32 v36, v54
	v_sub_f32_e32 v20, v34, v20
	v_ldexp_f32 v51, v34, 1
	v_mul_f32_e32 v37, v34, v37
	v_mov_b32_e32 v34, 0x3f317218
	s_mov_b32 s8, 0x3f317218
	v_pk_mul_f32 v[34:35], v[36:37], v[34:35]
	v_fma_f32 v50, v36, s8, -v34
	v_fmac_f32_e32 v50, 0xb102e308, v36
	v_pk_add_f32 v[36:37], v[34:35], v[50:51]
	v_sub_f32_e32 v7, v7, v20
	v_sub_f32_e32 v20, v37, v51
	v_ldexp_f32 v7, v7, 1
	v_sub_f32_e32 v20, v35, v20
	v_add_f32_e32 v53, v7, v20
	v_mov_b32_e32 v52, v34
	v_pk_add_f32 v[34:35], v[36:37], v[34:35] neg_lo:[0,1] neg_hi:[0,1]
	v_pk_add_f32 v[54:55], v[36:37], v[52:53]
	v_mov_b32_e32 v35, v55
	v_mov_b32_e32 v51, v36
	v_pk_add_f32 v[64:65], v[50:51], v[34:35] neg_lo:[0,1] neg_hi:[0,1]
	v_pk_add_f32 v[34:35], v[50:51], v[34:35]
	v_mov_b32_e32 v20, v35
	v_pk_add_f32 v[50:51], v[20:21], v[36:37] neg_lo:[0,1] neg_hi:[0,1]
	v_mov_b32_e32 v7, v50
	v_pk_add_f32 v[66:67], v[54:55], v[6:7] neg_lo:[0,1] neg_hi:[0,1]
	v_mov_b32_e32 v34, v55
	v_mov_b32_e32 v54, v37
	;; [unrolled: 1-line block ×4, first 2 shown]
	v_pk_add_f32 v[34:35], v[34:35], v[54:55] neg_lo:[0,1] neg_hi:[0,1]
	v_mov_b32_e32 v50, v53
	v_mov_b32_e32 v51, v36
	v_pk_add_f32 v[34:35], v[50:51], v[34:35] neg_lo:[0,1] neg_hi:[0,1]
	v_mov_b32_e32 v66, v64
	v_pk_add_f32 v[36:37], v[66:67], v[34:35]
	v_mov_b32_e32 v50, v37
	v_pk_add_f32 v[50:51], v[36:37], v[50:51]
	v_pk_add_f32 v[52:53], v[20:21], v[50:51]
	v_mov_b32_e32 v37, v52
	v_pk_add_f32 v[54:55], v[36:37], v[64:65] neg_lo:[0,1] neg_hi:[0,1]
	v_mov_b32_e32 v35, v50
	v_sub_f32_e32 v7, v36, v54
	v_pk_add_f32 v[34:35], v[34:35], v[54:55] neg_lo:[0,1] neg_hi:[0,1]
	v_sub_f32_e32 v7, v64, v7
	v_add_f32_e32 v7, v34, v7
	v_cmp_eq_f32_e64 s[8:9], s13, v33
	s_mov_b32 s13, 0x33800000
	v_add_f32_e32 v7, v7, v35
	v_cmp_lt_f32_e64 s[14:15], |v33|, s13
	v_add_f32_e32 v7, v52, v7
	s_or_b64 s[8:9], s[8:9], s[14:15]
	v_cndmask_b32_e64 v7, v7, v33, s[8:9]
	v_add_f32_e32 v7, v6, v7
.LBB472_262:
	s_or_b64 exec, exec, s[10:11]
	v_bfe_u32 v6, v7, 16, 1
	s_movk_i32 s14, 0x7fff
	v_add3_u32 v6, v7, v6, s14
	v_and_b32_e32 v20, 0xffff0000, v6
	v_mov_b32_e32 v6, 0x7fc00000
	v_cmp_o_f32_e64 s[8:9], v7, v7
	v_cndmask_b32_e64 v33, v6, v20, s[8:9]
	v_lshlrev_b32_sdwa v3, v3, v21 dst_sel:DWORD dst_unused:UNUSED_PAD src0_sel:DWORD src1_sel:WORD_0
	v_max_f32_e32 v7, v33, v33
	v_max_f32_e32 v20, v3, v3
	v_min_f32_e32 v34, v7, v20
	v_cmp_u_f32_e64 s[10:11], v33, v33
	v_max_f32_e32 v7, v7, v20
	v_cndmask_b32_e64 v34, v34, v33, s[10:11]
	v_cmp_u_f32_e64 s[8:9], v3, v3
	v_cndmask_b32_e64 v7, v7, v33, s[10:11]
	v_cndmask_b32_e64 v34, v34, v3, s[8:9]
	;; [unrolled: 1-line block ×3, first 2 shown]
	v_cmp_neq_f32_e64 s[10:11], v34, v7
	v_cmp_class_f32_e64 s[12:13], v34, s12
	s_or_b64 s[10:11], s[10:11], s[12:13]
	s_and_saveexec_b64 s[12:13], s[10:11]
	s_cbranch_execz .LBB472_264
; %bb.263:
	v_sub_f32_e32 v33, v34, v7
	s_mov_b32 s10, 0x3fb8aa3b
	v_mul_f32_e32 v34, 0x3fb8aa3b, v33
	v_fma_f32 v35, v33, s10, -v34
	v_rndne_f32_e32 v36, v34
	v_fmac_f32_e32 v35, 0x32a5705f, v33
	v_sub_f32_e32 v34, v34, v36
	v_add_f32_e32 v34, v34, v35
	v_exp_f32_e32 v34, v34
	v_cvt_i32_f32_e32 v35, v36
	s_mov_b32 s10, 0xc2ce8ed0
	v_cmp_ngt_f32_e64 s[10:11], s10, v33
	s_mov_b32 s15, 0x7f800000
	v_ldexp_f32 v34, v34, v35
	v_cndmask_b32_e64 v34, 0, v34, s[10:11]
	s_mov_b32 s10, 0x42b17218
	v_mov_b32_e32 v35, 0x7f800000
	v_cmp_nlt_f32_e64 s[10:11], s10, v33
	v_cndmask_b32_e64 v70, v35, v34, s[10:11]
	v_add_f32_e32 v33, 1.0, v70
	v_add_f32_e32 v34, -1.0, v33
	v_sub_f32_e32 v35, v34, v33
	v_add_f32_e32 v35, 1.0, v35
	v_sub_f32_e32 v34, v70, v34
	v_add_f32_e32 v36, v34, v35
	v_frexp_mant_f32_e32 v37, v33
	s_mov_b32 s10, 0x3f2aaaab
	v_cvt_f64_f32_e32 v[34:35], v33
	v_frexp_exp_i32_f64_e32 v34, v[34:35]
	v_cmp_gt_f32_e64 s[10:11], s10, v37
	v_subbrev_co_u32_e64 v54, s[10:11], 0, v34, s[10:11]
	v_sub_u32_e32 v34, 0, v54
	v_ldexp_f32 v33, v33, v34
	v_ldexp_f32 v34, v36, v34
	v_add_f32_e32 v36, -1.0, v33
	v_add_f32_e32 v35, 1.0, v36
	v_sub_f32_e32 v35, v33, v35
	v_add_f32_e32 v37, v34, v35
	v_add_f32_e32 v35, 1.0, v33
	v_add_f32_e32 v50, -1.0, v35
	v_sub_f32_e32 v33, v33, v50
	v_add_f32_e32 v33, v34, v33
	v_add_f32_e32 v55, v35, v33
	v_rcp_f32_e32 v64, v55
	v_sub_f32_e32 v34, v35, v55
	v_add_f32_e32 v35, v36, v37
	v_add_f32_e32 v33, v33, v34
	v_mul_f32_e32 v66, v35, v64
	v_sub_f32_e32 v34, v36, v35
	v_mul_f32_e32 v36, v55, v66
	v_fma_f32 v50, v66, v55, -v36
	v_fmac_f32_e32 v50, v66, v33
	v_add_f32_e32 v65, v37, v34
	v_add_f32_e32 v34, v36, v50
	v_sub_f32_e32 v37, v35, v34
	v_pk_add_f32 v[52:53], v[34:35], v[36:37] neg_lo:[0,1] neg_hi:[0,1]
	v_mov_b32_e32 v51, v34
	v_pk_add_f32 v[34:35], v[52:53], v[50:51] neg_lo:[0,1] neg_hi:[0,1]
	v_add_f32_e32 v35, v65, v35
	v_add_f32_e32 v34, v34, v35
	;; [unrolled: 1-line block ×3, first 2 shown]
	v_mul_f32_e32 v65, v64, v35
	v_mul_f32_e32 v36, v55, v65
	v_fma_f32 v50, v65, v55, -v36
	v_fmac_f32_e32 v50, v65, v33
	v_sub_f32_e32 v33, v37, v35
	v_add_f32_e32 v33, v34, v33
	v_add_f32_e32 v34, v36, v50
	v_sub_f32_e32 v37, v35, v34
	v_pk_add_f32 v[52:53], v[34:35], v[36:37] neg_lo:[0,1] neg_hi:[0,1]
	v_mov_b32_e32 v51, v34
	v_pk_add_f32 v[34:35], v[52:53], v[50:51] neg_lo:[0,1] neg_hi:[0,1]
	v_add_f32_e32 v33, v33, v35
	v_add_f32_e32 v33, v34, v33
	v_add_f32_e32 v34, v66, v65
	v_add_f32_e32 v33, v37, v33
	v_sub_f32_e32 v35, v34, v66
	v_mul_f32_e32 v33, v64, v33
	v_sub_f32_e32 v35, v65, v35
	v_add_f32_e32 v33, v35, v33
	v_add_f32_e32 v37, v34, v33
	v_mul_f32_e32 v50, v37, v37
	v_mov_b32_e32 v36, 0x3ecc95a3
	v_fmac_f32_e32 v36, 0x3e9b6dac, v50
	v_mov_b32_e32 v35, 0x3f2aaada
	v_fmac_f32_e32 v35, v50, v36
	v_cvt_f32_i32_e32 v36, v54
	v_sub_f32_e32 v34, v37, v34
	v_sub_f32_e32 v33, v33, v34
	v_ldexp_f32 v51, v37, 1
	v_mul_f32_e32 v37, v37, v50
	v_mov_b32_e32 v34, 0x3f317218
	s_mov_b32 s10, 0x3f317218
	v_pk_mul_f32 v[34:35], v[36:37], v[34:35]
	v_fma_f32 v50, v36, s10, -v34
	v_fmac_f32_e32 v50, 0xb102e308, v36
	v_pk_add_f32 v[36:37], v[34:35], v[50:51]
	v_sub_f32_e32 v51, v37, v51
	v_ldexp_f32 v33, v33, 1
	v_sub_f32_e32 v51, v35, v51
	v_add_f32_e32 v53, v33, v51
	v_mov_b32_e32 v52, v34
	v_pk_add_f32 v[34:35], v[36:37], v[34:35] neg_lo:[0,1] neg_hi:[0,1]
	v_pk_add_f32 v[54:55], v[36:37], v[52:53]
	v_mov_b32_e32 v35, v55
	v_mov_b32_e32 v51, v36
	v_pk_add_f32 v[64:65], v[50:51], v[34:35] neg_lo:[0,1] neg_hi:[0,1]
	v_pk_add_f32 v[34:35], v[50:51], v[34:35]
	v_mov_b32_e32 v50, v35
	v_pk_add_f32 v[66:67], v[50:51], v[36:37] neg_lo:[0,1] neg_hi:[0,1]
	v_mov_b32_e32 v33, v66
	v_pk_add_f32 v[68:69], v[54:55], v[32:33] neg_lo:[0,1] neg_hi:[0,1]
	v_mov_b32_e32 v34, v55
	v_mov_b32_e32 v54, v37
	;; [unrolled: 1-line block ×4, first 2 shown]
	v_pk_add_f32 v[34:35], v[34:35], v[54:55] neg_lo:[0,1] neg_hi:[0,1]
	v_mov_b32_e32 v52, v53
	v_mov_b32_e32 v53, v36
	v_pk_add_f32 v[34:35], v[52:53], v[34:35] neg_lo:[0,1] neg_hi:[0,1]
	v_mov_b32_e32 v68, v64
	v_pk_add_f32 v[36:37], v[68:69], v[34:35]
	v_mov_b32_e32 v52, v37
	v_pk_add_f32 v[52:53], v[36:37], v[52:53]
	v_pk_add_f32 v[50:51], v[50:51], v[52:53]
	v_mov_b32_e32 v37, v50
	v_pk_add_f32 v[54:55], v[36:37], v[64:65] neg_lo:[0,1] neg_hi:[0,1]
	v_mov_b32_e32 v35, v52
	v_sub_f32_e32 v33, v36, v54
	v_pk_add_f32 v[34:35], v[34:35], v[54:55] neg_lo:[0,1] neg_hi:[0,1]
	v_sub_f32_e32 v33, v64, v33
	v_add_f32_e32 v33, v34, v33
	v_cmp_eq_f32_e64 s[10:11], s15, v70
	s_mov_b32 s15, 0x33800000
	v_add_f32_e32 v33, v33, v35
	v_cmp_lt_f32_e64 s[16:17], |v70|, s15
	v_add_f32_e32 v33, v50, v33
	s_or_b64 s[10:11], s[10:11], s[16:17]
	v_cndmask_b32_e64 v33, v33, v70, s[10:11]
	v_add_f32_e32 v33, v7, v33
.LBB472_264:
	s_or_b64 exec, exec, s[12:13]
	v_bfe_u32 v7, v33, 16, 1
	v_add3_u32 v7, v33, v7, s14
	v_and_b32_e32 v7, 0xffff0000, v7
	v_cmp_o_f32_e64 s[10:11], v33, v33
	v_cndmask_b32_e64 v34, v6, v7, s[10:11]
	v_mov_b32_e32 v7, 16
	v_lshlrev_b32_sdwa v6, v7, v21 dst_sel:DWORD dst_unused:UNUSED_PAD src0_sel:DWORD src1_sel:WORD_1
	v_max_f32_e32 v21, v34, v34
	v_max_f32_e32 v33, v6, v6
	v_min_f32_e32 v35, v21, v33
	v_cmp_u_f32_e64 s[12:13], v34, v34
	v_max_f32_e32 v21, v21, v33
	v_cndmask_b32_e64 v35, v35, v34, s[12:13]
	v_cmp_u_f32_e64 s[10:11], v6, v6
	v_cndmask_b32_e64 v21, v21, v34, s[12:13]
	v_cndmask_b32_e64 v35, v35, v6, s[10:11]
	v_cndmask_b32_e64 v21, v21, v6, s[10:11]
	s_movk_i32 s16, 0x1f8
	v_cmp_neq_f32_e64 s[12:13], v35, v21
	v_cmp_class_f32_e64 s[14:15], v35, s16
	s_or_b64 s[12:13], s[12:13], s[14:15]
	s_and_saveexec_b64 s[14:15], s[12:13]
	s_cbranch_execz .LBB472_266
; %bb.265:
	v_sub_f32_e32 v34, v35, v21
	s_mov_b32 s12, 0x3fb8aa3b
	v_mul_f32_e32 v35, 0x3fb8aa3b, v34
	v_fma_f32 v36, v34, s12, -v35
	v_rndne_f32_e32 v37, v35
	v_fmac_f32_e32 v36, 0x32a5705f, v34
	v_sub_f32_e32 v35, v35, v37
	v_add_f32_e32 v35, v35, v36
	v_exp_f32_e32 v35, v35
	v_cvt_i32_f32_e32 v36, v37
	s_mov_b32 s12, 0xc2ce8ed0
	v_cmp_ngt_f32_e64 s[12:13], s12, v34
	s_mov_b32 s17, 0x7f800000
	v_ldexp_f32 v35, v35, v36
	v_cndmask_b32_e64 v35, 0, v35, s[12:13]
	s_mov_b32 s12, 0x42b17218
	v_mov_b32_e32 v36, 0x7f800000
	v_cmp_nlt_f32_e64 s[12:13], s12, v34
	v_cndmask_b32_e64 v70, v36, v35, s[12:13]
	v_add_f32_e32 v36, 1.0, v70
	v_add_f32_e32 v34, -1.0, v36
	v_sub_f32_e32 v35, v34, v36
	v_add_f32_e32 v35, 1.0, v35
	v_sub_f32_e32 v34, v70, v34
	v_add_f32_e32 v37, v34, v35
	v_frexp_mant_f32_e32 v50, v36
	s_mov_b32 s12, 0x3f2aaaab
	v_cvt_f64_f32_e32 v[34:35], v36
	v_frexp_exp_i32_f64_e32 v34, v[34:35]
	v_cmp_gt_f32_e64 s[12:13], s12, v50
	v_subbrev_co_u32_e64 v54, s[12:13], 0, v34, s[12:13]
	v_sub_u32_e32 v34, 0, v54
	v_ldexp_f32 v35, v36, v34
	v_add_f32_e32 v36, -1.0, v35
	v_add_f32_e32 v50, 1.0, v35
	v_ldexp_f32 v34, v37, v34
	v_add_f32_e32 v37, 1.0, v36
	v_add_f32_e32 v51, -1.0, v50
	v_sub_f32_e32 v37, v35, v37
	v_sub_f32_e32 v35, v35, v51
	v_add_f32_e32 v37, v34, v37
	v_add_f32_e32 v34, v34, v35
	;; [unrolled: 1-line block ×3, first 2 shown]
	v_rcp_f32_e32 v65, v55
	v_sub_f32_e32 v35, v50, v55
	v_add_f32_e32 v64, v34, v35
	v_add_f32_e32 v35, v36, v37
	v_mul_f32_e32 v67, v35, v65
	v_sub_f32_e32 v34, v36, v35
	v_mul_f32_e32 v36, v55, v67
	v_fma_f32 v50, v67, v55, -v36
	v_fmac_f32_e32 v50, v67, v64
	v_add_f32_e32 v66, v37, v34
	v_add_f32_e32 v34, v36, v50
	v_sub_f32_e32 v37, v35, v34
	v_pk_add_f32 v[52:53], v[34:35], v[36:37] neg_lo:[0,1] neg_hi:[0,1]
	v_mov_b32_e32 v51, v34
	v_pk_add_f32 v[34:35], v[52:53], v[50:51] neg_lo:[0,1] neg_hi:[0,1]
	v_add_f32_e32 v35, v66, v35
	v_add_f32_e32 v34, v34, v35
	;; [unrolled: 1-line block ×3, first 2 shown]
	v_mul_f32_e32 v66, v65, v35
	v_mul_f32_e32 v36, v55, v66
	v_fma_f32 v50, v66, v55, -v36
	v_fmac_f32_e32 v50, v66, v64
	v_sub_f32_e32 v37, v37, v35
	v_add_f32_e32 v55, v34, v37
	v_add_f32_e32 v34, v36, v50
	v_sub_f32_e32 v37, v35, v34
	v_pk_add_f32 v[52:53], v[34:35], v[36:37] neg_lo:[0,1] neg_hi:[0,1]
	v_mov_b32_e32 v51, v34
	v_pk_add_f32 v[34:35], v[52:53], v[50:51] neg_lo:[0,1] neg_hi:[0,1]
	v_add_f32_e32 v35, v55, v35
	v_add_f32_e32 v34, v34, v35
	;; [unrolled: 1-line block ×4, first 2 shown]
	v_sub_f32_e32 v35, v37, v67
	v_mul_f32_e32 v34, v65, v34
	v_sub_f32_e32 v35, v66, v35
	v_add_f32_e32 v34, v35, v34
	v_add_f32_e32 v50, v37, v34
	v_mul_f32_e32 v52, v50, v50
	v_mov_b32_e32 v36, 0x3ecc95a3
	v_fmac_f32_e32 v36, 0x3e9b6dac, v52
	v_mov_b32_e32 v35, 0x3f2aaada
	v_fmac_f32_e32 v35, v52, v36
	v_cvt_f32_i32_e32 v36, v54
	v_sub_f32_e32 v37, v50, v37
	v_sub_f32_e32 v34, v34, v37
	v_ldexp_f32 v53, v34, 1
	v_mul_f32_e32 v37, v50, v52
	v_mov_b32_e32 v34, 0x3f317218
	s_mov_b32 s12, 0x3f317218
	v_pk_mul_f32 v[34:35], v[36:37], v[34:35]
	v_ldexp_f32 v51, v50, 1
	v_fma_f32 v50, v36, s12, -v34
	v_fmac_f32_e32 v50, 0xb102e308, v36
	v_pk_add_f32 v[36:37], v[34:35], v[50:51]
	v_sub_f32_e32 v51, v37, v51
	v_sub_f32_e32 v51, v35, v51
	v_add_f32_e32 v53, v53, v51
	v_mov_b32_e32 v52, v34
	v_pk_add_f32 v[34:35], v[36:37], v[34:35] neg_lo:[0,1] neg_hi:[0,1]
	v_pk_add_f32 v[54:55], v[36:37], v[52:53]
	v_mov_b32_e32 v35, v55
	v_mov_b32_e32 v51, v36
	v_pk_add_f32 v[64:65], v[50:51], v[34:35] neg_lo:[0,1] neg_hi:[0,1]
	v_pk_add_f32 v[34:35], v[50:51], v[34:35]
	v_mov_b32_e32 v50, v35
	v_pk_add_f32 v[66:67], v[50:51], v[36:37] neg_lo:[0,1] neg_hi:[0,1]
	v_mov_b32_e32 v51, v66
	v_pk_add_f32 v[68:69], v[54:55], v[50:51] neg_lo:[0,1] neg_hi:[0,1]
	v_mov_b32_e32 v34, v55
	v_mov_b32_e32 v54, v37
	v_mov_b32_e32 v55, v66
	v_mov_b32_e32 v65, v35
	v_pk_add_f32 v[34:35], v[34:35], v[54:55] neg_lo:[0,1] neg_hi:[0,1]
	v_mov_b32_e32 v52, v53
	v_mov_b32_e32 v53, v36
	v_pk_add_f32 v[34:35], v[52:53], v[34:35] neg_lo:[0,1] neg_hi:[0,1]
	v_mov_b32_e32 v68, v64
	v_pk_add_f32 v[36:37], v[68:69], v[34:35]
	v_mov_b32_e32 v52, v37
	v_pk_add_f32 v[52:53], v[36:37], v[52:53]
	v_pk_add_f32 v[50:51], v[50:51], v[52:53]
	v_mov_b32_e32 v37, v50
	v_pk_add_f32 v[54:55], v[36:37], v[64:65] neg_lo:[0,1] neg_hi:[0,1]
	v_mov_b32_e32 v35, v52
	v_sub_f32_e32 v36, v36, v54
	v_pk_add_f32 v[34:35], v[34:35], v[54:55] neg_lo:[0,1] neg_hi:[0,1]
	v_sub_f32_e32 v36, v64, v36
	v_add_f32_e32 v34, v34, v36
	v_cmp_eq_f32_e64 s[12:13], s17, v70
	s_mov_b32 s17, 0x33800000
	v_add_f32_e32 v34, v34, v35
	v_cmp_lt_f32_e64 s[18:19], |v70|, s17
	v_add_f32_e32 v34, v50, v34
	s_or_b64 s[12:13], s[12:13], s[18:19]
	v_cndmask_b32_e64 v34, v34, v70, s[12:13]
	v_add_f32_e32 v34, v21, v34
.LBB472_266:
	s_or_b64 exec, exec, s[14:15]
	v_bfe_u32 v21, v34, 16, 1
	s_movk_i32 s18, 0x7fff
	v_add3_u32 v21, v34, v21, s18
	v_and_b32_e32 v35, 0xffff0000, v21
	v_mov_b32_e32 v21, 0x7fc00000
	v_cmp_o_f32_e64 s[12:13], v34, v34
	v_cndmask_b32_e64 v36, v21, v35, s[12:13]
	v_lshlrev_b32_sdwa v7, v7, v22 dst_sel:DWORD dst_unused:UNUSED_PAD src0_sel:DWORD src1_sel:WORD_0
	v_max_f32_e32 v35, v36, v36
	v_max_f32_e32 v34, v7, v7
	v_min_f32_e32 v37, v35, v34
	v_cmp_u_f32_e64 s[14:15], v36, v36
	v_max_f32_e32 v35, v35, v34
	v_cndmask_b32_e64 v37, v37, v36, s[14:15]
	v_cmp_u_f32_e64 s[12:13], v7, v7
	v_cndmask_b32_e64 v35, v35, v36, s[14:15]
	v_cndmask_b32_e64 v37, v37, v7, s[12:13]
	;; [unrolled: 1-line block ×3, first 2 shown]
	v_cmp_neq_f32_e64 s[14:15], v37, v35
	v_cmp_class_f32_e64 s[16:17], v37, s16
	s_or_b64 s[14:15], s[14:15], s[16:17]
	s_and_saveexec_b64 s[16:17], s[14:15]
	s_cbranch_execz .LBB472_268
; %bb.267:
	v_sub_f32_e32 v36, v37, v35
	s_mov_b32 s14, 0x3fb8aa3b
	v_mul_f32_e32 v37, 0x3fb8aa3b, v36
	v_fma_f32 v50, v36, s14, -v37
	v_rndne_f32_e32 v51, v37
	v_fmac_f32_e32 v50, 0x32a5705f, v36
	v_sub_f32_e32 v37, v37, v51
	v_add_f32_e32 v37, v37, v50
	v_exp_f32_e32 v37, v37
	v_cvt_i32_f32_e32 v50, v51
	s_mov_b32 s14, 0xc2ce8ed0
	v_cmp_ngt_f32_e64 s[14:15], s14, v36
	s_mov_b32 s19, 0x7f800000
	v_ldexp_f32 v37, v37, v50
	v_cndmask_b32_e64 v37, 0, v37, s[14:15]
	s_mov_b32 s14, 0x42b17218
	v_mov_b32_e32 v50, 0x7f800000
	v_cmp_nlt_f32_e64 s[14:15], s14, v36
	v_cndmask_b32_e64 v80, v50, v37, s[14:15]
	v_add_f32_e32 v50, 1.0, v80
	v_add_f32_e32 v36, -1.0, v50
	v_sub_f32_e32 v37, v36, v50
	v_add_f32_e32 v37, 1.0, v37
	v_sub_f32_e32 v36, v80, v36
	v_add_f32_e32 v51, v36, v37
	v_frexp_mant_f32_e32 v52, v50
	s_mov_b32 s14, 0x3f2aaaab
	v_cvt_f64_f32_e32 v[36:37], v50
	v_frexp_exp_i32_f64_e32 v36, v[36:37]
	v_cmp_gt_f32_e64 s[14:15], s14, v52
	v_subbrev_co_u32_e64 v64, s[14:15], 0, v36, s[14:15]
	v_sub_u32_e32 v36, 0, v64
	v_ldexp_f32 v37, v50, v36
	v_add_f32_e32 v50, -1.0, v37
	v_add_f32_e32 v52, 1.0, v37
	v_ldexp_f32 v36, v51, v36
	v_add_f32_e32 v51, 1.0, v50
	v_add_f32_e32 v53, -1.0, v52
	v_sub_f32_e32 v51, v37, v51
	v_sub_f32_e32 v37, v37, v53
	v_add_f32_e32 v51, v36, v51
	v_add_f32_e32 v36, v36, v37
	;; [unrolled: 1-line block ×3, first 2 shown]
	v_rcp_f32_e32 v67, v65
	v_sub_f32_e32 v37, v52, v65
	v_add_f32_e32 v66, v36, v37
	v_add_f32_e32 v37, v50, v51
	v_mul_f32_e32 v69, v37, v67
	v_sub_f32_e32 v36, v50, v37
	v_mul_f32_e32 v50, v65, v69
	v_fma_f32 v52, v69, v65, -v50
	v_fmac_f32_e32 v52, v69, v66
	v_add_f32_e32 v68, v51, v36
	v_add_f32_e32 v36, v50, v52
	v_sub_f32_e32 v51, v37, v36
	v_pk_add_f32 v[54:55], v[36:37], v[50:51] neg_lo:[0,1] neg_hi:[0,1]
	v_mov_b32_e32 v53, v36
	v_pk_add_f32 v[36:37], v[54:55], v[52:53] neg_lo:[0,1] neg_hi:[0,1]
	v_add_f32_e32 v37, v68, v37
	v_add_f32_e32 v36, v36, v37
	;; [unrolled: 1-line block ×3, first 2 shown]
	v_mul_f32_e32 v68, v67, v37
	v_mul_f32_e32 v50, v65, v68
	v_fma_f32 v52, v68, v65, -v50
	v_fmac_f32_e32 v52, v68, v66
	v_sub_f32_e32 v51, v51, v37
	v_add_f32_e32 v65, v36, v51
	v_add_f32_e32 v36, v50, v52
	v_sub_f32_e32 v51, v37, v36
	v_pk_add_f32 v[54:55], v[36:37], v[50:51] neg_lo:[0,1] neg_hi:[0,1]
	v_mov_b32_e32 v53, v36
	v_pk_add_f32 v[36:37], v[54:55], v[52:53] neg_lo:[0,1] neg_hi:[0,1]
	v_add_f32_e32 v37, v65, v37
	v_add_f32_e32 v36, v36, v37
	;; [unrolled: 1-line block ×4, first 2 shown]
	v_sub_f32_e32 v37, v51, v69
	v_mul_f32_e32 v36, v67, v36
	v_sub_f32_e32 v37, v68, v37
	v_add_f32_e32 v36, v37, v36
	v_add_f32_e32 v52, v51, v36
	v_mul_f32_e32 v54, v52, v52
	v_mov_b32_e32 v50, 0x3ecc95a3
	v_fmac_f32_e32 v50, 0x3e9b6dac, v54
	v_mov_b32_e32 v37, 0x3f2aaada
	v_fmac_f32_e32 v37, v54, v50
	v_cvt_f32_i32_e32 v50, v64
	v_sub_f32_e32 v51, v52, v51
	v_sub_f32_e32 v36, v36, v51
	v_ldexp_f32 v55, v36, 1
	v_mul_f32_e32 v51, v52, v54
	v_mov_b32_e32 v36, 0x3f317218
	s_mov_b32 s14, 0x3f317218
	v_pk_mul_f32 v[36:37], v[50:51], v[36:37]
	v_ldexp_f32 v53, v52, 1
	v_fma_f32 v52, v50, s14, -v36
	v_fmac_f32_e32 v52, 0xb102e308, v50
	v_pk_add_f32 v[50:51], v[36:37], v[52:53]
	v_sub_f32_e32 v53, v51, v53
	v_sub_f32_e32 v53, v37, v53
	v_add_f32_e32 v55, v55, v53
	v_mov_b32_e32 v54, v36
	v_pk_add_f32 v[36:37], v[50:51], v[36:37] neg_lo:[0,1] neg_hi:[0,1]
	v_pk_add_f32 v[64:65], v[50:51], v[54:55]
	v_mov_b32_e32 v37, v65
	v_mov_b32_e32 v53, v50
	v_pk_add_f32 v[66:67], v[52:53], v[36:37] neg_lo:[0,1] neg_hi:[0,1]
	v_pk_add_f32 v[36:37], v[52:53], v[36:37]
	v_mov_b32_e32 v52, v37
	v_pk_add_f32 v[68:69], v[52:53], v[50:51] neg_lo:[0,1] neg_hi:[0,1]
	v_mov_b32_e32 v53, v68
	v_pk_add_f32 v[70:71], v[64:65], v[52:53] neg_lo:[0,1] neg_hi:[0,1]
	v_mov_b32_e32 v36, v65
	v_mov_b32_e32 v64, v51
	;; [unrolled: 1-line block ×4, first 2 shown]
	v_pk_add_f32 v[36:37], v[36:37], v[64:65] neg_lo:[0,1] neg_hi:[0,1]
	v_mov_b32_e32 v54, v55
	v_mov_b32_e32 v55, v50
	v_pk_add_f32 v[36:37], v[54:55], v[36:37] neg_lo:[0,1] neg_hi:[0,1]
	v_mov_b32_e32 v70, v66
	v_pk_add_f32 v[50:51], v[70:71], v[36:37]
	v_mov_b32_e32 v54, v51
	v_pk_add_f32 v[54:55], v[50:51], v[54:55]
	v_pk_add_f32 v[52:53], v[52:53], v[54:55]
	v_mov_b32_e32 v51, v52
	v_pk_add_f32 v[64:65], v[50:51], v[66:67] neg_lo:[0,1] neg_hi:[0,1]
	v_mov_b32_e32 v37, v54
	v_sub_f32_e32 v50, v50, v64
	v_pk_add_f32 v[36:37], v[36:37], v[64:65] neg_lo:[0,1] neg_hi:[0,1]
	v_sub_f32_e32 v50, v66, v50
	v_add_f32_e32 v36, v36, v50
	v_cmp_eq_f32_e64 s[14:15], s19, v80
	s_mov_b32 s19, 0x33800000
	v_add_f32_e32 v36, v36, v37
	v_cmp_lt_f32_e64 s[20:21], |v80|, s19
	v_add_f32_e32 v36, v52, v36
	s_or_b64 s[14:15], s[14:15], s[20:21]
	v_cndmask_b32_e64 v36, v36, v80, s[14:15]
	v_add_f32_e32 v36, v35, v36
.LBB472_268:
	s_or_b64 exec, exec, s[16:17]
	v_bfe_u32 v35, v36, 16, 1
	v_add3_u32 v35, v36, v35, s18
	v_and_b32_e32 v35, 0xffff0000, v35
	v_cmp_o_f32_e64 s[14:15], v36, v36
	v_mov_b32_e32 v36, 16
	v_cndmask_b32_e64 v50, v21, v35, s[14:15]
	v_lshlrev_b32_sdwa v21, v36, v22 dst_sel:DWORD dst_unused:UNUSED_PAD src0_sel:DWORD src1_sel:WORD_1
	v_max_f32_e32 v22, v50, v50
	v_max_f32_e32 v35, v21, v21
	v_min_f32_e32 v37, v22, v35
	v_cmp_u_f32_e64 s[16:17], v50, v50
	v_max_f32_e32 v22, v22, v35
	v_cndmask_b32_e64 v37, v37, v50, s[16:17]
	v_cmp_u_f32_e64 s[14:15], v21, v21
	v_cndmask_b32_e64 v22, v22, v50, s[16:17]
	v_cndmask_b32_e64 v37, v37, v21, s[14:15]
	;; [unrolled: 1-line block ×3, first 2 shown]
	s_movk_i32 s20, 0x1f8
	v_cmp_neq_f32_e64 s[16:17], v37, v22
	v_cmp_class_f32_e64 s[18:19], v37, s20
	s_or_b64 s[16:17], s[16:17], s[18:19]
	s_and_saveexec_b64 s[18:19], s[16:17]
	s_cbranch_execz .LBB472_270
; %bb.269:
	v_sub_f32_e32 v37, v37, v22
	s_mov_b32 s16, 0x3fb8aa3b
	v_mul_f32_e32 v50, 0x3fb8aa3b, v37
	v_fma_f32 v51, v37, s16, -v50
	v_rndne_f32_e32 v52, v50
	v_fmac_f32_e32 v51, 0x32a5705f, v37
	v_sub_f32_e32 v50, v50, v52
	v_add_f32_e32 v50, v50, v51
	v_exp_f32_e32 v50, v50
	v_cvt_i32_f32_e32 v51, v52
	s_mov_b32 s16, 0xc2ce8ed0
	v_cmp_ngt_f32_e64 s[16:17], s16, v37
	s_mov_b32 s21, 0x7f800000
	v_ldexp_f32 v50, v50, v51
	v_cndmask_b32_e64 v50, 0, v50, s[16:17]
	s_mov_b32 s16, 0x42b17218
	v_mov_b32_e32 v51, 0x7f800000
	v_cmp_nlt_f32_e64 s[16:17], s16, v37
	v_cndmask_b32_e64 v82, v51, v50, s[16:17]
	v_add_f32_e32 v37, 1.0, v82
	v_add_f32_e32 v50, -1.0, v37
	v_sub_f32_e32 v51, v50, v37
	v_add_f32_e32 v51, 1.0, v51
	v_sub_f32_e32 v50, v82, v50
	v_add_f32_e32 v52, v50, v51
	v_frexp_mant_f32_e32 v53, v37
	s_mov_b32 s16, 0x3f2aaaab
	v_cvt_f64_f32_e32 v[50:51], v37
	v_frexp_exp_i32_f64_e32 v50, v[50:51]
	v_cmp_gt_f32_e64 s[16:17], s16, v53
	v_subbrev_co_u32_e64 v66, s[16:17], 0, v50, s[16:17]
	v_sub_u32_e32 v50, 0, v66
	v_ldexp_f32 v37, v37, v50
	v_ldexp_f32 v50, v52, v50
	v_add_f32_e32 v52, -1.0, v37
	v_add_f32_e32 v51, 1.0, v52
	v_sub_f32_e32 v51, v37, v51
	v_add_f32_e32 v53, v50, v51
	v_add_f32_e32 v51, 1.0, v37
	v_add_f32_e32 v54, -1.0, v51
	v_sub_f32_e32 v37, v37, v54
	v_add_f32_e32 v37, v50, v37
	v_add_f32_e32 v67, v51, v37
	v_rcp_f32_e32 v68, v67
	v_sub_f32_e32 v50, v51, v67
	v_add_f32_e32 v51, v52, v53
	v_add_f32_e32 v37, v37, v50
	v_mul_f32_e32 v70, v51, v68
	v_sub_f32_e32 v50, v52, v51
	v_mul_f32_e32 v52, v67, v70
	v_fma_f32 v54, v70, v67, -v52
	v_fmac_f32_e32 v54, v70, v37
	v_add_f32_e32 v69, v53, v50
	v_add_f32_e32 v50, v52, v54
	v_sub_f32_e32 v53, v51, v50
	v_pk_add_f32 v[64:65], v[50:51], v[52:53] neg_lo:[0,1] neg_hi:[0,1]
	v_mov_b32_e32 v55, v50
	v_pk_add_f32 v[50:51], v[64:65], v[54:55] neg_lo:[0,1] neg_hi:[0,1]
	v_add_f32_e32 v51, v69, v51
	v_add_f32_e32 v50, v50, v51
	;; [unrolled: 1-line block ×3, first 2 shown]
	v_mul_f32_e32 v69, v68, v51
	v_mul_f32_e32 v52, v67, v69
	v_fma_f32 v54, v69, v67, -v52
	v_fmac_f32_e32 v54, v69, v37
	v_sub_f32_e32 v37, v53, v51
	v_add_f32_e32 v37, v50, v37
	v_add_f32_e32 v50, v52, v54
	v_sub_f32_e32 v53, v51, v50
	v_pk_add_f32 v[64:65], v[50:51], v[52:53] neg_lo:[0,1] neg_hi:[0,1]
	v_mov_b32_e32 v55, v50
	v_pk_add_f32 v[50:51], v[64:65], v[54:55] neg_lo:[0,1] neg_hi:[0,1]
	v_add_f32_e32 v37, v37, v51
	v_add_f32_e32 v37, v50, v37
	;; [unrolled: 1-line block ×4, first 2 shown]
	v_sub_f32_e32 v51, v50, v70
	v_mul_f32_e32 v37, v68, v37
	v_sub_f32_e32 v51, v69, v51
	v_add_f32_e32 v37, v51, v37
	v_add_f32_e32 v53, v50, v37
	v_mul_f32_e32 v54, v53, v53
	v_mov_b32_e32 v52, 0x3ecc95a3
	v_fmac_f32_e32 v52, 0x3e9b6dac, v54
	v_mov_b32_e32 v51, 0x3f2aaada
	v_fmac_f32_e32 v51, v54, v52
	v_cvt_f32_i32_e32 v52, v66
	v_sub_f32_e32 v50, v53, v50
	v_sub_f32_e32 v37, v37, v50
	v_ldexp_f32 v55, v53, 1
	v_mul_f32_e32 v53, v53, v54
	v_mov_b32_e32 v50, 0x3f317218
	s_mov_b32 s16, 0x3f317218
	v_pk_mul_f32 v[50:51], v[52:53], v[50:51]
	v_fma_f32 v54, v52, s16, -v50
	v_fmac_f32_e32 v54, 0xb102e308, v52
	v_pk_add_f32 v[52:53], v[50:51], v[54:55]
	v_sub_f32_e32 v55, v53, v55
	v_ldexp_f32 v37, v37, 1
	v_sub_f32_e32 v55, v51, v55
	v_add_f32_e32 v65, v37, v55
	v_mov_b32_e32 v64, v50
	v_pk_add_f32 v[50:51], v[52:53], v[50:51] neg_lo:[0,1] neg_hi:[0,1]
	v_pk_add_f32 v[66:67], v[52:53], v[64:65]
	v_mov_b32_e32 v51, v67
	v_mov_b32_e32 v55, v52
	v_pk_add_f32 v[68:69], v[54:55], v[50:51] neg_lo:[0,1] neg_hi:[0,1]
	v_pk_add_f32 v[50:51], v[54:55], v[50:51]
	v_mov_b32_e32 v54, v51
	v_pk_add_f32 v[70:71], v[54:55], v[52:53] neg_lo:[0,1] neg_hi:[0,1]
	v_mov_b32_e32 v37, v70
	v_pk_add_f32 v[80:81], v[66:67], v[36:37] neg_lo:[0,1] neg_hi:[0,1]
	v_mov_b32_e32 v50, v67
	v_mov_b32_e32 v66, v53
	;; [unrolled: 1-line block ×4, first 2 shown]
	v_pk_add_f32 v[50:51], v[50:51], v[66:67] neg_lo:[0,1] neg_hi:[0,1]
	v_mov_b32_e32 v64, v65
	v_mov_b32_e32 v65, v52
	v_pk_add_f32 v[50:51], v[64:65], v[50:51] neg_lo:[0,1] neg_hi:[0,1]
	v_mov_b32_e32 v80, v68
	v_pk_add_f32 v[52:53], v[80:81], v[50:51]
	v_mov_b32_e32 v64, v53
	v_pk_add_f32 v[64:65], v[52:53], v[64:65]
	v_pk_add_f32 v[54:55], v[54:55], v[64:65]
	v_mov_b32_e32 v53, v54
	v_pk_add_f32 v[66:67], v[52:53], v[68:69] neg_lo:[0,1] neg_hi:[0,1]
	v_mov_b32_e32 v51, v64
	v_sub_f32_e32 v37, v52, v66
	v_pk_add_f32 v[50:51], v[50:51], v[66:67] neg_lo:[0,1] neg_hi:[0,1]
	v_sub_f32_e32 v37, v68, v37
	v_add_f32_e32 v37, v50, v37
	v_cmp_eq_f32_e64 s[16:17], s21, v82
	s_mov_b32 s21, 0x33800000
	v_add_f32_e32 v37, v37, v51
	v_cmp_lt_f32_e64 s[22:23], |v82|, s21
	v_add_f32_e32 v37, v54, v37
	s_or_b64 s[16:17], s[16:17], s[22:23]
	v_cndmask_b32_e64 v37, v37, v82, s[16:17]
	v_add_f32_e32 v50, v22, v37
.LBB472_270:
	s_or_b64 exec, exec, s[18:19]
	v_bfe_u32 v22, v50, 16, 1
	s_movk_i32 s22, 0x7fff
	v_add3_u32 v22, v50, v22, s22
	v_and_b32_e32 v22, 0xffff0000, v22
	v_mov_b32_e32 v37, 0x7fc00000
	v_cmp_o_f32_e64 s[16:17], v50, v50
	v_cndmask_b32_e64 v51, v37, v22, s[16:17]
	v_lshlrev_b32_sdwa v22, v36, v23 dst_sel:DWORD dst_unused:UNUSED_PAD src0_sel:DWORD src1_sel:WORD_0
	v_max_f32_e32 v50, v51, v51
	v_max_f32_e32 v36, v22, v22
	v_min_f32_e32 v52, v50, v36
	v_cmp_u_f32_e64 s[18:19], v51, v51
	v_max_f32_e32 v50, v50, v36
	v_cndmask_b32_e64 v52, v52, v51, s[18:19]
	v_cmp_u_f32_e64 s[16:17], v22, v22
	v_cndmask_b32_e64 v50, v50, v51, s[18:19]
	v_cndmask_b32_e64 v52, v52, v22, s[16:17]
	;; [unrolled: 1-line block ×3, first 2 shown]
	v_cmp_neq_f32_e64 s[18:19], v52, v50
	v_cmp_class_f32_e64 s[20:21], v52, s20
	s_or_b64 s[18:19], s[18:19], s[20:21]
	s_and_saveexec_b64 s[20:21], s[18:19]
	s_cbranch_execz .LBB472_272
; %bb.271:
	v_sub_f32_e32 v51, v52, v50
	s_mov_b32 s18, 0x3fb8aa3b
	v_mul_f32_e32 v52, 0x3fb8aa3b, v51
	v_fma_f32 v53, v51, s18, -v52
	v_rndne_f32_e32 v54, v52
	v_fmac_f32_e32 v53, 0x32a5705f, v51
	v_sub_f32_e32 v52, v52, v54
	v_add_f32_e32 v52, v52, v53
	v_exp_f32_e32 v52, v52
	v_cvt_i32_f32_e32 v53, v54
	s_mov_b32 s18, 0xc2ce8ed0
	v_cmp_ngt_f32_e64 s[18:19], s18, v51
	s_mov_b32 s23, 0x7f800000
	v_ldexp_f32 v52, v52, v53
	v_cndmask_b32_e64 v52, 0, v52, s[18:19]
	s_mov_b32 s18, 0x42b17218
	v_mov_b32_e32 v53, 0x7f800000
	v_cmp_nlt_f32_e64 s[18:19], s18, v51
	v_cndmask_b32_e64 v84, v53, v52, s[18:19]
	v_add_f32_e32 v51, 1.0, v84
	v_add_f32_e32 v52, -1.0, v51
	v_sub_f32_e32 v53, v52, v51
	v_add_f32_e32 v53, 1.0, v53
	v_sub_f32_e32 v52, v84, v52
	v_add_f32_e32 v54, v52, v53
	v_frexp_mant_f32_e32 v55, v51
	s_mov_b32 s18, 0x3f2aaaab
	v_cvt_f64_f32_e32 v[52:53], v51
	v_frexp_exp_i32_f64_e32 v52, v[52:53]
	v_cmp_gt_f32_e64 s[18:19], s18, v55
	v_subbrev_co_u32_e64 v68, s[18:19], 0, v52, s[18:19]
	v_sub_u32_e32 v52, 0, v68
	v_ldexp_f32 v51, v51, v52
	v_ldexp_f32 v52, v54, v52
	v_add_f32_e32 v54, -1.0, v51
	v_add_f32_e32 v53, 1.0, v54
	v_sub_f32_e32 v53, v51, v53
	v_add_f32_e32 v55, v52, v53
	v_add_f32_e32 v53, 1.0, v51
	v_add_f32_e32 v64, -1.0, v53
	v_sub_f32_e32 v51, v51, v64
	v_add_f32_e32 v51, v52, v51
	v_add_f32_e32 v69, v53, v51
	v_rcp_f32_e32 v70, v69
	v_sub_f32_e32 v52, v53, v69
	v_add_f32_e32 v53, v54, v55
	v_add_f32_e32 v51, v51, v52
	v_mul_f32_e32 v80, v53, v70
	v_sub_f32_e32 v52, v54, v53
	v_mul_f32_e32 v54, v69, v80
	v_fma_f32 v64, v80, v69, -v54
	v_fmac_f32_e32 v64, v80, v51
	v_add_f32_e32 v71, v55, v52
	v_add_f32_e32 v52, v54, v64
	v_sub_f32_e32 v55, v53, v52
	v_pk_add_f32 v[66:67], v[52:53], v[54:55] neg_lo:[0,1] neg_hi:[0,1]
	v_mov_b32_e32 v65, v52
	v_pk_add_f32 v[52:53], v[66:67], v[64:65] neg_lo:[0,1] neg_hi:[0,1]
	v_add_f32_e32 v53, v71, v53
	v_add_f32_e32 v52, v52, v53
	;; [unrolled: 1-line block ×3, first 2 shown]
	v_mul_f32_e32 v71, v70, v53
	v_mul_f32_e32 v54, v69, v71
	v_fma_f32 v64, v71, v69, -v54
	v_fmac_f32_e32 v64, v71, v51
	v_sub_f32_e32 v51, v55, v53
	v_add_f32_e32 v51, v52, v51
	v_add_f32_e32 v52, v54, v64
	v_sub_f32_e32 v55, v53, v52
	v_pk_add_f32 v[66:67], v[52:53], v[54:55] neg_lo:[0,1] neg_hi:[0,1]
	v_mov_b32_e32 v65, v52
	v_pk_add_f32 v[52:53], v[66:67], v[64:65] neg_lo:[0,1] neg_hi:[0,1]
	v_add_f32_e32 v51, v51, v53
	v_add_f32_e32 v51, v52, v51
	;; [unrolled: 1-line block ×4, first 2 shown]
	v_sub_f32_e32 v53, v52, v80
	v_mul_f32_e32 v51, v70, v51
	v_sub_f32_e32 v53, v71, v53
	v_add_f32_e32 v51, v53, v51
	v_add_f32_e32 v55, v52, v51
	v_mul_f32_e32 v64, v55, v55
	v_mov_b32_e32 v54, 0x3ecc95a3
	v_fmac_f32_e32 v54, 0x3e9b6dac, v64
	v_mov_b32_e32 v53, 0x3f2aaada
	v_fmac_f32_e32 v53, v64, v54
	v_cvt_f32_i32_e32 v54, v68
	v_sub_f32_e32 v52, v55, v52
	v_sub_f32_e32 v51, v51, v52
	v_ldexp_f32 v65, v55, 1
	v_mul_f32_e32 v55, v55, v64
	v_mov_b32_e32 v52, 0x3f317218
	s_mov_b32 s18, 0x3f317218
	v_pk_mul_f32 v[52:53], v[54:55], v[52:53]
	v_fma_f32 v64, v54, s18, -v52
	v_fmac_f32_e32 v64, 0xb102e308, v54
	v_pk_add_f32 v[54:55], v[52:53], v[64:65]
	v_sub_f32_e32 v65, v55, v65
	v_ldexp_f32 v51, v51, 1
	v_sub_f32_e32 v65, v53, v65
	v_add_f32_e32 v67, v51, v65
	v_mov_b32_e32 v66, v52
	v_pk_add_f32 v[52:53], v[54:55], v[52:53] neg_lo:[0,1] neg_hi:[0,1]
	v_pk_add_f32 v[68:69], v[54:55], v[66:67]
	v_mov_b32_e32 v53, v69
	v_mov_b32_e32 v65, v54
	v_pk_add_f32 v[70:71], v[64:65], v[52:53] neg_lo:[0,1] neg_hi:[0,1]
	v_pk_add_f32 v[52:53], v[64:65], v[52:53]
	v_mov_b32_e32 v64, v53
	v_pk_add_f32 v[80:81], v[64:65], v[54:55] neg_lo:[0,1] neg_hi:[0,1]
	v_mov_b32_e32 v51, v80
	v_pk_add_f32 v[82:83], v[68:69], v[50:51] neg_lo:[0,1] neg_hi:[0,1]
	v_mov_b32_e32 v52, v69
	v_mov_b32_e32 v68, v55
	;; [unrolled: 1-line block ×4, first 2 shown]
	v_pk_add_f32 v[52:53], v[52:53], v[68:69] neg_lo:[0,1] neg_hi:[0,1]
	v_mov_b32_e32 v66, v67
	v_mov_b32_e32 v67, v54
	v_pk_add_f32 v[52:53], v[66:67], v[52:53] neg_lo:[0,1] neg_hi:[0,1]
	v_mov_b32_e32 v82, v70
	v_pk_add_f32 v[54:55], v[82:83], v[52:53]
	v_mov_b32_e32 v66, v55
	v_pk_add_f32 v[66:67], v[54:55], v[66:67]
	v_pk_add_f32 v[64:65], v[64:65], v[66:67]
	v_mov_b32_e32 v55, v64
	v_pk_add_f32 v[68:69], v[54:55], v[70:71] neg_lo:[0,1] neg_hi:[0,1]
	v_mov_b32_e32 v53, v66
	v_sub_f32_e32 v51, v54, v68
	v_pk_add_f32 v[52:53], v[52:53], v[68:69] neg_lo:[0,1] neg_hi:[0,1]
	v_sub_f32_e32 v51, v70, v51
	v_add_f32_e32 v51, v52, v51
	v_cmp_eq_f32_e64 s[18:19], s23, v84
	s_mov_b32 s23, 0x33800000
	v_add_f32_e32 v51, v51, v53
	v_cmp_lt_f32_e64 s[24:25], |v84|, s23
	v_add_f32_e32 v51, v64, v51
	s_or_b64 s[18:19], s[18:19], s[24:25]
	v_cndmask_b32_e64 v51, v51, v84, s[18:19]
	v_add_f32_e32 v51, v50, v51
.LBB472_272:
	s_or_b64 exec, exec, s[20:21]
	v_bfe_u32 v50, v51, 16, 1
	v_add3_u32 v50, v51, v50, s22
	v_and_b32_e32 v50, 0xffff0000, v50
	v_cmp_o_f32_e64 s[18:19], v51, v51
	v_cndmask_b32_e64 v52, v37, v50, s[18:19]
	v_mov_b32_e32 v50, 16
	v_lshlrev_b32_sdwa v23, v50, v23 dst_sel:DWORD dst_unused:UNUSED_PAD src0_sel:DWORD src1_sel:WORD_1
	v_max_f32_e32 v51, v52, v52
	v_max_f32_e32 v37, v23, v23
	v_min_f32_e32 v53, v51, v37
	v_cmp_u_f32_e64 s[20:21], v52, v52
	v_max_f32_e32 v51, v51, v37
	v_cndmask_b32_e64 v53, v53, v52, s[20:21]
	v_cmp_u_f32_e64 s[18:19], v23, v23
	v_cndmask_b32_e64 v51, v51, v52, s[20:21]
	v_cndmask_b32_e64 v53, v53, v23, s[18:19]
	;; [unrolled: 1-line block ×3, first 2 shown]
	s_movk_i32 s24, 0x1f8
	v_cmp_neq_f32_e64 s[20:21], v53, v51
	v_cmp_class_f32_e64 s[22:23], v53, s24
	s_or_b64 s[20:21], s[20:21], s[22:23]
	s_and_saveexec_b64 s[22:23], s[20:21]
	s_cbranch_execz .LBB472_274
; %bb.273:
	v_sub_f32_e32 v52, v53, v51
	s_mov_b32 s20, 0x3fb8aa3b
	v_mul_f32_e32 v53, 0x3fb8aa3b, v52
	v_fma_f32 v54, v52, s20, -v53
	v_rndne_f32_e32 v55, v53
	v_fmac_f32_e32 v54, 0x32a5705f, v52
	v_sub_f32_e32 v53, v53, v55
	v_add_f32_e32 v53, v53, v54
	v_exp_f32_e32 v53, v53
	v_cvt_i32_f32_e32 v54, v55
	s_mov_b32 s20, 0xc2ce8ed0
	v_cmp_ngt_f32_e64 s[20:21], s20, v52
	s_mov_b32 s25, 0x7f800000
	v_ldexp_f32 v53, v53, v54
	v_cndmask_b32_e64 v53, 0, v53, s[20:21]
	s_mov_b32 s20, 0x42b17218
	v_mov_b32_e32 v54, 0x7f800000
	v_cmp_nlt_f32_e64 s[20:21], s20, v52
	v_cndmask_b32_e64 v84, v54, v53, s[20:21]
	v_add_f32_e32 v54, 1.0, v84
	v_add_f32_e32 v52, -1.0, v54
	v_sub_f32_e32 v53, v52, v54
	v_add_f32_e32 v53, 1.0, v53
	v_sub_f32_e32 v52, v84, v52
	v_add_f32_e32 v55, v52, v53
	v_frexp_mant_f32_e32 v64, v54
	s_mov_b32 s20, 0x3f2aaaab
	v_cvt_f64_f32_e32 v[52:53], v54
	v_frexp_exp_i32_f64_e32 v52, v[52:53]
	v_cmp_gt_f32_e64 s[20:21], s20, v64
	v_subbrev_co_u32_e64 v68, s[20:21], 0, v52, s[20:21]
	v_sub_u32_e32 v52, 0, v68
	v_ldexp_f32 v53, v54, v52
	v_add_f32_e32 v54, -1.0, v53
	v_add_f32_e32 v64, 1.0, v53
	v_ldexp_f32 v52, v55, v52
	v_add_f32_e32 v55, 1.0, v54
	v_add_f32_e32 v65, -1.0, v64
	v_sub_f32_e32 v55, v53, v55
	v_sub_f32_e32 v53, v53, v65
	v_add_f32_e32 v55, v52, v55
	v_add_f32_e32 v52, v52, v53
	;; [unrolled: 1-line block ×3, first 2 shown]
	v_rcp_f32_e32 v71, v69
	v_sub_f32_e32 v53, v64, v69
	v_add_f32_e32 v70, v52, v53
	v_add_f32_e32 v53, v54, v55
	v_mul_f32_e32 v81, v53, v71
	v_sub_f32_e32 v52, v54, v53
	v_mul_f32_e32 v54, v69, v81
	v_fma_f32 v64, v81, v69, -v54
	v_fmac_f32_e32 v64, v81, v70
	v_add_f32_e32 v80, v55, v52
	v_add_f32_e32 v52, v54, v64
	v_sub_f32_e32 v55, v53, v52
	v_pk_add_f32 v[66:67], v[52:53], v[54:55] neg_lo:[0,1] neg_hi:[0,1]
	v_mov_b32_e32 v65, v52
	v_pk_add_f32 v[52:53], v[66:67], v[64:65] neg_lo:[0,1] neg_hi:[0,1]
	v_add_f32_e32 v53, v80, v53
	v_add_f32_e32 v52, v52, v53
	;; [unrolled: 1-line block ×3, first 2 shown]
	v_mul_f32_e32 v80, v71, v53
	v_mul_f32_e32 v54, v69, v80
	v_fma_f32 v64, v80, v69, -v54
	v_fmac_f32_e32 v64, v80, v70
	v_sub_f32_e32 v55, v55, v53
	v_add_f32_e32 v69, v52, v55
	v_add_f32_e32 v52, v54, v64
	v_sub_f32_e32 v55, v53, v52
	v_pk_add_f32 v[66:67], v[52:53], v[54:55] neg_lo:[0,1] neg_hi:[0,1]
	v_mov_b32_e32 v65, v52
	v_pk_add_f32 v[52:53], v[66:67], v[64:65] neg_lo:[0,1] neg_hi:[0,1]
	v_add_f32_e32 v53, v69, v53
	v_add_f32_e32 v52, v52, v53
	;; [unrolled: 1-line block ×4, first 2 shown]
	v_sub_f32_e32 v53, v55, v81
	v_mul_f32_e32 v52, v71, v52
	v_sub_f32_e32 v53, v80, v53
	v_add_f32_e32 v52, v53, v52
	v_add_f32_e32 v64, v55, v52
	v_mul_f32_e32 v66, v64, v64
	v_mov_b32_e32 v54, 0x3ecc95a3
	v_fmac_f32_e32 v54, 0x3e9b6dac, v66
	v_mov_b32_e32 v53, 0x3f2aaada
	v_fmac_f32_e32 v53, v66, v54
	v_cvt_f32_i32_e32 v54, v68
	v_sub_f32_e32 v55, v64, v55
	v_sub_f32_e32 v52, v52, v55
	v_ldexp_f32 v67, v52, 1
	v_mul_f32_e32 v55, v64, v66
	v_mov_b32_e32 v52, 0x3f317218
	s_mov_b32 s20, 0x3f317218
	v_pk_mul_f32 v[52:53], v[54:55], v[52:53]
	v_ldexp_f32 v65, v64, 1
	v_fma_f32 v64, v54, s20, -v52
	v_fmac_f32_e32 v64, 0xb102e308, v54
	v_pk_add_f32 v[54:55], v[52:53], v[64:65]
	v_sub_f32_e32 v65, v55, v65
	v_sub_f32_e32 v65, v53, v65
	v_add_f32_e32 v67, v67, v65
	v_mov_b32_e32 v66, v52
	v_pk_add_f32 v[52:53], v[54:55], v[52:53] neg_lo:[0,1] neg_hi:[0,1]
	v_pk_add_f32 v[68:69], v[54:55], v[66:67]
	v_mov_b32_e32 v53, v69
	v_mov_b32_e32 v65, v54
	v_pk_add_f32 v[70:71], v[64:65], v[52:53] neg_lo:[0,1] neg_hi:[0,1]
	v_pk_add_f32 v[52:53], v[64:65], v[52:53]
	v_mov_b32_e32 v64, v53
	v_pk_add_f32 v[80:81], v[64:65], v[54:55] neg_lo:[0,1] neg_hi:[0,1]
	v_mov_b32_e32 v65, v80
	v_pk_add_f32 v[82:83], v[68:69], v[64:65] neg_lo:[0,1] neg_hi:[0,1]
	v_mov_b32_e32 v52, v69
	v_mov_b32_e32 v68, v55
	;; [unrolled: 1-line block ×4, first 2 shown]
	v_pk_add_f32 v[52:53], v[52:53], v[68:69] neg_lo:[0,1] neg_hi:[0,1]
	v_mov_b32_e32 v66, v67
	v_mov_b32_e32 v67, v54
	v_pk_add_f32 v[52:53], v[66:67], v[52:53] neg_lo:[0,1] neg_hi:[0,1]
	v_mov_b32_e32 v82, v70
	v_pk_add_f32 v[54:55], v[82:83], v[52:53]
	v_mov_b32_e32 v66, v55
	v_pk_add_f32 v[66:67], v[54:55], v[66:67]
	v_pk_add_f32 v[64:65], v[64:65], v[66:67]
	v_mov_b32_e32 v55, v64
	v_pk_add_f32 v[68:69], v[54:55], v[70:71] neg_lo:[0,1] neg_hi:[0,1]
	v_mov_b32_e32 v53, v66
	v_sub_f32_e32 v54, v54, v68
	v_pk_add_f32 v[52:53], v[52:53], v[68:69] neg_lo:[0,1] neg_hi:[0,1]
	v_sub_f32_e32 v54, v70, v54
	v_add_f32_e32 v52, v52, v54
	v_cmp_eq_f32_e64 s[20:21], s25, v84
	s_mov_b32 s25, 0x33800000
	v_add_f32_e32 v52, v52, v53
	v_cmp_lt_f32_e64 s[26:27], |v84|, s25
	v_add_f32_e32 v52, v64, v52
	s_or_b64 s[20:21], s[20:21], s[26:27]
	v_cndmask_b32_e64 v52, v52, v84, s[20:21]
	v_add_f32_e32 v52, v51, v52
.LBB472_274:
	s_or_b64 exec, exec, s[22:23]
	v_bfe_u32 v51, v52, 16, 1
	s_movk_i32 s26, 0x7fff
	v_add3_u32 v51, v52, v51, s26
	v_and_b32_e32 v53, 0xffff0000, v51
	v_mov_b32_e32 v51, 0x7fc00000
	v_cmp_o_f32_e64 s[20:21], v52, v52
	v_cndmask_b32_e64 v54, v51, v53, s[20:21]
	v_lshlrev_b32_sdwa v50, v50, v16 dst_sel:DWORD dst_unused:UNUSED_PAD src0_sel:DWORD src1_sel:WORD_0
	v_max_f32_e32 v53, v54, v54
	v_max_f32_e32 v52, v50, v50
	v_min_f32_e32 v55, v53, v52
	v_cmp_u_f32_e64 s[22:23], v54, v54
	v_max_f32_e32 v53, v53, v52
	v_cndmask_b32_e64 v55, v55, v54, s[22:23]
	v_cmp_u_f32_e64 s[20:21], v50, v50
	v_cndmask_b32_e64 v53, v53, v54, s[22:23]
	v_cndmask_b32_e64 v55, v55, v50, s[20:21]
	;; [unrolled: 1-line block ×3, first 2 shown]
	v_cmp_neq_f32_e64 s[22:23], v55, v53
	v_cmp_class_f32_e64 s[24:25], v55, s24
	s_or_b64 s[22:23], s[22:23], s[24:25]
	s_and_saveexec_b64 s[24:25], s[22:23]
	s_cbranch_execz .LBB472_276
; %bb.275:
	v_sub_f32_e32 v54, v55, v53
	s_mov_b32 s22, 0x3fb8aa3b
	v_mul_f32_e32 v55, 0x3fb8aa3b, v54
	v_fma_f32 v64, v54, s22, -v55
	v_rndne_f32_e32 v65, v55
	v_fmac_f32_e32 v64, 0x32a5705f, v54
	v_sub_f32_e32 v55, v55, v65
	v_add_f32_e32 v55, v55, v64
	v_exp_f32_e32 v55, v55
	v_cvt_i32_f32_e32 v64, v65
	s_mov_b32 s22, 0xc2ce8ed0
	v_cmp_ngt_f32_e64 s[22:23], s22, v54
	s_mov_b32 s27, 0x7f800000
	v_ldexp_f32 v55, v55, v64
	v_cndmask_b32_e64 v55, 0, v55, s[22:23]
	s_mov_b32 s22, 0x42b17218
	v_mov_b32_e32 v64, 0x7f800000
	v_cmp_nlt_f32_e64 s[22:23], s22, v54
	v_cndmask_b32_e64 v86, v64, v55, s[22:23]
	v_add_f32_e32 v64, 1.0, v86
	v_add_f32_e32 v54, -1.0, v64
	v_sub_f32_e32 v55, v54, v64
	v_add_f32_e32 v55, 1.0, v55
	v_sub_f32_e32 v54, v86, v54
	v_add_f32_e32 v65, v54, v55
	v_frexp_mant_f32_e32 v66, v64
	s_mov_b32 s22, 0x3f2aaaab
	v_cvt_f64_f32_e32 v[54:55], v64
	v_frexp_exp_i32_f64_e32 v54, v[54:55]
	v_cmp_gt_f32_e64 s[22:23], s22, v66
	v_subbrev_co_u32_e64 v70, s[22:23], 0, v54, s[22:23]
	v_sub_u32_e32 v54, 0, v70
	v_ldexp_f32 v55, v64, v54
	v_add_f32_e32 v64, -1.0, v55
	v_add_f32_e32 v66, 1.0, v55
	v_ldexp_f32 v54, v65, v54
	v_add_f32_e32 v65, 1.0, v64
	v_add_f32_e32 v67, -1.0, v66
	v_sub_f32_e32 v65, v55, v65
	v_sub_f32_e32 v55, v55, v67
	v_add_f32_e32 v65, v54, v65
	v_add_f32_e32 v54, v54, v55
	;; [unrolled: 1-line block ×3, first 2 shown]
	v_rcp_f32_e32 v81, v71
	v_sub_f32_e32 v55, v66, v71
	v_add_f32_e32 v80, v54, v55
	v_add_f32_e32 v55, v64, v65
	v_mul_f32_e32 v83, v55, v81
	v_sub_f32_e32 v54, v64, v55
	v_mul_f32_e32 v64, v71, v83
	v_fma_f32 v66, v83, v71, -v64
	v_fmac_f32_e32 v66, v83, v80
	v_add_f32_e32 v82, v65, v54
	v_add_f32_e32 v54, v64, v66
	v_sub_f32_e32 v65, v55, v54
	v_pk_add_f32 v[68:69], v[54:55], v[64:65] neg_lo:[0,1] neg_hi:[0,1]
	v_mov_b32_e32 v67, v54
	v_pk_add_f32 v[54:55], v[68:69], v[66:67] neg_lo:[0,1] neg_hi:[0,1]
	v_add_f32_e32 v55, v82, v55
	v_add_f32_e32 v54, v54, v55
	;; [unrolled: 1-line block ×3, first 2 shown]
	v_mul_f32_e32 v82, v81, v55
	v_mul_f32_e32 v64, v71, v82
	v_fma_f32 v66, v82, v71, -v64
	v_fmac_f32_e32 v66, v82, v80
	v_sub_f32_e32 v65, v65, v55
	v_add_f32_e32 v71, v54, v65
	v_add_f32_e32 v54, v64, v66
	v_sub_f32_e32 v65, v55, v54
	v_pk_add_f32 v[68:69], v[54:55], v[64:65] neg_lo:[0,1] neg_hi:[0,1]
	v_mov_b32_e32 v67, v54
	v_pk_add_f32 v[54:55], v[68:69], v[66:67] neg_lo:[0,1] neg_hi:[0,1]
	v_add_f32_e32 v55, v71, v55
	v_add_f32_e32 v54, v54, v55
	;; [unrolled: 1-line block ×4, first 2 shown]
	v_sub_f32_e32 v55, v65, v83
	v_mul_f32_e32 v54, v81, v54
	v_sub_f32_e32 v55, v82, v55
	v_add_f32_e32 v54, v55, v54
	v_add_f32_e32 v66, v65, v54
	v_mul_f32_e32 v68, v66, v66
	v_mov_b32_e32 v64, 0x3ecc95a3
	v_fmac_f32_e32 v64, 0x3e9b6dac, v68
	v_mov_b32_e32 v55, 0x3f2aaada
	v_fmac_f32_e32 v55, v68, v64
	v_cvt_f32_i32_e32 v64, v70
	v_sub_f32_e32 v65, v66, v65
	v_sub_f32_e32 v54, v54, v65
	v_ldexp_f32 v69, v54, 1
	v_mul_f32_e32 v65, v66, v68
	v_mov_b32_e32 v54, 0x3f317218
	s_mov_b32 s22, 0x3f317218
	v_pk_mul_f32 v[54:55], v[64:65], v[54:55]
	v_ldexp_f32 v67, v66, 1
	v_fma_f32 v66, v64, s22, -v54
	v_fmac_f32_e32 v66, 0xb102e308, v64
	v_pk_add_f32 v[64:65], v[54:55], v[66:67]
	v_sub_f32_e32 v67, v65, v67
	v_sub_f32_e32 v67, v55, v67
	v_add_f32_e32 v69, v69, v67
	v_mov_b32_e32 v68, v54
	v_pk_add_f32 v[54:55], v[64:65], v[54:55] neg_lo:[0,1] neg_hi:[0,1]
	v_pk_add_f32 v[70:71], v[64:65], v[68:69]
	v_mov_b32_e32 v55, v71
	v_mov_b32_e32 v67, v64
	v_pk_add_f32 v[80:81], v[66:67], v[54:55] neg_lo:[0,1] neg_hi:[0,1]
	v_pk_add_f32 v[54:55], v[66:67], v[54:55]
	v_mov_b32_e32 v66, v55
	v_pk_add_f32 v[82:83], v[66:67], v[64:65] neg_lo:[0,1] neg_hi:[0,1]
	v_mov_b32_e32 v67, v82
	v_pk_add_f32 v[84:85], v[70:71], v[66:67] neg_lo:[0,1] neg_hi:[0,1]
	v_mov_b32_e32 v54, v71
	v_mov_b32_e32 v70, v65
	;; [unrolled: 1-line block ×4, first 2 shown]
	v_pk_add_f32 v[54:55], v[54:55], v[70:71] neg_lo:[0,1] neg_hi:[0,1]
	v_mov_b32_e32 v68, v69
	v_mov_b32_e32 v69, v64
	v_pk_add_f32 v[54:55], v[68:69], v[54:55] neg_lo:[0,1] neg_hi:[0,1]
	v_mov_b32_e32 v84, v80
	v_pk_add_f32 v[64:65], v[84:85], v[54:55]
	v_mov_b32_e32 v68, v65
	v_pk_add_f32 v[68:69], v[64:65], v[68:69]
	v_pk_add_f32 v[66:67], v[66:67], v[68:69]
	v_mov_b32_e32 v65, v66
	v_pk_add_f32 v[70:71], v[64:65], v[80:81] neg_lo:[0,1] neg_hi:[0,1]
	v_mov_b32_e32 v55, v68
	v_sub_f32_e32 v64, v64, v70
	v_pk_add_f32 v[54:55], v[54:55], v[70:71] neg_lo:[0,1] neg_hi:[0,1]
	v_sub_f32_e32 v64, v80, v64
	v_add_f32_e32 v54, v54, v64
	v_cmp_eq_f32_e64 s[22:23], s27, v86
	s_mov_b32 s27, 0x33800000
	v_add_f32_e32 v54, v54, v55
	v_cmp_lt_f32_e64 s[28:29], |v86|, s27
	v_add_f32_e32 v54, v66, v54
	s_or_b64 s[22:23], s[22:23], s[28:29]
	v_cndmask_b32_e64 v54, v54, v86, s[22:23]
	v_add_f32_e32 v54, v53, v54
.LBB472_276:
	s_or_b64 exec, exec, s[24:25]
	v_bfe_u32 v53, v54, 16, 1
	v_add3_u32 v53, v54, v53, s26
	v_and_b32_e32 v53, 0xffff0000, v53
	v_cmp_o_f32_e64 s[22:23], v54, v54
	v_cndmask_b32_e64 v55, v51, v53, s[22:23]
	v_mov_b32_e32 v51, 16
	v_lshlrev_b32_sdwa v16, v51, v16 dst_sel:DWORD dst_unused:UNUSED_PAD src0_sel:DWORD src1_sel:WORD_1
	v_max_f32_e32 v54, v55, v55
	v_max_f32_e32 v53, v16, v16
	v_min_f32_e32 v64, v54, v53
	v_cmp_u_f32_e64 s[24:25], v55, v55
	v_max_f32_e32 v54, v54, v53
	v_cndmask_b32_e64 v64, v64, v55, s[24:25]
	v_cmp_u_f32_e64 s[22:23], v16, v16
	v_cndmask_b32_e64 v54, v54, v55, s[24:25]
	v_cndmask_b32_e64 v64, v64, v16, s[22:23]
	;; [unrolled: 1-line block ×3, first 2 shown]
	s_movk_i32 s28, 0x1f8
	v_cmp_neq_f32_e64 s[24:25], v64, v54
	v_cmp_class_f32_e64 s[26:27], v64, s28
	s_or_b64 s[24:25], s[24:25], s[26:27]
	s_and_saveexec_b64 s[26:27], s[24:25]
	s_cbranch_execz .LBB472_278
; %bb.277:
	v_sub_f32_e32 v55, v64, v54
	s_mov_b32 s24, 0x3fb8aa3b
	v_mul_f32_e32 v64, 0x3fb8aa3b, v55
	v_fma_f32 v65, v55, s24, -v64
	v_rndne_f32_e32 v66, v64
	v_fmac_f32_e32 v65, 0x32a5705f, v55
	v_sub_f32_e32 v64, v64, v66
	v_add_f32_e32 v64, v64, v65
	v_exp_f32_e32 v64, v64
	v_cvt_i32_f32_e32 v65, v66
	s_mov_b32 s24, 0xc2ce8ed0
	v_cmp_ngt_f32_e64 s[24:25], s24, v55
	s_mov_b32 s29, 0x7f800000
	v_ldexp_f32 v64, v64, v65
	v_cndmask_b32_e64 v64, 0, v64, s[24:25]
	s_mov_b32 s24, 0x42b17218
	v_mov_b32_e32 v65, 0x7f800000
	v_cmp_nlt_f32_e64 s[24:25], s24, v55
	v_cndmask_b32_e64 v96, v65, v64, s[24:25]
	v_add_f32_e32 v55, 1.0, v96
	v_add_f32_e32 v64, -1.0, v55
	v_sub_f32_e32 v65, v64, v55
	v_add_f32_e32 v65, 1.0, v65
	v_sub_f32_e32 v64, v96, v64
	v_add_f32_e32 v66, v64, v65
	v_frexp_mant_f32_e32 v67, v55
	s_mov_b32 s24, 0x3f2aaaab
	v_cvt_f64_f32_e32 v[64:65], v55
	v_frexp_exp_i32_f64_e32 v64, v[64:65]
	v_cmp_gt_f32_e64 s[24:25], s24, v67
	v_subbrev_co_u32_e64 v80, s[24:25], 0, v64, s[24:25]
	v_sub_u32_e32 v64, 0, v80
	v_ldexp_f32 v55, v55, v64
	v_ldexp_f32 v64, v66, v64
	v_add_f32_e32 v66, -1.0, v55
	v_add_f32_e32 v65, 1.0, v66
	v_sub_f32_e32 v65, v55, v65
	v_add_f32_e32 v67, v64, v65
	v_add_f32_e32 v65, 1.0, v55
	v_add_f32_e32 v68, -1.0, v65
	v_sub_f32_e32 v55, v55, v68
	v_add_f32_e32 v55, v64, v55
	v_add_f32_e32 v81, v65, v55
	v_rcp_f32_e32 v82, v81
	v_sub_f32_e32 v64, v65, v81
	v_add_f32_e32 v65, v66, v67
	v_add_f32_e32 v55, v55, v64
	v_mul_f32_e32 v84, v65, v82
	v_sub_f32_e32 v64, v66, v65
	v_mul_f32_e32 v66, v81, v84
	v_fma_f32 v68, v84, v81, -v66
	v_fmac_f32_e32 v68, v84, v55
	v_add_f32_e32 v83, v67, v64
	v_add_f32_e32 v64, v66, v68
	v_sub_f32_e32 v67, v65, v64
	v_pk_add_f32 v[70:71], v[64:65], v[66:67] neg_lo:[0,1] neg_hi:[0,1]
	v_mov_b32_e32 v69, v64
	v_pk_add_f32 v[64:65], v[70:71], v[68:69] neg_lo:[0,1] neg_hi:[0,1]
	v_add_f32_e32 v65, v83, v65
	v_add_f32_e32 v64, v64, v65
	;; [unrolled: 1-line block ×3, first 2 shown]
	v_mul_f32_e32 v83, v82, v65
	v_mul_f32_e32 v66, v81, v83
	v_fma_f32 v68, v83, v81, -v66
	v_fmac_f32_e32 v68, v83, v55
	v_sub_f32_e32 v55, v67, v65
	v_add_f32_e32 v55, v64, v55
	v_add_f32_e32 v64, v66, v68
	v_sub_f32_e32 v67, v65, v64
	v_pk_add_f32 v[70:71], v[64:65], v[66:67] neg_lo:[0,1] neg_hi:[0,1]
	v_mov_b32_e32 v69, v64
	v_pk_add_f32 v[64:65], v[70:71], v[68:69] neg_lo:[0,1] neg_hi:[0,1]
	v_add_f32_e32 v55, v55, v65
	v_add_f32_e32 v55, v64, v55
	;; [unrolled: 1-line block ×4, first 2 shown]
	v_sub_f32_e32 v65, v64, v84
	v_mul_f32_e32 v55, v82, v55
	v_sub_f32_e32 v65, v83, v65
	v_add_f32_e32 v55, v65, v55
	v_add_f32_e32 v67, v64, v55
	v_mul_f32_e32 v68, v67, v67
	v_mov_b32_e32 v66, 0x3ecc95a3
	v_fmac_f32_e32 v66, 0x3e9b6dac, v68
	v_mov_b32_e32 v65, 0x3f2aaada
	v_fmac_f32_e32 v65, v68, v66
	v_cvt_f32_i32_e32 v66, v80
	v_sub_f32_e32 v64, v67, v64
	v_sub_f32_e32 v55, v55, v64
	v_ldexp_f32 v69, v67, 1
	v_mul_f32_e32 v67, v67, v68
	v_mov_b32_e32 v64, 0x3f317218
	s_mov_b32 s24, 0x3f317218
	v_pk_mul_f32 v[64:65], v[66:67], v[64:65]
	v_fma_f32 v68, v66, s24, -v64
	v_fmac_f32_e32 v68, 0xb102e308, v66
	v_pk_add_f32 v[66:67], v[64:65], v[68:69]
	v_sub_f32_e32 v69, v67, v69
	v_ldexp_f32 v55, v55, 1
	v_sub_f32_e32 v69, v65, v69
	v_add_f32_e32 v71, v55, v69
	v_mov_b32_e32 v70, v64
	v_pk_add_f32 v[64:65], v[66:67], v[64:65] neg_lo:[0,1] neg_hi:[0,1]
	v_pk_add_f32 v[80:81], v[66:67], v[70:71]
	v_mov_b32_e32 v65, v81
	v_mov_b32_e32 v69, v66
	v_pk_add_f32 v[82:83], v[68:69], v[64:65] neg_lo:[0,1] neg_hi:[0,1]
	v_pk_add_f32 v[64:65], v[68:69], v[64:65]
	v_mov_b32_e32 v68, v65
	v_pk_add_f32 v[84:85], v[68:69], v[66:67] neg_lo:[0,1] neg_hi:[0,1]
	v_mov_b32_e32 v55, v84
	v_pk_add_f32 v[86:87], v[80:81], v[54:55] neg_lo:[0,1] neg_hi:[0,1]
	v_mov_b32_e32 v64, v81
	v_mov_b32_e32 v80, v67
	;; [unrolled: 1-line block ×4, first 2 shown]
	v_pk_add_f32 v[64:65], v[64:65], v[80:81] neg_lo:[0,1] neg_hi:[0,1]
	v_mov_b32_e32 v70, v71
	v_mov_b32_e32 v71, v66
	v_pk_add_f32 v[64:65], v[70:71], v[64:65] neg_lo:[0,1] neg_hi:[0,1]
	v_mov_b32_e32 v86, v82
	v_pk_add_f32 v[66:67], v[86:87], v[64:65]
	v_mov_b32_e32 v70, v67
	v_pk_add_f32 v[70:71], v[66:67], v[70:71]
	v_pk_add_f32 v[68:69], v[68:69], v[70:71]
	v_mov_b32_e32 v67, v68
	v_pk_add_f32 v[80:81], v[66:67], v[82:83] neg_lo:[0,1] neg_hi:[0,1]
	v_mov_b32_e32 v65, v70
	v_sub_f32_e32 v55, v66, v80
	v_pk_add_f32 v[64:65], v[64:65], v[80:81] neg_lo:[0,1] neg_hi:[0,1]
	v_sub_f32_e32 v55, v82, v55
	v_add_f32_e32 v55, v64, v55
	v_cmp_eq_f32_e64 s[24:25], s29, v96
	s_mov_b32 s29, 0x33800000
	v_add_f32_e32 v55, v55, v65
	v_cmp_lt_f32_e64 s[30:31], |v96|, s29
	v_add_f32_e32 v55, v68, v55
	s_or_b64 s[24:25], s[24:25], s[30:31]
	v_cndmask_b32_e64 v55, v55, v96, s[24:25]
	v_add_f32_e32 v55, v54, v55
.LBB472_278:
	s_or_b64 exec, exec, s[26:27]
	v_bfe_u32 v54, v55, 16, 1
	s_movk_i32 s30, 0x7fff
	v_add3_u32 v54, v55, v54, s30
	v_and_b32_e32 v64, 0xffff0000, v54
	v_mov_b32_e32 v54, 0x7fc00000
	v_cmp_o_f32_e64 s[24:25], v55, v55
	v_cndmask_b32_e64 v65, v54, v64, s[24:25]
	v_lshlrev_b32_sdwa v51, v51, v17 dst_sel:DWORD dst_unused:UNUSED_PAD src0_sel:DWORD src1_sel:WORD_0
	v_max_f32_e32 v64, v65, v65
	v_max_f32_e32 v55, v51, v51
	v_min_f32_e32 v66, v64, v55
	v_cmp_u_f32_e64 s[26:27], v65, v65
	v_max_f32_e32 v64, v64, v55
	v_cndmask_b32_e64 v66, v66, v65, s[26:27]
	v_cmp_u_f32_e64 s[24:25], v51, v51
	v_cndmask_b32_e64 v64, v64, v65, s[26:27]
	v_cndmask_b32_e64 v66, v66, v51, s[24:25]
	;; [unrolled: 1-line block ×3, first 2 shown]
	v_cmp_neq_f32_e64 s[26:27], v66, v64
	v_cmp_class_f32_e64 s[28:29], v66, s28
	s_or_b64 s[26:27], s[26:27], s[28:29]
	s_and_saveexec_b64 s[28:29], s[26:27]
	s_cbranch_execz .LBB472_280
; %bb.279:
	v_sub_f32_e32 v65, v66, v64
	s_mov_b32 s26, 0x3fb8aa3b
	v_mul_f32_e32 v66, 0x3fb8aa3b, v65
	v_fma_f32 v67, v65, s26, -v66
	v_rndne_f32_e32 v68, v66
	v_fmac_f32_e32 v67, 0x32a5705f, v65
	v_sub_f32_e32 v66, v66, v68
	v_add_f32_e32 v66, v66, v67
	v_exp_f32_e32 v66, v66
	v_cvt_i32_f32_e32 v67, v68
	s_mov_b32 s26, 0xc2ce8ed0
	v_cmp_ngt_f32_e64 s[26:27], s26, v65
	s_mov_b32 s31, 0x7f800000
	v_ldexp_f32 v66, v66, v67
	v_cndmask_b32_e64 v66, 0, v66, s[26:27]
	s_mov_b32 s26, 0x42b17218
	v_mov_b32_e32 v67, 0x7f800000
	v_cmp_nlt_f32_e64 s[26:27], s26, v65
	v_cndmask_b32_e64 v101, v67, v66, s[26:27]
	v_add_f32_e32 v65, 1.0, v101
	v_add_f32_e32 v66, -1.0, v65
	v_sub_f32_e32 v67, v66, v65
	v_add_f32_e32 v67, 1.0, v67
	v_sub_f32_e32 v66, v101, v66
	v_add_f32_e32 v68, v66, v67
	v_frexp_mant_f32_e32 v69, v65
	s_mov_b32 s26, 0x3f2aaaab
	v_cvt_f64_f32_e32 v[66:67], v65
	v_frexp_exp_i32_f64_e32 v66, v[66:67]
	v_cmp_gt_f32_e64 s[26:27], s26, v69
	v_subbrev_co_u32_e64 v82, s[26:27], 0, v66, s[26:27]
	v_sub_u32_e32 v66, 0, v82
	v_ldexp_f32 v65, v65, v66
	v_ldexp_f32 v66, v68, v66
	v_add_f32_e32 v68, -1.0, v65
	v_add_f32_e32 v67, 1.0, v68
	v_sub_f32_e32 v67, v65, v67
	v_add_f32_e32 v69, v66, v67
	v_add_f32_e32 v67, 1.0, v65
	v_add_f32_e32 v70, -1.0, v67
	v_sub_f32_e32 v65, v65, v70
	v_add_f32_e32 v65, v66, v65
	v_add_f32_e32 v83, v67, v65
	v_rcp_f32_e32 v84, v83
	v_sub_f32_e32 v66, v67, v83
	v_add_f32_e32 v67, v68, v69
	v_add_f32_e32 v65, v65, v66
	v_mul_f32_e32 v86, v67, v84
	v_sub_f32_e32 v66, v68, v67
	v_mul_f32_e32 v68, v83, v86
	v_fma_f32 v70, v86, v83, -v68
	v_fmac_f32_e32 v70, v86, v65
	v_add_f32_e32 v85, v69, v66
	v_add_f32_e32 v66, v68, v70
	v_sub_f32_e32 v69, v67, v66
	v_pk_add_f32 v[80:81], v[66:67], v[68:69] neg_lo:[0,1] neg_hi:[0,1]
	v_mov_b32_e32 v71, v66
	v_pk_add_f32 v[66:67], v[80:81], v[70:71] neg_lo:[0,1] neg_hi:[0,1]
	v_add_f32_e32 v67, v85, v67
	v_add_f32_e32 v66, v66, v67
	;; [unrolled: 1-line block ×3, first 2 shown]
	v_mul_f32_e32 v85, v84, v67
	v_mul_f32_e32 v68, v83, v85
	v_fma_f32 v70, v85, v83, -v68
	v_fmac_f32_e32 v70, v85, v65
	v_sub_f32_e32 v65, v69, v67
	v_add_f32_e32 v65, v66, v65
	v_add_f32_e32 v66, v68, v70
	v_sub_f32_e32 v69, v67, v66
	v_pk_add_f32 v[80:81], v[66:67], v[68:69] neg_lo:[0,1] neg_hi:[0,1]
	v_mov_b32_e32 v71, v66
	v_pk_add_f32 v[66:67], v[80:81], v[70:71] neg_lo:[0,1] neg_hi:[0,1]
	v_add_f32_e32 v65, v65, v67
	v_add_f32_e32 v65, v66, v65
	;; [unrolled: 1-line block ×4, first 2 shown]
	v_sub_f32_e32 v67, v66, v86
	v_mul_f32_e32 v65, v84, v65
	v_sub_f32_e32 v67, v85, v67
	v_add_f32_e32 v65, v67, v65
	v_add_f32_e32 v69, v66, v65
	v_mul_f32_e32 v70, v69, v69
	v_mov_b32_e32 v68, 0x3ecc95a3
	v_fmac_f32_e32 v68, 0x3e9b6dac, v70
	v_mov_b32_e32 v67, 0x3f2aaada
	v_fmac_f32_e32 v67, v70, v68
	v_cvt_f32_i32_e32 v68, v82
	v_sub_f32_e32 v66, v69, v66
	v_sub_f32_e32 v65, v65, v66
	v_ldexp_f32 v71, v69, 1
	v_mul_f32_e32 v69, v69, v70
	v_mov_b32_e32 v66, 0x3f317218
	s_mov_b32 s26, 0x3f317218
	v_pk_mul_f32 v[66:67], v[68:69], v[66:67]
	v_fma_f32 v70, v68, s26, -v66
	v_fmac_f32_e32 v70, 0xb102e308, v68
	v_pk_add_f32 v[68:69], v[66:67], v[70:71]
	v_sub_f32_e32 v71, v69, v71
	v_ldexp_f32 v65, v65, 1
	v_sub_f32_e32 v71, v67, v71
	v_add_f32_e32 v81, v65, v71
	v_mov_b32_e32 v80, v66
	v_pk_add_f32 v[66:67], v[68:69], v[66:67] neg_lo:[0,1] neg_hi:[0,1]
	v_pk_add_f32 v[82:83], v[68:69], v[80:81]
	v_mov_b32_e32 v67, v83
	v_mov_b32_e32 v71, v68
	v_pk_add_f32 v[84:85], v[70:71], v[66:67] neg_lo:[0,1] neg_hi:[0,1]
	v_pk_add_f32 v[66:67], v[70:71], v[66:67]
	v_mov_b32_e32 v70, v67
	v_pk_add_f32 v[86:87], v[70:71], v[68:69] neg_lo:[0,1] neg_hi:[0,1]
	v_mov_b32_e32 v65, v86
	v_pk_add_f32 v[96:97], v[82:83], v[64:65] neg_lo:[0,1] neg_hi:[0,1]
	v_mov_b32_e32 v66, v83
	v_mov_b32_e32 v82, v69
	;; [unrolled: 1-line block ×4, first 2 shown]
	v_pk_add_f32 v[66:67], v[66:67], v[82:83] neg_lo:[0,1] neg_hi:[0,1]
	v_mov_b32_e32 v80, v81
	v_mov_b32_e32 v81, v68
	v_pk_add_f32 v[66:67], v[80:81], v[66:67] neg_lo:[0,1] neg_hi:[0,1]
	v_mov_b32_e32 v96, v84
	v_pk_add_f32 v[68:69], v[96:97], v[66:67]
	v_mov_b32_e32 v80, v69
	v_pk_add_f32 v[80:81], v[68:69], v[80:81]
	v_pk_add_f32 v[70:71], v[70:71], v[80:81]
	v_mov_b32_e32 v69, v70
	v_pk_add_f32 v[82:83], v[68:69], v[84:85] neg_lo:[0,1] neg_hi:[0,1]
	v_mov_b32_e32 v67, v80
	v_sub_f32_e32 v65, v68, v82
	v_pk_add_f32 v[66:67], v[66:67], v[82:83] neg_lo:[0,1] neg_hi:[0,1]
	v_sub_f32_e32 v65, v84, v65
	v_add_f32_e32 v65, v66, v65
	v_cmp_eq_f32_e64 s[26:27], s31, v101
	s_mov_b32 s31, 0x33800000
	v_add_f32_e32 v65, v65, v67
	v_cmp_lt_f32_e64 s[34:35], |v101|, s31
	v_add_f32_e32 v65, v70, v65
	s_or_b64 s[26:27], s[26:27], s[34:35]
	v_cndmask_b32_e64 v65, v65, v101, s[26:27]
	v_add_f32_e32 v65, v64, v65
.LBB472_280:
	s_or_b64 exec, exec, s[28:29]
	v_bfe_u32 v64, v65, 16, 1
	v_add3_u32 v64, v65, v64, s30
	v_and_b32_e32 v64, 0xffff0000, v64
	v_cmp_o_f32_e64 s[26:27], v65, v65
	v_cndmask_b32_e64 v66, v54, v64, s[26:27]
	v_mov_b32_e32 v54, 16
	v_lshlrev_b32_sdwa v17, v54, v17 dst_sel:DWORD dst_unused:UNUSED_PAD src0_sel:DWORD src1_sel:WORD_1
	v_max_f32_e32 v65, v66, v66
	v_max_f32_e32 v64, v17, v17
	v_min_f32_e32 v67, v65, v64
	v_cmp_u_f32_e64 s[28:29], v66, v66
	v_max_f32_e32 v65, v65, v64
	v_cndmask_b32_e64 v67, v67, v66, s[28:29]
	v_cmp_u_f32_e64 s[26:27], v17, v17
	v_cndmask_b32_e64 v65, v65, v66, s[28:29]
	v_cndmask_b32_e64 v67, v67, v17, s[26:27]
	;; [unrolled: 1-line block ×3, first 2 shown]
	s_movk_i32 s34, 0x1f8
	v_cmp_neq_f32_e64 s[28:29], v67, v65
	v_cmp_class_f32_e64 s[30:31], v67, s34
	s_or_b64 s[28:29], s[28:29], s[30:31]
	s_and_saveexec_b64 s[30:31], s[28:29]
	s_cbranch_execz .LBB472_282
; %bb.281:
	v_sub_f32_e32 v66, v67, v65
	s_mov_b32 s28, 0x3fb8aa3b
	v_mul_f32_e32 v67, 0x3fb8aa3b, v66
	v_fma_f32 v68, v66, s28, -v67
	v_rndne_f32_e32 v69, v67
	v_fmac_f32_e32 v68, 0x32a5705f, v66
	v_sub_f32_e32 v67, v67, v69
	v_add_f32_e32 v67, v67, v68
	v_exp_f32_e32 v67, v67
	v_cvt_i32_f32_e32 v68, v69
	s_mov_b32 s28, 0xc2ce8ed0
	v_cmp_ngt_f32_e64 s[28:29], s28, v66
	s_mov_b32 s35, 0x7f800000
	v_ldexp_f32 v67, v67, v68
	v_cndmask_b32_e64 v67, 0, v67, s[28:29]
	s_mov_b32 s28, 0x42b17218
	v_mov_b32_e32 v68, 0x7f800000
	v_cmp_nlt_f32_e64 s[28:29], s28, v66
	v_cndmask_b32_e64 v101, v68, v67, s[28:29]
	v_add_f32_e32 v68, 1.0, v101
	v_add_f32_e32 v66, -1.0, v68
	v_sub_f32_e32 v67, v66, v68
	v_add_f32_e32 v67, 1.0, v67
	v_sub_f32_e32 v66, v101, v66
	v_add_f32_e32 v69, v66, v67
	v_frexp_mant_f32_e32 v70, v68
	s_mov_b32 s28, 0x3f2aaaab
	v_cvt_f64_f32_e32 v[66:67], v68
	v_frexp_exp_i32_f64_e32 v66, v[66:67]
	v_cmp_gt_f32_e64 s[28:29], s28, v70
	v_subbrev_co_u32_e64 v82, s[28:29], 0, v66, s[28:29]
	v_sub_u32_e32 v66, 0, v82
	v_ldexp_f32 v67, v68, v66
	v_add_f32_e32 v68, -1.0, v67
	v_add_f32_e32 v70, 1.0, v67
	v_ldexp_f32 v66, v69, v66
	v_add_f32_e32 v69, 1.0, v68
	v_add_f32_e32 v71, -1.0, v70
	v_sub_f32_e32 v69, v67, v69
	v_sub_f32_e32 v67, v67, v71
	v_add_f32_e32 v69, v66, v69
	v_add_f32_e32 v66, v66, v67
	;; [unrolled: 1-line block ×3, first 2 shown]
	v_rcp_f32_e32 v85, v83
	v_sub_f32_e32 v67, v70, v83
	v_add_f32_e32 v84, v66, v67
	v_add_f32_e32 v67, v68, v69
	v_mul_f32_e32 v87, v67, v85
	v_sub_f32_e32 v66, v68, v67
	v_mul_f32_e32 v68, v83, v87
	v_fma_f32 v70, v87, v83, -v68
	v_fmac_f32_e32 v70, v87, v84
	v_add_f32_e32 v86, v69, v66
	v_add_f32_e32 v66, v68, v70
	v_sub_f32_e32 v69, v67, v66
	v_pk_add_f32 v[80:81], v[66:67], v[68:69] neg_lo:[0,1] neg_hi:[0,1]
	v_mov_b32_e32 v71, v66
	v_pk_add_f32 v[66:67], v[80:81], v[70:71] neg_lo:[0,1] neg_hi:[0,1]
	v_add_f32_e32 v67, v86, v67
	v_add_f32_e32 v66, v66, v67
	;; [unrolled: 1-line block ×3, first 2 shown]
	v_mul_f32_e32 v86, v85, v67
	v_mul_f32_e32 v68, v83, v86
	v_fma_f32 v70, v86, v83, -v68
	v_fmac_f32_e32 v70, v86, v84
	v_sub_f32_e32 v69, v69, v67
	v_add_f32_e32 v83, v66, v69
	v_add_f32_e32 v66, v68, v70
	v_sub_f32_e32 v69, v67, v66
	v_pk_add_f32 v[80:81], v[66:67], v[68:69] neg_lo:[0,1] neg_hi:[0,1]
	v_mov_b32_e32 v71, v66
	v_pk_add_f32 v[66:67], v[80:81], v[70:71] neg_lo:[0,1] neg_hi:[0,1]
	v_add_f32_e32 v67, v83, v67
	v_add_f32_e32 v66, v66, v67
	;; [unrolled: 1-line block ×4, first 2 shown]
	v_sub_f32_e32 v67, v69, v87
	v_mul_f32_e32 v66, v85, v66
	v_sub_f32_e32 v67, v86, v67
	v_add_f32_e32 v66, v67, v66
	v_add_f32_e32 v70, v69, v66
	v_mul_f32_e32 v80, v70, v70
	v_mov_b32_e32 v68, 0x3ecc95a3
	v_fmac_f32_e32 v68, 0x3e9b6dac, v80
	v_mov_b32_e32 v67, 0x3f2aaada
	v_fmac_f32_e32 v67, v80, v68
	v_cvt_f32_i32_e32 v68, v82
	v_sub_f32_e32 v69, v70, v69
	v_sub_f32_e32 v66, v66, v69
	v_ldexp_f32 v81, v66, 1
	v_mul_f32_e32 v69, v70, v80
	v_mov_b32_e32 v66, 0x3f317218
	s_mov_b32 s28, 0x3f317218
	v_pk_mul_f32 v[66:67], v[68:69], v[66:67]
	v_ldexp_f32 v71, v70, 1
	v_fma_f32 v70, v68, s28, -v66
	v_fmac_f32_e32 v70, 0xb102e308, v68
	v_pk_add_f32 v[68:69], v[66:67], v[70:71]
	v_sub_f32_e32 v71, v69, v71
	v_sub_f32_e32 v71, v67, v71
	v_add_f32_e32 v81, v81, v71
	v_mov_b32_e32 v80, v66
	v_pk_add_f32 v[66:67], v[68:69], v[66:67] neg_lo:[0,1] neg_hi:[0,1]
	v_pk_add_f32 v[82:83], v[68:69], v[80:81]
	v_mov_b32_e32 v67, v83
	v_mov_b32_e32 v71, v68
	v_pk_add_f32 v[84:85], v[70:71], v[66:67] neg_lo:[0,1] neg_hi:[0,1]
	v_pk_add_f32 v[66:67], v[70:71], v[66:67]
	v_mov_b32_e32 v70, v67
	v_pk_add_f32 v[86:87], v[70:71], v[68:69] neg_lo:[0,1] neg_hi:[0,1]
	v_mov_b32_e32 v71, v86
	v_pk_add_f32 v[96:97], v[82:83], v[70:71] neg_lo:[0,1] neg_hi:[0,1]
	v_mov_b32_e32 v66, v83
	v_mov_b32_e32 v82, v69
	;; [unrolled: 1-line block ×4, first 2 shown]
	v_pk_add_f32 v[66:67], v[66:67], v[82:83] neg_lo:[0,1] neg_hi:[0,1]
	v_mov_b32_e32 v80, v81
	v_mov_b32_e32 v81, v68
	v_pk_add_f32 v[66:67], v[80:81], v[66:67] neg_lo:[0,1] neg_hi:[0,1]
	v_mov_b32_e32 v96, v84
	v_pk_add_f32 v[68:69], v[96:97], v[66:67]
	v_mov_b32_e32 v80, v69
	v_pk_add_f32 v[80:81], v[68:69], v[80:81]
	v_pk_add_f32 v[70:71], v[70:71], v[80:81]
	v_mov_b32_e32 v69, v70
	v_pk_add_f32 v[82:83], v[68:69], v[84:85] neg_lo:[0,1] neg_hi:[0,1]
	v_mov_b32_e32 v67, v80
	v_sub_f32_e32 v68, v68, v82
	v_pk_add_f32 v[66:67], v[66:67], v[82:83] neg_lo:[0,1] neg_hi:[0,1]
	v_sub_f32_e32 v68, v84, v68
	v_add_f32_e32 v66, v66, v68
	v_cmp_eq_f32_e64 s[28:29], s35, v101
	s_mov_b32 s35, 0x33800000
	v_add_f32_e32 v66, v66, v67
	v_cmp_lt_f32_e64 s[36:37], |v101|, s35
	v_add_f32_e32 v66, v70, v66
	s_or_b64 s[28:29], s[28:29], s[36:37]
	v_cndmask_b32_e64 v66, v66, v101, s[28:29]
	v_add_f32_e32 v66, v65, v66
.LBB472_282:
	s_or_b64 exec, exec, s[30:31]
	v_bfe_u32 v65, v66, 16, 1
	s_movk_i32 s36, 0x7fff
	v_add3_u32 v65, v66, v65, s36
	v_and_b32_e32 v67, 0xffff0000, v65
	v_mov_b32_e32 v65, 0x7fc00000
	v_cmp_o_f32_e64 s[28:29], v66, v66
	v_cndmask_b32_e64 v68, v65, v67, s[28:29]
	v_lshlrev_b32_sdwa v54, v54, v18 dst_sel:DWORD dst_unused:UNUSED_PAD src0_sel:DWORD src1_sel:WORD_0
	v_max_f32_e32 v67, v68, v68
	v_max_f32_e32 v66, v54, v54
	v_min_f32_e32 v69, v67, v66
	v_cmp_u_f32_e64 s[30:31], v68, v68
	v_max_f32_e32 v67, v67, v66
	v_cndmask_b32_e64 v69, v69, v68, s[30:31]
	v_cmp_u_f32_e64 s[28:29], v54, v54
	v_cndmask_b32_e64 v67, v67, v68, s[30:31]
	v_cndmask_b32_e64 v69, v69, v54, s[28:29]
	;; [unrolled: 1-line block ×3, first 2 shown]
	v_cmp_neq_f32_e64 s[30:31], v69, v67
	v_cmp_class_f32_e64 s[34:35], v69, s34
	s_or_b64 s[30:31], s[30:31], s[34:35]
	s_and_saveexec_b64 s[34:35], s[30:31]
	s_cbranch_execz .LBB472_284
; %bb.283:
	v_sub_f32_e32 v68, v69, v67
	s_mov_b32 s30, 0x3fb8aa3b
	v_mul_f32_e32 v69, 0x3fb8aa3b, v68
	v_fma_f32 v70, v68, s30, -v69
	v_rndne_f32_e32 v71, v69
	v_fmac_f32_e32 v70, 0x32a5705f, v68
	v_sub_f32_e32 v69, v69, v71
	v_add_f32_e32 v69, v69, v70
	v_exp_f32_e32 v69, v69
	v_cvt_i32_f32_e32 v70, v71
	s_mov_b32 s30, 0xc2ce8ed0
	v_cmp_ngt_f32_e64 s[30:31], s30, v68
	s_mov_b32 s37, 0x7f800000
	v_ldexp_f32 v69, v69, v70
	v_cndmask_b32_e64 v69, 0, v69, s[30:31]
	s_mov_b32 s30, 0x42b17218
	v_mov_b32_e32 v70, 0x7f800000
	v_cmp_nlt_f32_e64 s[30:31], s30, v68
	v_cndmask_b32_e64 v101, v70, v69, s[30:31]
	v_add_f32_e32 v70, 1.0, v101
	v_add_f32_e32 v68, -1.0, v70
	v_sub_f32_e32 v69, v68, v70
	v_add_f32_e32 v69, 1.0, v69
	v_sub_f32_e32 v68, v101, v68
	v_add_f32_e32 v71, v68, v69
	v_frexp_mant_f32_e32 v80, v70
	s_mov_b32 s30, 0x3f2aaaab
	v_cvt_f64_f32_e32 v[68:69], v70
	v_frexp_exp_i32_f64_e32 v68, v[68:69]
	v_cmp_gt_f32_e64 s[30:31], s30, v80
	v_subbrev_co_u32_e64 v84, s[30:31], 0, v68, s[30:31]
	v_sub_u32_e32 v68, 0, v84
	v_ldexp_f32 v69, v70, v68
	v_add_f32_e32 v70, -1.0, v69
	v_add_f32_e32 v80, 1.0, v69
	v_ldexp_f32 v68, v71, v68
	v_add_f32_e32 v71, 1.0, v70
	v_add_f32_e32 v81, -1.0, v80
	v_sub_f32_e32 v71, v69, v71
	v_sub_f32_e32 v69, v69, v81
	v_add_f32_e32 v71, v68, v71
	v_add_f32_e32 v68, v68, v69
	;; [unrolled: 1-line block ×3, first 2 shown]
	v_rcp_f32_e32 v87, v85
	v_sub_f32_e32 v69, v80, v85
	v_add_f32_e32 v86, v68, v69
	v_add_f32_e32 v69, v70, v71
	v_mul_f32_e32 v97, v69, v87
	v_sub_f32_e32 v68, v70, v69
	v_mul_f32_e32 v70, v85, v97
	v_fma_f32 v80, v97, v85, -v70
	v_fmac_f32_e32 v80, v97, v86
	v_add_f32_e32 v96, v71, v68
	v_add_f32_e32 v68, v70, v80
	v_sub_f32_e32 v71, v69, v68
	v_pk_add_f32 v[82:83], v[68:69], v[70:71] neg_lo:[0,1] neg_hi:[0,1]
	v_mov_b32_e32 v81, v68
	v_pk_add_f32 v[68:69], v[82:83], v[80:81] neg_lo:[0,1] neg_hi:[0,1]
	v_add_f32_e32 v69, v96, v69
	v_add_f32_e32 v68, v68, v69
	;; [unrolled: 1-line block ×3, first 2 shown]
	v_mul_f32_e32 v96, v87, v69
	v_mul_f32_e32 v70, v85, v96
	v_fma_f32 v80, v96, v85, -v70
	v_fmac_f32_e32 v80, v96, v86
	v_sub_f32_e32 v71, v71, v69
	v_add_f32_e32 v85, v68, v71
	v_add_f32_e32 v68, v70, v80
	v_sub_f32_e32 v71, v69, v68
	v_pk_add_f32 v[82:83], v[68:69], v[70:71] neg_lo:[0,1] neg_hi:[0,1]
	v_mov_b32_e32 v81, v68
	v_pk_add_f32 v[68:69], v[82:83], v[80:81] neg_lo:[0,1] neg_hi:[0,1]
	v_add_f32_e32 v69, v85, v69
	v_add_f32_e32 v68, v68, v69
	;; [unrolled: 1-line block ×4, first 2 shown]
	v_sub_f32_e32 v69, v71, v97
	v_mul_f32_e32 v68, v87, v68
	v_sub_f32_e32 v69, v96, v69
	v_add_f32_e32 v68, v69, v68
	v_add_f32_e32 v80, v71, v68
	v_mul_f32_e32 v82, v80, v80
	v_mov_b32_e32 v70, 0x3ecc95a3
	v_fmac_f32_e32 v70, 0x3e9b6dac, v82
	v_mov_b32_e32 v69, 0x3f2aaada
	v_fmac_f32_e32 v69, v82, v70
	v_cvt_f32_i32_e32 v70, v84
	v_sub_f32_e32 v71, v80, v71
	v_sub_f32_e32 v68, v68, v71
	v_ldexp_f32 v83, v68, 1
	v_mul_f32_e32 v71, v80, v82
	v_mov_b32_e32 v68, 0x3f317218
	s_mov_b32 s30, 0x3f317218
	v_pk_mul_f32 v[68:69], v[70:71], v[68:69]
	v_ldexp_f32 v81, v80, 1
	v_fma_f32 v80, v70, s30, -v68
	v_fmac_f32_e32 v80, 0xb102e308, v70
	v_pk_add_f32 v[70:71], v[68:69], v[80:81]
	v_sub_f32_e32 v81, v71, v81
	v_sub_f32_e32 v81, v69, v81
	v_add_f32_e32 v83, v83, v81
	v_mov_b32_e32 v82, v68
	v_pk_add_f32 v[68:69], v[70:71], v[68:69] neg_lo:[0,1] neg_hi:[0,1]
	v_pk_add_f32 v[84:85], v[70:71], v[82:83]
	v_mov_b32_e32 v69, v85
	v_mov_b32_e32 v81, v70
	v_pk_add_f32 v[86:87], v[80:81], v[68:69] neg_lo:[0,1] neg_hi:[0,1]
	v_pk_add_f32 v[68:69], v[80:81], v[68:69]
	v_mov_b32_e32 v80, v69
	v_pk_add_f32 v[96:97], v[80:81], v[70:71] neg_lo:[0,1] neg_hi:[0,1]
	v_mov_b32_e32 v81, v96
	v_pk_add_f32 v[102:103], v[84:85], v[80:81] neg_lo:[0,1] neg_hi:[0,1]
	v_mov_b32_e32 v68, v85
	v_mov_b32_e32 v84, v71
	;; [unrolled: 1-line block ×4, first 2 shown]
	v_pk_add_f32 v[68:69], v[68:69], v[84:85] neg_lo:[0,1] neg_hi:[0,1]
	v_mov_b32_e32 v82, v83
	v_mov_b32_e32 v83, v70
	v_pk_add_f32 v[68:69], v[82:83], v[68:69] neg_lo:[0,1] neg_hi:[0,1]
	v_mov_b32_e32 v102, v86
	v_pk_add_f32 v[70:71], v[102:103], v[68:69]
	v_mov_b32_e32 v82, v71
	v_pk_add_f32 v[82:83], v[70:71], v[82:83]
	v_pk_add_f32 v[80:81], v[80:81], v[82:83]
	v_mov_b32_e32 v71, v80
	v_pk_add_f32 v[84:85], v[70:71], v[86:87] neg_lo:[0,1] neg_hi:[0,1]
	v_mov_b32_e32 v69, v82
	v_sub_f32_e32 v70, v70, v84
	v_pk_add_f32 v[68:69], v[68:69], v[84:85] neg_lo:[0,1] neg_hi:[0,1]
	v_sub_f32_e32 v70, v86, v70
	v_add_f32_e32 v68, v68, v70
	v_cmp_eq_f32_e64 s[30:31], s37, v101
	s_mov_b32 s37, 0x33800000
	v_add_f32_e32 v68, v68, v69
	v_cmp_lt_f32_e64 s[38:39], |v101|, s37
	v_add_f32_e32 v68, v80, v68
	s_or_b64 s[30:31], s[30:31], s[38:39]
	v_cndmask_b32_e64 v68, v68, v101, s[30:31]
	v_add_f32_e32 v68, v67, v68
.LBB472_284:
	s_or_b64 exec, exec, s[34:35]
	v_bfe_u32 v67, v68, 16, 1
	v_add3_u32 v67, v68, v67, s36
	v_and_b32_e32 v67, 0xffff0000, v67
	v_cmp_o_f32_e64 s[30:31], v68, v68
	v_cndmask_b32_e64 v69, v65, v67, s[30:31]
	v_mov_b32_e32 v65, 16
	v_lshlrev_b32_sdwa v18, v65, v18 dst_sel:DWORD dst_unused:UNUSED_PAD src0_sel:DWORD src1_sel:WORD_1
	v_max_f32_e32 v68, v69, v69
	v_max_f32_e32 v67, v18, v18
	v_min_f32_e32 v70, v68, v67
	v_cmp_u_f32_e64 s[34:35], v69, v69
	v_max_f32_e32 v68, v68, v67
	v_cndmask_b32_e64 v70, v70, v69, s[34:35]
	v_cmp_u_f32_e64 s[30:31], v18, v18
	v_cndmask_b32_e64 v68, v68, v69, s[34:35]
	v_cndmask_b32_e64 v70, v70, v18, s[30:31]
	;; [unrolled: 1-line block ×3, first 2 shown]
	s_movk_i32 s38, 0x1f8
	v_cmp_neq_f32_e64 s[34:35], v70, v68
	v_cmp_class_f32_e64 s[36:37], v70, s38
	s_or_b64 s[34:35], s[34:35], s[36:37]
	s_and_saveexec_b64 s[36:37], s[34:35]
	s_cbranch_execz .LBB472_286
; %bb.285:
	v_sub_f32_e32 v69, v70, v68
	s_mov_b32 s34, 0x3fb8aa3b
	v_mul_f32_e32 v70, 0x3fb8aa3b, v69
	v_fma_f32 v71, v69, s34, -v70
	v_rndne_f32_e32 v80, v70
	v_fmac_f32_e32 v71, 0x32a5705f, v69
	v_sub_f32_e32 v70, v70, v80
	v_add_f32_e32 v70, v70, v71
	v_exp_f32_e32 v70, v70
	v_cvt_i32_f32_e32 v71, v80
	s_mov_b32 s34, 0xc2ce8ed0
	v_cmp_ngt_f32_e64 s[34:35], s34, v69
	s_mov_b32 s39, 0x7f800000
	v_ldexp_f32 v70, v70, v71
	v_cndmask_b32_e64 v70, 0, v70, s[34:35]
	s_mov_b32 s34, 0x42b17218
	v_mov_b32_e32 v71, 0x7f800000
	v_cmp_nlt_f32_e64 s[34:35], s34, v69
	v_cndmask_b32_e64 v101, v71, v70, s[34:35]
	v_add_f32_e32 v69, 1.0, v101
	v_add_f32_e32 v70, -1.0, v69
	v_sub_f32_e32 v71, v70, v69
	v_add_f32_e32 v71, 1.0, v71
	v_sub_f32_e32 v70, v101, v70
	v_add_f32_e32 v80, v70, v71
	v_frexp_mant_f32_e32 v81, v69
	s_mov_b32 s34, 0x3f2aaaab
	v_cvt_f64_f32_e32 v[70:71], v69
	v_frexp_exp_i32_f64_e32 v70, v[70:71]
	v_cmp_gt_f32_e64 s[34:35], s34, v81
	v_subbrev_co_u32_e64 v86, s[34:35], 0, v70, s[34:35]
	v_sub_u32_e32 v70, 0, v86
	v_ldexp_f32 v69, v69, v70
	v_ldexp_f32 v70, v80, v70
	v_add_f32_e32 v80, -1.0, v69
	v_add_f32_e32 v71, 1.0, v80
	v_sub_f32_e32 v71, v69, v71
	v_add_f32_e32 v81, v70, v71
	v_add_f32_e32 v71, 1.0, v69
	v_add_f32_e32 v82, -1.0, v71
	v_sub_f32_e32 v69, v69, v82
	v_add_f32_e32 v69, v70, v69
	v_add_f32_e32 v87, v71, v69
	v_rcp_f32_e32 v96, v87
	v_sub_f32_e32 v70, v71, v87
	v_add_f32_e32 v71, v80, v81
	v_add_f32_e32 v69, v69, v70
	v_mul_f32_e32 v102, v71, v96
	v_sub_f32_e32 v70, v80, v71
	v_mul_f32_e32 v80, v87, v102
	v_fma_f32 v82, v102, v87, -v80
	v_fmac_f32_e32 v82, v102, v69
	v_add_f32_e32 v97, v81, v70
	v_add_f32_e32 v70, v80, v82
	v_sub_f32_e32 v81, v71, v70
	v_pk_add_f32 v[84:85], v[70:71], v[80:81] neg_lo:[0,1] neg_hi:[0,1]
	v_mov_b32_e32 v83, v70
	v_pk_add_f32 v[70:71], v[84:85], v[82:83] neg_lo:[0,1] neg_hi:[0,1]
	v_add_f32_e32 v71, v97, v71
	v_add_f32_e32 v70, v70, v71
	;; [unrolled: 1-line block ×3, first 2 shown]
	v_mul_f32_e32 v97, v96, v71
	v_mul_f32_e32 v80, v87, v97
	v_fma_f32 v82, v97, v87, -v80
	v_fmac_f32_e32 v82, v97, v69
	v_sub_f32_e32 v69, v81, v71
	v_add_f32_e32 v69, v70, v69
	v_add_f32_e32 v70, v80, v82
	v_sub_f32_e32 v81, v71, v70
	v_pk_add_f32 v[84:85], v[70:71], v[80:81] neg_lo:[0,1] neg_hi:[0,1]
	v_mov_b32_e32 v83, v70
	v_pk_add_f32 v[70:71], v[84:85], v[82:83] neg_lo:[0,1] neg_hi:[0,1]
	v_add_f32_e32 v69, v69, v71
	v_add_f32_e32 v69, v70, v69
	;; [unrolled: 1-line block ×4, first 2 shown]
	v_sub_f32_e32 v71, v70, v102
	v_mul_f32_e32 v69, v96, v69
	v_sub_f32_e32 v71, v97, v71
	v_add_f32_e32 v69, v71, v69
	v_add_f32_e32 v81, v70, v69
	v_mul_f32_e32 v82, v81, v81
	v_mov_b32_e32 v80, 0x3ecc95a3
	v_fmac_f32_e32 v80, 0x3e9b6dac, v82
	v_mov_b32_e32 v71, 0x3f2aaada
	v_fmac_f32_e32 v71, v82, v80
	v_cvt_f32_i32_e32 v80, v86
	v_sub_f32_e32 v70, v81, v70
	v_sub_f32_e32 v69, v69, v70
	v_ldexp_f32 v83, v81, 1
	v_mul_f32_e32 v81, v81, v82
	v_mov_b32_e32 v70, 0x3f317218
	s_mov_b32 s34, 0x3f317218
	v_pk_mul_f32 v[70:71], v[80:81], v[70:71]
	v_fma_f32 v82, v80, s34, -v70
	v_fmac_f32_e32 v82, 0xb102e308, v80
	v_pk_add_f32 v[80:81], v[70:71], v[82:83]
	v_sub_f32_e32 v83, v81, v83
	v_ldexp_f32 v69, v69, 1
	v_sub_f32_e32 v83, v71, v83
	v_add_f32_e32 v85, v69, v83
	v_mov_b32_e32 v84, v70
	v_pk_add_f32 v[70:71], v[80:81], v[70:71] neg_lo:[0,1] neg_hi:[0,1]
	v_pk_add_f32 v[86:87], v[80:81], v[84:85]
	v_mov_b32_e32 v71, v87
	v_mov_b32_e32 v83, v80
	v_pk_add_f32 v[96:97], v[82:83], v[70:71] neg_lo:[0,1] neg_hi:[0,1]
	v_pk_add_f32 v[70:71], v[82:83], v[70:71]
	v_mov_b32_e32 v82, v71
	v_pk_add_f32 v[102:103], v[82:83], v[80:81] neg_lo:[0,1] neg_hi:[0,1]
	v_mov_b32_e32 v69, v102
	v_pk_add_f32 v[112:113], v[86:87], v[68:69] neg_lo:[0,1] neg_hi:[0,1]
	v_mov_b32_e32 v70, v87
	v_mov_b32_e32 v86, v81
	;; [unrolled: 1-line block ×4, first 2 shown]
	v_pk_add_f32 v[70:71], v[70:71], v[86:87] neg_lo:[0,1] neg_hi:[0,1]
	v_mov_b32_e32 v84, v85
	v_mov_b32_e32 v85, v80
	v_pk_add_f32 v[70:71], v[84:85], v[70:71] neg_lo:[0,1] neg_hi:[0,1]
	v_mov_b32_e32 v112, v96
	v_pk_add_f32 v[80:81], v[112:113], v[70:71]
	v_mov_b32_e32 v84, v81
	v_pk_add_f32 v[84:85], v[80:81], v[84:85]
	v_pk_add_f32 v[82:83], v[82:83], v[84:85]
	v_mov_b32_e32 v81, v82
	v_pk_add_f32 v[86:87], v[80:81], v[96:97] neg_lo:[0,1] neg_hi:[0,1]
	v_mov_b32_e32 v71, v84
	v_sub_f32_e32 v69, v80, v86
	v_pk_add_f32 v[70:71], v[70:71], v[86:87] neg_lo:[0,1] neg_hi:[0,1]
	v_sub_f32_e32 v69, v96, v69
	v_add_f32_e32 v69, v70, v69
	v_cmp_eq_f32_e64 s[34:35], s39, v101
	s_mov_b32 s39, 0x33800000
	v_add_f32_e32 v69, v69, v71
	v_cmp_lt_f32_e64 s[40:41], |v101|, s39
	v_add_f32_e32 v69, v82, v69
	s_or_b64 s[34:35], s[34:35], s[40:41]
	v_cndmask_b32_e64 v69, v69, v101, s[34:35]
	v_add_f32_e32 v69, v68, v69
.LBB472_286:
	s_or_b64 exec, exec, s[36:37]
	v_bfe_u32 v68, v69, 16, 1
	s_movk_i32 s40, 0x7fff
	v_add3_u32 v68, v69, v68, s40
	v_and_b32_e32 v70, 0xffff0000, v68
	v_mov_b32_e32 v68, 0x7fc00000
	v_cmp_o_f32_e64 s[34:35], v69, v69
	v_cndmask_b32_e64 v71, v68, v70, s[34:35]
	v_lshlrev_b32_sdwa v65, v65, v19 dst_sel:DWORD dst_unused:UNUSED_PAD src0_sel:DWORD src1_sel:WORD_0
	v_max_f32_e32 v70, v71, v71
	v_max_f32_e32 v69, v65, v65
	v_min_f32_e32 v80, v70, v69
	v_cmp_u_f32_e64 s[36:37], v71, v71
	v_max_f32_e32 v70, v70, v69
	v_cndmask_b32_e64 v80, v80, v71, s[36:37]
	v_cmp_u_f32_e64 s[34:35], v65, v65
	v_cndmask_b32_e64 v70, v70, v71, s[36:37]
	v_cndmask_b32_e64 v80, v80, v65, s[34:35]
	;; [unrolled: 1-line block ×3, first 2 shown]
	v_cmp_neq_f32_e64 s[36:37], v80, v70
	v_cmp_class_f32_e64 s[38:39], v80, s38
	s_or_b64 s[36:37], s[36:37], s[38:39]
	s_and_saveexec_b64 s[38:39], s[36:37]
	s_cbranch_execz .LBB472_288
; %bb.287:
	v_sub_f32_e32 v71, v80, v70
	s_mov_b32 s36, 0x3fb8aa3b
	v_mul_f32_e32 v80, 0x3fb8aa3b, v71
	v_fma_f32 v81, v71, s36, -v80
	v_rndne_f32_e32 v82, v80
	v_fmac_f32_e32 v81, 0x32a5705f, v71
	v_sub_f32_e32 v80, v80, v82
	v_add_f32_e32 v80, v80, v81
	v_exp_f32_e32 v80, v80
	v_cvt_i32_f32_e32 v81, v82
	s_mov_b32 s36, 0xc2ce8ed0
	v_cmp_ngt_f32_e64 s[36:37], s36, v71
	s_mov_b32 s41, 0x7f800000
	v_ldexp_f32 v80, v80, v81
	v_cndmask_b32_e64 v80, 0, v80, s[36:37]
	s_mov_b32 s36, 0x42b17218
	v_mov_b32_e32 v81, 0x7f800000
	v_cmp_nlt_f32_e64 s[36:37], s36, v71
	v_cndmask_b32_e64 v101, v81, v80, s[36:37]
	v_add_f32_e32 v71, 1.0, v101
	v_add_f32_e32 v80, -1.0, v71
	v_sub_f32_e32 v81, v80, v71
	v_add_f32_e32 v81, 1.0, v81
	v_sub_f32_e32 v80, v101, v80
	v_add_f32_e32 v82, v80, v81
	v_frexp_mant_f32_e32 v83, v71
	s_mov_b32 s36, 0x3f2aaaab
	v_cvt_f64_f32_e32 v[80:81], v71
	v_frexp_exp_i32_f64_e32 v80, v[80:81]
	v_cmp_gt_f32_e64 s[36:37], s36, v83
	v_subbrev_co_u32_e64 v96, s[36:37], 0, v80, s[36:37]
	v_sub_u32_e32 v80, 0, v96
	v_ldexp_f32 v71, v71, v80
	v_ldexp_f32 v80, v82, v80
	v_add_f32_e32 v82, -1.0, v71
	v_add_f32_e32 v81, 1.0, v82
	v_sub_f32_e32 v81, v71, v81
	v_add_f32_e32 v83, v80, v81
	v_add_f32_e32 v81, 1.0, v71
	v_add_f32_e32 v84, -1.0, v81
	v_sub_f32_e32 v71, v71, v84
	v_add_f32_e32 v71, v80, v71
	v_add_f32_e32 v97, v81, v71
	v_rcp_f32_e32 v102, v97
	v_sub_f32_e32 v80, v81, v97
	v_add_f32_e32 v81, v82, v83
	v_add_f32_e32 v71, v71, v80
	v_mul_f32_e32 v112, v81, v102
	v_sub_f32_e32 v80, v82, v81
	v_mul_f32_e32 v82, v97, v112
	v_fma_f32 v84, v112, v97, -v82
	v_fmac_f32_e32 v84, v112, v71
	v_add_f32_e32 v103, v83, v80
	v_add_f32_e32 v80, v82, v84
	v_sub_f32_e32 v83, v81, v80
	v_pk_add_f32 v[86:87], v[80:81], v[82:83] neg_lo:[0,1] neg_hi:[0,1]
	v_mov_b32_e32 v85, v80
	v_pk_add_f32 v[80:81], v[86:87], v[84:85] neg_lo:[0,1] neg_hi:[0,1]
	v_add_f32_e32 v81, v103, v81
	v_add_f32_e32 v80, v80, v81
	;; [unrolled: 1-line block ×3, first 2 shown]
	v_mul_f32_e32 v103, v102, v81
	v_mul_f32_e32 v82, v97, v103
	v_fma_f32 v84, v103, v97, -v82
	v_fmac_f32_e32 v84, v103, v71
	v_sub_f32_e32 v71, v83, v81
	v_add_f32_e32 v71, v80, v71
	v_add_f32_e32 v80, v82, v84
	v_sub_f32_e32 v83, v81, v80
	v_pk_add_f32 v[86:87], v[80:81], v[82:83] neg_lo:[0,1] neg_hi:[0,1]
	v_mov_b32_e32 v85, v80
	v_pk_add_f32 v[80:81], v[86:87], v[84:85] neg_lo:[0,1] neg_hi:[0,1]
	v_add_f32_e32 v71, v71, v81
	v_add_f32_e32 v71, v80, v71
	;; [unrolled: 1-line block ×4, first 2 shown]
	v_sub_f32_e32 v81, v80, v112
	v_mul_f32_e32 v71, v102, v71
	v_sub_f32_e32 v81, v103, v81
	v_add_f32_e32 v71, v81, v71
	v_add_f32_e32 v83, v80, v71
	v_mul_f32_e32 v84, v83, v83
	v_mov_b32_e32 v82, 0x3ecc95a3
	v_fmac_f32_e32 v82, 0x3e9b6dac, v84
	v_mov_b32_e32 v81, 0x3f2aaada
	v_fmac_f32_e32 v81, v84, v82
	v_cvt_f32_i32_e32 v82, v96
	v_sub_f32_e32 v80, v83, v80
	v_sub_f32_e32 v71, v71, v80
	v_ldexp_f32 v85, v83, 1
	v_mul_f32_e32 v83, v83, v84
	v_mov_b32_e32 v80, 0x3f317218
	s_mov_b32 s36, 0x3f317218
	v_pk_mul_f32 v[80:81], v[82:83], v[80:81]
	v_fma_f32 v84, v82, s36, -v80
	v_fmac_f32_e32 v84, 0xb102e308, v82
	v_pk_add_f32 v[82:83], v[80:81], v[84:85]
	v_sub_f32_e32 v85, v83, v85
	v_ldexp_f32 v71, v71, 1
	v_sub_f32_e32 v85, v81, v85
	v_add_f32_e32 v87, v71, v85
	v_mov_b32_e32 v86, v80
	v_pk_add_f32 v[80:81], v[82:83], v[80:81] neg_lo:[0,1] neg_hi:[0,1]
	v_pk_add_f32 v[96:97], v[82:83], v[86:87]
	v_mov_b32_e32 v81, v97
	v_mov_b32_e32 v85, v82
	v_pk_add_f32 v[102:103], v[84:85], v[80:81] neg_lo:[0,1] neg_hi:[0,1]
	v_pk_add_f32 v[80:81], v[84:85], v[80:81]
	v_mov_b32_e32 v84, v81
	v_pk_add_f32 v[112:113], v[84:85], v[82:83] neg_lo:[0,1] neg_hi:[0,1]
	v_mov_b32_e32 v71, v112
	v_pk_add_f32 v[114:115], v[96:97], v[70:71] neg_lo:[0,1] neg_hi:[0,1]
	v_mov_b32_e32 v80, v97
	v_mov_b32_e32 v96, v83
	;; [unrolled: 1-line block ×4, first 2 shown]
	v_pk_add_f32 v[80:81], v[80:81], v[96:97] neg_lo:[0,1] neg_hi:[0,1]
	v_mov_b32_e32 v86, v87
	v_mov_b32_e32 v87, v82
	v_pk_add_f32 v[80:81], v[86:87], v[80:81] neg_lo:[0,1] neg_hi:[0,1]
	v_mov_b32_e32 v114, v102
	v_pk_add_f32 v[82:83], v[114:115], v[80:81]
	v_mov_b32_e32 v86, v83
	v_pk_add_f32 v[86:87], v[82:83], v[86:87]
	v_pk_add_f32 v[84:85], v[84:85], v[86:87]
	v_mov_b32_e32 v83, v84
	v_pk_add_f32 v[96:97], v[82:83], v[102:103] neg_lo:[0,1] neg_hi:[0,1]
	v_mov_b32_e32 v81, v86
	v_sub_f32_e32 v71, v82, v96
	v_pk_add_f32 v[80:81], v[80:81], v[96:97] neg_lo:[0,1] neg_hi:[0,1]
	v_sub_f32_e32 v71, v102, v71
	v_add_f32_e32 v71, v80, v71
	v_cmp_eq_f32_e64 s[36:37], s41, v101
	s_mov_b32 s41, 0x33800000
	v_add_f32_e32 v71, v71, v81
	v_cmp_lt_f32_e64 s[42:43], |v101|, s41
	v_add_f32_e32 v71, v84, v71
	s_or_b64 s[36:37], s[36:37], s[42:43]
	v_cndmask_b32_e64 v71, v71, v101, s[36:37]
	v_add_f32_e32 v71, v70, v71
.LBB472_288:
	s_or_b64 exec, exec, s[38:39]
	v_bfe_u32 v70, v71, 16, 1
	v_add3_u32 v70, v71, v70, s40
	v_and_b32_e32 v70, 0xffff0000, v70
	v_cmp_o_f32_e64 s[36:37], v71, v71
	v_cndmask_b32_e64 v80, v68, v70, s[36:37]
	v_mov_b32_e32 v68, 16
	v_lshlrev_b32_sdwa v19, v68, v19 dst_sel:DWORD dst_unused:UNUSED_PAD src0_sel:DWORD src1_sel:WORD_1
	v_max_f32_e32 v71, v80, v80
	v_max_f32_e32 v70, v19, v19
	v_min_f32_e32 v81, v71, v70
	v_cmp_u_f32_e64 s[38:39], v80, v80
	v_max_f32_e32 v71, v71, v70
	v_cndmask_b32_e64 v81, v81, v80, s[38:39]
	v_cmp_u_f32_e64 s[36:37], v19, v19
	v_cndmask_b32_e64 v71, v71, v80, s[38:39]
	v_cndmask_b32_e64 v81, v81, v19, s[36:37]
	;; [unrolled: 1-line block ×3, first 2 shown]
	s_movk_i32 s42, 0x1f8
	v_cmp_neq_f32_e64 s[38:39], v81, v71
	v_cmp_class_f32_e64 s[40:41], v81, s42
	s_or_b64 s[38:39], s[38:39], s[40:41]
	s_and_saveexec_b64 s[40:41], s[38:39]
	s_cbranch_execz .LBB472_290
; %bb.289:
	v_sub_f32_e32 v80, v81, v71
	s_mov_b32 s38, 0x3fb8aa3b
	v_mul_f32_e32 v81, 0x3fb8aa3b, v80
	v_fma_f32 v82, v80, s38, -v81
	v_rndne_f32_e32 v83, v81
	v_fmac_f32_e32 v82, 0x32a5705f, v80
	v_sub_f32_e32 v81, v81, v83
	v_add_f32_e32 v81, v81, v82
	v_exp_f32_e32 v81, v81
	v_cvt_i32_f32_e32 v82, v83
	s_mov_b32 s38, 0xc2ce8ed0
	v_cmp_ngt_f32_e64 s[38:39], s38, v80
	s_mov_b32 s43, 0x7f800000
	v_ldexp_f32 v81, v81, v82
	v_cndmask_b32_e64 v81, 0, v81, s[38:39]
	s_mov_b32 s38, 0x42b17218
	v_mov_b32_e32 v82, 0x7f800000
	v_cmp_nlt_f32_e64 s[38:39], s38, v80
	v_cndmask_b32_e64 v101, v82, v81, s[38:39]
	v_add_f32_e32 v82, 1.0, v101
	v_add_f32_e32 v80, -1.0, v82
	v_sub_f32_e32 v81, v80, v82
	v_add_f32_e32 v81, 1.0, v81
	v_sub_f32_e32 v80, v101, v80
	v_add_f32_e32 v83, v80, v81
	v_frexp_mant_f32_e32 v84, v82
	s_mov_b32 s38, 0x3f2aaaab
	v_cvt_f64_f32_e32 v[80:81], v82
	v_frexp_exp_i32_f64_e32 v80, v[80:81]
	v_cmp_gt_f32_e64 s[38:39], s38, v84
	v_subbrev_co_u32_e64 v96, s[38:39], 0, v80, s[38:39]
	v_sub_u32_e32 v80, 0, v96
	v_ldexp_f32 v81, v82, v80
	v_add_f32_e32 v82, -1.0, v81
	v_add_f32_e32 v84, 1.0, v81
	v_ldexp_f32 v80, v83, v80
	v_add_f32_e32 v83, 1.0, v82
	v_add_f32_e32 v85, -1.0, v84
	v_sub_f32_e32 v83, v81, v83
	v_sub_f32_e32 v81, v81, v85
	v_add_f32_e32 v83, v80, v83
	v_add_f32_e32 v80, v80, v81
	;; [unrolled: 1-line block ×3, first 2 shown]
	v_rcp_f32_e32 v103, v97
	v_sub_f32_e32 v81, v84, v97
	v_add_f32_e32 v102, v80, v81
	v_add_f32_e32 v81, v82, v83
	v_mul_f32_e32 v113, v81, v103
	v_sub_f32_e32 v80, v82, v81
	v_mul_f32_e32 v82, v97, v113
	v_fma_f32 v84, v113, v97, -v82
	v_fmac_f32_e32 v84, v113, v102
	v_add_f32_e32 v112, v83, v80
	v_add_f32_e32 v80, v82, v84
	v_sub_f32_e32 v83, v81, v80
	v_pk_add_f32 v[86:87], v[80:81], v[82:83] neg_lo:[0,1] neg_hi:[0,1]
	v_mov_b32_e32 v85, v80
	v_pk_add_f32 v[80:81], v[86:87], v[84:85] neg_lo:[0,1] neg_hi:[0,1]
	v_add_f32_e32 v81, v112, v81
	v_add_f32_e32 v80, v80, v81
	;; [unrolled: 1-line block ×3, first 2 shown]
	v_mul_f32_e32 v112, v103, v81
	v_mul_f32_e32 v82, v97, v112
	v_fma_f32 v84, v112, v97, -v82
	v_fmac_f32_e32 v84, v112, v102
	v_sub_f32_e32 v83, v83, v81
	v_add_f32_e32 v97, v80, v83
	v_add_f32_e32 v80, v82, v84
	v_sub_f32_e32 v83, v81, v80
	v_pk_add_f32 v[86:87], v[80:81], v[82:83] neg_lo:[0,1] neg_hi:[0,1]
	v_mov_b32_e32 v85, v80
	v_pk_add_f32 v[80:81], v[86:87], v[84:85] neg_lo:[0,1] neg_hi:[0,1]
	v_add_f32_e32 v81, v97, v81
	v_add_f32_e32 v80, v80, v81
	;; [unrolled: 1-line block ×4, first 2 shown]
	v_sub_f32_e32 v81, v83, v113
	v_mul_f32_e32 v80, v103, v80
	v_sub_f32_e32 v81, v112, v81
	v_add_f32_e32 v80, v81, v80
	v_add_f32_e32 v84, v83, v80
	v_mul_f32_e32 v86, v84, v84
	v_mov_b32_e32 v82, 0x3ecc95a3
	v_fmac_f32_e32 v82, 0x3e9b6dac, v86
	v_mov_b32_e32 v81, 0x3f2aaada
	v_fmac_f32_e32 v81, v86, v82
	v_cvt_f32_i32_e32 v82, v96
	v_sub_f32_e32 v83, v84, v83
	v_sub_f32_e32 v80, v80, v83
	v_ldexp_f32 v87, v80, 1
	v_mul_f32_e32 v83, v84, v86
	v_mov_b32_e32 v80, 0x3f317218
	s_mov_b32 s38, 0x3f317218
	v_pk_mul_f32 v[80:81], v[82:83], v[80:81]
	v_ldexp_f32 v85, v84, 1
	v_fma_f32 v84, v82, s38, -v80
	v_fmac_f32_e32 v84, 0xb102e308, v82
	v_pk_add_f32 v[82:83], v[80:81], v[84:85]
	v_sub_f32_e32 v85, v83, v85
	v_sub_f32_e32 v85, v81, v85
	v_add_f32_e32 v87, v87, v85
	v_mov_b32_e32 v86, v80
	v_pk_add_f32 v[80:81], v[82:83], v[80:81] neg_lo:[0,1] neg_hi:[0,1]
	v_pk_add_f32 v[96:97], v[82:83], v[86:87]
	v_mov_b32_e32 v81, v97
	v_mov_b32_e32 v85, v82
	v_pk_add_f32 v[102:103], v[84:85], v[80:81] neg_lo:[0,1] neg_hi:[0,1]
	v_pk_add_f32 v[80:81], v[84:85], v[80:81]
	v_mov_b32_e32 v84, v81
	v_pk_add_f32 v[112:113], v[84:85], v[82:83] neg_lo:[0,1] neg_hi:[0,1]
	v_mov_b32_e32 v85, v112
	v_pk_add_f32 v[114:115], v[96:97], v[84:85] neg_lo:[0,1] neg_hi:[0,1]
	v_mov_b32_e32 v80, v97
	v_mov_b32_e32 v96, v83
	;; [unrolled: 1-line block ×4, first 2 shown]
	v_pk_add_f32 v[80:81], v[80:81], v[96:97] neg_lo:[0,1] neg_hi:[0,1]
	v_mov_b32_e32 v86, v87
	v_mov_b32_e32 v87, v82
	v_pk_add_f32 v[80:81], v[86:87], v[80:81] neg_lo:[0,1] neg_hi:[0,1]
	v_mov_b32_e32 v114, v102
	v_pk_add_f32 v[82:83], v[114:115], v[80:81]
	v_mov_b32_e32 v86, v83
	v_pk_add_f32 v[86:87], v[82:83], v[86:87]
	v_pk_add_f32 v[84:85], v[84:85], v[86:87]
	v_mov_b32_e32 v83, v84
	v_pk_add_f32 v[96:97], v[82:83], v[102:103] neg_lo:[0,1] neg_hi:[0,1]
	v_mov_b32_e32 v81, v86
	v_sub_f32_e32 v82, v82, v96
	v_pk_add_f32 v[80:81], v[80:81], v[96:97] neg_lo:[0,1] neg_hi:[0,1]
	v_sub_f32_e32 v82, v102, v82
	v_add_f32_e32 v80, v80, v82
	v_cmp_eq_f32_e64 s[38:39], s43, v101
	s_mov_b32 s43, 0x33800000
	v_add_f32_e32 v80, v80, v81
	v_cmp_lt_f32_e64 s[44:45], |v101|, s43
	v_add_f32_e32 v80, v84, v80
	s_or_b64 s[38:39], s[38:39], s[44:45]
	v_cndmask_b32_e64 v80, v80, v101, s[38:39]
	v_add_f32_e32 v80, v71, v80
.LBB472_290:
	s_or_b64 exec, exec, s[40:41]
	v_bfe_u32 v71, v80, 16, 1
	s_movk_i32 s44, 0x7fff
	v_add3_u32 v71, v80, v71, s44
	v_and_b32_e32 v81, 0xffff0000, v71
	v_mov_b32_e32 v71, 0x7fc00000
	v_cmp_o_f32_e64 s[38:39], v80, v80
	v_cndmask_b32_e64 v82, v71, v81, s[38:39]
	v_lshlrev_b32_sdwa v68, v68, v12 dst_sel:DWORD dst_unused:UNUSED_PAD src0_sel:DWORD src1_sel:WORD_0
	v_max_f32_e32 v81, v82, v82
	v_max_f32_e32 v80, v68, v68
	v_min_f32_e32 v83, v81, v80
	v_cmp_u_f32_e64 s[40:41], v82, v82
	v_max_f32_e32 v81, v81, v80
	v_cndmask_b32_e64 v83, v83, v82, s[40:41]
	v_cmp_u_f32_e64 s[38:39], v68, v68
	v_cndmask_b32_e64 v81, v81, v82, s[40:41]
	v_cndmask_b32_e64 v83, v83, v68, s[38:39]
	;; [unrolled: 1-line block ×3, first 2 shown]
	v_cmp_neq_f32_e64 s[40:41], v83, v81
	v_cmp_class_f32_e64 s[42:43], v83, s42
	s_or_b64 s[40:41], s[40:41], s[42:43]
	s_and_saveexec_b64 s[42:43], s[40:41]
	s_cbranch_execz .LBB472_292
; %bb.291:
	v_sub_f32_e32 v82, v83, v81
	s_mov_b32 s40, 0x3fb8aa3b
	v_mul_f32_e32 v83, 0x3fb8aa3b, v82
	v_fma_f32 v84, v82, s40, -v83
	v_rndne_f32_e32 v85, v83
	v_fmac_f32_e32 v84, 0x32a5705f, v82
	v_sub_f32_e32 v83, v83, v85
	v_add_f32_e32 v83, v83, v84
	v_exp_f32_e32 v83, v83
	v_cvt_i32_f32_e32 v84, v85
	s_mov_b32 s40, 0xc2ce8ed0
	v_cmp_ngt_f32_e64 s[40:41], s40, v82
	s_mov_b32 s45, 0x7f800000
	v_ldexp_f32 v83, v83, v84
	v_cndmask_b32_e64 v83, 0, v83, s[40:41]
	s_mov_b32 s40, 0x42b17218
	v_mov_b32_e32 v84, 0x7f800000
	v_cmp_nlt_f32_e64 s[40:41], s40, v82
	v_cndmask_b32_e64 v101, v84, v83, s[40:41]
	v_add_f32_e32 v84, 1.0, v101
	v_add_f32_e32 v82, -1.0, v84
	v_sub_f32_e32 v83, v82, v84
	v_add_f32_e32 v83, 1.0, v83
	v_sub_f32_e32 v82, v101, v82
	v_add_f32_e32 v85, v82, v83
	v_frexp_mant_f32_e32 v86, v84
	s_mov_b32 s40, 0x3f2aaaab
	v_cvt_f64_f32_e32 v[82:83], v84
	v_frexp_exp_i32_f64_e32 v82, v[82:83]
	v_cmp_gt_f32_e64 s[40:41], s40, v86
	v_subbrev_co_u32_e64 v102, s[40:41], 0, v82, s[40:41]
	v_sub_u32_e32 v82, 0, v102
	v_ldexp_f32 v83, v84, v82
	v_add_f32_e32 v84, -1.0, v83
	v_add_f32_e32 v86, 1.0, v83
	v_ldexp_f32 v82, v85, v82
	v_add_f32_e32 v85, 1.0, v84
	v_add_f32_e32 v87, -1.0, v86
	v_sub_f32_e32 v85, v83, v85
	v_sub_f32_e32 v83, v83, v87
	v_add_f32_e32 v85, v82, v85
	v_add_f32_e32 v82, v82, v83
	;; [unrolled: 1-line block ×3, first 2 shown]
	v_rcp_f32_e32 v113, v103
	v_sub_f32_e32 v83, v86, v103
	v_add_f32_e32 v112, v82, v83
	v_add_f32_e32 v83, v84, v85
	v_mul_f32_e32 v115, v83, v113
	v_sub_f32_e32 v82, v84, v83
	v_mul_f32_e32 v84, v103, v115
	v_fma_f32 v86, v115, v103, -v84
	v_fmac_f32_e32 v86, v115, v112
	v_add_f32_e32 v114, v85, v82
	v_add_f32_e32 v82, v84, v86
	v_sub_f32_e32 v85, v83, v82
	v_pk_add_f32 v[96:97], v[82:83], v[84:85] neg_lo:[0,1] neg_hi:[0,1]
	v_mov_b32_e32 v87, v82
	v_pk_add_f32 v[82:83], v[96:97], v[86:87] neg_lo:[0,1] neg_hi:[0,1]
	v_add_f32_e32 v83, v114, v83
	v_add_f32_e32 v82, v82, v83
	;; [unrolled: 1-line block ×3, first 2 shown]
	v_mul_f32_e32 v114, v113, v83
	v_mul_f32_e32 v84, v103, v114
	v_fma_f32 v86, v114, v103, -v84
	v_fmac_f32_e32 v86, v114, v112
	v_sub_f32_e32 v85, v85, v83
	v_add_f32_e32 v103, v82, v85
	v_add_f32_e32 v82, v84, v86
	v_sub_f32_e32 v85, v83, v82
	v_pk_add_f32 v[96:97], v[82:83], v[84:85] neg_lo:[0,1] neg_hi:[0,1]
	v_mov_b32_e32 v87, v82
	v_pk_add_f32 v[82:83], v[96:97], v[86:87] neg_lo:[0,1] neg_hi:[0,1]
	v_add_f32_e32 v83, v103, v83
	v_add_f32_e32 v82, v82, v83
	;; [unrolled: 1-line block ×4, first 2 shown]
	v_sub_f32_e32 v83, v85, v115
	v_mul_f32_e32 v82, v113, v82
	v_sub_f32_e32 v83, v114, v83
	v_add_f32_e32 v82, v83, v82
	v_add_f32_e32 v86, v85, v82
	v_mul_f32_e32 v96, v86, v86
	v_mov_b32_e32 v84, 0x3ecc95a3
	v_fmac_f32_e32 v84, 0x3e9b6dac, v96
	v_mov_b32_e32 v83, 0x3f2aaada
	v_fmac_f32_e32 v83, v96, v84
	v_cvt_f32_i32_e32 v84, v102
	v_sub_f32_e32 v85, v86, v85
	v_sub_f32_e32 v82, v82, v85
	v_ldexp_f32 v97, v82, 1
	v_mul_f32_e32 v85, v86, v96
	v_mov_b32_e32 v82, 0x3f317218
	s_mov_b32 s40, 0x3f317218
	v_pk_mul_f32 v[82:83], v[84:85], v[82:83]
	v_ldexp_f32 v87, v86, 1
	v_fma_f32 v86, v84, s40, -v82
	v_fmac_f32_e32 v86, 0xb102e308, v84
	v_pk_add_f32 v[84:85], v[82:83], v[86:87]
	v_sub_f32_e32 v87, v85, v87
	v_sub_f32_e32 v87, v83, v87
	v_add_f32_e32 v97, v97, v87
	v_mov_b32_e32 v96, v82
	v_pk_add_f32 v[82:83], v[84:85], v[82:83] neg_lo:[0,1] neg_hi:[0,1]
	v_pk_add_f32 v[102:103], v[84:85], v[96:97]
	v_mov_b32_e32 v83, v103
	v_mov_b32_e32 v87, v84
	v_pk_add_f32 v[112:113], v[86:87], v[82:83] neg_lo:[0,1] neg_hi:[0,1]
	v_pk_add_f32 v[82:83], v[86:87], v[82:83]
	v_mov_b32_e32 v86, v83
	v_pk_add_f32 v[114:115], v[86:87], v[84:85] neg_lo:[0,1] neg_hi:[0,1]
	v_mov_b32_e32 v87, v114
	v_pk_add_f32 v[116:117], v[102:103], v[86:87] neg_lo:[0,1] neg_hi:[0,1]
	v_mov_b32_e32 v82, v103
	v_mov_b32_e32 v102, v85
	;; [unrolled: 1-line block ×4, first 2 shown]
	v_pk_add_f32 v[82:83], v[82:83], v[102:103] neg_lo:[0,1] neg_hi:[0,1]
	v_mov_b32_e32 v96, v97
	v_mov_b32_e32 v97, v84
	v_pk_add_f32 v[82:83], v[96:97], v[82:83] neg_lo:[0,1] neg_hi:[0,1]
	v_mov_b32_e32 v116, v112
	v_pk_add_f32 v[84:85], v[116:117], v[82:83]
	v_mov_b32_e32 v96, v85
	v_pk_add_f32 v[96:97], v[84:85], v[96:97]
	v_pk_add_f32 v[86:87], v[86:87], v[96:97]
	v_mov_b32_e32 v85, v86
	v_pk_add_f32 v[102:103], v[84:85], v[112:113] neg_lo:[0,1] neg_hi:[0,1]
	v_mov_b32_e32 v83, v96
	v_sub_f32_e32 v84, v84, v102
	v_pk_add_f32 v[82:83], v[82:83], v[102:103] neg_lo:[0,1] neg_hi:[0,1]
	v_sub_f32_e32 v84, v112, v84
	v_add_f32_e32 v82, v82, v84
	v_cmp_eq_f32_e64 s[40:41], s45, v101
	s_mov_b32 s45, 0x33800000
	v_add_f32_e32 v82, v82, v83
	v_cmp_lt_f32_e64 s[46:47], |v101|, s45
	v_add_f32_e32 v82, v86, v82
	s_or_b64 s[40:41], s[40:41], s[46:47]
	v_cndmask_b32_e64 v82, v82, v101, s[40:41]
	v_add_f32_e32 v82, v81, v82
.LBB472_292:
	s_or_b64 exec, exec, s[42:43]
	v_bfe_u32 v81, v82, 16, 1
	v_add3_u32 v81, v82, v81, s44
	v_and_b32_e32 v81, 0xffff0000, v81
	v_cmp_o_f32_e64 s[40:41], v82, v82
	v_cndmask_b32_e64 v83, v71, v81, s[40:41]
	v_mov_b32_e32 v71, 16
	v_lshlrev_b32_sdwa v12, v71, v12 dst_sel:DWORD dst_unused:UNUSED_PAD src0_sel:DWORD src1_sel:WORD_1
	v_max_f32_e32 v82, v83, v83
	v_max_f32_e32 v81, v12, v12
	v_min_f32_e32 v84, v82, v81
	v_cmp_u_f32_e64 s[42:43], v83, v83
	v_max_f32_e32 v82, v82, v81
	v_cndmask_b32_e64 v84, v84, v83, s[42:43]
	v_cmp_u_f32_e64 s[40:41], v12, v12
	v_cndmask_b32_e64 v82, v82, v83, s[42:43]
	v_cndmask_b32_e64 v84, v84, v12, s[40:41]
	;; [unrolled: 1-line block ×3, first 2 shown]
	s_movk_i32 s46, 0x1f8
	v_cmp_neq_f32_e64 s[42:43], v84, v82
	v_cmp_class_f32_e64 s[44:45], v84, s46
	s_or_b64 s[42:43], s[42:43], s[44:45]
	s_and_saveexec_b64 s[44:45], s[42:43]
	s_cbranch_execz .LBB472_294
; %bb.293:
	v_sub_f32_e32 v83, v84, v82
	s_mov_b32 s42, 0x3fb8aa3b
	v_mul_f32_e32 v84, 0x3fb8aa3b, v83
	v_fma_f32 v85, v83, s42, -v84
	v_rndne_f32_e32 v86, v84
	v_fmac_f32_e32 v85, 0x32a5705f, v83
	v_sub_f32_e32 v84, v84, v86
	v_add_f32_e32 v84, v84, v85
	v_exp_f32_e32 v84, v84
	v_cvt_i32_f32_e32 v85, v86
	s_mov_b32 s42, 0xc2ce8ed0
	v_cmp_ngt_f32_e64 s[42:43], s42, v83
	s_mov_b32 s47, 0x7f800000
	v_ldexp_f32 v84, v84, v85
	v_cndmask_b32_e64 v84, 0, v84, s[42:43]
	s_mov_b32 s42, 0x42b17218
	v_mov_b32_e32 v85, 0x7f800000
	v_cmp_nlt_f32_e64 s[42:43], s42, v83
	v_cndmask_b32_e64 v101, v85, v84, s[42:43]
	v_add_f32_e32 v83, 1.0, v101
	v_add_f32_e32 v84, -1.0, v83
	v_sub_f32_e32 v85, v84, v83
	v_add_f32_e32 v85, 1.0, v85
	v_sub_f32_e32 v84, v101, v84
	v_add_f32_e32 v86, v84, v85
	v_frexp_mant_f32_e32 v87, v83
	s_mov_b32 s42, 0x3f2aaaab
	v_cvt_f64_f32_e32 v[84:85], v83
	v_frexp_exp_i32_f64_e32 v84, v[84:85]
	v_cmp_gt_f32_e64 s[42:43], s42, v87
	v_subbrev_co_u32_e64 v112, s[42:43], 0, v84, s[42:43]
	v_sub_u32_e32 v84, 0, v112
	v_ldexp_f32 v83, v83, v84
	v_ldexp_f32 v84, v86, v84
	v_add_f32_e32 v86, -1.0, v83
	v_add_f32_e32 v85, 1.0, v86
	v_sub_f32_e32 v85, v83, v85
	v_add_f32_e32 v87, v84, v85
	v_add_f32_e32 v85, 1.0, v83
	v_add_f32_e32 v96, -1.0, v85
	v_sub_f32_e32 v83, v83, v96
	v_add_f32_e32 v83, v84, v83
	v_add_f32_e32 v113, v85, v83
	v_rcp_f32_e32 v114, v113
	v_sub_f32_e32 v84, v85, v113
	v_add_f32_e32 v85, v86, v87
	v_add_f32_e32 v83, v83, v84
	v_mul_f32_e32 v116, v85, v114
	v_sub_f32_e32 v84, v86, v85
	v_mul_f32_e32 v86, v113, v116
	v_fma_f32 v96, v116, v113, -v86
	v_fmac_f32_e32 v96, v116, v83
	v_add_f32_e32 v115, v87, v84
	v_add_f32_e32 v84, v86, v96
	v_sub_f32_e32 v87, v85, v84
	v_pk_add_f32 v[102:103], v[84:85], v[86:87] neg_lo:[0,1] neg_hi:[0,1]
	v_mov_b32_e32 v97, v84
	v_pk_add_f32 v[84:85], v[102:103], v[96:97] neg_lo:[0,1] neg_hi:[0,1]
	v_add_f32_e32 v85, v115, v85
	v_add_f32_e32 v84, v84, v85
	;; [unrolled: 1-line block ×3, first 2 shown]
	v_mul_f32_e32 v115, v114, v85
	v_mul_f32_e32 v86, v113, v115
	v_fma_f32 v96, v115, v113, -v86
	v_fmac_f32_e32 v96, v115, v83
	v_sub_f32_e32 v83, v87, v85
	v_add_f32_e32 v83, v84, v83
	v_add_f32_e32 v84, v86, v96
	v_sub_f32_e32 v87, v85, v84
	v_pk_add_f32 v[102:103], v[84:85], v[86:87] neg_lo:[0,1] neg_hi:[0,1]
	v_mov_b32_e32 v97, v84
	v_pk_add_f32 v[84:85], v[102:103], v[96:97] neg_lo:[0,1] neg_hi:[0,1]
	v_add_f32_e32 v83, v83, v85
	v_add_f32_e32 v83, v84, v83
	;; [unrolled: 1-line block ×4, first 2 shown]
	v_sub_f32_e32 v85, v84, v116
	v_mul_f32_e32 v83, v114, v83
	v_sub_f32_e32 v85, v115, v85
	v_add_f32_e32 v83, v85, v83
	v_add_f32_e32 v87, v84, v83
	v_mul_f32_e32 v96, v87, v87
	v_mov_b32_e32 v86, 0x3ecc95a3
	v_fmac_f32_e32 v86, 0x3e9b6dac, v96
	v_mov_b32_e32 v85, 0x3f2aaada
	v_fmac_f32_e32 v85, v96, v86
	v_cvt_f32_i32_e32 v86, v112
	v_sub_f32_e32 v84, v87, v84
	v_sub_f32_e32 v83, v83, v84
	v_ldexp_f32 v97, v87, 1
	v_mul_f32_e32 v87, v87, v96
	v_mov_b32_e32 v84, 0x3f317218
	s_mov_b32 s42, 0x3f317218
	v_pk_mul_f32 v[84:85], v[86:87], v[84:85]
	v_fma_f32 v96, v86, s42, -v84
	v_fmac_f32_e32 v96, 0xb102e308, v86
	v_pk_add_f32 v[86:87], v[84:85], v[96:97]
	v_sub_f32_e32 v97, v87, v97
	v_ldexp_f32 v83, v83, 1
	v_sub_f32_e32 v97, v85, v97
	v_add_f32_e32 v103, v83, v97
	v_mov_b32_e32 v102, v84
	v_pk_add_f32 v[84:85], v[86:87], v[84:85] neg_lo:[0,1] neg_hi:[0,1]
	v_pk_add_f32 v[112:113], v[86:87], v[102:103]
	v_mov_b32_e32 v85, v113
	v_mov_b32_e32 v97, v86
	v_pk_add_f32 v[114:115], v[96:97], v[84:85] neg_lo:[0,1] neg_hi:[0,1]
	v_pk_add_f32 v[84:85], v[96:97], v[84:85]
	v_mov_b32_e32 v96, v85
	v_pk_add_f32 v[116:117], v[96:97], v[86:87] neg_lo:[0,1] neg_hi:[0,1]
	v_mov_b32_e32 v83, v116
	v_pk_add_f32 v[118:119], v[112:113], v[82:83] neg_lo:[0,1] neg_hi:[0,1]
	v_mov_b32_e32 v84, v113
	v_mov_b32_e32 v112, v87
	;; [unrolled: 1-line block ×4, first 2 shown]
	v_pk_add_f32 v[84:85], v[84:85], v[112:113] neg_lo:[0,1] neg_hi:[0,1]
	v_mov_b32_e32 v102, v103
	v_mov_b32_e32 v103, v86
	v_pk_add_f32 v[84:85], v[102:103], v[84:85] neg_lo:[0,1] neg_hi:[0,1]
	v_mov_b32_e32 v118, v114
	v_pk_add_f32 v[86:87], v[118:119], v[84:85]
	v_mov_b32_e32 v102, v87
	v_pk_add_f32 v[102:103], v[86:87], v[102:103]
	v_pk_add_f32 v[96:97], v[96:97], v[102:103]
	v_mov_b32_e32 v87, v96
	v_pk_add_f32 v[112:113], v[86:87], v[114:115] neg_lo:[0,1] neg_hi:[0,1]
	v_mov_b32_e32 v85, v102
	v_sub_f32_e32 v83, v86, v112
	v_pk_add_f32 v[84:85], v[84:85], v[112:113] neg_lo:[0,1] neg_hi:[0,1]
	v_sub_f32_e32 v83, v114, v83
	v_add_f32_e32 v83, v84, v83
	v_cmp_eq_f32_e64 s[42:43], s47, v101
	s_mov_b32 s47, 0x33800000
	v_add_f32_e32 v83, v83, v85
	v_cmp_lt_f32_e64 s[48:49], |v101|, s47
	v_add_f32_e32 v83, v96, v83
	s_or_b64 s[42:43], s[42:43], s[48:49]
	v_cndmask_b32_e64 v83, v83, v101, s[42:43]
	v_add_f32_e32 v83, v82, v83
.LBB472_294:
	s_or_b64 exec, exec, s[44:45]
	v_bfe_u32 v82, v83, 16, 1
	s_movk_i32 s48, 0x7fff
	v_add3_u32 v82, v83, v82, s48
	v_and_b32_e32 v84, 0xffff0000, v82
	v_mov_b32_e32 v82, 0x7fc00000
	v_cmp_o_f32_e64 s[42:43], v83, v83
	v_cndmask_b32_e64 v85, v82, v84, s[42:43]
	v_lshlrev_b32_sdwa v71, v71, v13 dst_sel:DWORD dst_unused:UNUSED_PAD src0_sel:DWORD src1_sel:WORD_0
	v_max_f32_e32 v84, v85, v85
	v_max_f32_e32 v83, v71, v71
	v_min_f32_e32 v86, v84, v83
	v_cmp_u_f32_e64 s[44:45], v85, v85
	v_max_f32_e32 v84, v84, v83
	v_cndmask_b32_e64 v86, v86, v85, s[44:45]
	v_cmp_u_f32_e64 s[42:43], v71, v71
	v_cndmask_b32_e64 v84, v84, v85, s[44:45]
	v_cndmask_b32_e64 v86, v86, v71, s[42:43]
	v_cndmask_b32_e64 v84, v84, v71, s[42:43]
	v_cmp_neq_f32_e64 s[44:45], v86, v84
	v_cmp_class_f32_e64 s[46:47], v86, s46
	s_or_b64 s[44:45], s[44:45], s[46:47]
	s_and_saveexec_b64 s[46:47], s[44:45]
	s_cbranch_execz .LBB472_296
; %bb.295:
	v_sub_f32_e32 v85, v86, v84
	s_mov_b32 s44, 0x3fb8aa3b
	v_mul_f32_e32 v86, 0x3fb8aa3b, v85
	v_fma_f32 v87, v85, s44, -v86
	v_rndne_f32_e32 v96, v86
	v_fmac_f32_e32 v87, 0x32a5705f, v85
	v_sub_f32_e32 v86, v86, v96
	v_add_f32_e32 v86, v86, v87
	v_exp_f32_e32 v86, v86
	v_cvt_i32_f32_e32 v87, v96
	s_mov_b32 s44, 0xc2ce8ed0
	v_cmp_ngt_f32_e64 s[44:45], s44, v85
	s_mov_b32 s49, 0x7f800000
	v_ldexp_f32 v86, v86, v87
	v_cndmask_b32_e64 v86, 0, v86, s[44:45]
	s_mov_b32 s44, 0x42b17218
	v_mov_b32_e32 v87, 0x7f800000
	v_cmp_nlt_f32_e64 s[44:45], s44, v85
	v_cndmask_b32_e64 v101, v87, v86, s[44:45]
	v_add_f32_e32 v85, 1.0, v101
	v_add_f32_e32 v86, -1.0, v85
	v_sub_f32_e32 v87, v86, v85
	v_add_f32_e32 v87, 1.0, v87
	v_sub_f32_e32 v86, v101, v86
	v_add_f32_e32 v96, v86, v87
	v_frexp_mant_f32_e32 v97, v85
	s_mov_b32 s44, 0x3f2aaaab
	v_cvt_f64_f32_e32 v[86:87], v85
	v_frexp_exp_i32_f64_e32 v86, v[86:87]
	v_cmp_gt_f32_e64 s[44:45], s44, v97
	v_subbrev_co_u32_e64 v114, s[44:45], 0, v86, s[44:45]
	v_sub_u32_e32 v86, 0, v114
	v_ldexp_f32 v85, v85, v86
	v_ldexp_f32 v86, v96, v86
	v_add_f32_e32 v96, -1.0, v85
	v_add_f32_e32 v87, 1.0, v96
	v_sub_f32_e32 v87, v85, v87
	v_add_f32_e32 v97, v86, v87
	v_add_f32_e32 v87, 1.0, v85
	v_add_f32_e32 v102, -1.0, v87
	v_sub_f32_e32 v85, v85, v102
	v_add_f32_e32 v85, v86, v85
	v_add_f32_e32 v115, v87, v85
	v_rcp_f32_e32 v116, v115
	v_sub_f32_e32 v86, v87, v115
	v_add_f32_e32 v87, v96, v97
	v_add_f32_e32 v85, v85, v86
	v_mul_f32_e32 v118, v87, v116
	v_sub_f32_e32 v86, v96, v87
	v_mul_f32_e32 v96, v115, v118
	v_fma_f32 v102, v118, v115, -v96
	v_fmac_f32_e32 v102, v118, v85
	v_add_f32_e32 v117, v97, v86
	v_add_f32_e32 v86, v96, v102
	v_sub_f32_e32 v97, v87, v86
	v_pk_add_f32 v[112:113], v[86:87], v[96:97] neg_lo:[0,1] neg_hi:[0,1]
	v_mov_b32_e32 v103, v86
	v_pk_add_f32 v[86:87], v[112:113], v[102:103] neg_lo:[0,1] neg_hi:[0,1]
	v_add_f32_e32 v87, v117, v87
	v_add_f32_e32 v86, v86, v87
	v_add_f32_e32 v87, v97, v86
	v_mul_f32_e32 v117, v116, v87
	v_mul_f32_e32 v96, v115, v117
	v_fma_f32 v102, v117, v115, -v96
	v_fmac_f32_e32 v102, v117, v85
	v_sub_f32_e32 v85, v97, v87
	v_add_f32_e32 v85, v86, v85
	v_add_f32_e32 v86, v96, v102
	v_sub_f32_e32 v97, v87, v86
	v_pk_add_f32 v[112:113], v[86:87], v[96:97] neg_lo:[0,1] neg_hi:[0,1]
	v_mov_b32_e32 v103, v86
	v_pk_add_f32 v[86:87], v[112:113], v[102:103] neg_lo:[0,1] neg_hi:[0,1]
	v_add_f32_e32 v85, v85, v87
	v_add_f32_e32 v85, v86, v85
	;; [unrolled: 1-line block ×4, first 2 shown]
	v_sub_f32_e32 v87, v86, v118
	v_mul_f32_e32 v85, v116, v85
	v_sub_f32_e32 v87, v117, v87
	v_add_f32_e32 v85, v87, v85
	v_add_f32_e32 v97, v86, v85
	v_mul_f32_e32 v102, v97, v97
	v_mov_b32_e32 v96, 0x3ecc95a3
	v_fmac_f32_e32 v96, 0x3e9b6dac, v102
	v_mov_b32_e32 v87, 0x3f2aaada
	v_fmac_f32_e32 v87, v102, v96
	v_cvt_f32_i32_e32 v96, v114
	v_sub_f32_e32 v86, v97, v86
	v_sub_f32_e32 v85, v85, v86
	v_ldexp_f32 v103, v97, 1
	v_mul_f32_e32 v97, v97, v102
	v_mov_b32_e32 v86, 0x3f317218
	s_mov_b32 s44, 0x3f317218
	v_pk_mul_f32 v[86:87], v[96:97], v[86:87]
	v_fma_f32 v102, v96, s44, -v86
	v_fmac_f32_e32 v102, 0xb102e308, v96
	v_pk_add_f32 v[96:97], v[86:87], v[102:103]
	v_sub_f32_e32 v103, v97, v103
	v_ldexp_f32 v85, v85, 1
	v_sub_f32_e32 v103, v87, v103
	v_add_f32_e32 v113, v85, v103
	v_mov_b32_e32 v112, v86
	v_pk_add_f32 v[86:87], v[96:97], v[86:87] neg_lo:[0,1] neg_hi:[0,1]
	v_pk_add_f32 v[114:115], v[96:97], v[112:113]
	v_mov_b32_e32 v87, v115
	v_mov_b32_e32 v103, v96
	v_pk_add_f32 v[116:117], v[102:103], v[86:87] neg_lo:[0,1] neg_hi:[0,1]
	v_pk_add_f32 v[86:87], v[102:103], v[86:87]
	v_mov_b32_e32 v102, v87
	v_pk_add_f32 v[118:119], v[102:103], v[96:97] neg_lo:[0,1] neg_hi:[0,1]
	v_mov_b32_e32 v85, v118
	v_pk_add_f32 v[128:129], v[114:115], v[84:85] neg_lo:[0,1] neg_hi:[0,1]
	v_mov_b32_e32 v86, v115
	v_mov_b32_e32 v114, v97
	;; [unrolled: 1-line block ×4, first 2 shown]
	v_pk_add_f32 v[86:87], v[86:87], v[114:115] neg_lo:[0,1] neg_hi:[0,1]
	v_mov_b32_e32 v112, v113
	v_mov_b32_e32 v113, v96
	v_pk_add_f32 v[86:87], v[112:113], v[86:87] neg_lo:[0,1] neg_hi:[0,1]
	v_mov_b32_e32 v128, v116
	v_pk_add_f32 v[96:97], v[128:129], v[86:87]
	v_mov_b32_e32 v112, v97
	v_pk_add_f32 v[112:113], v[96:97], v[112:113]
	v_pk_add_f32 v[102:103], v[102:103], v[112:113]
	v_mov_b32_e32 v97, v102
	v_pk_add_f32 v[114:115], v[96:97], v[116:117] neg_lo:[0,1] neg_hi:[0,1]
	v_mov_b32_e32 v87, v112
	v_sub_f32_e32 v85, v96, v114
	v_pk_add_f32 v[86:87], v[86:87], v[114:115] neg_lo:[0,1] neg_hi:[0,1]
	v_sub_f32_e32 v85, v116, v85
	v_add_f32_e32 v85, v86, v85
	v_cmp_eq_f32_e64 s[44:45], s49, v101
	s_mov_b32 s49, 0x33800000
	v_add_f32_e32 v85, v85, v87
	v_cmp_lt_f32_e64 s[50:51], |v101|, s49
	v_add_f32_e32 v85, v102, v85
	s_or_b64 s[44:45], s[44:45], s[50:51]
	v_cndmask_b32_e64 v85, v85, v101, s[44:45]
	v_add_f32_e32 v85, v84, v85
.LBB472_296:
	s_or_b64 exec, exec, s[46:47]
	v_bfe_u32 v84, v85, 16, 1
	v_add3_u32 v84, v85, v84, s48
	v_and_b32_e32 v84, 0xffff0000, v84
	v_cmp_o_f32_e64 s[44:45], v85, v85
	v_cndmask_b32_e64 v86, v82, v84, s[44:45]
	v_mov_b32_e32 v82, 16
	v_lshlrev_b32_sdwa v13, v82, v13 dst_sel:DWORD dst_unused:UNUSED_PAD src0_sel:DWORD src1_sel:WORD_1
	v_max_f32_e32 v85, v86, v86
	v_max_f32_e32 v84, v13, v13
	v_min_f32_e32 v87, v85, v84
	v_cmp_u_f32_e64 s[46:47], v86, v86
	v_max_f32_e32 v85, v85, v84
	v_cndmask_b32_e64 v87, v87, v86, s[46:47]
	v_cmp_u_f32_e64 s[44:45], v13, v13
	v_cndmask_b32_e64 v85, v85, v86, s[46:47]
	v_cndmask_b32_e64 v87, v87, v13, s[44:45]
	;; [unrolled: 1-line block ×3, first 2 shown]
	s_movk_i32 s50, 0x1f8
	v_cmp_neq_f32_e64 s[46:47], v87, v85
	v_cmp_class_f32_e64 s[48:49], v87, s50
	s_or_b64 s[46:47], s[46:47], s[48:49]
	s_and_saveexec_b64 s[48:49], s[46:47]
	s_cbranch_execz .LBB472_298
; %bb.297:
	v_sub_f32_e32 v86, v87, v85
	s_mov_b32 s46, 0x3fb8aa3b
	v_mul_f32_e32 v87, 0x3fb8aa3b, v86
	v_fma_f32 v96, v86, s46, -v87
	v_rndne_f32_e32 v97, v87
	v_fmac_f32_e32 v96, 0x32a5705f, v86
	v_sub_f32_e32 v87, v87, v97
	v_add_f32_e32 v87, v87, v96
	v_exp_f32_e32 v87, v87
	v_cvt_i32_f32_e32 v96, v97
	s_mov_b32 s46, 0xc2ce8ed0
	v_cmp_ngt_f32_e64 s[46:47], s46, v86
	s_mov_b32 s51, 0x7f800000
	v_ldexp_f32 v87, v87, v96
	v_cndmask_b32_e64 v87, 0, v87, s[46:47]
	s_mov_b32 s46, 0x42b17218
	v_mov_b32_e32 v96, 0x7f800000
	v_cmp_nlt_f32_e64 s[46:47], s46, v86
	v_cndmask_b32_e64 v130, v96, v87, s[46:47]
	v_add_f32_e32 v96, 1.0, v130
	v_add_f32_e32 v86, -1.0, v96
	v_sub_f32_e32 v87, v86, v96
	v_add_f32_e32 v87, 1.0, v87
	v_sub_f32_e32 v86, v130, v86
	v_add_f32_e32 v97, v86, v87
	v_frexp_mant_f32_e32 v101, v96
	s_mov_b32 s46, 0x3f2aaaab
	v_cvt_f64_f32_e32 v[86:87], v96
	v_frexp_exp_i32_f64_e32 v86, v[86:87]
	v_cmp_gt_f32_e64 s[46:47], s46, v101
	v_subbrev_co_u32_e64 v101, s[46:47], 0, v86, s[46:47]
	v_sub_u32_e32 v86, 0, v101
	v_ldexp_f32 v87, v96, v86
	v_add_f32_e32 v96, -1.0, v87
	v_add_f32_e32 v102, 1.0, v87
	v_ldexp_f32 v86, v97, v86
	v_add_f32_e32 v97, 1.0, v96
	v_add_f32_e32 v103, -1.0, v102
	v_sub_f32_e32 v97, v87, v97
	v_sub_f32_e32 v87, v87, v103
	v_add_f32_e32 v97, v86, v97
	v_add_f32_e32 v86, v86, v87
	;; [unrolled: 1-line block ×3, first 2 shown]
	v_rcp_f32_e32 v116, v114
	v_sub_f32_e32 v87, v102, v114
	v_add_f32_e32 v115, v86, v87
	v_add_f32_e32 v87, v96, v97
	v_mul_f32_e32 v118, v87, v116
	v_sub_f32_e32 v86, v96, v87
	v_mul_f32_e32 v96, v114, v118
	v_fma_f32 v102, v118, v114, -v96
	v_fmac_f32_e32 v102, v118, v115
	v_add_f32_e32 v117, v97, v86
	v_add_f32_e32 v86, v96, v102
	v_sub_f32_e32 v97, v87, v86
	v_pk_add_f32 v[112:113], v[86:87], v[96:97] neg_lo:[0,1] neg_hi:[0,1]
	v_mov_b32_e32 v103, v86
	v_pk_add_f32 v[86:87], v[112:113], v[102:103] neg_lo:[0,1] neg_hi:[0,1]
	v_add_f32_e32 v87, v117, v87
	v_add_f32_e32 v86, v86, v87
	;; [unrolled: 1-line block ×3, first 2 shown]
	v_mul_f32_e32 v117, v116, v87
	v_mul_f32_e32 v96, v114, v117
	v_fma_f32 v102, v117, v114, -v96
	v_fmac_f32_e32 v102, v117, v115
	v_sub_f32_e32 v97, v97, v87
	v_add_f32_e32 v114, v86, v97
	v_add_f32_e32 v86, v96, v102
	v_sub_f32_e32 v97, v87, v86
	v_pk_add_f32 v[112:113], v[86:87], v[96:97] neg_lo:[0,1] neg_hi:[0,1]
	v_mov_b32_e32 v103, v86
	v_pk_add_f32 v[86:87], v[112:113], v[102:103] neg_lo:[0,1] neg_hi:[0,1]
	v_add_f32_e32 v87, v114, v87
	v_add_f32_e32 v86, v86, v87
	;; [unrolled: 1-line block ×4, first 2 shown]
	v_sub_f32_e32 v87, v97, v118
	v_mul_f32_e32 v86, v116, v86
	v_sub_f32_e32 v87, v117, v87
	v_add_f32_e32 v86, v87, v86
	v_add_f32_e32 v102, v97, v86
	v_mul_f32_e32 v112, v102, v102
	v_mov_b32_e32 v96, 0x3ecc95a3
	v_fmac_f32_e32 v96, 0x3e9b6dac, v112
	v_mov_b32_e32 v87, 0x3f2aaada
	v_fmac_f32_e32 v87, v112, v96
	v_cvt_f32_i32_e32 v96, v101
	v_sub_f32_e32 v97, v102, v97
	v_sub_f32_e32 v86, v86, v97
	v_ldexp_f32 v101, v86, 1
	v_mul_f32_e32 v97, v102, v112
	v_mov_b32_e32 v86, 0x3f317218
	s_mov_b32 s46, 0x3f317218
	v_pk_mul_f32 v[86:87], v[96:97], v[86:87]
	v_ldexp_f32 v103, v102, 1
	v_fma_f32 v102, v96, s46, -v86
	v_fmac_f32_e32 v102, 0xb102e308, v96
	v_pk_add_f32 v[96:97], v[86:87], v[102:103]
	v_sub_f32_e32 v103, v97, v103
	v_sub_f32_e32 v103, v87, v103
	v_add_f32_e32 v113, v101, v103
	v_mov_b32_e32 v112, v86
	v_pk_add_f32 v[86:87], v[96:97], v[86:87] neg_lo:[0,1] neg_hi:[0,1]
	v_pk_add_f32 v[114:115], v[96:97], v[112:113]
	v_mov_b32_e32 v87, v115
	v_mov_b32_e32 v103, v96
	v_pk_add_f32 v[116:117], v[102:103], v[86:87] neg_lo:[0,1] neg_hi:[0,1]
	v_pk_add_f32 v[86:87], v[102:103], v[86:87]
	v_mov_b32_e32 v102, v87
	v_pk_add_f32 v[118:119], v[102:103], v[96:97] neg_lo:[0,1] neg_hi:[0,1]
	v_mov_b32_e32 v101, v118
	v_pk_add_f32 v[128:129], v[114:115], v[100:101] neg_lo:[0,1] neg_hi:[0,1]
	v_mov_b32_e32 v86, v115
	v_mov_b32_e32 v114, v97
	;; [unrolled: 1-line block ×4, first 2 shown]
	v_pk_add_f32 v[86:87], v[86:87], v[114:115] neg_lo:[0,1] neg_hi:[0,1]
	v_mov_b32_e32 v112, v113
	v_mov_b32_e32 v113, v96
	v_pk_add_f32 v[86:87], v[112:113], v[86:87] neg_lo:[0,1] neg_hi:[0,1]
	v_mov_b32_e32 v128, v116
	v_pk_add_f32 v[96:97], v[128:129], v[86:87]
	v_mov_b32_e32 v112, v97
	v_pk_add_f32 v[112:113], v[96:97], v[112:113]
	v_pk_add_f32 v[102:103], v[102:103], v[112:113]
	v_mov_b32_e32 v97, v102
	v_pk_add_f32 v[114:115], v[96:97], v[116:117] neg_lo:[0,1] neg_hi:[0,1]
	v_mov_b32_e32 v87, v112
	v_sub_f32_e32 v96, v96, v114
	v_pk_add_f32 v[86:87], v[86:87], v[114:115] neg_lo:[0,1] neg_hi:[0,1]
	v_sub_f32_e32 v96, v116, v96
	v_add_f32_e32 v86, v86, v96
	v_cmp_eq_f32_e64 s[46:47], s51, v130
	s_mov_b32 s51, 0x33800000
	v_add_f32_e32 v86, v86, v87
	v_cmp_lt_f32_e64 s[52:53], |v130|, s51
	v_add_f32_e32 v86, v102, v86
	s_or_b64 s[46:47], s[46:47], s[52:53]
	v_cndmask_b32_e64 v86, v86, v130, s[46:47]
	v_add_f32_e32 v86, v85, v86
.LBB472_298:
	s_or_b64 exec, exec, s[48:49]
	v_bfe_u32 v85, v86, 16, 1
	s_movk_i32 s52, 0x7fff
	v_add3_u32 v85, v86, v85, s52
	v_and_b32_e32 v87, 0xffff0000, v85
	v_mov_b32_e32 v85, 0x7fc00000
	v_cmp_o_f32_e64 s[46:47], v86, v86
	v_cndmask_b32_e64 v96, v85, v87, s[46:47]
	v_lshlrev_b32_sdwa v82, v82, v14 dst_sel:DWORD dst_unused:UNUSED_PAD src0_sel:DWORD src1_sel:WORD_0
	v_max_f32_e32 v87, v96, v96
	v_max_f32_e32 v86, v82, v82
	v_min_f32_e32 v97, v87, v86
	v_cmp_u_f32_e64 s[48:49], v96, v96
	v_max_f32_e32 v87, v87, v86
	v_cndmask_b32_e64 v97, v97, v96, s[48:49]
	v_cmp_u_f32_e64 s[46:47], v82, v82
	v_cndmask_b32_e64 v87, v87, v96, s[48:49]
	v_cndmask_b32_e64 v97, v97, v82, s[46:47]
	v_cndmask_b32_e64 v87, v87, v82, s[46:47]
	v_cmp_neq_f32_e64 s[48:49], v97, v87
	v_cmp_class_f32_e64 s[50:51], v97, s50
	s_or_b64 s[48:49], s[48:49], s[50:51]
	s_and_saveexec_b64 s[50:51], s[48:49]
	s_cbranch_execz .LBB472_300
; %bb.299:
	v_sub_f32_e32 v96, v97, v87
	s_mov_b32 s48, 0x3fb8aa3b
	v_mul_f32_e32 v97, 0x3fb8aa3b, v96
	v_fma_f32 v101, v96, s48, -v97
	v_rndne_f32_e32 v102, v97
	v_fmac_f32_e32 v101, 0x32a5705f, v96
	v_sub_f32_e32 v97, v97, v102
	v_add_f32_e32 v97, v97, v101
	v_exp_f32_e32 v97, v97
	v_cvt_i32_f32_e32 v101, v102
	s_mov_b32 s48, 0xc2ce8ed0
	v_cmp_ngt_f32_e64 s[48:49], s48, v96
	s_mov_b32 s53, 0x7f800000
	v_ldexp_f32 v97, v97, v101
	v_cndmask_b32_e64 v97, 0, v97, s[48:49]
	s_mov_b32 s48, 0x42b17218
	v_mov_b32_e32 v101, 0x7f800000
	v_cmp_nlt_f32_e64 s[48:49], s48, v96
	v_cndmask_b32_e64 v132, v101, v97, s[48:49]
	v_add_f32_e32 v101, 1.0, v132
	v_add_f32_e32 v96, -1.0, v101
	v_sub_f32_e32 v97, v96, v101
	v_add_f32_e32 v97, 1.0, v97
	v_sub_f32_e32 v96, v132, v96
	v_add_f32_e32 v102, v96, v97
	v_frexp_mant_f32_e32 v103, v101
	s_mov_b32 s48, 0x3f2aaaab
	v_cvt_f64_f32_e32 v[96:97], v101
	v_frexp_exp_i32_f64_e32 v96, v[96:97]
	v_cmp_gt_f32_e64 s[48:49], s48, v103
	v_subbrev_co_u32_e64 v116, s[48:49], 0, v96, s[48:49]
	v_sub_u32_e32 v96, 0, v116
	v_ldexp_f32 v97, v101, v96
	v_add_f32_e32 v101, -1.0, v97
	v_add_f32_e32 v103, 1.0, v97
	v_ldexp_f32 v96, v102, v96
	v_add_f32_e32 v102, 1.0, v101
	v_add_f32_e32 v112, -1.0, v103
	v_sub_f32_e32 v102, v97, v102
	v_sub_f32_e32 v97, v97, v112
	v_add_f32_e32 v102, v96, v102
	v_add_f32_e32 v96, v96, v97
	;; [unrolled: 1-line block ×3, first 2 shown]
	v_rcp_f32_e32 v119, v117
	v_sub_f32_e32 v97, v103, v117
	v_add_f32_e32 v118, v96, v97
	v_add_f32_e32 v97, v101, v102
	v_sub_f32_e32 v96, v101, v97
	v_mul_f32_e32 v128, v97, v119
	v_add_f32_e32 v101, v102, v96
	v_mul_f32_e32 v102, v117, v128
	v_fma_f32 v112, v128, v117, -v102
	v_fmac_f32_e32 v112, v128, v118
	v_add_f32_e32 v96, v102, v112
	v_sub_f32_e32 v103, v97, v96
	v_pk_add_f32 v[114:115], v[96:97], v[102:103] neg_lo:[0,1] neg_hi:[0,1]
	v_mov_b32_e32 v113, v96
	v_pk_add_f32 v[96:97], v[114:115], v[112:113] neg_lo:[0,1] neg_hi:[0,1]
	v_add_f32_e32 v97, v101, v97
	v_add_f32_e32 v96, v96, v97
	;; [unrolled: 1-line block ×3, first 2 shown]
	v_mul_f32_e32 v101, v119, v97
	v_mul_f32_e32 v102, v117, v101
	v_fma_f32 v112, v101, v117, -v102
	v_fmac_f32_e32 v112, v101, v118
	v_sub_f32_e32 v103, v103, v97
	v_add_f32_e32 v117, v96, v103
	v_add_f32_e32 v96, v102, v112
	v_sub_f32_e32 v103, v97, v96
	v_pk_add_f32 v[114:115], v[96:97], v[102:103] neg_lo:[0,1] neg_hi:[0,1]
	v_mov_b32_e32 v113, v96
	v_pk_add_f32 v[96:97], v[114:115], v[112:113] neg_lo:[0,1] neg_hi:[0,1]
	v_add_f32_e32 v97, v117, v97
	v_add_f32_e32 v96, v96, v97
	;; [unrolled: 1-line block ×4, first 2 shown]
	v_sub_f32_e32 v97, v103, v128
	v_mul_f32_e32 v96, v119, v96
	v_sub_f32_e32 v97, v101, v97
	v_add_f32_e32 v96, v97, v96
	v_add_f32_e32 v101, v103, v96
	v_mul_f32_e32 v112, v101, v101
	v_mov_b32_e32 v102, 0x3ecc95a3
	v_fmac_f32_e32 v102, 0x3e9b6dac, v112
	v_mov_b32_e32 v97, 0x3f2aaada
	v_fmac_f32_e32 v97, v112, v102
	v_cvt_f32_i32_e32 v102, v116
	v_sub_f32_e32 v103, v101, v103
	v_sub_f32_e32 v96, v96, v103
	v_ldexp_f32 v114, v96, 1
	v_mul_f32_e32 v103, v101, v112
	v_mov_b32_e32 v96, 0x3f317218
	s_mov_b32 s48, 0x3f317218
	v_pk_mul_f32 v[96:97], v[102:103], v[96:97]
	v_fma_f32 v112, v102, s48, -v96
	v_ldexp_f32 v113, v101, 1
	v_fmac_f32_e32 v112, 0xb102e308, v102
	v_pk_add_f32 v[102:103], v[96:97], v[112:113]
	v_sub_f32_e32 v101, v103, v113
	v_sub_f32_e32 v101, v97, v101
	v_add_f32_e32 v115, v114, v101
	v_mov_b32_e32 v114, v96
	v_pk_add_f32 v[96:97], v[102:103], v[96:97] neg_lo:[0,1] neg_hi:[0,1]
	v_pk_add_f32 v[116:117], v[102:103], v[114:115]
	v_mov_b32_e32 v97, v117
	v_mov_b32_e32 v113, v102
	v_pk_add_f32 v[118:119], v[112:113], v[96:97] neg_lo:[0,1] neg_hi:[0,1]
	v_pk_add_f32 v[96:97], v[112:113], v[96:97]
	v_mov_b32_e32 v112, v97
	v_pk_add_f32 v[128:129], v[112:113], v[102:103] neg_lo:[0,1] neg_hi:[0,1]
	v_mov_b32_e32 v101, v128
	v_pk_add_f32 v[130:131], v[116:117], v[100:101] neg_lo:[0,1] neg_hi:[0,1]
	v_mov_b32_e32 v96, v117
	v_mov_b32_e32 v116, v103
	;; [unrolled: 1-line block ×4, first 2 shown]
	v_pk_add_f32 v[96:97], v[96:97], v[116:117] neg_lo:[0,1] neg_hi:[0,1]
	v_mov_b32_e32 v114, v115
	v_mov_b32_e32 v115, v102
	v_pk_add_f32 v[96:97], v[114:115], v[96:97] neg_lo:[0,1] neg_hi:[0,1]
	v_mov_b32_e32 v130, v118
	v_pk_add_f32 v[102:103], v[130:131], v[96:97]
	v_mov_b32_e32 v114, v103
	v_pk_add_f32 v[114:115], v[102:103], v[114:115]
	v_pk_add_f32 v[112:113], v[112:113], v[114:115]
	v_mov_b32_e32 v103, v112
	v_pk_add_f32 v[116:117], v[102:103], v[118:119] neg_lo:[0,1] neg_hi:[0,1]
	v_mov_b32_e32 v97, v114
	v_sub_f32_e32 v101, v102, v116
	v_pk_add_f32 v[96:97], v[96:97], v[116:117] neg_lo:[0,1] neg_hi:[0,1]
	v_sub_f32_e32 v101, v118, v101
	v_add_f32_e32 v96, v96, v101
	v_cmp_eq_f32_e64 s[48:49], s53, v132
	s_mov_b32 s53, 0x33800000
	v_add_f32_e32 v96, v96, v97
	v_cmp_lt_f32_e64 s[56:57], |v132|, s53
	v_add_f32_e32 v96, v112, v96
	s_or_b64 s[48:49], s[48:49], s[56:57]
	v_cndmask_b32_e64 v96, v96, v132, s[48:49]
	v_add_f32_e32 v96, v87, v96
.LBB472_300:
	s_or_b64 exec, exec, s[50:51]
	v_bfe_u32 v87, v96, 16, 1
	v_add3_u32 v87, v96, v87, s52
	v_and_b32_e32 v87, 0xffff0000, v87
	v_cmp_o_f32_e64 s[48:49], v96, v96
	v_cndmask_b32_e64 v101, v85, v87, s[48:49]
	v_mov_b32_e32 v85, 16
	v_lshlrev_b32_sdwa v14, v85, v14 dst_sel:DWORD dst_unused:UNUSED_PAD src0_sel:DWORD src1_sel:WORD_1
	v_max_f32_e32 v96, v101, v101
	v_max_f32_e32 v87, v14, v14
	v_min_f32_e32 v97, v96, v87
	v_cmp_u_f32_e64 s[50:51], v101, v101
	v_max_f32_e32 v96, v96, v87
	v_cndmask_b32_e64 v97, v97, v101, s[50:51]
	v_cmp_u_f32_e64 s[48:49], v14, v14
	v_cndmask_b32_e64 v96, v96, v101, s[50:51]
	v_cndmask_b32_e64 v97, v97, v14, s[48:49]
	;; [unrolled: 1-line block ×3, first 2 shown]
	s_movk_i32 s56, 0x1f8
	v_cmp_neq_f32_e64 s[50:51], v97, v96
	v_cmp_class_f32_e64 s[52:53], v97, s56
	s_or_b64 s[50:51], s[50:51], s[52:53]
	s_and_saveexec_b64 s[52:53], s[50:51]
	s_cbranch_execz .LBB472_302
; %bb.301:
	v_sub_f32_e32 v97, v97, v96
	s_mov_b32 s50, 0x3fb8aa3b
	v_mul_f32_e32 v101, 0x3fb8aa3b, v97
	v_fma_f32 v102, v97, s50, -v101
	v_rndne_f32_e32 v103, v101
	v_fmac_f32_e32 v102, 0x32a5705f, v97
	v_sub_f32_e32 v101, v101, v103
	v_add_f32_e32 v101, v101, v102
	v_exp_f32_e32 v101, v101
	v_cvt_i32_f32_e32 v102, v103
	s_mov_b32 s50, 0xc2ce8ed0
	v_cmp_ngt_f32_e64 s[50:51], s50, v97
	s_mov_b32 s57, 0x7f800000
	v_ldexp_f32 v101, v101, v102
	v_cndmask_b32_e64 v101, 0, v101, s[50:51]
	s_mov_b32 s50, 0x42b17218
	v_mov_b32_e32 v102, 0x7f800000
	v_cmp_nlt_f32_e64 s[50:51], s50, v97
	v_cndmask_b32_e64 v101, v102, v101, s[50:51]
	v_add_f32_e32 v97, 1.0, v101
	v_add_f32_e32 v102, -1.0, v97
	v_sub_f32_e32 v103, v102, v97
	v_add_f32_e32 v103, 1.0, v103
	v_sub_f32_e32 v102, v101, v102
	v_add_f32_e32 v112, v102, v103
	v_frexp_mant_f32_e32 v113, v97
	s_mov_b32 s50, 0x3f2aaaab
	v_cvt_f64_f32_e32 v[102:103], v97
	v_frexp_exp_i32_f64_e32 v102, v[102:103]
	v_cmp_gt_f32_e64 s[50:51], s50, v113
	v_subbrev_co_u32_e64 v118, s[50:51], 0, v102, s[50:51]
	v_sub_u32_e32 v102, 0, v118
	v_ldexp_f32 v97, v97, v102
	v_ldexp_f32 v102, v112, v102
	v_add_f32_e32 v112, -1.0, v97
	v_add_f32_e32 v103, 1.0, v112
	v_sub_f32_e32 v103, v97, v103
	v_add_f32_e32 v113, v102, v103
	v_add_f32_e32 v103, 1.0, v97
	v_add_f32_e32 v114, -1.0, v103
	v_sub_f32_e32 v97, v97, v114
	v_add_f32_e32 v97, v102, v97
	v_add_f32_e32 v119, v103, v97
	v_rcp_f32_e32 v128, v119
	v_sub_f32_e32 v102, v103, v119
	v_add_f32_e32 v103, v112, v113
	v_add_f32_e32 v97, v97, v102
	v_mul_f32_e32 v130, v103, v128
	v_sub_f32_e32 v102, v112, v103
	v_mul_f32_e32 v112, v119, v130
	v_fma_f32 v114, v130, v119, -v112
	v_fmac_f32_e32 v114, v130, v97
	v_add_f32_e32 v129, v113, v102
	v_add_f32_e32 v102, v112, v114
	v_sub_f32_e32 v113, v103, v102
	v_pk_add_f32 v[116:117], v[102:103], v[112:113] neg_lo:[0,1] neg_hi:[0,1]
	v_mov_b32_e32 v115, v102
	v_pk_add_f32 v[102:103], v[116:117], v[114:115] neg_lo:[0,1] neg_hi:[0,1]
	v_add_f32_e32 v103, v129, v103
	v_add_f32_e32 v102, v102, v103
	;; [unrolled: 1-line block ×3, first 2 shown]
	v_mul_f32_e32 v129, v128, v103
	v_mul_f32_e32 v112, v119, v129
	v_fma_f32 v114, v129, v119, -v112
	v_fmac_f32_e32 v114, v129, v97
	v_sub_f32_e32 v97, v113, v103
	v_add_f32_e32 v97, v102, v97
	v_add_f32_e32 v102, v112, v114
	v_sub_f32_e32 v113, v103, v102
	v_pk_add_f32 v[116:117], v[102:103], v[112:113] neg_lo:[0,1] neg_hi:[0,1]
	v_mov_b32_e32 v115, v102
	v_pk_add_f32 v[102:103], v[116:117], v[114:115] neg_lo:[0,1] neg_hi:[0,1]
	v_add_f32_e32 v97, v97, v103
	v_add_f32_e32 v97, v102, v97
	;; [unrolled: 1-line block ×4, first 2 shown]
	v_sub_f32_e32 v103, v102, v130
	v_mul_f32_e32 v97, v128, v97
	v_sub_f32_e32 v103, v129, v103
	v_add_f32_e32 v97, v103, v97
	v_add_f32_e32 v113, v102, v97
	v_mul_f32_e32 v114, v113, v113
	v_mov_b32_e32 v112, 0x3ecc95a3
	v_fmac_f32_e32 v112, 0x3e9b6dac, v114
	v_mov_b32_e32 v103, 0x3f2aaada
	v_fmac_f32_e32 v103, v114, v112
	v_cvt_f32_i32_e32 v112, v118
	v_sub_f32_e32 v102, v113, v102
	v_sub_f32_e32 v97, v97, v102
	v_ldexp_f32 v115, v113, 1
	v_mul_f32_e32 v113, v113, v114
	v_mov_b32_e32 v102, 0x3f317218
	s_mov_b32 s50, 0x3f317218
	v_pk_mul_f32 v[102:103], v[112:113], v[102:103]
	v_fma_f32 v114, v112, s50, -v102
	v_fmac_f32_e32 v114, 0xb102e308, v112
	v_pk_add_f32 v[112:113], v[102:103], v[114:115]
	v_sub_f32_e32 v115, v113, v115
	v_ldexp_f32 v97, v97, 1
	v_sub_f32_e32 v115, v103, v115
	v_add_f32_e32 v117, v97, v115
	v_mov_b32_e32 v116, v102
	v_pk_add_f32 v[102:103], v[112:113], v[102:103] neg_lo:[0,1] neg_hi:[0,1]
	v_pk_add_f32 v[118:119], v[112:113], v[116:117]
	v_mov_b32_e32 v103, v119
	v_mov_b32_e32 v115, v112
	v_pk_add_f32 v[128:129], v[114:115], v[102:103] neg_lo:[0,1] neg_hi:[0,1]
	v_pk_add_f32 v[102:103], v[114:115], v[102:103]
	v_mov_b32_e32 v114, v103
	v_pk_add_f32 v[130:131], v[114:115], v[112:113] neg_lo:[0,1] neg_hi:[0,1]
	v_mov_b32_e32 v97, v130
	v_pk_add_f32 v[132:133], v[118:119], v[96:97] neg_lo:[0,1] neg_hi:[0,1]
	v_mov_b32_e32 v102, v119
	v_mov_b32_e32 v118, v113
	;; [unrolled: 1-line block ×4, first 2 shown]
	v_pk_add_f32 v[102:103], v[102:103], v[118:119] neg_lo:[0,1] neg_hi:[0,1]
	v_mov_b32_e32 v116, v117
	v_mov_b32_e32 v117, v112
	v_pk_add_f32 v[102:103], v[116:117], v[102:103] neg_lo:[0,1] neg_hi:[0,1]
	v_mov_b32_e32 v132, v128
	v_pk_add_f32 v[112:113], v[132:133], v[102:103]
	v_mov_b32_e32 v116, v113
	v_pk_add_f32 v[116:117], v[112:113], v[116:117]
	v_pk_add_f32 v[114:115], v[114:115], v[116:117]
	v_mov_b32_e32 v113, v114
	v_pk_add_f32 v[118:119], v[112:113], v[128:129] neg_lo:[0,1] neg_hi:[0,1]
	v_mov_b32_e32 v103, v116
	v_sub_f32_e32 v97, v112, v118
	v_pk_add_f32 v[102:103], v[102:103], v[118:119] neg_lo:[0,1] neg_hi:[0,1]
	v_sub_f32_e32 v97, v128, v97
	v_add_f32_e32 v97, v102, v97
	v_cmp_eq_f32_e64 s[50:51], s57, v101
	s_mov_b32 s57, 0x33800000
	v_add_f32_e32 v97, v97, v103
	v_cmp_lt_f32_e64 s[58:59], |v101|, s57
	v_add_f32_e32 v97, v114, v97
	s_or_b64 s[50:51], s[50:51], s[58:59]
	v_cndmask_b32_e64 v97, v97, v101, s[50:51]
	v_add_f32_e32 v101, v96, v97
.LBB472_302:
	s_or_b64 exec, exec, s[52:53]
	v_bfe_u32 v96, v101, 16, 1
	s_movk_i32 s58, 0x7fff
	v_add3_u32 v96, v101, v96, s58
	v_and_b32_e32 v96, 0xffff0000, v96
	v_mov_b32_e32 v97, 0x7fc00000
	v_cmp_o_f32_e64 s[50:51], v101, v101
	v_cndmask_b32_e64 v102, v97, v96, s[50:51]
	v_lshlrev_b32_sdwa v85, v85, v15 dst_sel:DWORD dst_unused:UNUSED_PAD src0_sel:DWORD src1_sel:WORD_0
	v_max_f32_e32 v101, v102, v102
	v_max_f32_e32 v96, v85, v85
	v_min_f32_e32 v103, v101, v96
	v_cmp_u_f32_e64 s[52:53], v102, v102
	v_max_f32_e32 v101, v101, v96
	v_cndmask_b32_e64 v103, v103, v102, s[52:53]
	v_cmp_u_f32_e64 s[50:51], v85, v85
	v_cndmask_b32_e64 v101, v101, v102, s[52:53]
	v_cndmask_b32_e64 v103, v103, v85, s[50:51]
	;; [unrolled: 1-line block ×3, first 2 shown]
	v_cmp_neq_f32_e64 s[52:53], v103, v101
	v_cmp_class_f32_e64 s[56:57], v103, s56
	s_or_b64 s[52:53], s[52:53], s[56:57]
	s_and_saveexec_b64 s[56:57], s[52:53]
	s_cbranch_execz .LBB472_304
; %bb.303:
	v_sub_f32_e32 v102, v103, v101
	s_mov_b32 s52, 0x3fb8aa3b
	v_mul_f32_e32 v103, 0x3fb8aa3b, v102
	v_fma_f32 v112, v102, s52, -v103
	v_rndne_f32_e32 v113, v103
	v_fmac_f32_e32 v112, 0x32a5705f, v102
	v_sub_f32_e32 v103, v103, v113
	v_add_f32_e32 v103, v103, v112
	v_exp_f32_e32 v103, v103
	v_cvt_i32_f32_e32 v112, v113
	s_mov_b32 s52, 0xc2ce8ed0
	v_cmp_ngt_f32_e64 s[52:53], s52, v102
	s_mov_b32 s59, 0x7f800000
	v_ldexp_f32 v103, v103, v112
	v_cndmask_b32_e64 v103, 0, v103, s[52:53]
	s_mov_b32 s52, 0x42b17218
	v_mov_b32_e32 v112, 0x7f800000
	v_cmp_nlt_f32_e64 s[52:53], s52, v102
	v_cndmask_b32_e64 v134, v112, v103, s[52:53]
	v_add_f32_e32 v112, 1.0, v134
	v_add_f32_e32 v102, -1.0, v112
	v_sub_f32_e32 v103, v102, v112
	v_add_f32_e32 v103, 1.0, v103
	v_sub_f32_e32 v102, v134, v102
	v_add_f32_e32 v113, v102, v103
	v_frexp_mant_f32_e32 v114, v112
	s_mov_b32 s52, 0x3f2aaaab
	v_cvt_f64_f32_e32 v[102:103], v112
	v_frexp_exp_i32_f64_e32 v102, v[102:103]
	v_cmp_gt_f32_e64 s[52:53], s52, v114
	v_subbrev_co_u32_e64 v118, s[52:53], 0, v102, s[52:53]
	v_sub_u32_e32 v102, 0, v118
	v_ldexp_f32 v103, v112, v102
	v_add_f32_e32 v112, -1.0, v103
	v_add_f32_e32 v114, 1.0, v103
	v_ldexp_f32 v102, v113, v102
	v_add_f32_e32 v113, 1.0, v112
	v_add_f32_e32 v115, -1.0, v114
	v_sub_f32_e32 v113, v103, v113
	v_sub_f32_e32 v103, v103, v115
	v_add_f32_e32 v113, v102, v113
	v_add_f32_e32 v102, v102, v103
	;; [unrolled: 1-line block ×3, first 2 shown]
	v_rcp_f32_e32 v129, v119
	v_sub_f32_e32 v103, v114, v119
	v_add_f32_e32 v128, v102, v103
	v_add_f32_e32 v103, v112, v113
	v_mul_f32_e32 v131, v103, v129
	v_sub_f32_e32 v102, v112, v103
	v_mul_f32_e32 v112, v119, v131
	v_fma_f32 v114, v131, v119, -v112
	v_fmac_f32_e32 v114, v131, v128
	v_add_f32_e32 v130, v113, v102
	v_add_f32_e32 v102, v112, v114
	v_sub_f32_e32 v113, v103, v102
	v_pk_add_f32 v[116:117], v[102:103], v[112:113] neg_lo:[0,1] neg_hi:[0,1]
	v_mov_b32_e32 v115, v102
	v_pk_add_f32 v[102:103], v[116:117], v[114:115] neg_lo:[0,1] neg_hi:[0,1]
	v_add_f32_e32 v103, v130, v103
	v_add_f32_e32 v102, v102, v103
	;; [unrolled: 1-line block ×3, first 2 shown]
	v_mul_f32_e32 v130, v129, v103
	v_mul_f32_e32 v112, v119, v130
	v_fma_f32 v114, v130, v119, -v112
	v_fmac_f32_e32 v114, v130, v128
	v_sub_f32_e32 v113, v113, v103
	v_add_f32_e32 v119, v102, v113
	v_add_f32_e32 v102, v112, v114
	v_sub_f32_e32 v113, v103, v102
	v_pk_add_f32 v[116:117], v[102:103], v[112:113] neg_lo:[0,1] neg_hi:[0,1]
	v_mov_b32_e32 v115, v102
	v_pk_add_f32 v[102:103], v[116:117], v[114:115] neg_lo:[0,1] neg_hi:[0,1]
	v_add_f32_e32 v103, v119, v103
	v_add_f32_e32 v102, v102, v103
	;; [unrolled: 1-line block ×4, first 2 shown]
	v_sub_f32_e32 v103, v113, v131
	v_mul_f32_e32 v102, v129, v102
	v_sub_f32_e32 v103, v130, v103
	v_add_f32_e32 v102, v103, v102
	v_add_f32_e32 v114, v113, v102
	v_mul_f32_e32 v116, v114, v114
	v_mov_b32_e32 v112, 0x3ecc95a3
	v_fmac_f32_e32 v112, 0x3e9b6dac, v116
	v_mov_b32_e32 v103, 0x3f2aaada
	v_fmac_f32_e32 v103, v116, v112
	v_cvt_f32_i32_e32 v112, v118
	v_sub_f32_e32 v113, v114, v113
	v_sub_f32_e32 v102, v102, v113
	v_ldexp_f32 v117, v102, 1
	v_mul_f32_e32 v113, v114, v116
	v_mov_b32_e32 v102, 0x3f317218
	s_mov_b32 s52, 0x3f317218
	v_pk_mul_f32 v[102:103], v[112:113], v[102:103]
	v_ldexp_f32 v115, v114, 1
	v_fma_f32 v114, v112, s52, -v102
	v_fmac_f32_e32 v114, 0xb102e308, v112
	v_pk_add_f32 v[112:113], v[102:103], v[114:115]
	v_sub_f32_e32 v115, v113, v115
	v_sub_f32_e32 v115, v103, v115
	v_add_f32_e32 v117, v117, v115
	v_mov_b32_e32 v116, v102
	v_pk_add_f32 v[102:103], v[112:113], v[102:103] neg_lo:[0,1] neg_hi:[0,1]
	v_pk_add_f32 v[118:119], v[112:113], v[116:117]
	v_mov_b32_e32 v103, v119
	v_mov_b32_e32 v115, v112
	v_pk_add_f32 v[128:129], v[114:115], v[102:103] neg_lo:[0,1] neg_hi:[0,1]
	v_pk_add_f32 v[102:103], v[114:115], v[102:103]
	v_mov_b32_e32 v114, v103
	v_pk_add_f32 v[130:131], v[114:115], v[112:113] neg_lo:[0,1] neg_hi:[0,1]
	v_mov_b32_e32 v115, v130
	v_pk_add_f32 v[132:133], v[118:119], v[114:115] neg_lo:[0,1] neg_hi:[0,1]
	v_mov_b32_e32 v102, v119
	v_mov_b32_e32 v118, v113
	;; [unrolled: 1-line block ×4, first 2 shown]
	v_pk_add_f32 v[102:103], v[102:103], v[118:119] neg_lo:[0,1] neg_hi:[0,1]
	v_mov_b32_e32 v116, v117
	v_mov_b32_e32 v117, v112
	v_pk_add_f32 v[102:103], v[116:117], v[102:103] neg_lo:[0,1] neg_hi:[0,1]
	v_mov_b32_e32 v132, v128
	v_pk_add_f32 v[112:113], v[132:133], v[102:103]
	v_mov_b32_e32 v116, v113
	v_pk_add_f32 v[116:117], v[112:113], v[116:117]
	v_pk_add_f32 v[114:115], v[114:115], v[116:117]
	v_mov_b32_e32 v113, v114
	v_pk_add_f32 v[118:119], v[112:113], v[128:129] neg_lo:[0,1] neg_hi:[0,1]
	v_mov_b32_e32 v103, v116
	v_sub_f32_e32 v112, v112, v118
	v_pk_add_f32 v[102:103], v[102:103], v[118:119] neg_lo:[0,1] neg_hi:[0,1]
	v_sub_f32_e32 v112, v128, v112
	v_add_f32_e32 v102, v102, v112
	v_cmp_eq_f32_e64 s[52:53], s59, v134
	s_mov_b32 s59, 0x33800000
	v_add_f32_e32 v102, v102, v103
	v_cmp_lt_f32_e64 s[60:61], |v134|, s59
	v_add_f32_e32 v102, v114, v102
	s_or_b64 s[52:53], s[52:53], s[60:61]
	v_cndmask_b32_e64 v102, v102, v134, s[52:53]
	v_add_f32_e32 v102, v101, v102
.LBB472_304:
	s_or_b64 exec, exec, s[56:57]
	v_bfe_u32 v101, v102, 16, 1
	v_add3_u32 v101, v102, v101, s58
	v_and_b32_e32 v101, 0xffff0000, v101
	v_cmp_o_f32_e64 s[52:53], v102, v102
	v_cndmask_b32_e64 v102, v97, v101, s[52:53]
	v_mov_b32_e32 v97, 16
	v_lshlrev_b32_sdwa v15, v97, v15 dst_sel:DWORD dst_unused:UNUSED_PAD src0_sel:DWORD src1_sel:WORD_1
	v_max_f32_e32 v101, v102, v102
	v_max_f32_e32 v97, v15, v15
	v_min_f32_e32 v103, v101, v97
	v_cmp_u_f32_e64 s[56:57], v102, v102
	v_max_f32_e32 v101, v101, v97
	v_cndmask_b32_e64 v103, v103, v102, s[56:57]
	v_cmp_u_f32_e64 s[52:53], v15, v15
	v_cndmask_b32_e64 v101, v101, v102, s[56:57]
	v_cndmask_b32_e64 v103, v103, v15, s[52:53]
	;; [unrolled: 1-line block ×3, first 2 shown]
	s_movk_i32 s58, 0x1f8
	v_cmp_neq_f32_e64 s[56:57], v103, v101
	v_cmp_class_f32_e64 s[58:59], v103, s58
	s_or_b64 s[56:57], s[56:57], s[58:59]
	s_and_saveexec_b64 s[58:59], s[56:57]
	s_cbranch_execz .LBB472_306
; %bb.305:
	v_sub_f32_e32 v102, v103, v101
	s_mov_b32 s56, 0x3fb8aa3b
	v_mul_f32_e32 v103, 0x3fb8aa3b, v102
	v_fma_f32 v112, v102, s56, -v103
	v_rndne_f32_e32 v113, v103
	v_fmac_f32_e32 v112, 0x32a5705f, v102
	v_sub_f32_e32 v103, v103, v113
	v_add_f32_e32 v103, v103, v112
	v_exp_f32_e32 v103, v103
	v_cvt_i32_f32_e32 v112, v113
	s_mov_b32 s56, 0xc2ce8ed0
	v_cmp_ngt_f32_e64 s[56:57], s56, v102
	s_mov_b32 s60, 0x7f800000
	v_ldexp_f32 v103, v103, v112
	v_cndmask_b32_e64 v103, 0, v103, s[56:57]
	s_mov_b32 s56, 0x42b17218
	v_mov_b32_e32 v112, 0x7f800000
	v_cmp_nlt_f32_e64 s[56:57], s56, v102
	v_cndmask_b32_e64 v134, v112, v103, s[56:57]
	v_add_f32_e32 v112, 1.0, v134
	v_add_f32_e32 v102, -1.0, v112
	v_sub_f32_e32 v103, v102, v112
	v_add_f32_e32 v103, 1.0, v103
	v_sub_f32_e32 v102, v134, v102
	v_add_f32_e32 v113, v102, v103
	v_frexp_mant_f32_e32 v114, v112
	s_mov_b32 s56, 0x3f2aaaab
	v_cvt_f64_f32_e32 v[102:103], v112
	v_frexp_exp_i32_f64_e32 v102, v[102:103]
	v_cmp_gt_f32_e64 s[56:57], s56, v114
	v_subbrev_co_u32_e64 v118, s[56:57], 0, v102, s[56:57]
	v_sub_u32_e32 v102, 0, v118
	v_ldexp_f32 v103, v112, v102
	v_add_f32_e32 v112, -1.0, v103
	v_add_f32_e32 v114, 1.0, v103
	v_ldexp_f32 v102, v113, v102
	v_add_f32_e32 v113, 1.0, v112
	v_add_f32_e32 v115, -1.0, v114
	v_sub_f32_e32 v113, v103, v113
	v_sub_f32_e32 v103, v103, v115
	v_add_f32_e32 v113, v102, v113
	v_add_f32_e32 v102, v102, v103
	;; [unrolled: 1-line block ×3, first 2 shown]
	v_rcp_f32_e32 v129, v119
	v_sub_f32_e32 v103, v114, v119
	v_add_f32_e32 v128, v102, v103
	v_add_f32_e32 v103, v112, v113
	v_mul_f32_e32 v131, v103, v129
	v_sub_f32_e32 v102, v112, v103
	v_mul_f32_e32 v112, v119, v131
	v_fma_f32 v114, v131, v119, -v112
	v_fmac_f32_e32 v114, v131, v128
	v_add_f32_e32 v130, v113, v102
	v_add_f32_e32 v102, v112, v114
	v_sub_f32_e32 v113, v103, v102
	v_pk_add_f32 v[116:117], v[102:103], v[112:113] neg_lo:[0,1] neg_hi:[0,1]
	v_mov_b32_e32 v115, v102
	v_pk_add_f32 v[102:103], v[116:117], v[114:115] neg_lo:[0,1] neg_hi:[0,1]
	v_add_f32_e32 v103, v130, v103
	v_add_f32_e32 v102, v102, v103
	;; [unrolled: 1-line block ×3, first 2 shown]
	v_mul_f32_e32 v130, v129, v103
	v_mul_f32_e32 v112, v119, v130
	v_fma_f32 v114, v130, v119, -v112
	v_fmac_f32_e32 v114, v130, v128
	v_sub_f32_e32 v113, v113, v103
	v_add_f32_e32 v119, v102, v113
	v_add_f32_e32 v102, v112, v114
	v_sub_f32_e32 v113, v103, v102
	v_pk_add_f32 v[116:117], v[102:103], v[112:113] neg_lo:[0,1] neg_hi:[0,1]
	v_mov_b32_e32 v115, v102
	v_pk_add_f32 v[102:103], v[116:117], v[114:115] neg_lo:[0,1] neg_hi:[0,1]
	v_add_f32_e32 v103, v119, v103
	v_add_f32_e32 v102, v102, v103
	;; [unrolled: 1-line block ×4, first 2 shown]
	v_sub_f32_e32 v103, v113, v131
	v_mul_f32_e32 v102, v129, v102
	v_sub_f32_e32 v103, v130, v103
	v_add_f32_e32 v102, v103, v102
	v_add_f32_e32 v114, v113, v102
	v_mul_f32_e32 v116, v114, v114
	v_mov_b32_e32 v112, 0x3ecc95a3
	v_fmac_f32_e32 v112, 0x3e9b6dac, v116
	v_mov_b32_e32 v103, 0x3f2aaada
	v_fmac_f32_e32 v103, v116, v112
	v_cvt_f32_i32_e32 v112, v118
	v_sub_f32_e32 v113, v114, v113
	v_sub_f32_e32 v102, v102, v113
	v_ldexp_f32 v117, v102, 1
	v_mul_f32_e32 v113, v114, v116
	v_mov_b32_e32 v102, 0x3f317218
	s_mov_b32 s56, 0x3f317218
	v_pk_mul_f32 v[102:103], v[112:113], v[102:103]
	v_ldexp_f32 v115, v114, 1
	v_fma_f32 v114, v112, s56, -v102
	v_fmac_f32_e32 v114, 0xb102e308, v112
	v_pk_add_f32 v[112:113], v[102:103], v[114:115]
	v_sub_f32_e32 v115, v113, v115
	v_sub_f32_e32 v115, v103, v115
	v_add_f32_e32 v117, v117, v115
	v_mov_b32_e32 v116, v102
	v_pk_add_f32 v[102:103], v[112:113], v[102:103] neg_lo:[0,1] neg_hi:[0,1]
	v_pk_add_f32 v[118:119], v[112:113], v[116:117]
	v_mov_b32_e32 v103, v119
	v_mov_b32_e32 v115, v112
	v_pk_add_f32 v[128:129], v[114:115], v[102:103] neg_lo:[0,1] neg_hi:[0,1]
	v_pk_add_f32 v[102:103], v[114:115], v[102:103]
	v_mov_b32_e32 v114, v103
	v_pk_add_f32 v[130:131], v[114:115], v[112:113] neg_lo:[0,1] neg_hi:[0,1]
	v_mov_b32_e32 v115, v130
	v_pk_add_f32 v[132:133], v[118:119], v[114:115] neg_lo:[0,1] neg_hi:[0,1]
	v_mov_b32_e32 v102, v119
	v_mov_b32_e32 v118, v113
	;; [unrolled: 1-line block ×4, first 2 shown]
	v_pk_add_f32 v[102:103], v[102:103], v[118:119] neg_lo:[0,1] neg_hi:[0,1]
	v_mov_b32_e32 v116, v117
	v_mov_b32_e32 v117, v112
	v_pk_add_f32 v[102:103], v[116:117], v[102:103] neg_lo:[0,1] neg_hi:[0,1]
	v_mov_b32_e32 v132, v128
	v_pk_add_f32 v[112:113], v[132:133], v[102:103]
	v_mov_b32_e32 v116, v113
	v_pk_add_f32 v[116:117], v[112:113], v[116:117]
	v_pk_add_f32 v[114:115], v[114:115], v[116:117]
	v_mov_b32_e32 v113, v114
	v_pk_add_f32 v[118:119], v[112:113], v[128:129] neg_lo:[0,1] neg_hi:[0,1]
	v_mov_b32_e32 v103, v116
	v_sub_f32_e32 v112, v112, v118
	v_pk_add_f32 v[102:103], v[102:103], v[118:119] neg_lo:[0,1] neg_hi:[0,1]
	v_sub_f32_e32 v112, v128, v112
	v_add_f32_e32 v102, v102, v112
	v_cmp_eq_f32_e64 s[56:57], s60, v134
	s_mov_b32 s60, 0x33800000
	v_add_f32_e32 v102, v102, v103
	v_cmp_lt_f32_e64 s[60:61], |v134|, s60
	v_add_f32_e32 v102, v114, v102
	s_or_b64 s[56:57], s[56:57], s[60:61]
	v_cndmask_b32_e64 v102, v102, v134, s[56:57]
	v_add_f32_e32 v102, v101, v102
.LBB472_306:
	s_or_b64 exec, exec, s[58:59]
	v_bfe_u32 v101, v102, 16, 1
	s_movk_i32 s56, 0x7fff
	v_add3_u32 v101, v102, v101, s56
	v_lshrrev_b32_e32 v101, 16, v101
	v_mov_b32_e32 v103, 0x7fc0
	v_cmp_o_f32_e64 s[56:57], v102, v102
	v_cndmask_b32_e64 v103, v103, v101, s[56:57]
	v_mbcnt_lo_u32_b32 v101, -1, 0
	v_mbcnt_hi_u32_b32 v101, -1, v101
	v_and_b32_e32 v102, 15, v101
	v_and_b32_e32 v112, 0xffff, v103
	v_cmp_ne_u32_e64 s[56:57], 0, v102
	s_nop 0
	v_mov_b32_dpp v113, v112 row_shr:1 row_mask:0xf bank_mask:0xf
	s_and_saveexec_b64 s[60:61], s[56:57]
	s_cbranch_execz .LBB472_310
; %bb.307:
	v_lshlrev_b32_e32 v113, 16, v113
	v_lshlrev_b32_e32 v103, 16, v112
	v_max_f32_e32 v114, v103, v103
	v_max_f32_e32 v115, v113, v113
	v_min_f32_e32 v112, v115, v114
	v_cmp_u_f32_e64 s[56:57], v113, v113
	v_max_f32_e32 v114, v115, v114
	v_cndmask_b32_e64 v112, v112, v113, s[56:57]
	v_cmp_u_f32_e64 s[58:59], v103, v103
	v_cndmask_b32_e64 v114, v114, v113, s[56:57]
	v_cndmask_b32_e64 v112, v112, v103, s[58:59]
	;; [unrolled: 1-line block ×3, first 2 shown]
	s_movk_i32 s58, 0x1f8
	v_cmp_neq_f32_e64 s[56:57], v112, v103
	v_cmp_class_f32_e64 s[58:59], v112, s58
	s_or_b64 s[56:57], s[56:57], s[58:59]
	s_and_saveexec_b64 s[58:59], s[56:57]
	s_cbranch_execz .LBB472_309
; %bb.308:
	v_sub_f32_e32 v112, v112, v103
	s_mov_b32 s56, 0x3fb8aa3b
	v_mul_f32_e32 v113, 0x3fb8aa3b, v112
	v_fma_f32 v114, v112, s56, -v113
	v_rndne_f32_e32 v115, v113
	v_fmac_f32_e32 v114, 0x32a5705f, v112
	v_sub_f32_e32 v113, v113, v115
	v_add_f32_e32 v113, v113, v114
	v_exp_f32_e32 v113, v113
	v_cvt_i32_f32_e32 v114, v115
	s_mov_b32 s56, 0xc2ce8ed0
	v_cmp_ngt_f32_e64 s[56:57], s56, v112
	s_mov_b32 s62, 0x7f800000
	v_ldexp_f32 v113, v113, v114
	v_cndmask_b32_e64 v113, 0, v113, s[56:57]
	s_mov_b32 s56, 0x42b17218
	v_mov_b32_e32 v114, 0x7f800000
	v_cmp_nlt_f32_e64 s[56:57], s56, v112
	v_cndmask_b32_e64 v144, v114, v113, s[56:57]
	v_add_f32_e32 v114, 1.0, v144
	v_add_f32_e32 v112, -1.0, v114
	v_sub_f32_e32 v113, v112, v114
	v_add_f32_e32 v113, 1.0, v113
	v_sub_f32_e32 v112, v144, v112
	v_add_f32_e32 v115, v112, v113
	v_frexp_mant_f32_e32 v116, v114
	s_mov_b32 s56, 0x3f2aaaab
	v_cvt_f64_f32_e32 v[112:113], v114
	v_frexp_exp_i32_f64_e32 v112, v[112:113]
	v_cmp_gt_f32_e64 s[56:57], s56, v116
	v_subbrev_co_u32_e64 v128, s[56:57], 0, v112, s[56:57]
	v_sub_u32_e32 v112, 0, v128
	v_ldexp_f32 v113, v114, v112
	v_add_f32_e32 v114, -1.0, v113
	v_add_f32_e32 v116, 1.0, v113
	v_ldexp_f32 v112, v115, v112
	v_add_f32_e32 v115, 1.0, v114
	v_add_f32_e32 v117, -1.0, v116
	v_sub_f32_e32 v115, v113, v115
	v_sub_f32_e32 v113, v113, v117
	v_add_f32_e32 v115, v112, v115
	v_add_f32_e32 v112, v112, v113
	;; [unrolled: 1-line block ×3, first 2 shown]
	v_rcp_f32_e32 v131, v129
	v_sub_f32_e32 v113, v116, v129
	v_add_f32_e32 v130, v112, v113
	v_add_f32_e32 v113, v114, v115
	v_mul_f32_e32 v133, v113, v131
	v_sub_f32_e32 v112, v114, v113
	v_mul_f32_e32 v114, v129, v133
	v_fma_f32 v116, v133, v129, -v114
	v_fmac_f32_e32 v116, v133, v130
	v_add_f32_e32 v132, v115, v112
	v_add_f32_e32 v112, v114, v116
	v_sub_f32_e32 v115, v113, v112
	v_pk_add_f32 v[118:119], v[112:113], v[114:115] neg_lo:[0,1] neg_hi:[0,1]
	v_mov_b32_e32 v117, v112
	v_pk_add_f32 v[112:113], v[118:119], v[116:117] neg_lo:[0,1] neg_hi:[0,1]
	v_add_f32_e32 v113, v132, v113
	v_add_f32_e32 v112, v112, v113
	;; [unrolled: 1-line block ×3, first 2 shown]
	v_mul_f32_e32 v132, v131, v113
	v_mul_f32_e32 v114, v129, v132
	v_fma_f32 v116, v132, v129, -v114
	v_fmac_f32_e32 v116, v132, v130
	v_sub_f32_e32 v115, v115, v113
	v_add_f32_e32 v129, v112, v115
	v_add_f32_e32 v112, v114, v116
	v_sub_f32_e32 v115, v113, v112
	v_pk_add_f32 v[118:119], v[112:113], v[114:115] neg_lo:[0,1] neg_hi:[0,1]
	v_mov_b32_e32 v117, v112
	v_pk_add_f32 v[112:113], v[118:119], v[116:117] neg_lo:[0,1] neg_hi:[0,1]
	v_add_f32_e32 v113, v129, v113
	v_add_f32_e32 v112, v112, v113
	;; [unrolled: 1-line block ×4, first 2 shown]
	v_sub_f32_e32 v113, v115, v133
	v_mul_f32_e32 v112, v131, v112
	v_sub_f32_e32 v113, v132, v113
	v_add_f32_e32 v112, v113, v112
	v_add_f32_e32 v116, v115, v112
	v_mul_f32_e32 v118, v116, v116
	v_mov_b32_e32 v114, 0x3ecc95a3
	v_fmac_f32_e32 v114, 0x3e9b6dac, v118
	v_mov_b32_e32 v113, 0x3f2aaada
	v_fmac_f32_e32 v113, v118, v114
	v_cvt_f32_i32_e32 v114, v128
	v_sub_f32_e32 v115, v116, v115
	v_sub_f32_e32 v112, v112, v115
	v_ldexp_f32 v119, v112, 1
	v_mul_f32_e32 v115, v116, v118
	v_mov_b32_e32 v112, 0x3f317218
	s_mov_b32 s56, 0x3f317218
	v_pk_mul_f32 v[112:113], v[114:115], v[112:113]
	v_ldexp_f32 v117, v116, 1
	v_fma_f32 v116, v114, s56, -v112
	v_fmac_f32_e32 v116, 0xb102e308, v114
	v_pk_add_f32 v[114:115], v[112:113], v[116:117]
	v_sub_f32_e32 v117, v115, v117
	v_sub_f32_e32 v117, v113, v117
	v_add_f32_e32 v119, v119, v117
	v_mov_b32_e32 v118, v112
	v_pk_add_f32 v[112:113], v[114:115], v[112:113] neg_lo:[0,1] neg_hi:[0,1]
	v_pk_add_f32 v[128:129], v[114:115], v[118:119]
	v_mov_b32_e32 v113, v129
	v_mov_b32_e32 v117, v114
	v_pk_add_f32 v[130:131], v[116:117], v[112:113] neg_lo:[0,1] neg_hi:[0,1]
	v_pk_add_f32 v[112:113], v[116:117], v[112:113]
	v_mov_b32_e32 v116, v113
	v_pk_add_f32 v[132:133], v[116:117], v[114:115] neg_lo:[0,1] neg_hi:[0,1]
	v_mov_b32_e32 v117, v132
	v_pk_add_f32 v[134:135], v[128:129], v[116:117] neg_lo:[0,1] neg_hi:[0,1]
	v_mov_b32_e32 v112, v129
	v_mov_b32_e32 v128, v115
	;; [unrolled: 1-line block ×4, first 2 shown]
	v_pk_add_f32 v[112:113], v[112:113], v[128:129] neg_lo:[0,1] neg_hi:[0,1]
	v_mov_b32_e32 v118, v119
	v_mov_b32_e32 v119, v114
	v_pk_add_f32 v[112:113], v[118:119], v[112:113] neg_lo:[0,1] neg_hi:[0,1]
	v_mov_b32_e32 v134, v130
	v_pk_add_f32 v[114:115], v[134:135], v[112:113]
	v_mov_b32_e32 v118, v115
	v_pk_add_f32 v[118:119], v[114:115], v[118:119]
	v_pk_add_f32 v[116:117], v[116:117], v[118:119]
	v_mov_b32_e32 v115, v116
	v_pk_add_f32 v[128:129], v[114:115], v[130:131] neg_lo:[0,1] neg_hi:[0,1]
	v_mov_b32_e32 v113, v118
	v_sub_f32_e32 v114, v114, v128
	v_pk_add_f32 v[112:113], v[112:113], v[128:129] neg_lo:[0,1] neg_hi:[0,1]
	v_sub_f32_e32 v114, v130, v114
	v_add_f32_e32 v112, v112, v114
	v_cmp_eq_f32_e64 s[56:57], s62, v144
	s_mov_b32 s62, 0x33800000
	v_add_f32_e32 v112, v112, v113
	v_cmp_lt_f32_e64 s[62:63], |v144|, s62
	v_add_f32_e32 v112, v116, v112
	s_or_b64 s[56:57], s[56:57], s[62:63]
	v_cndmask_b32_e64 v112, v112, v144, s[56:57]
	v_add_f32_e32 v113, v103, v112
.LBB472_309:
	s_or_b64 exec, exec, s[58:59]
	v_bfe_u32 v103, v113, 16, 1
	s_movk_i32 s56, 0x7fff
	v_add3_u32 v103, v113, v103, s56
	v_lshrrev_b32_e32 v103, 16, v103
	v_mov_b32_e32 v112, 0x7fc0
	v_cmp_o_f32_e64 s[56:57], v113, v113
	v_cndmask_b32_e64 v103, v112, v103, s[56:57]
	v_and_b32_e32 v112, 0xffff, v103
.LBB472_310:
	s_or_b64 exec, exec, s[60:61]
	s_nop 0
	v_mov_b32_dpp v113, v112 row_shr:2 row_mask:0xf bank_mask:0xf
	v_cmp_lt_u32_e64 s[56:57], 1, v102
	s_and_saveexec_b64 s[60:61], s[56:57]
	s_cbranch_execz .LBB472_314
; %bb.311:
	v_lshlrev_b32_e32 v113, 16, v113
	v_lshlrev_b32_e32 v103, 16, v112
	v_max_f32_e32 v114, v103, v103
	v_max_f32_e32 v115, v113, v113
	v_min_f32_e32 v112, v115, v114
	v_cmp_u_f32_e64 s[56:57], v113, v113
	v_max_f32_e32 v114, v115, v114
	v_cndmask_b32_e64 v112, v112, v113, s[56:57]
	v_cmp_u_f32_e64 s[58:59], v103, v103
	v_cndmask_b32_e64 v114, v114, v113, s[56:57]
	v_cndmask_b32_e64 v112, v112, v103, s[58:59]
	;; [unrolled: 1-line block ×3, first 2 shown]
	s_movk_i32 s58, 0x1f8
	v_cmp_neq_f32_e64 s[56:57], v112, v103
	v_cmp_class_f32_e64 s[58:59], v112, s58
	s_or_b64 s[56:57], s[56:57], s[58:59]
	s_and_saveexec_b64 s[58:59], s[56:57]
	s_cbranch_execz .LBB472_313
; %bb.312:
	v_sub_f32_e32 v112, v112, v103
	s_mov_b32 s56, 0x3fb8aa3b
	v_mul_f32_e32 v113, 0x3fb8aa3b, v112
	v_fma_f32 v114, v112, s56, -v113
	v_rndne_f32_e32 v115, v113
	v_fmac_f32_e32 v114, 0x32a5705f, v112
	v_sub_f32_e32 v113, v113, v115
	v_add_f32_e32 v113, v113, v114
	v_exp_f32_e32 v113, v113
	v_cvt_i32_f32_e32 v114, v115
	s_mov_b32 s56, 0xc2ce8ed0
	v_cmp_ngt_f32_e64 s[56:57], s56, v112
	s_mov_b32 s62, 0x7f800000
	v_ldexp_f32 v113, v113, v114
	v_cndmask_b32_e64 v113, 0, v113, s[56:57]
	s_mov_b32 s56, 0x42b17218
	v_mov_b32_e32 v114, 0x7f800000
	v_cmp_nlt_f32_e64 s[56:57], s56, v112
	v_cndmask_b32_e64 v144, v114, v113, s[56:57]
	v_add_f32_e32 v114, 1.0, v144
	v_add_f32_e32 v112, -1.0, v114
	v_sub_f32_e32 v113, v112, v114
	v_add_f32_e32 v113, 1.0, v113
	v_sub_f32_e32 v112, v144, v112
	v_add_f32_e32 v115, v112, v113
	v_frexp_mant_f32_e32 v116, v114
	s_mov_b32 s56, 0x3f2aaaab
	v_cvt_f64_f32_e32 v[112:113], v114
	v_frexp_exp_i32_f64_e32 v112, v[112:113]
	v_cmp_gt_f32_e64 s[56:57], s56, v116
	v_subbrev_co_u32_e64 v128, s[56:57], 0, v112, s[56:57]
	v_sub_u32_e32 v112, 0, v128
	v_ldexp_f32 v113, v114, v112
	v_add_f32_e32 v114, -1.0, v113
	v_add_f32_e32 v116, 1.0, v113
	v_ldexp_f32 v112, v115, v112
	v_add_f32_e32 v115, 1.0, v114
	v_add_f32_e32 v117, -1.0, v116
	v_sub_f32_e32 v115, v113, v115
	v_sub_f32_e32 v113, v113, v117
	v_add_f32_e32 v115, v112, v115
	v_add_f32_e32 v112, v112, v113
	;; [unrolled: 1-line block ×3, first 2 shown]
	v_rcp_f32_e32 v131, v129
	v_sub_f32_e32 v113, v116, v129
	v_add_f32_e32 v130, v112, v113
	v_add_f32_e32 v113, v114, v115
	v_mul_f32_e32 v133, v113, v131
	v_sub_f32_e32 v112, v114, v113
	v_mul_f32_e32 v114, v129, v133
	v_fma_f32 v116, v133, v129, -v114
	v_fmac_f32_e32 v116, v133, v130
	v_add_f32_e32 v132, v115, v112
	v_add_f32_e32 v112, v114, v116
	v_sub_f32_e32 v115, v113, v112
	v_pk_add_f32 v[118:119], v[112:113], v[114:115] neg_lo:[0,1] neg_hi:[0,1]
	v_mov_b32_e32 v117, v112
	v_pk_add_f32 v[112:113], v[118:119], v[116:117] neg_lo:[0,1] neg_hi:[0,1]
	v_add_f32_e32 v113, v132, v113
	v_add_f32_e32 v112, v112, v113
	;; [unrolled: 1-line block ×3, first 2 shown]
	v_mul_f32_e32 v132, v131, v113
	v_mul_f32_e32 v114, v129, v132
	v_fma_f32 v116, v132, v129, -v114
	v_fmac_f32_e32 v116, v132, v130
	v_sub_f32_e32 v115, v115, v113
	v_add_f32_e32 v129, v112, v115
	v_add_f32_e32 v112, v114, v116
	v_sub_f32_e32 v115, v113, v112
	v_pk_add_f32 v[118:119], v[112:113], v[114:115] neg_lo:[0,1] neg_hi:[0,1]
	v_mov_b32_e32 v117, v112
	v_pk_add_f32 v[112:113], v[118:119], v[116:117] neg_lo:[0,1] neg_hi:[0,1]
	v_add_f32_e32 v113, v129, v113
	v_add_f32_e32 v112, v112, v113
	;; [unrolled: 1-line block ×4, first 2 shown]
	v_sub_f32_e32 v113, v115, v133
	v_mul_f32_e32 v112, v131, v112
	v_sub_f32_e32 v113, v132, v113
	v_add_f32_e32 v112, v113, v112
	v_add_f32_e32 v116, v115, v112
	v_mul_f32_e32 v118, v116, v116
	v_mov_b32_e32 v114, 0x3ecc95a3
	v_fmac_f32_e32 v114, 0x3e9b6dac, v118
	v_mov_b32_e32 v113, 0x3f2aaada
	v_fmac_f32_e32 v113, v118, v114
	v_cvt_f32_i32_e32 v114, v128
	v_sub_f32_e32 v115, v116, v115
	v_sub_f32_e32 v112, v112, v115
	v_ldexp_f32 v119, v112, 1
	v_mul_f32_e32 v115, v116, v118
	v_mov_b32_e32 v112, 0x3f317218
	s_mov_b32 s56, 0x3f317218
	v_pk_mul_f32 v[112:113], v[114:115], v[112:113]
	v_ldexp_f32 v117, v116, 1
	v_fma_f32 v116, v114, s56, -v112
	v_fmac_f32_e32 v116, 0xb102e308, v114
	v_pk_add_f32 v[114:115], v[112:113], v[116:117]
	v_sub_f32_e32 v117, v115, v117
	v_sub_f32_e32 v117, v113, v117
	v_add_f32_e32 v119, v119, v117
	v_mov_b32_e32 v118, v112
	v_pk_add_f32 v[112:113], v[114:115], v[112:113] neg_lo:[0,1] neg_hi:[0,1]
	v_pk_add_f32 v[128:129], v[114:115], v[118:119]
	v_mov_b32_e32 v113, v129
	v_mov_b32_e32 v117, v114
	v_pk_add_f32 v[130:131], v[116:117], v[112:113] neg_lo:[0,1] neg_hi:[0,1]
	v_pk_add_f32 v[112:113], v[116:117], v[112:113]
	v_mov_b32_e32 v116, v113
	v_pk_add_f32 v[132:133], v[116:117], v[114:115] neg_lo:[0,1] neg_hi:[0,1]
	v_mov_b32_e32 v117, v132
	v_pk_add_f32 v[134:135], v[128:129], v[116:117] neg_lo:[0,1] neg_hi:[0,1]
	v_mov_b32_e32 v112, v129
	v_mov_b32_e32 v128, v115
	;; [unrolled: 1-line block ×4, first 2 shown]
	v_pk_add_f32 v[112:113], v[112:113], v[128:129] neg_lo:[0,1] neg_hi:[0,1]
	v_mov_b32_e32 v118, v119
	v_mov_b32_e32 v119, v114
	v_pk_add_f32 v[112:113], v[118:119], v[112:113] neg_lo:[0,1] neg_hi:[0,1]
	v_mov_b32_e32 v134, v130
	v_pk_add_f32 v[114:115], v[134:135], v[112:113]
	v_mov_b32_e32 v118, v115
	v_pk_add_f32 v[118:119], v[114:115], v[118:119]
	v_pk_add_f32 v[116:117], v[116:117], v[118:119]
	v_mov_b32_e32 v115, v116
	v_pk_add_f32 v[128:129], v[114:115], v[130:131] neg_lo:[0,1] neg_hi:[0,1]
	v_mov_b32_e32 v113, v118
	v_sub_f32_e32 v114, v114, v128
	v_pk_add_f32 v[112:113], v[112:113], v[128:129] neg_lo:[0,1] neg_hi:[0,1]
	v_sub_f32_e32 v114, v130, v114
	v_add_f32_e32 v112, v112, v114
	v_cmp_eq_f32_e64 s[56:57], s62, v144
	s_mov_b32 s62, 0x33800000
	v_add_f32_e32 v112, v112, v113
	v_cmp_lt_f32_e64 s[62:63], |v144|, s62
	v_add_f32_e32 v112, v116, v112
	s_or_b64 s[56:57], s[56:57], s[62:63]
	v_cndmask_b32_e64 v112, v112, v144, s[56:57]
	v_add_f32_e32 v113, v103, v112
.LBB472_313:
	s_or_b64 exec, exec, s[58:59]
	v_bfe_u32 v103, v113, 16, 1
	s_movk_i32 s56, 0x7fff
	v_add3_u32 v103, v113, v103, s56
	v_lshrrev_b32_e32 v103, 16, v103
	v_mov_b32_e32 v112, 0x7fc0
	v_cmp_o_f32_e64 s[56:57], v113, v113
	v_cndmask_b32_e64 v103, v112, v103, s[56:57]
	v_and_b32_e32 v112, 0xffff, v103
.LBB472_314:
	s_or_b64 exec, exec, s[60:61]
	s_nop 0
	v_mov_b32_dpp v113, v112 row_shr:4 row_mask:0xf bank_mask:0xf
	v_cmp_lt_u32_e64 s[56:57], 3, v102
	s_and_saveexec_b64 s[60:61], s[56:57]
	s_cbranch_execz .LBB472_318
; %bb.315:
	v_lshlrev_b32_e32 v113, 16, v113
	v_lshlrev_b32_e32 v103, 16, v112
	v_max_f32_e32 v114, v103, v103
	v_max_f32_e32 v115, v113, v113
	v_min_f32_e32 v112, v115, v114
	v_cmp_u_f32_e64 s[56:57], v113, v113
	v_max_f32_e32 v114, v115, v114
	v_cndmask_b32_e64 v112, v112, v113, s[56:57]
	v_cmp_u_f32_e64 s[58:59], v103, v103
	v_cndmask_b32_e64 v114, v114, v113, s[56:57]
	v_cndmask_b32_e64 v112, v112, v103, s[58:59]
	;; [unrolled: 1-line block ×3, first 2 shown]
	s_movk_i32 s58, 0x1f8
	v_cmp_neq_f32_e64 s[56:57], v112, v103
	v_cmp_class_f32_e64 s[58:59], v112, s58
	s_or_b64 s[56:57], s[56:57], s[58:59]
	s_and_saveexec_b64 s[58:59], s[56:57]
	s_cbranch_execz .LBB472_317
; %bb.316:
	v_sub_f32_e32 v112, v112, v103
	s_mov_b32 s56, 0x3fb8aa3b
	v_mul_f32_e32 v113, 0x3fb8aa3b, v112
	v_fma_f32 v114, v112, s56, -v113
	v_rndne_f32_e32 v115, v113
	v_fmac_f32_e32 v114, 0x32a5705f, v112
	v_sub_f32_e32 v113, v113, v115
	v_add_f32_e32 v113, v113, v114
	v_exp_f32_e32 v113, v113
	v_cvt_i32_f32_e32 v114, v115
	s_mov_b32 s56, 0xc2ce8ed0
	v_cmp_ngt_f32_e64 s[56:57], s56, v112
	s_mov_b32 s62, 0x7f800000
	v_ldexp_f32 v113, v113, v114
	v_cndmask_b32_e64 v113, 0, v113, s[56:57]
	s_mov_b32 s56, 0x42b17218
	v_mov_b32_e32 v114, 0x7f800000
	v_cmp_nlt_f32_e64 s[56:57], s56, v112
	v_cndmask_b32_e64 v144, v114, v113, s[56:57]
	v_add_f32_e32 v114, 1.0, v144
	v_add_f32_e32 v112, -1.0, v114
	v_sub_f32_e32 v113, v112, v114
	v_add_f32_e32 v113, 1.0, v113
	v_sub_f32_e32 v112, v144, v112
	v_add_f32_e32 v115, v112, v113
	v_frexp_mant_f32_e32 v116, v114
	s_mov_b32 s56, 0x3f2aaaab
	v_cvt_f64_f32_e32 v[112:113], v114
	v_frexp_exp_i32_f64_e32 v112, v[112:113]
	v_cmp_gt_f32_e64 s[56:57], s56, v116
	v_subbrev_co_u32_e64 v128, s[56:57], 0, v112, s[56:57]
	v_sub_u32_e32 v112, 0, v128
	v_ldexp_f32 v113, v114, v112
	v_add_f32_e32 v114, -1.0, v113
	v_add_f32_e32 v116, 1.0, v113
	v_ldexp_f32 v112, v115, v112
	v_add_f32_e32 v115, 1.0, v114
	v_add_f32_e32 v117, -1.0, v116
	v_sub_f32_e32 v115, v113, v115
	v_sub_f32_e32 v113, v113, v117
	v_add_f32_e32 v115, v112, v115
	v_add_f32_e32 v112, v112, v113
	v_add_f32_e32 v129, v116, v112
	v_rcp_f32_e32 v131, v129
	v_sub_f32_e32 v113, v116, v129
	v_add_f32_e32 v130, v112, v113
	v_add_f32_e32 v113, v114, v115
	v_mul_f32_e32 v133, v113, v131
	v_sub_f32_e32 v112, v114, v113
	v_mul_f32_e32 v114, v129, v133
	v_fma_f32 v116, v133, v129, -v114
	v_fmac_f32_e32 v116, v133, v130
	v_add_f32_e32 v132, v115, v112
	v_add_f32_e32 v112, v114, v116
	v_sub_f32_e32 v115, v113, v112
	v_pk_add_f32 v[118:119], v[112:113], v[114:115] neg_lo:[0,1] neg_hi:[0,1]
	v_mov_b32_e32 v117, v112
	v_pk_add_f32 v[112:113], v[118:119], v[116:117] neg_lo:[0,1] neg_hi:[0,1]
	v_add_f32_e32 v113, v132, v113
	v_add_f32_e32 v112, v112, v113
	;; [unrolled: 1-line block ×3, first 2 shown]
	v_mul_f32_e32 v132, v131, v113
	v_mul_f32_e32 v114, v129, v132
	v_fma_f32 v116, v132, v129, -v114
	v_fmac_f32_e32 v116, v132, v130
	v_sub_f32_e32 v115, v115, v113
	v_add_f32_e32 v129, v112, v115
	v_add_f32_e32 v112, v114, v116
	v_sub_f32_e32 v115, v113, v112
	v_pk_add_f32 v[118:119], v[112:113], v[114:115] neg_lo:[0,1] neg_hi:[0,1]
	v_mov_b32_e32 v117, v112
	v_pk_add_f32 v[112:113], v[118:119], v[116:117] neg_lo:[0,1] neg_hi:[0,1]
	v_add_f32_e32 v113, v129, v113
	v_add_f32_e32 v112, v112, v113
	;; [unrolled: 1-line block ×4, first 2 shown]
	v_sub_f32_e32 v113, v115, v133
	v_mul_f32_e32 v112, v131, v112
	v_sub_f32_e32 v113, v132, v113
	v_add_f32_e32 v112, v113, v112
	v_add_f32_e32 v116, v115, v112
	v_mul_f32_e32 v118, v116, v116
	v_mov_b32_e32 v114, 0x3ecc95a3
	v_fmac_f32_e32 v114, 0x3e9b6dac, v118
	v_mov_b32_e32 v113, 0x3f2aaada
	v_fmac_f32_e32 v113, v118, v114
	v_cvt_f32_i32_e32 v114, v128
	v_sub_f32_e32 v115, v116, v115
	v_sub_f32_e32 v112, v112, v115
	v_ldexp_f32 v119, v112, 1
	v_mul_f32_e32 v115, v116, v118
	v_mov_b32_e32 v112, 0x3f317218
	s_mov_b32 s56, 0x3f317218
	v_pk_mul_f32 v[112:113], v[114:115], v[112:113]
	v_ldexp_f32 v117, v116, 1
	v_fma_f32 v116, v114, s56, -v112
	v_fmac_f32_e32 v116, 0xb102e308, v114
	v_pk_add_f32 v[114:115], v[112:113], v[116:117]
	v_sub_f32_e32 v117, v115, v117
	v_sub_f32_e32 v117, v113, v117
	v_add_f32_e32 v119, v119, v117
	v_mov_b32_e32 v118, v112
	v_pk_add_f32 v[112:113], v[114:115], v[112:113] neg_lo:[0,1] neg_hi:[0,1]
	v_pk_add_f32 v[128:129], v[114:115], v[118:119]
	v_mov_b32_e32 v113, v129
	v_mov_b32_e32 v117, v114
	v_pk_add_f32 v[130:131], v[116:117], v[112:113] neg_lo:[0,1] neg_hi:[0,1]
	v_pk_add_f32 v[112:113], v[116:117], v[112:113]
	v_mov_b32_e32 v116, v113
	v_pk_add_f32 v[132:133], v[116:117], v[114:115] neg_lo:[0,1] neg_hi:[0,1]
	v_mov_b32_e32 v117, v132
	v_pk_add_f32 v[134:135], v[128:129], v[116:117] neg_lo:[0,1] neg_hi:[0,1]
	v_mov_b32_e32 v112, v129
	v_mov_b32_e32 v128, v115
	;; [unrolled: 1-line block ×4, first 2 shown]
	v_pk_add_f32 v[112:113], v[112:113], v[128:129] neg_lo:[0,1] neg_hi:[0,1]
	v_mov_b32_e32 v118, v119
	v_mov_b32_e32 v119, v114
	v_pk_add_f32 v[112:113], v[118:119], v[112:113] neg_lo:[0,1] neg_hi:[0,1]
	v_mov_b32_e32 v134, v130
	v_pk_add_f32 v[114:115], v[134:135], v[112:113]
	v_mov_b32_e32 v118, v115
	v_pk_add_f32 v[118:119], v[114:115], v[118:119]
	v_pk_add_f32 v[116:117], v[116:117], v[118:119]
	v_mov_b32_e32 v115, v116
	v_pk_add_f32 v[128:129], v[114:115], v[130:131] neg_lo:[0,1] neg_hi:[0,1]
	v_mov_b32_e32 v113, v118
	v_sub_f32_e32 v114, v114, v128
	v_pk_add_f32 v[112:113], v[112:113], v[128:129] neg_lo:[0,1] neg_hi:[0,1]
	v_sub_f32_e32 v114, v130, v114
	v_add_f32_e32 v112, v112, v114
	v_cmp_eq_f32_e64 s[56:57], s62, v144
	s_mov_b32 s62, 0x33800000
	v_add_f32_e32 v112, v112, v113
	v_cmp_lt_f32_e64 s[62:63], |v144|, s62
	v_add_f32_e32 v112, v116, v112
	s_or_b64 s[56:57], s[56:57], s[62:63]
	v_cndmask_b32_e64 v112, v112, v144, s[56:57]
	v_add_f32_e32 v113, v103, v112
.LBB472_317:
	s_or_b64 exec, exec, s[58:59]
	v_bfe_u32 v103, v113, 16, 1
	s_movk_i32 s56, 0x7fff
	v_add3_u32 v103, v113, v103, s56
	v_lshrrev_b32_e32 v103, 16, v103
	v_mov_b32_e32 v112, 0x7fc0
	v_cmp_o_f32_e64 s[56:57], v113, v113
	v_cndmask_b32_e64 v103, v112, v103, s[56:57]
	v_and_b32_e32 v112, 0xffff, v103
.LBB472_318:
	s_or_b64 exec, exec, s[60:61]
	s_nop 0
	v_mov_b32_dpp v113, v112 row_shr:8 row_mask:0xf bank_mask:0xf
	v_cmp_lt_u32_e64 s[56:57], 7, v102
	s_and_saveexec_b64 s[60:61], s[56:57]
	s_cbranch_execz .LBB472_322
; %bb.319:
	v_lshlrev_b32_e32 v103, 16, v113
	v_lshlrev_b32_e32 v102, 16, v112
	v_max_f32_e32 v113, v102, v102
	v_max_f32_e32 v114, v103, v103
	v_min_f32_e32 v112, v114, v113
	v_cmp_u_f32_e64 s[56:57], v103, v103
	v_max_f32_e32 v113, v114, v113
	v_cndmask_b32_e64 v112, v112, v103, s[56:57]
	v_cmp_u_f32_e64 s[58:59], v102, v102
	v_cndmask_b32_e64 v113, v113, v103, s[56:57]
	v_cndmask_b32_e64 v112, v112, v102, s[58:59]
	;; [unrolled: 1-line block ×3, first 2 shown]
	s_movk_i32 s58, 0x1f8
	v_cmp_neq_f32_e64 s[56:57], v112, v102
	v_cmp_class_f32_e64 s[58:59], v112, s58
	s_or_b64 s[56:57], s[56:57], s[58:59]
	s_and_saveexec_b64 s[58:59], s[56:57]
	s_cbranch_execz .LBB472_321
; %bb.320:
	v_sub_f32_e32 v103, v112, v102
	s_mov_b32 s56, 0x3fb8aa3b
	v_mul_f32_e32 v112, 0x3fb8aa3b, v103
	v_fma_f32 v113, v103, s56, -v112
	v_rndne_f32_e32 v114, v112
	v_fmac_f32_e32 v113, 0x32a5705f, v103
	v_sub_f32_e32 v112, v112, v114
	v_add_f32_e32 v112, v112, v113
	v_exp_f32_e32 v112, v112
	v_cvt_i32_f32_e32 v113, v114
	s_mov_b32 s56, 0xc2ce8ed0
	v_cmp_ngt_f32_e64 s[56:57], s56, v103
	s_mov_b32 s62, 0x7f800000
	v_ldexp_f32 v112, v112, v113
	v_cndmask_b32_e64 v112, 0, v112, s[56:57]
	s_mov_b32 s56, 0x42b17218
	v_mov_b32_e32 v113, 0x7f800000
	v_cmp_nlt_f32_e64 s[56:57], s56, v103
	v_cndmask_b32_e64 v144, v113, v112, s[56:57]
	v_add_f32_e32 v103, 1.0, v144
	v_add_f32_e32 v112, -1.0, v103
	v_sub_f32_e32 v113, v112, v103
	v_add_f32_e32 v113, 1.0, v113
	v_sub_f32_e32 v112, v144, v112
	v_add_f32_e32 v114, v112, v113
	v_frexp_mant_f32_e32 v115, v103
	s_mov_b32 s56, 0x3f2aaaab
	v_cvt_f64_f32_e32 v[112:113], v103
	v_frexp_exp_i32_f64_e32 v112, v[112:113]
	v_cmp_gt_f32_e64 s[56:57], s56, v115
	v_subbrev_co_u32_e64 v128, s[56:57], 0, v112, s[56:57]
	v_sub_u32_e32 v112, 0, v128
	v_ldexp_f32 v103, v103, v112
	v_ldexp_f32 v112, v114, v112
	v_add_f32_e32 v114, -1.0, v103
	v_add_f32_e32 v113, 1.0, v114
	v_sub_f32_e32 v113, v103, v113
	v_add_f32_e32 v115, v112, v113
	v_add_f32_e32 v113, 1.0, v103
	v_add_f32_e32 v116, -1.0, v113
	v_sub_f32_e32 v103, v103, v116
	v_add_f32_e32 v103, v112, v103
	v_add_f32_e32 v129, v113, v103
	v_rcp_f32_e32 v130, v129
	v_sub_f32_e32 v112, v113, v129
	v_add_f32_e32 v113, v114, v115
	v_add_f32_e32 v103, v103, v112
	v_mul_f32_e32 v132, v113, v130
	v_sub_f32_e32 v112, v114, v113
	v_mul_f32_e32 v114, v129, v132
	v_fma_f32 v116, v132, v129, -v114
	v_fmac_f32_e32 v116, v132, v103
	v_add_f32_e32 v131, v115, v112
	v_add_f32_e32 v112, v114, v116
	v_sub_f32_e32 v115, v113, v112
	v_pk_add_f32 v[118:119], v[112:113], v[114:115] neg_lo:[0,1] neg_hi:[0,1]
	v_mov_b32_e32 v117, v112
	v_pk_add_f32 v[112:113], v[118:119], v[116:117] neg_lo:[0,1] neg_hi:[0,1]
	v_add_f32_e32 v113, v131, v113
	v_add_f32_e32 v112, v112, v113
	;; [unrolled: 1-line block ×3, first 2 shown]
	v_mul_f32_e32 v131, v130, v113
	v_mul_f32_e32 v114, v129, v131
	v_fma_f32 v116, v131, v129, -v114
	v_fmac_f32_e32 v116, v131, v103
	v_sub_f32_e32 v103, v115, v113
	v_add_f32_e32 v103, v112, v103
	v_add_f32_e32 v112, v114, v116
	v_sub_f32_e32 v115, v113, v112
	v_pk_add_f32 v[118:119], v[112:113], v[114:115] neg_lo:[0,1] neg_hi:[0,1]
	v_mov_b32_e32 v117, v112
	v_pk_add_f32 v[112:113], v[118:119], v[116:117] neg_lo:[0,1] neg_hi:[0,1]
	v_add_f32_e32 v103, v103, v113
	v_add_f32_e32 v103, v112, v103
	;; [unrolled: 1-line block ×4, first 2 shown]
	v_sub_f32_e32 v113, v112, v132
	v_mul_f32_e32 v103, v130, v103
	v_sub_f32_e32 v113, v131, v113
	v_add_f32_e32 v103, v113, v103
	v_add_f32_e32 v115, v112, v103
	v_mul_f32_e32 v116, v115, v115
	v_mov_b32_e32 v114, 0x3ecc95a3
	v_fmac_f32_e32 v114, 0x3e9b6dac, v116
	v_mov_b32_e32 v113, 0x3f2aaada
	v_fmac_f32_e32 v113, v116, v114
	v_cvt_f32_i32_e32 v114, v128
	v_sub_f32_e32 v112, v115, v112
	v_sub_f32_e32 v103, v103, v112
	v_ldexp_f32 v117, v115, 1
	v_mul_f32_e32 v115, v115, v116
	v_mov_b32_e32 v112, 0x3f317218
	s_mov_b32 s56, 0x3f317218
	v_pk_mul_f32 v[112:113], v[114:115], v[112:113]
	v_fma_f32 v116, v114, s56, -v112
	v_fmac_f32_e32 v116, 0xb102e308, v114
	v_pk_add_f32 v[114:115], v[112:113], v[116:117]
	v_sub_f32_e32 v117, v115, v117
	v_ldexp_f32 v103, v103, 1
	v_sub_f32_e32 v117, v113, v117
	v_add_f32_e32 v119, v103, v117
	v_mov_b32_e32 v118, v112
	v_pk_add_f32 v[112:113], v[114:115], v[112:113] neg_lo:[0,1] neg_hi:[0,1]
	v_pk_add_f32 v[128:129], v[114:115], v[118:119]
	v_mov_b32_e32 v113, v129
	v_mov_b32_e32 v117, v114
	v_pk_add_f32 v[130:131], v[116:117], v[112:113] neg_lo:[0,1] neg_hi:[0,1]
	v_pk_add_f32 v[112:113], v[116:117], v[112:113]
	v_mov_b32_e32 v116, v113
	v_pk_add_f32 v[132:133], v[116:117], v[114:115] neg_lo:[0,1] neg_hi:[0,1]
	v_mov_b32_e32 v103, v132
	v_pk_add_f32 v[134:135], v[128:129], v[102:103] neg_lo:[0,1] neg_hi:[0,1]
	v_mov_b32_e32 v112, v129
	v_mov_b32_e32 v128, v115
	;; [unrolled: 1-line block ×4, first 2 shown]
	v_pk_add_f32 v[112:113], v[112:113], v[128:129] neg_lo:[0,1] neg_hi:[0,1]
	v_mov_b32_e32 v118, v119
	v_mov_b32_e32 v119, v114
	v_pk_add_f32 v[112:113], v[118:119], v[112:113] neg_lo:[0,1] neg_hi:[0,1]
	v_mov_b32_e32 v134, v130
	v_pk_add_f32 v[114:115], v[134:135], v[112:113]
	v_mov_b32_e32 v118, v115
	v_pk_add_f32 v[118:119], v[114:115], v[118:119]
	v_pk_add_f32 v[116:117], v[116:117], v[118:119]
	v_mov_b32_e32 v115, v116
	v_pk_add_f32 v[128:129], v[114:115], v[130:131] neg_lo:[0,1] neg_hi:[0,1]
	v_mov_b32_e32 v113, v118
	v_sub_f32_e32 v103, v114, v128
	v_pk_add_f32 v[112:113], v[112:113], v[128:129] neg_lo:[0,1] neg_hi:[0,1]
	v_sub_f32_e32 v103, v130, v103
	v_add_f32_e32 v103, v112, v103
	v_cmp_eq_f32_e64 s[56:57], s62, v144
	s_mov_b32 s62, 0x33800000
	v_add_f32_e32 v103, v103, v113
	v_cmp_lt_f32_e64 s[62:63], |v144|, s62
	v_add_f32_e32 v103, v116, v103
	s_or_b64 s[56:57], s[56:57], s[62:63]
	v_cndmask_b32_e64 v103, v103, v144, s[56:57]
	v_add_f32_e32 v103, v102, v103
.LBB472_321:
	s_or_b64 exec, exec, s[58:59]
	v_bfe_u32 v102, v103, 16, 1
	s_movk_i32 s56, 0x7fff
	v_add3_u32 v102, v103, v102, s56
	v_lshrrev_b32_e32 v102, 16, v102
	v_mov_b32_e32 v112, 0x7fc0
	v_cmp_o_f32_e64 s[56:57], v103, v103
	v_cndmask_b32_e64 v103, v112, v102, s[56:57]
	v_and_b32_e32 v112, 0xffff, v103
.LBB472_322:
	s_or_b64 exec, exec, s[60:61]
	v_and_b32_e32 v113, 16, v101
	v_mov_b32_dpp v102, v112 row_bcast:15 row_mask:0xf bank_mask:0xf
	v_cmp_ne_u32_e64 s[56:57], 0, v113
	s_and_saveexec_b64 s[60:61], s[56:57]
	s_cbranch_execz .LBB472_326
; %bb.323:
	v_lshlrev_b32_e32 v103, 16, v102
	v_lshlrev_b32_e32 v102, 16, v112
	v_max_f32_e32 v113, v102, v102
	v_max_f32_e32 v114, v103, v103
	v_min_f32_e32 v112, v114, v113
	v_cmp_u_f32_e64 s[56:57], v103, v103
	v_max_f32_e32 v113, v114, v113
	v_cndmask_b32_e64 v112, v112, v103, s[56:57]
	v_cmp_u_f32_e64 s[58:59], v102, v102
	v_cndmask_b32_e64 v113, v113, v103, s[56:57]
	v_cndmask_b32_e64 v112, v112, v102, s[58:59]
	;; [unrolled: 1-line block ×3, first 2 shown]
	s_movk_i32 s58, 0x1f8
	v_cmp_neq_f32_e64 s[56:57], v112, v102
	v_cmp_class_f32_e64 s[58:59], v112, s58
	s_or_b64 s[56:57], s[56:57], s[58:59]
	s_and_saveexec_b64 s[58:59], s[56:57]
	s_cbranch_execz .LBB472_325
; %bb.324:
	v_sub_f32_e32 v103, v112, v102
	s_mov_b32 s56, 0x3fb8aa3b
	v_mul_f32_e32 v112, 0x3fb8aa3b, v103
	v_fma_f32 v113, v103, s56, -v112
	v_rndne_f32_e32 v114, v112
	v_fmac_f32_e32 v113, 0x32a5705f, v103
	v_sub_f32_e32 v112, v112, v114
	v_add_f32_e32 v112, v112, v113
	v_exp_f32_e32 v112, v112
	v_cvt_i32_f32_e32 v113, v114
	s_mov_b32 s56, 0xc2ce8ed0
	v_cmp_ngt_f32_e64 s[56:57], s56, v103
	s_mov_b32 s62, 0x7f800000
	v_ldexp_f32 v112, v112, v113
	v_cndmask_b32_e64 v112, 0, v112, s[56:57]
	s_mov_b32 s56, 0x42b17218
	v_mov_b32_e32 v113, 0x7f800000
	v_cmp_nlt_f32_e64 s[56:57], s56, v103
	v_cndmask_b32_e64 v144, v113, v112, s[56:57]
	v_add_f32_e32 v103, 1.0, v144
	v_add_f32_e32 v112, -1.0, v103
	v_sub_f32_e32 v113, v112, v103
	v_add_f32_e32 v113, 1.0, v113
	v_sub_f32_e32 v112, v144, v112
	v_add_f32_e32 v114, v112, v113
	v_frexp_mant_f32_e32 v115, v103
	s_mov_b32 s56, 0x3f2aaaab
	v_cvt_f64_f32_e32 v[112:113], v103
	v_frexp_exp_i32_f64_e32 v112, v[112:113]
	v_cmp_gt_f32_e64 s[56:57], s56, v115
	v_subbrev_co_u32_e64 v128, s[56:57], 0, v112, s[56:57]
	v_sub_u32_e32 v112, 0, v128
	v_ldexp_f32 v103, v103, v112
	v_ldexp_f32 v112, v114, v112
	v_add_f32_e32 v114, -1.0, v103
	v_add_f32_e32 v113, 1.0, v114
	v_sub_f32_e32 v113, v103, v113
	v_add_f32_e32 v115, v112, v113
	v_add_f32_e32 v113, 1.0, v103
	v_add_f32_e32 v116, -1.0, v113
	v_sub_f32_e32 v103, v103, v116
	v_add_f32_e32 v103, v112, v103
	v_add_f32_e32 v129, v113, v103
	v_rcp_f32_e32 v130, v129
	v_sub_f32_e32 v112, v113, v129
	v_add_f32_e32 v113, v114, v115
	v_add_f32_e32 v103, v103, v112
	v_mul_f32_e32 v132, v113, v130
	v_sub_f32_e32 v112, v114, v113
	v_mul_f32_e32 v114, v129, v132
	v_fma_f32 v116, v132, v129, -v114
	v_fmac_f32_e32 v116, v132, v103
	v_add_f32_e32 v131, v115, v112
	v_add_f32_e32 v112, v114, v116
	v_sub_f32_e32 v115, v113, v112
	v_pk_add_f32 v[118:119], v[112:113], v[114:115] neg_lo:[0,1] neg_hi:[0,1]
	v_mov_b32_e32 v117, v112
	v_pk_add_f32 v[112:113], v[118:119], v[116:117] neg_lo:[0,1] neg_hi:[0,1]
	v_add_f32_e32 v113, v131, v113
	v_add_f32_e32 v112, v112, v113
	;; [unrolled: 1-line block ×3, first 2 shown]
	v_mul_f32_e32 v131, v130, v113
	v_mul_f32_e32 v114, v129, v131
	v_fma_f32 v116, v131, v129, -v114
	v_fmac_f32_e32 v116, v131, v103
	v_sub_f32_e32 v103, v115, v113
	v_add_f32_e32 v103, v112, v103
	v_add_f32_e32 v112, v114, v116
	v_sub_f32_e32 v115, v113, v112
	v_pk_add_f32 v[118:119], v[112:113], v[114:115] neg_lo:[0,1] neg_hi:[0,1]
	v_mov_b32_e32 v117, v112
	v_pk_add_f32 v[112:113], v[118:119], v[116:117] neg_lo:[0,1] neg_hi:[0,1]
	v_add_f32_e32 v103, v103, v113
	v_add_f32_e32 v103, v112, v103
	;; [unrolled: 1-line block ×4, first 2 shown]
	v_sub_f32_e32 v113, v112, v132
	v_mul_f32_e32 v103, v130, v103
	v_sub_f32_e32 v113, v131, v113
	v_add_f32_e32 v103, v113, v103
	v_add_f32_e32 v115, v112, v103
	v_mul_f32_e32 v116, v115, v115
	v_mov_b32_e32 v114, 0x3ecc95a3
	v_fmac_f32_e32 v114, 0x3e9b6dac, v116
	v_mov_b32_e32 v113, 0x3f2aaada
	v_fmac_f32_e32 v113, v116, v114
	v_cvt_f32_i32_e32 v114, v128
	v_sub_f32_e32 v112, v115, v112
	v_sub_f32_e32 v103, v103, v112
	v_ldexp_f32 v117, v115, 1
	v_mul_f32_e32 v115, v115, v116
	v_mov_b32_e32 v112, 0x3f317218
	s_mov_b32 s56, 0x3f317218
	v_pk_mul_f32 v[112:113], v[114:115], v[112:113]
	v_fma_f32 v116, v114, s56, -v112
	v_fmac_f32_e32 v116, 0xb102e308, v114
	v_pk_add_f32 v[114:115], v[112:113], v[116:117]
	v_sub_f32_e32 v117, v115, v117
	v_ldexp_f32 v103, v103, 1
	v_sub_f32_e32 v117, v113, v117
	v_add_f32_e32 v119, v103, v117
	v_mov_b32_e32 v118, v112
	v_pk_add_f32 v[112:113], v[114:115], v[112:113] neg_lo:[0,1] neg_hi:[0,1]
	v_pk_add_f32 v[128:129], v[114:115], v[118:119]
	v_mov_b32_e32 v113, v129
	v_mov_b32_e32 v117, v114
	v_pk_add_f32 v[130:131], v[116:117], v[112:113] neg_lo:[0,1] neg_hi:[0,1]
	v_pk_add_f32 v[112:113], v[116:117], v[112:113]
	v_mov_b32_e32 v116, v113
	v_pk_add_f32 v[132:133], v[116:117], v[114:115] neg_lo:[0,1] neg_hi:[0,1]
	v_mov_b32_e32 v103, v132
	v_pk_add_f32 v[134:135], v[128:129], v[102:103] neg_lo:[0,1] neg_hi:[0,1]
	v_mov_b32_e32 v112, v129
	v_mov_b32_e32 v128, v115
	v_mov_b32_e32 v129, v132
	v_mov_b32_e32 v131, v113
	v_pk_add_f32 v[112:113], v[112:113], v[128:129] neg_lo:[0,1] neg_hi:[0,1]
	v_mov_b32_e32 v118, v119
	v_mov_b32_e32 v119, v114
	v_pk_add_f32 v[112:113], v[118:119], v[112:113] neg_lo:[0,1] neg_hi:[0,1]
	v_mov_b32_e32 v134, v130
	v_pk_add_f32 v[114:115], v[134:135], v[112:113]
	v_mov_b32_e32 v118, v115
	v_pk_add_f32 v[118:119], v[114:115], v[118:119]
	v_pk_add_f32 v[116:117], v[116:117], v[118:119]
	v_mov_b32_e32 v115, v116
	v_pk_add_f32 v[128:129], v[114:115], v[130:131] neg_lo:[0,1] neg_hi:[0,1]
	v_mov_b32_e32 v113, v118
	v_sub_f32_e32 v103, v114, v128
	v_pk_add_f32 v[112:113], v[112:113], v[128:129] neg_lo:[0,1] neg_hi:[0,1]
	v_sub_f32_e32 v103, v130, v103
	v_add_f32_e32 v103, v112, v103
	v_cmp_eq_f32_e64 s[56:57], s62, v144
	s_mov_b32 s62, 0x33800000
	v_add_f32_e32 v103, v103, v113
	v_cmp_lt_f32_e64 s[62:63], |v144|, s62
	v_add_f32_e32 v103, v116, v103
	s_or_b64 s[56:57], s[56:57], s[62:63]
	v_cndmask_b32_e64 v103, v103, v144, s[56:57]
	v_add_f32_e32 v103, v102, v103
.LBB472_325:
	s_or_b64 exec, exec, s[58:59]
	v_bfe_u32 v102, v103, 16, 1
	s_movk_i32 s56, 0x7fff
	v_add3_u32 v102, v103, v102, s56
	v_lshrrev_b32_e32 v102, 16, v102
	v_mov_b32_e32 v112, 0x7fc0
	v_cmp_o_f32_e64 s[56:57], v103, v103
	v_cndmask_b32_e64 v103, v112, v102, s[56:57]
	v_and_b32_e32 v112, 0xffff, v103
.LBB472_326:
	s_or_b64 exec, exec, s[60:61]
	s_nop 0
	v_mov_b32_dpp v102, v112 row_bcast:31 row_mask:0xf bank_mask:0xf
	v_cmp_lt_u32_e64 s[56:57], 31, v101
	s_and_saveexec_b64 s[60:61], s[56:57]
	s_cbranch_execz .LBB472_330
; %bb.327:
	v_lshlrev_b32_e32 v103, 16, v102
	v_lshlrev_b32_e32 v102, 16, v112
	v_max_f32_e32 v113, v102, v102
	v_max_f32_e32 v114, v103, v103
	v_min_f32_e32 v112, v114, v113
	v_cmp_u_f32_e64 s[56:57], v103, v103
	v_max_f32_e32 v113, v114, v113
	v_cndmask_b32_e64 v112, v112, v103, s[56:57]
	v_cmp_u_f32_e64 s[58:59], v102, v102
	v_cndmask_b32_e64 v113, v113, v103, s[56:57]
	v_cndmask_b32_e64 v112, v112, v102, s[58:59]
	;; [unrolled: 1-line block ×3, first 2 shown]
	s_movk_i32 s58, 0x1f8
	v_cmp_neq_f32_e64 s[56:57], v112, v102
	v_cmp_class_f32_e64 s[58:59], v112, s58
	s_or_b64 s[56:57], s[56:57], s[58:59]
	s_and_saveexec_b64 s[58:59], s[56:57]
	s_cbranch_execz .LBB472_329
; %bb.328:
	v_sub_f32_e32 v103, v112, v102
	s_mov_b32 s56, 0x3fb8aa3b
	v_mul_f32_e32 v112, 0x3fb8aa3b, v103
	v_fma_f32 v113, v103, s56, -v112
	v_rndne_f32_e32 v114, v112
	v_fmac_f32_e32 v113, 0x32a5705f, v103
	v_sub_f32_e32 v112, v112, v114
	v_add_f32_e32 v112, v112, v113
	v_exp_f32_e32 v112, v112
	v_cvt_i32_f32_e32 v113, v114
	s_mov_b32 s56, 0xc2ce8ed0
	v_cmp_ngt_f32_e64 s[56:57], s56, v103
	s_mov_b32 s62, 0x7f800000
	v_ldexp_f32 v112, v112, v113
	v_cndmask_b32_e64 v112, 0, v112, s[56:57]
	s_mov_b32 s56, 0x42b17218
	v_mov_b32_e32 v113, 0x7f800000
	v_cmp_nlt_f32_e64 s[56:57], s56, v103
	v_cndmask_b32_e64 v144, v113, v112, s[56:57]
	v_add_f32_e32 v103, 1.0, v144
	v_add_f32_e32 v112, -1.0, v103
	v_sub_f32_e32 v113, v112, v103
	v_add_f32_e32 v113, 1.0, v113
	v_sub_f32_e32 v112, v144, v112
	v_add_f32_e32 v114, v112, v113
	v_frexp_mant_f32_e32 v115, v103
	s_mov_b32 s56, 0x3f2aaaab
	v_cvt_f64_f32_e32 v[112:113], v103
	v_frexp_exp_i32_f64_e32 v112, v[112:113]
	v_cmp_gt_f32_e64 s[56:57], s56, v115
	v_subbrev_co_u32_e64 v128, s[56:57], 0, v112, s[56:57]
	v_sub_u32_e32 v112, 0, v128
	v_ldexp_f32 v103, v103, v112
	v_ldexp_f32 v112, v114, v112
	v_add_f32_e32 v114, -1.0, v103
	v_add_f32_e32 v113, 1.0, v114
	v_sub_f32_e32 v113, v103, v113
	v_add_f32_e32 v115, v112, v113
	v_add_f32_e32 v113, 1.0, v103
	v_add_f32_e32 v116, -1.0, v113
	v_sub_f32_e32 v103, v103, v116
	v_add_f32_e32 v103, v112, v103
	v_add_f32_e32 v129, v113, v103
	v_rcp_f32_e32 v130, v129
	v_sub_f32_e32 v112, v113, v129
	v_add_f32_e32 v113, v114, v115
	v_add_f32_e32 v103, v103, v112
	v_mul_f32_e32 v132, v113, v130
	v_sub_f32_e32 v112, v114, v113
	v_mul_f32_e32 v114, v129, v132
	v_fma_f32 v116, v132, v129, -v114
	v_fmac_f32_e32 v116, v132, v103
	v_add_f32_e32 v131, v115, v112
	v_add_f32_e32 v112, v114, v116
	v_sub_f32_e32 v115, v113, v112
	v_pk_add_f32 v[118:119], v[112:113], v[114:115] neg_lo:[0,1] neg_hi:[0,1]
	v_mov_b32_e32 v117, v112
	v_pk_add_f32 v[112:113], v[118:119], v[116:117] neg_lo:[0,1] neg_hi:[0,1]
	v_add_f32_e32 v113, v131, v113
	v_add_f32_e32 v112, v112, v113
	;; [unrolled: 1-line block ×3, first 2 shown]
	v_mul_f32_e32 v131, v130, v113
	v_mul_f32_e32 v114, v129, v131
	v_fma_f32 v116, v131, v129, -v114
	v_fmac_f32_e32 v116, v131, v103
	v_sub_f32_e32 v103, v115, v113
	v_add_f32_e32 v103, v112, v103
	v_add_f32_e32 v112, v114, v116
	v_sub_f32_e32 v115, v113, v112
	v_pk_add_f32 v[118:119], v[112:113], v[114:115] neg_lo:[0,1] neg_hi:[0,1]
	v_mov_b32_e32 v117, v112
	v_pk_add_f32 v[112:113], v[118:119], v[116:117] neg_lo:[0,1] neg_hi:[0,1]
	v_add_f32_e32 v103, v103, v113
	v_add_f32_e32 v103, v112, v103
	v_add_f32_e32 v112, v132, v131
	v_add_f32_e32 v103, v115, v103
	v_sub_f32_e32 v113, v112, v132
	v_mul_f32_e32 v103, v130, v103
	v_sub_f32_e32 v113, v131, v113
	v_add_f32_e32 v103, v113, v103
	v_add_f32_e32 v115, v112, v103
	v_mul_f32_e32 v116, v115, v115
	v_mov_b32_e32 v114, 0x3ecc95a3
	v_fmac_f32_e32 v114, 0x3e9b6dac, v116
	v_mov_b32_e32 v113, 0x3f2aaada
	v_fmac_f32_e32 v113, v116, v114
	v_cvt_f32_i32_e32 v114, v128
	v_sub_f32_e32 v112, v115, v112
	v_sub_f32_e32 v103, v103, v112
	v_ldexp_f32 v117, v115, 1
	v_mul_f32_e32 v115, v115, v116
	v_mov_b32_e32 v112, 0x3f317218
	s_mov_b32 s56, 0x3f317218
	v_pk_mul_f32 v[112:113], v[114:115], v[112:113]
	v_fma_f32 v116, v114, s56, -v112
	v_fmac_f32_e32 v116, 0xb102e308, v114
	v_pk_add_f32 v[114:115], v[112:113], v[116:117]
	v_sub_f32_e32 v117, v115, v117
	v_ldexp_f32 v103, v103, 1
	v_sub_f32_e32 v117, v113, v117
	v_add_f32_e32 v119, v103, v117
	v_mov_b32_e32 v118, v112
	v_pk_add_f32 v[112:113], v[114:115], v[112:113] neg_lo:[0,1] neg_hi:[0,1]
	v_pk_add_f32 v[128:129], v[114:115], v[118:119]
	v_mov_b32_e32 v113, v129
	v_mov_b32_e32 v117, v114
	v_pk_add_f32 v[130:131], v[116:117], v[112:113] neg_lo:[0,1] neg_hi:[0,1]
	v_pk_add_f32 v[112:113], v[116:117], v[112:113]
	v_mov_b32_e32 v116, v113
	v_pk_add_f32 v[132:133], v[116:117], v[114:115] neg_lo:[0,1] neg_hi:[0,1]
	v_mov_b32_e32 v103, v132
	v_pk_add_f32 v[134:135], v[128:129], v[102:103] neg_lo:[0,1] neg_hi:[0,1]
	v_mov_b32_e32 v112, v129
	v_mov_b32_e32 v128, v115
	;; [unrolled: 1-line block ×4, first 2 shown]
	v_pk_add_f32 v[112:113], v[112:113], v[128:129] neg_lo:[0,1] neg_hi:[0,1]
	v_mov_b32_e32 v118, v119
	v_mov_b32_e32 v119, v114
	v_pk_add_f32 v[112:113], v[118:119], v[112:113] neg_lo:[0,1] neg_hi:[0,1]
	v_mov_b32_e32 v134, v130
	v_pk_add_f32 v[114:115], v[134:135], v[112:113]
	v_mov_b32_e32 v118, v115
	v_pk_add_f32 v[118:119], v[114:115], v[118:119]
	v_pk_add_f32 v[116:117], v[116:117], v[118:119]
	v_mov_b32_e32 v115, v116
	v_pk_add_f32 v[128:129], v[114:115], v[130:131] neg_lo:[0,1] neg_hi:[0,1]
	v_mov_b32_e32 v113, v118
	v_sub_f32_e32 v103, v114, v128
	v_pk_add_f32 v[112:113], v[112:113], v[128:129] neg_lo:[0,1] neg_hi:[0,1]
	v_sub_f32_e32 v103, v130, v103
	v_add_f32_e32 v103, v112, v103
	v_cmp_eq_f32_e64 s[56:57], s62, v144
	s_mov_b32 s62, 0x33800000
	v_add_f32_e32 v103, v103, v113
	v_cmp_lt_f32_e64 s[62:63], |v144|, s62
	v_add_f32_e32 v103, v116, v103
	s_or_b64 s[56:57], s[56:57], s[62:63]
	v_cndmask_b32_e64 v103, v103, v144, s[56:57]
	v_add_f32_e32 v103, v102, v103
.LBB472_329:
	s_or_b64 exec, exec, s[58:59]
	v_bfe_u32 v102, v103, 16, 1
	s_movk_i32 s56, 0x7fff
	v_add3_u32 v102, v103, v102, s56
	v_lshrrev_b32_e32 v102, 16, v102
	v_mov_b32_e32 v112, 0x7fc0
	v_cmp_o_f32_e64 s[56:57], v103, v103
	v_cndmask_b32_e64 v103, v112, v102, s[56:57]
.LBB472_330:
	s_or_b64 exec, exec, s[60:61]
	v_cmp_eq_u32_e64 s[56:57], 63, v28
	s_and_saveexec_b64 s[58:59], s[56:57]
	s_cbranch_execz .LBB472_332
; %bb.331:
	v_mov_b32_e32 v102, 0
	ds_write_b16 v102, v103
.LBB472_332:
	s_or_b64 exec, exec, s[58:59]
	v_and_b32_e32 v102, 0xffff, v103
	v_add_u32_e32 v103, -1, v101
	v_and_b32_e32 v112, 64, v101
	v_cmp_lt_i32_e64 s[58:59], v103, v112
	v_cndmask_b32_e64 v101, v103, v101, s[58:59]
	v_lshlrev_b32_e32 v101, 2, v101
	ds_bpermute_b32 v101, v101, v102
	s_waitcnt lgkmcnt(0)
	; wave barrier
	s_waitcnt lgkmcnt(0)
	s_and_saveexec_b64 s[58:59], s[6:7]
	s_cbranch_execz .LBB472_336
; %bb.333:
	v_lshlrev_b32_e32 v98, 16, v101
	v_max_f32_e32 v30, v98, v98
	v_min_f32_e32 v99, v30, v100
	v_cmp_u_f32_e64 s[6:7], v98, v98
	v_max_f32_e32 v30, v30, v100
	v_cndmask_b32_e64 v99, v99, v98, s[6:7]
	v_cndmask_b32_e64 v30, v30, v98, s[6:7]
	;; [unrolled: 1-line block ×4, first 2 shown]
	s_movk_i32 s54, 0x1f8
	v_cmp_neq_f32_e64 s[6:7], v99, v30
	v_cmp_class_f32_e64 s[54:55], v99, s54
	s_or_b64 s[6:7], s[6:7], s[54:55]
	s_and_saveexec_b64 s[54:55], s[6:7]
	s_cbranch_execz .LBB472_335
; %bb.334:
	v_sub_f32_e32 v32, v99, v30
	s_mov_b32 s6, 0x3fb8aa3b
	v_mul_f32_e32 v98, 0x3fb8aa3b, v32
	v_fma_f32 v99, v32, s6, -v98
	v_rndne_f32_e32 v100, v98
	v_fmac_f32_e32 v99, 0x32a5705f, v32
	v_sub_f32_e32 v98, v98, v100
	v_add_f32_e32 v98, v98, v99
	v_exp_f32_e32 v98, v98
	v_cvt_i32_f32_e32 v99, v100
	s_mov_b32 s6, 0xc2ce8ed0
	v_cmp_ngt_f32_e64 s[6:7], s6, v32
	s_mov_b32 s60, 0x7f800000
	v_ldexp_f32 v98, v98, v99
	v_cndmask_b32_e64 v98, 0, v98, s[6:7]
	s_mov_b32 s6, 0x42b17218
	v_mov_b32_e32 v99, 0x7f800000
	v_cmp_nlt_f32_e64 s[6:7], s6, v32
	v_cndmask_b32_e64 v128, v99, v98, s[6:7]
	v_add_f32_e32 v32, 1.0, v128
	v_add_f32_e32 v98, -1.0, v32
	v_sub_f32_e32 v99, v98, v32
	v_add_f32_e32 v99, 1.0, v99
	v_sub_f32_e32 v98, v128, v98
	v_add_f32_e32 v100, v98, v99
	v_frexp_mant_f32_e32 v101, v32
	s_mov_b32 s6, 0x3f2aaaab
	v_cvt_f64_f32_e32 v[98:99], v32
	v_frexp_exp_i32_f64_e32 v98, v[98:99]
	v_cmp_gt_f32_e64 s[6:7], s6, v101
	v_subbrev_co_u32_e64 v114, s[6:7], 0, v98, s[6:7]
	v_sub_u32_e32 v98, 0, v114
	v_ldexp_f32 v32, v32, v98
	v_ldexp_f32 v98, v100, v98
	v_add_f32_e32 v100, -1.0, v32
	v_add_f32_e32 v99, 1.0, v100
	v_sub_f32_e32 v99, v32, v99
	v_add_f32_e32 v101, v98, v99
	v_add_f32_e32 v99, 1.0, v32
	v_add_f32_e32 v102, -1.0, v99
	v_sub_f32_e32 v32, v32, v102
	v_add_f32_e32 v32, v98, v32
	v_add_f32_e32 v115, v99, v32
	v_rcp_f32_e32 v116, v115
	v_sub_f32_e32 v98, v99, v115
	v_add_f32_e32 v99, v100, v101
	v_add_f32_e32 v32, v32, v98
	v_mul_f32_e32 v118, v99, v116
	v_sub_f32_e32 v98, v100, v99
	v_mul_f32_e32 v100, v115, v118
	v_fma_f32 v102, v118, v115, -v100
	v_fmac_f32_e32 v102, v118, v32
	v_add_f32_e32 v117, v101, v98
	v_add_f32_e32 v98, v100, v102
	v_sub_f32_e32 v101, v99, v98
	v_pk_add_f32 v[112:113], v[98:99], v[100:101] neg_lo:[0,1] neg_hi:[0,1]
	v_mov_b32_e32 v103, v98
	v_pk_add_f32 v[98:99], v[112:113], v[102:103] neg_lo:[0,1] neg_hi:[0,1]
	v_add_f32_e32 v99, v117, v99
	v_add_f32_e32 v98, v98, v99
	;; [unrolled: 1-line block ×3, first 2 shown]
	v_mul_f32_e32 v117, v116, v99
	v_mul_f32_e32 v100, v115, v117
	v_fma_f32 v102, v117, v115, -v100
	v_fmac_f32_e32 v102, v117, v32
	v_sub_f32_e32 v32, v101, v99
	v_add_f32_e32 v32, v98, v32
	v_add_f32_e32 v98, v100, v102
	v_sub_f32_e32 v101, v99, v98
	v_pk_add_f32 v[112:113], v[98:99], v[100:101] neg_lo:[0,1] neg_hi:[0,1]
	v_mov_b32_e32 v103, v98
	v_pk_add_f32 v[98:99], v[112:113], v[102:103] neg_lo:[0,1] neg_hi:[0,1]
	v_add_f32_e32 v32, v32, v99
	v_add_f32_e32 v32, v98, v32
	;; [unrolled: 1-line block ×4, first 2 shown]
	v_sub_f32_e32 v99, v98, v118
	v_mul_f32_e32 v32, v116, v32
	v_sub_f32_e32 v99, v117, v99
	v_add_f32_e32 v32, v99, v32
	v_add_f32_e32 v101, v98, v32
	v_mul_f32_e32 v102, v101, v101
	v_mov_b32_e32 v100, 0x3ecc95a3
	v_fmac_f32_e32 v100, 0x3e9b6dac, v102
	v_mov_b32_e32 v99, 0x3f2aaada
	v_fmac_f32_e32 v99, v102, v100
	v_cvt_f32_i32_e32 v100, v114
	v_sub_f32_e32 v98, v101, v98
	v_sub_f32_e32 v32, v32, v98
	v_ldexp_f32 v103, v101, 1
	v_mul_f32_e32 v101, v101, v102
	v_mov_b32_e32 v98, 0x3f317218
	s_mov_b32 s6, 0x3f317218
	v_pk_mul_f32 v[98:99], v[100:101], v[98:99]
	v_fma_f32 v102, v100, s6, -v98
	v_fmac_f32_e32 v102, 0xb102e308, v100
	v_pk_add_f32 v[100:101], v[98:99], v[102:103]
	v_sub_f32_e32 v103, v101, v103
	v_ldexp_f32 v32, v32, 1
	v_sub_f32_e32 v103, v99, v103
	v_add_f32_e32 v113, v32, v103
	v_mov_b32_e32 v112, v98
	v_pk_add_f32 v[98:99], v[100:101], v[98:99] neg_lo:[0,1] neg_hi:[0,1]
	v_pk_add_f32 v[114:115], v[100:101], v[112:113]
	v_mov_b32_e32 v99, v115
	v_mov_b32_e32 v103, v100
	v_pk_add_f32 v[116:117], v[102:103], v[98:99] neg_lo:[0,1] neg_hi:[0,1]
	v_pk_add_f32 v[98:99], v[102:103], v[98:99]
	v_mov_b32_e32 v32, v99
	v_pk_add_f32 v[102:103], v[32:33], v[100:101] neg_lo:[0,1] neg_hi:[0,1]
	v_mov_b32_e32 v103, v102
	v_pk_add_f32 v[118:119], v[114:115], v[102:103] neg_lo:[0,1] neg_hi:[0,1]
	v_mov_b32_e32 v98, v115
	v_mov_b32_e32 v114, v101
	;; [unrolled: 1-line block ×4, first 2 shown]
	v_pk_add_f32 v[98:99], v[98:99], v[114:115] neg_lo:[0,1] neg_hi:[0,1]
	v_mov_b32_e32 v102, v113
	v_mov_b32_e32 v103, v100
	v_pk_add_f32 v[98:99], v[102:103], v[98:99] neg_lo:[0,1] neg_hi:[0,1]
	v_mov_b32_e32 v118, v116
	v_pk_add_f32 v[100:101], v[118:119], v[98:99]
	v_mov_b32_e32 v102, v101
	v_pk_add_f32 v[102:103], v[100:101], v[102:103]
	v_pk_add_f32 v[112:113], v[32:33], v[102:103]
	v_mov_b32_e32 v101, v112
	v_pk_add_f32 v[114:115], v[100:101], v[116:117] neg_lo:[0,1] neg_hi:[0,1]
	v_mov_b32_e32 v99, v102
	v_sub_f32_e32 v32, v100, v114
	v_pk_add_f32 v[98:99], v[98:99], v[114:115] neg_lo:[0,1] neg_hi:[0,1]
	v_sub_f32_e32 v32, v116, v32
	v_add_f32_e32 v32, v98, v32
	v_cmp_eq_f32_e64 s[6:7], s60, v128
	s_mov_b32 s60, 0x33800000
	v_add_f32_e32 v32, v32, v99
	v_cmp_lt_f32_e64 s[60:61], |v128|, s60
	v_add_f32_e32 v32, v112, v32
	s_or_b64 s[6:7], s[6:7], s[60:61]
	v_cndmask_b32_e64 v32, v32, v128, s[6:7]
	v_add_f32_e32 v98, v30, v32
.LBB472_335:
	s_or_b64 exec, exec, s[54:55]
	v_bfe_u32 v30, v98, 16, 1
	s_movk_i32 s6, 0x7fff
	v_add3_u32 v30, v98, v30, s6
	v_lshrrev_b32_e32 v30, 16, v30
	v_mov_b32_e32 v32, 0x7fc0
	v_cmp_o_f32_e64 s[6:7], v98, v98
	v_cndmask_b32_e64 v30, v32, v30, s[6:7]
	v_lshlrev_b32_e32 v32, 16, v30
	v_max_f32_e32 v99, v32, v32
	v_min_f32_e32 v98, v99, v31
	v_max_f32_e32 v99, v99, v31
	;;#ASMSTART
	;;#ASMEND
.LBB472_336:
	s_or_b64 exec, exec, s[58:59]
	v_cmp_u_f32_e64 s[6:7], v32, v32
	v_cndmask_b32_e64 v31, v98, v32, s[6:7]
	v_cndmask_b32_e64 v98, v99, v32, s[6:7]
	v_cndmask_b32_e32 v31, v31, v2, vcc
	v_cndmask_b32_e32 v2, v98, v2, vcc
	s_movk_i32 s54, 0x1f8
	v_cmp_neq_f32_e32 vcc, v31, v2
	v_cmp_class_f32_e64 s[6:7], v31, s54
	s_or_b64 vcc, vcc, s[6:7]
	s_and_saveexec_b64 s[6:7], vcc
	s_cbranch_execz .LBB472_338
; %bb.337:
	v_sub_f32_e32 v31, v31, v2
	s_mov_b32 s55, 0x3fb8aa3b
	v_mul_f32_e32 v32, 0x3fb8aa3b, v31
	v_fma_f32 v98, v31, s55, -v32
	v_rndne_f32_e32 v99, v32
	v_fmac_f32_e32 v98, 0x32a5705f, v31
	v_sub_f32_e32 v32, v32, v99
	v_add_f32_e32 v32, v32, v98
	v_exp_f32_e32 v32, v32
	v_cvt_i32_f32_e32 v98, v99
	s_mov_b32 s55, 0xc2ce8ed0
	v_cmp_ngt_f32_e32 vcc, s55, v31
	s_mov_b32 s55, 0x42b17218
	v_ldexp_f32 v32, v32, v98
	v_cndmask_b32_e32 v32, 0, v32, vcc
	v_mov_b32_e32 v98, 0x7f800000
	v_cmp_nlt_f32_e32 vcc, s55, v31
	v_cndmask_b32_e32 v128, v98, v32, vcc
	v_add_f32_e32 v31, 1.0, v128
	v_add_f32_e32 v32, -1.0, v31
	v_sub_f32_e32 v98, v32, v31
	v_add_f32_e32 v98, 1.0, v98
	v_sub_f32_e32 v32, v128, v32
	v_add_f32_e32 v32, v32, v98
	v_frexp_mant_f32_e32 v100, v31
	s_mov_b32 s55, 0x3f2aaaab
	v_cvt_f64_f32_e32 v[98:99], v31
	v_frexp_exp_i32_f64_e32 v98, v[98:99]
	v_cmp_gt_f32_e32 vcc, s55, v100
	v_subbrev_co_u32_e32 v114, vcc, 0, v98, vcc
	v_sub_u32_e32 v98, 0, v114
	v_ldexp_f32 v31, v31, v98
	v_ldexp_f32 v32, v32, v98
	v_add_f32_e32 v98, -1.0, v31
	v_add_f32_e32 v99, 1.0, v98
	v_sub_f32_e32 v99, v31, v99
	v_add_f32_e32 v100, v32, v99
	v_add_f32_e32 v99, 1.0, v31
	v_add_f32_e32 v101, -1.0, v99
	v_sub_f32_e32 v31, v31, v101
	v_add_f32_e32 v31, v32, v31
	v_add_f32_e32 v32, v99, v31
	v_rcp_f32_e32 v115, v32
	v_sub_f32_e32 v99, v99, v32
	v_add_f32_e32 v31, v31, v99
	v_add_f32_e32 v99, v98, v100
	v_sub_f32_e32 v98, v98, v99
	v_mul_f32_e32 v117, v99, v115
	v_add_f32_e32 v116, v100, v98
	v_mul_f32_e32 v100, v32, v117
	v_fma_f32 v102, v117, v32, -v100
	v_fmac_f32_e32 v102, v117, v31
	v_add_f32_e32 v98, v100, v102
	v_sub_f32_e32 v101, v99, v98
	v_pk_add_f32 v[112:113], v[98:99], v[100:101] neg_lo:[0,1] neg_hi:[0,1]
	v_mov_b32_e32 v103, v98
	v_pk_add_f32 v[98:99], v[112:113], v[102:103] neg_lo:[0,1] neg_hi:[0,1]
	v_add_f32_e32 v99, v116, v99
	v_add_f32_e32 v98, v98, v99
	;; [unrolled: 1-line block ×3, first 2 shown]
	v_mul_f32_e32 v116, v115, v99
	v_mul_f32_e32 v100, v32, v116
	v_fma_f32 v102, v116, v32, -v100
	v_fmac_f32_e32 v102, v116, v31
	v_sub_f32_e32 v31, v101, v99
	v_add_f32_e32 v31, v98, v31
	v_add_f32_e32 v98, v100, v102
	v_sub_f32_e32 v101, v99, v98
	v_pk_add_f32 v[112:113], v[98:99], v[100:101] neg_lo:[0,1] neg_hi:[0,1]
	v_mov_b32_e32 v103, v98
	v_pk_add_f32 v[98:99], v[112:113], v[102:103] neg_lo:[0,1] neg_hi:[0,1]
	v_add_f32_e32 v31, v31, v99
	v_add_f32_e32 v31, v98, v31
	;; [unrolled: 1-line block ×4, first 2 shown]
	v_sub_f32_e32 v98, v32, v117
	v_mul_f32_e32 v31, v115, v31
	v_sub_f32_e32 v98, v116, v98
	v_add_f32_e32 v31, v98, v31
	v_add_f32_e32 v98, v32, v31
	v_mul_f32_e32 v101, v98, v98
	v_mov_b32_e32 v100, 0x3ecc95a3
	v_fmac_f32_e32 v100, 0x3e9b6dac, v101
	v_mov_b32_e32 v99, 0x3f2aaada
	v_fmac_f32_e32 v99, v101, v100
	v_cvt_f32_i32_e32 v100, v114
	v_sub_f32_e32 v32, v98, v32
	v_ldexp_f32 v103, v98, 1
	v_mul_f32_e32 v101, v98, v101
	v_mov_b32_e32 v98, 0x3f317218
	s_mov_b32 s55, 0x3f317218
	v_pk_mul_f32 v[98:99], v[100:101], v[98:99]
	v_fma_f32 v102, v100, s55, -v98
	v_fmac_f32_e32 v102, 0xb102e308, v100
	v_pk_add_f32 v[100:101], v[98:99], v[102:103]
	v_sub_f32_e32 v31, v31, v32
	v_sub_f32_e32 v32, v101, v103
	v_ldexp_f32 v31, v31, 1
	v_sub_f32_e32 v32, v99, v32
	v_add_f32_e32 v113, v31, v32
	v_mov_b32_e32 v112, v98
	v_pk_add_f32 v[98:99], v[100:101], v[98:99] neg_lo:[0,1] neg_hi:[0,1]
	v_pk_add_f32 v[114:115], v[100:101], v[112:113]
	v_mov_b32_e32 v99, v115
	v_mov_b32_e32 v103, v100
	v_pk_add_f32 v[116:117], v[102:103], v[98:99] neg_lo:[0,1] neg_hi:[0,1]
	v_pk_add_f32 v[98:99], v[102:103], v[98:99]
	v_mov_b32_e32 v32, v99
	v_pk_add_f32 v[102:103], v[32:33], v[100:101] neg_lo:[0,1] neg_hi:[0,1]
	v_mov_b32_e32 v31, v102
	v_pk_add_f32 v[118:119], v[114:115], v[30:31] neg_lo:[0,1] neg_hi:[0,1]
	v_mov_b32_e32 v98, v115
	v_mov_b32_e32 v114, v101
	;; [unrolled: 1-line block ×4, first 2 shown]
	v_pk_add_f32 v[98:99], v[98:99], v[114:115] neg_lo:[0,1] neg_hi:[0,1]
	v_mov_b32_e32 v102, v113
	v_mov_b32_e32 v103, v100
	v_pk_add_f32 v[98:99], v[102:103], v[98:99] neg_lo:[0,1] neg_hi:[0,1]
	v_mov_b32_e32 v118, v116
	v_pk_add_f32 v[100:101], v[118:119], v[98:99]
	v_mov_b32_e32 v102, v101
	v_pk_add_f32 v[102:103], v[100:101], v[102:103]
	v_pk_add_f32 v[112:113], v[32:33], v[102:103]
	v_mov_b32_e32 v101, v112
	v_pk_add_f32 v[114:115], v[100:101], v[116:117] neg_lo:[0,1] neg_hi:[0,1]
	v_mov_b32_e32 v99, v102
	v_sub_f32_e32 v31, v100, v114
	v_pk_add_f32 v[98:99], v[98:99], v[114:115] neg_lo:[0,1] neg_hi:[0,1]
	v_sub_f32_e32 v31, v116, v31
	s_mov_b32 s58, 0x7f800000
	v_add_f32_e32 v31, v98, v31
	s_mov_b32 s55, 0x33800000
	v_add_f32_e32 v31, v31, v99
	v_cmp_eq_f32_e32 vcc, s58, v128
	v_cmp_lt_f32_e64 s[58:59], |v128|, s55
	v_add_f32_e32 v31, v112, v31
	s_or_b64 vcc, vcc, s[58:59]
	v_cndmask_b32_e32 v31, v31, v128, vcc
	v_add_f32_e32 v32, v2, v31
.LBB472_338:
	s_or_b64 exec, exec, s[6:7]
	v_bfe_u32 v2, v32, 16, 1
	s_movk_i32 s55, 0x7fff
	v_add3_u32 v2, v32, v2, s55
	v_lshrrev_b32_e32 v31, 16, v2
	v_mov_b32_e32 v2, 0x7fc0
	v_cmp_o_f32_e32 vcc, v32, v32
	v_cndmask_b32_e32 v31, v2, v31, vcc
	v_lshlrev_b32_e32 v32, 16, v31
	v_max_f32_e32 v99, v32, v32
	v_min_f32_e32 v98, v99, v20
	v_cmp_u_f32_e32 vcc, v32, v32
	v_max_f32_e32 v20, v99, v20
	v_cndmask_b32_e32 v98, v98, v32, vcc
	v_cndmask_b32_e32 v20, v20, v32, vcc
	v_cndmask_b32_e64 v98, v98, v3, s[8:9]
	v_cndmask_b32_e64 v3, v20, v3, s[8:9]
	v_cmp_neq_f32_e32 vcc, v98, v3
	v_cmp_class_f32_e64 s[6:7], v98, s54
	s_or_b64 s[8:9], vcc, s[6:7]
	s_and_saveexec_b64 s[6:7], s[8:9]
	s_cbranch_execz .LBB472_340
; %bb.339:
	v_sub_f32_e32 v20, v98, v3
	s_mov_b32 s8, 0x3fb8aa3b
	v_mul_f32_e32 v32, 0x3fb8aa3b, v20
	v_fma_f32 v98, v20, s8, -v32
	v_rndne_f32_e32 v99, v32
	v_fmac_f32_e32 v98, 0x32a5705f, v20
	v_sub_f32_e32 v32, v32, v99
	v_add_f32_e32 v32, v32, v98
	v_exp_f32_e32 v32, v32
	v_cvt_i32_f32_e32 v98, v99
	s_mov_b32 s8, 0xc2ce8ed0
	v_cmp_ngt_f32_e32 vcc, s8, v20
	s_mov_b32 s8, 0x42b17218
	v_ldexp_f32 v32, v32, v98
	v_cndmask_b32_e32 v32, 0, v32, vcc
	v_mov_b32_e32 v98, 0x7f800000
	v_cmp_nlt_f32_e32 vcc, s8, v20
	v_cndmask_b32_e32 v128, v98, v32, vcc
	v_add_f32_e32 v20, 1.0, v128
	v_add_f32_e32 v32, -1.0, v20
	v_sub_f32_e32 v98, v32, v20
	v_add_f32_e32 v98, 1.0, v98
	v_sub_f32_e32 v32, v128, v32
	v_add_f32_e32 v32, v32, v98
	v_frexp_mant_f32_e32 v100, v20
	s_mov_b32 s8, 0x3f2aaaab
	v_cvt_f64_f32_e32 v[98:99], v20
	v_frexp_exp_i32_f64_e32 v98, v[98:99]
	v_cmp_gt_f32_e32 vcc, s8, v100
	v_subbrev_co_u32_e32 v114, vcc, 0, v98, vcc
	v_sub_u32_e32 v98, 0, v114
	v_ldexp_f32 v20, v20, v98
	v_ldexp_f32 v32, v32, v98
	v_add_f32_e32 v98, -1.0, v20
	v_add_f32_e32 v99, 1.0, v98
	v_sub_f32_e32 v99, v20, v99
	v_add_f32_e32 v100, v32, v99
	v_add_f32_e32 v99, 1.0, v20
	v_add_f32_e32 v101, -1.0, v99
	v_sub_f32_e32 v20, v20, v101
	v_add_f32_e32 v20, v32, v20
	v_add_f32_e32 v32, v99, v20
	v_rcp_f32_e32 v115, v32
	v_sub_f32_e32 v99, v99, v32
	v_add_f32_e32 v20, v20, v99
	v_add_f32_e32 v99, v98, v100
	v_sub_f32_e32 v98, v98, v99
	v_mul_f32_e32 v117, v99, v115
	v_add_f32_e32 v116, v100, v98
	v_mul_f32_e32 v100, v32, v117
	v_fma_f32 v102, v117, v32, -v100
	v_fmac_f32_e32 v102, v117, v20
	v_add_f32_e32 v98, v100, v102
	v_sub_f32_e32 v101, v99, v98
	v_pk_add_f32 v[112:113], v[98:99], v[100:101] neg_lo:[0,1] neg_hi:[0,1]
	v_mov_b32_e32 v103, v98
	v_pk_add_f32 v[98:99], v[112:113], v[102:103] neg_lo:[0,1] neg_hi:[0,1]
	v_add_f32_e32 v99, v116, v99
	v_add_f32_e32 v98, v98, v99
	v_add_f32_e32 v99, v101, v98
	v_mul_f32_e32 v116, v115, v99
	v_mul_f32_e32 v100, v32, v116
	v_fma_f32 v102, v116, v32, -v100
	v_fmac_f32_e32 v102, v116, v20
	v_sub_f32_e32 v20, v101, v99
	v_add_f32_e32 v20, v98, v20
	v_add_f32_e32 v98, v100, v102
	v_sub_f32_e32 v101, v99, v98
	v_pk_add_f32 v[112:113], v[98:99], v[100:101] neg_lo:[0,1] neg_hi:[0,1]
	v_mov_b32_e32 v103, v98
	v_pk_add_f32 v[98:99], v[112:113], v[102:103] neg_lo:[0,1] neg_hi:[0,1]
	v_add_f32_e32 v20, v20, v99
	v_add_f32_e32 v20, v98, v20
	;; [unrolled: 1-line block ×4, first 2 shown]
	v_sub_f32_e32 v98, v32, v117
	v_mul_f32_e32 v20, v115, v20
	v_sub_f32_e32 v98, v116, v98
	v_add_f32_e32 v20, v98, v20
	v_add_f32_e32 v98, v32, v20
	v_mul_f32_e32 v101, v98, v98
	v_mov_b32_e32 v100, 0x3ecc95a3
	v_fmac_f32_e32 v100, 0x3e9b6dac, v101
	v_mov_b32_e32 v99, 0x3f2aaada
	v_fmac_f32_e32 v99, v101, v100
	v_cvt_f32_i32_e32 v100, v114
	v_sub_f32_e32 v32, v98, v32
	v_ldexp_f32 v103, v98, 1
	v_mul_f32_e32 v101, v98, v101
	v_mov_b32_e32 v98, 0x3f317218
	s_mov_b32 s8, 0x3f317218
	v_pk_mul_f32 v[98:99], v[100:101], v[98:99]
	v_fma_f32 v102, v100, s8, -v98
	v_fmac_f32_e32 v102, 0xb102e308, v100
	v_pk_add_f32 v[100:101], v[98:99], v[102:103]
	v_sub_f32_e32 v20, v20, v32
	v_sub_f32_e32 v32, v101, v103
	v_ldexp_f32 v20, v20, 1
	v_sub_f32_e32 v32, v99, v32
	v_add_f32_e32 v113, v20, v32
	v_mov_b32_e32 v112, v98
	v_pk_add_f32 v[98:99], v[100:101], v[98:99] neg_lo:[0,1] neg_hi:[0,1]
	v_pk_add_f32 v[114:115], v[100:101], v[112:113]
	v_mov_b32_e32 v99, v115
	v_mov_b32_e32 v103, v100
	v_pk_add_f32 v[116:117], v[102:103], v[98:99] neg_lo:[0,1] neg_hi:[0,1]
	v_pk_add_f32 v[98:99], v[102:103], v[98:99]
	v_mov_b32_e32 v20, v99
	v_pk_add_f32 v[102:103], v[20:21], v[100:101] neg_lo:[0,1] neg_hi:[0,1]
	v_mov_b32_e32 v103, v102
	v_pk_add_f32 v[118:119], v[114:115], v[102:103] neg_lo:[0,1] neg_hi:[0,1]
	v_mov_b32_e32 v98, v115
	v_mov_b32_e32 v114, v101
	;; [unrolled: 1-line block ×4, first 2 shown]
	v_pk_add_f32 v[98:99], v[98:99], v[114:115] neg_lo:[0,1] neg_hi:[0,1]
	v_mov_b32_e32 v102, v113
	v_mov_b32_e32 v103, v100
	v_pk_add_f32 v[98:99], v[102:103], v[98:99] neg_lo:[0,1] neg_hi:[0,1]
	v_mov_b32_e32 v118, v116
	v_pk_add_f32 v[100:101], v[118:119], v[98:99]
	v_mov_b32_e32 v32, v101
	v_pk_add_f32 v[102:103], v[100:101], v[32:33]
	v_pk_add_f32 v[112:113], v[20:21], v[102:103]
	v_mov_b32_e32 v101, v112
	v_pk_add_f32 v[114:115], v[100:101], v[116:117] neg_lo:[0,1] neg_hi:[0,1]
	v_mov_b32_e32 v99, v102
	v_sub_f32_e32 v20, v100, v114
	v_pk_add_f32 v[98:99], v[98:99], v[114:115] neg_lo:[0,1] neg_hi:[0,1]
	v_sub_f32_e32 v20, v116, v20
	s_mov_b32 s9, 0x7f800000
	v_add_f32_e32 v20, v98, v20
	s_mov_b32 s8, 0x33800000
	v_add_f32_e32 v20, v20, v99
	v_cmp_eq_f32_e32 vcc, s9, v128
	v_cmp_lt_f32_e64 s[8:9], |v128|, s8
	v_add_f32_e32 v20, v112, v20
	s_or_b64 vcc, vcc, s[8:9]
	v_cndmask_b32_e32 v20, v20, v128, vcc
	v_add_f32_e32 v32, v3, v20
.LBB472_340:
	s_or_b64 exec, exec, s[6:7]
	v_bfe_u32 v3, v32, 16, 1
	v_add3_u32 v3, v32, v3, s55
	v_lshrrev_b32_e32 v3, 16, v3
	v_cmp_o_f32_e32 vcc, v32, v32
	v_cndmask_b32_e32 v32, v2, v3, vcc
	v_lshlrev_b32_e32 v3, 16, v32
	v_max_f32_e32 v2, v3, v3
	v_min_f32_e32 v20, v2, v33
	v_cmp_u_f32_e32 vcc, v3, v3
	v_max_f32_e32 v2, v2, v33
	v_cndmask_b32_e32 v20, v20, v3, vcc
	v_cndmask_b32_e32 v2, v2, v3, vcc
	v_cndmask_b32_e64 v20, v20, v6, s[10:11]
	v_cndmask_b32_e64 v2, v2, v6, s[10:11]
	s_movk_i32 s8, 0x1f8
	v_cmp_neq_f32_e32 vcc, v20, v2
	v_cmp_class_f32_e64 s[6:7], v20, s8
	s_or_b64 s[10:11], vcc, s[6:7]
	s_and_saveexec_b64 s[6:7], s[10:11]
	s_cbranch_execz .LBB472_342
; %bb.341:
	v_sub_f32_e32 v3, v20, v2
	s_mov_b32 s9, 0x3fb8aa3b
	v_mul_f32_e32 v6, 0x3fb8aa3b, v3
	v_fma_f32 v20, v3, s9, -v6
	v_rndne_f32_e32 v33, v6
	v_fmac_f32_e32 v20, 0x32a5705f, v3
	v_sub_f32_e32 v6, v6, v33
	v_add_f32_e32 v6, v6, v20
	v_exp_f32_e32 v6, v6
	v_cvt_i32_f32_e32 v20, v33
	s_mov_b32 s9, 0xc2ce8ed0
	v_cmp_ngt_f32_e32 vcc, s9, v3
	s_mov_b32 s9, 0x42b17218
	v_ldexp_f32 v6, v6, v20
	v_cndmask_b32_e32 v6, 0, v6, vcc
	v_mov_b32_e32 v20, 0x7f800000
	v_cmp_nlt_f32_e32 vcc, s9, v3
	v_cndmask_b32_e32 v33, v20, v6, vcc
	v_add_f32_e32 v3, 1.0, v33
	v_add_f32_e32 v6, -1.0, v3
	v_sub_f32_e32 v20, v6, v3
	v_add_f32_e32 v20, 1.0, v20
	v_sub_f32_e32 v6, v33, v6
	v_add_f32_e32 v6, v6, v20
	v_frexp_mant_f32_e32 v20, v3
	s_mov_b32 s9, 0x3f2aaaab
	v_cvt_f64_f32_e32 v[98:99], v3
	v_frexp_exp_i32_f64_e32 v98, v[98:99]
	v_cmp_gt_f32_e32 vcc, s9, v20
	v_subbrev_co_u32_e32 v20, vcc, 0, v98, vcc
	v_sub_u32_e32 v98, 0, v20
	v_ldexp_f32 v3, v3, v98
	v_ldexp_f32 v6, v6, v98
	v_add_f32_e32 v98, -1.0, v3
	v_add_f32_e32 v99, 1.0, v98
	v_sub_f32_e32 v99, v3, v99
	v_add_f32_e32 v100, v6, v99
	v_add_f32_e32 v99, 1.0, v3
	v_add_f32_e32 v101, -1.0, v99
	v_sub_f32_e32 v3, v3, v101
	v_add_f32_e32 v3, v6, v3
	v_add_f32_e32 v6, v99, v3
	v_rcp_f32_e32 v114, v6
	v_sub_f32_e32 v99, v99, v6
	v_add_f32_e32 v3, v3, v99
	v_add_f32_e32 v99, v98, v100
	v_sub_f32_e32 v98, v98, v99
	v_mul_f32_e32 v116, v99, v114
	v_add_f32_e32 v115, v100, v98
	v_mul_f32_e32 v100, v6, v116
	v_fma_f32 v102, v116, v6, -v100
	v_fmac_f32_e32 v102, v116, v3
	v_add_f32_e32 v98, v100, v102
	v_sub_f32_e32 v101, v99, v98
	v_pk_add_f32 v[112:113], v[98:99], v[100:101] neg_lo:[0,1] neg_hi:[0,1]
	v_mov_b32_e32 v103, v98
	v_pk_add_f32 v[98:99], v[112:113], v[102:103] neg_lo:[0,1] neg_hi:[0,1]
	v_add_f32_e32 v99, v115, v99
	v_add_f32_e32 v98, v98, v99
	;; [unrolled: 1-line block ×3, first 2 shown]
	v_mul_f32_e32 v115, v114, v99
	v_mul_f32_e32 v100, v6, v115
	v_fma_f32 v102, v115, v6, -v100
	v_fmac_f32_e32 v102, v115, v3
	v_sub_f32_e32 v3, v101, v99
	v_add_f32_e32 v3, v98, v3
	v_add_f32_e32 v98, v100, v102
	v_sub_f32_e32 v101, v99, v98
	v_pk_add_f32 v[112:113], v[98:99], v[100:101] neg_lo:[0,1] neg_hi:[0,1]
	v_mov_b32_e32 v103, v98
	v_pk_add_f32 v[98:99], v[112:113], v[102:103] neg_lo:[0,1] neg_hi:[0,1]
	v_add_f32_e32 v3, v3, v99
	v_add_f32_e32 v3, v98, v3
	;; [unrolled: 1-line block ×4, first 2 shown]
	v_sub_f32_e32 v98, v6, v116
	v_mul_f32_e32 v3, v114, v3
	v_sub_f32_e32 v98, v115, v98
	v_add_f32_e32 v3, v98, v3
	v_add_f32_e32 v98, v6, v3
	v_mul_f32_e32 v101, v98, v98
	v_mov_b32_e32 v100, 0x3ecc95a3
	v_fmac_f32_e32 v100, 0x3e9b6dac, v101
	v_mov_b32_e32 v99, 0x3f2aaada
	v_fmac_f32_e32 v99, v101, v100
	v_cvt_f32_i32_e32 v100, v20
	v_sub_f32_e32 v6, v98, v6
	v_ldexp_f32 v103, v98, 1
	v_mul_f32_e32 v101, v98, v101
	v_mov_b32_e32 v98, 0x3f317218
	s_mov_b32 s9, 0x3f317218
	v_pk_mul_f32 v[98:99], v[100:101], v[98:99]
	v_fma_f32 v102, v100, s9, -v98
	v_fmac_f32_e32 v102, 0xb102e308, v100
	v_pk_add_f32 v[100:101], v[98:99], v[102:103]
	v_sub_f32_e32 v3, v3, v6
	v_sub_f32_e32 v6, v101, v103
	v_ldexp_f32 v3, v3, 1
	v_sub_f32_e32 v6, v99, v6
	v_add_f32_e32 v113, v3, v6
	v_mov_b32_e32 v112, v98
	v_pk_add_f32 v[98:99], v[100:101], v[98:99] neg_lo:[0,1] neg_hi:[0,1]
	v_pk_add_f32 v[114:115], v[100:101], v[112:113]
	v_mov_b32_e32 v99, v115
	v_mov_b32_e32 v103, v100
	v_pk_add_f32 v[116:117], v[102:103], v[98:99] neg_lo:[0,1] neg_hi:[0,1]
	v_pk_add_f32 v[98:99], v[102:103], v[98:99]
	v_mov_b32_e32 v6, v99
	v_pk_add_f32 v[102:103], v[6:7], v[100:101] neg_lo:[0,1] neg_hi:[0,1]
	v_mov_b32_e32 v3, v102
	v_pk_add_f32 v[118:119], v[114:115], v[2:3] neg_lo:[0,1] neg_hi:[0,1]
	v_mov_b32_e32 v98, v115
	v_mov_b32_e32 v114, v101
	;; [unrolled: 1-line block ×4, first 2 shown]
	v_pk_add_f32 v[98:99], v[98:99], v[114:115] neg_lo:[0,1] neg_hi:[0,1]
	v_mov_b32_e32 v102, v113
	v_mov_b32_e32 v103, v100
	v_pk_add_f32 v[98:99], v[102:103], v[98:99] neg_lo:[0,1] neg_hi:[0,1]
	v_mov_b32_e32 v118, v116
	v_pk_add_f32 v[100:101], v[118:119], v[98:99]
	v_mov_b32_e32 v20, v101
	v_pk_add_f32 v[102:103], v[100:101], v[20:21]
	v_pk_add_f32 v[112:113], v[6:7], v[102:103]
	v_mov_b32_e32 v101, v112
	v_pk_add_f32 v[114:115], v[100:101], v[116:117] neg_lo:[0,1] neg_hi:[0,1]
	v_mov_b32_e32 v99, v102
	v_sub_f32_e32 v3, v100, v114
	v_pk_add_f32 v[98:99], v[98:99], v[114:115] neg_lo:[0,1] neg_hi:[0,1]
	v_sub_f32_e32 v3, v116, v3
	s_mov_b32 s10, 0x7f800000
	v_add_f32_e32 v3, v98, v3
	s_mov_b32 s9, 0x33800000
	v_add_f32_e32 v3, v3, v99
	v_cmp_eq_f32_e32 vcc, s10, v33
	v_cmp_lt_f32_e64 s[10:11], |v33|, s9
	v_add_f32_e32 v3, v112, v3
	s_or_b64 vcc, vcc, s[10:11]
	v_cndmask_b32_e32 v3, v3, v33, vcc
	v_add_f32_e32 v3, v2, v3
.LBB472_342:
	s_or_b64 exec, exec, s[6:7]
	v_bfe_u32 v2, v3, 16, 1
	s_movk_i32 s9, 0x7fff
	v_add3_u32 v2, v3, v2, s9
	v_lshrrev_b32_e32 v6, 16, v2
	v_mov_b32_e32 v2, 0x7fc0
	v_cmp_o_f32_e32 vcc, v3, v3
	v_cndmask_b32_e32 v33, v2, v6, vcc
	v_lshlrev_b32_e32 v6, 16, v33
	v_max_f32_e32 v3, v6, v6
	v_min_f32_e32 v20, v3, v34
	v_cmp_u_f32_e32 vcc, v6, v6
	v_max_f32_e32 v3, v3, v34
	v_cndmask_b32_e32 v20, v20, v6, vcc
	v_cndmask_b32_e32 v3, v3, v6, vcc
	v_cndmask_b32_e64 v20, v20, v7, s[12:13]
	v_cndmask_b32_e64 v3, v3, v7, s[12:13]
	v_cmp_neq_f32_e32 vcc, v20, v3
	v_cmp_class_f32_e64 s[6:7], v20, s8
	s_or_b64 s[10:11], vcc, s[6:7]
	s_and_saveexec_b64 s[6:7], s[10:11]
	s_cbranch_execz .LBB472_344
; %bb.343:
	v_sub_f32_e32 v6, v20, v3
	s_mov_b32 s8, 0x3fb8aa3b
	v_mul_f32_e32 v7, 0x3fb8aa3b, v6
	v_fma_f32 v20, v6, s8, -v7
	v_rndne_f32_e32 v34, v7
	v_fmac_f32_e32 v20, 0x32a5705f, v6
	v_sub_f32_e32 v7, v7, v34
	v_add_f32_e32 v7, v7, v20
	v_exp_f32_e32 v7, v7
	v_cvt_i32_f32_e32 v20, v34
	s_mov_b32 s8, 0xc2ce8ed0
	v_cmp_ngt_f32_e32 vcc, s8, v6
	s_mov_b32 s8, 0x42b17218
	v_ldexp_f32 v7, v7, v20
	v_cndmask_b32_e32 v7, 0, v7, vcc
	v_mov_b32_e32 v20, 0x7f800000
	v_cmp_nlt_f32_e32 vcc, s8, v6
	v_cndmask_b32_e32 v118, v20, v7, vcc
	v_add_f32_e32 v20, 1.0, v118
	v_add_f32_e32 v6, -1.0, v20
	v_sub_f32_e32 v7, v6, v20
	v_add_f32_e32 v7, 1.0, v7
	v_sub_f32_e32 v6, v118, v6
	v_add_f32_e32 v34, v6, v7
	v_frexp_mant_f32_e32 v98, v20
	s_mov_b32 s8, 0x3f2aaaab
	v_cvt_f64_f32_e32 v[6:7], v20
	v_frexp_exp_i32_f64_e32 v6, v[6:7]
	v_cmp_gt_f32_e32 vcc, s8, v98
	v_subbrev_co_u32_e32 v112, vcc, 0, v6, vcc
	v_sub_u32_e32 v6, 0, v112
	v_ldexp_f32 v7, v20, v6
	v_add_f32_e32 v20, -1.0, v7
	v_add_f32_e32 v98, 1.0, v7
	v_ldexp_f32 v6, v34, v6
	v_add_f32_e32 v34, 1.0, v20
	v_add_f32_e32 v99, -1.0, v98
	v_sub_f32_e32 v34, v7, v34
	v_sub_f32_e32 v7, v7, v99
	v_add_f32_e32 v34, v6, v34
	v_add_f32_e32 v6, v6, v7
	;; [unrolled: 1-line block ×3, first 2 shown]
	v_rcp_f32_e32 v115, v113
	v_sub_f32_e32 v7, v98, v113
	v_add_f32_e32 v114, v6, v7
	v_add_f32_e32 v7, v20, v34
	v_sub_f32_e32 v6, v20, v7
	v_add_f32_e32 v20, v34, v6
	v_mul_f32_e32 v34, v7, v115
	v_mul_f32_e32 v98, v113, v34
	v_fma_f32 v100, v34, v113, -v98
	v_fmac_f32_e32 v100, v34, v114
	v_add_f32_e32 v6, v98, v100
	v_sub_f32_e32 v99, v7, v6
	v_pk_add_f32 v[102:103], v[6:7], v[98:99] neg_lo:[0,1] neg_hi:[0,1]
	v_mov_b32_e32 v101, v6
	v_pk_add_f32 v[6:7], v[102:103], v[100:101] neg_lo:[0,1] neg_hi:[0,1]
	v_add_f32_e32 v7, v20, v7
	v_add_f32_e32 v6, v6, v7
	;; [unrolled: 1-line block ×3, first 2 shown]
	v_mul_f32_e32 v20, v115, v7
	v_mul_f32_e32 v98, v113, v20
	v_fma_f32 v100, v20, v113, -v98
	v_fmac_f32_e32 v100, v20, v114
	v_sub_f32_e32 v99, v99, v7
	v_add_f32_e32 v113, v6, v99
	v_add_f32_e32 v6, v98, v100
	v_sub_f32_e32 v99, v7, v6
	v_pk_add_f32 v[102:103], v[6:7], v[98:99] neg_lo:[0,1] neg_hi:[0,1]
	v_mov_b32_e32 v101, v6
	v_pk_add_f32 v[6:7], v[102:103], v[100:101] neg_lo:[0,1] neg_hi:[0,1]
	v_add_f32_e32 v7, v113, v7
	v_add_f32_e32 v6, v6, v7
	;; [unrolled: 1-line block ×4, first 2 shown]
	v_sub_f32_e32 v7, v99, v34
	v_mul_f32_e32 v6, v115, v6
	v_sub_f32_e32 v7, v20, v7
	v_add_f32_e32 v6, v7, v6
	v_add_f32_e32 v20, v99, v6
	v_mul_f32_e32 v34, v20, v20
	v_mov_b32_e32 v98, 0x3ecc95a3
	v_fmac_f32_e32 v98, 0x3e9b6dac, v34
	v_mov_b32_e32 v7, 0x3f2aaada
	v_fmac_f32_e32 v7, v34, v98
	v_cvt_f32_i32_e32 v98, v112
	v_sub_f32_e32 v99, v20, v99
	v_sub_f32_e32 v6, v6, v99
	v_ldexp_f32 v102, v6, 1
	v_mul_f32_e32 v99, v20, v34
	v_mov_b32_e32 v6, 0x3f317218
	s_mov_b32 s8, 0x3f317218
	v_pk_mul_f32 v[6:7], v[98:99], v[6:7]
	v_fma_f32 v100, v98, s8, -v6
	v_ldexp_f32 v101, v20, 1
	v_fmac_f32_e32 v100, 0xb102e308, v98
	v_pk_add_f32 v[98:99], v[6:7], v[100:101]
	v_sub_f32_e32 v20, v99, v101
	v_sub_f32_e32 v20, v7, v20
	v_add_f32_e32 v103, v102, v20
	v_mov_b32_e32 v102, v6
	v_pk_add_f32 v[6:7], v[98:99], v[6:7] neg_lo:[0,1] neg_hi:[0,1]
	v_pk_add_f32 v[112:113], v[98:99], v[102:103]
	v_mov_b32_e32 v7, v113
	v_mov_b32_e32 v101, v98
	v_pk_add_f32 v[114:115], v[100:101], v[6:7] neg_lo:[0,1] neg_hi:[0,1]
	v_pk_add_f32 v[6:7], v[100:101], v[6:7]
	v_mov_b32_e32 v20, v7
	v_pk_add_f32 v[100:101], v[20:21], v[98:99] neg_lo:[0,1] neg_hi:[0,1]
	v_mov_b32_e32 v101, v100
	v_pk_add_f32 v[116:117], v[112:113], v[100:101] neg_lo:[0,1] neg_hi:[0,1]
	v_mov_b32_e32 v6, v113
	v_mov_b32_e32 v112, v99
	;; [unrolled: 1-line block ×4, first 2 shown]
	v_pk_add_f32 v[6:7], v[6:7], v[112:113] neg_lo:[0,1] neg_hi:[0,1]
	v_mov_b32_e32 v100, v103
	v_mov_b32_e32 v101, v98
	v_pk_add_f32 v[6:7], v[100:101], v[6:7] neg_lo:[0,1] neg_hi:[0,1]
	v_mov_b32_e32 v116, v114
	v_pk_add_f32 v[98:99], v[116:117], v[6:7]
	v_mov_b32_e32 v34, v99
	v_pk_add_f32 v[100:101], v[98:99], v[34:35]
	v_pk_add_f32 v[102:103], v[20:21], v[100:101]
	v_mov_b32_e32 v99, v102
	v_pk_add_f32 v[112:113], v[98:99], v[114:115] neg_lo:[0,1] neg_hi:[0,1]
	v_mov_b32_e32 v7, v100
	v_sub_f32_e32 v20, v98, v112
	v_pk_add_f32 v[6:7], v[6:7], v[112:113] neg_lo:[0,1] neg_hi:[0,1]
	v_sub_f32_e32 v20, v114, v20
	s_mov_b32 s10, 0x7f800000
	v_add_f32_e32 v6, v6, v20
	s_mov_b32 s8, 0x33800000
	v_add_f32_e32 v6, v6, v7
	v_cmp_eq_f32_e32 vcc, s10, v118
	v_cmp_lt_f32_e64 s[10:11], |v118|, s8
	v_add_f32_e32 v6, v102, v6
	s_or_b64 vcc, vcc, s[10:11]
	v_cndmask_b32_e32 v6, v6, v118, vcc
	v_add_f32_e32 v6, v3, v6
.LBB472_344:
	s_or_b64 exec, exec, s[6:7]
	v_bfe_u32 v3, v6, 16, 1
	v_add3_u32 v3, v6, v3, s9
	v_lshrrev_b32_e32 v3, 16, v3
	v_cmp_o_f32_e32 vcc, v6, v6
	v_cndmask_b32_e32 v34, v2, v3, vcc
	v_lshlrev_b32_e32 v3, 16, v34
	v_max_f32_e32 v2, v3, v3
	v_min_f32_e32 v6, v2, v35
	v_cmp_u_f32_e32 vcc, v3, v3
	v_max_f32_e32 v2, v2, v35
	v_cndmask_b32_e32 v6, v6, v3, vcc
	v_cndmask_b32_e32 v2, v2, v3, vcc
	v_cndmask_b32_e64 v6, v6, v21, s[14:15]
	v_cndmask_b32_e64 v2, v2, v21, s[14:15]
	s_movk_i32 s8, 0x1f8
	v_cmp_neq_f32_e32 vcc, v6, v2
	v_cmp_class_f32_e64 s[6:7], v6, s8
	s_or_b64 s[10:11], vcc, s[6:7]
	s_and_saveexec_b64 s[6:7], s[10:11]
	s_cbranch_execz .LBB472_346
; %bb.345:
	v_sub_f32_e32 v3, v6, v2
	s_mov_b32 s9, 0x3fb8aa3b
	v_mul_f32_e32 v6, 0x3fb8aa3b, v3
	v_fma_f32 v7, v3, s9, -v6
	v_rndne_f32_e32 v20, v6
	v_fmac_f32_e32 v7, 0x32a5705f, v3
	v_sub_f32_e32 v6, v6, v20
	v_add_f32_e32 v6, v6, v7
	v_exp_f32_e32 v6, v6
	v_cvt_i32_f32_e32 v7, v20
	s_mov_b32 s9, 0xc2ce8ed0
	v_cmp_ngt_f32_e32 vcc, s9, v3
	s_mov_b32 s9, 0x42b17218
	v_ldexp_f32 v6, v6, v7
	v_cndmask_b32_e32 v6, 0, v6, vcc
	v_mov_b32_e32 v7, 0x7f800000
	v_cmp_nlt_f32_e32 vcc, s9, v3
	v_cndmask_b32_e32 v35, v7, v6, vcc
	v_add_f32_e32 v3, 1.0, v35
	v_add_f32_e32 v6, -1.0, v3
	v_sub_f32_e32 v7, v6, v3
	v_add_f32_e32 v7, 1.0, v7
	v_sub_f32_e32 v6, v35, v6
	v_add_f32_e32 v20, v6, v7
	v_frexp_mant_f32_e32 v21, v3
	s_mov_b32 s9, 0x3f2aaaab
	v_cvt_f64_f32_e32 v[6:7], v3
	v_frexp_exp_i32_f64_e32 v6, v[6:7]
	v_cmp_gt_f32_e32 vcc, s9, v21
	v_subbrev_co_u32_e32 v102, vcc, 0, v6, vcc
	v_sub_u32_e32 v6, 0, v102
	v_ldexp_f32 v3, v3, v6
	v_ldexp_f32 v6, v20, v6
	v_add_f32_e32 v20, -1.0, v3
	v_add_f32_e32 v7, 1.0, v20
	v_sub_f32_e32 v7, v3, v7
	v_add_f32_e32 v21, v6, v7
	v_add_f32_e32 v7, 1.0, v3
	v_add_f32_e32 v98, -1.0, v7
	v_sub_f32_e32 v3, v3, v98
	v_add_f32_e32 v3, v6, v3
	v_add_f32_e32 v103, v7, v3
	v_rcp_f32_e32 v112, v103
	v_sub_f32_e32 v6, v7, v103
	v_add_f32_e32 v7, v20, v21
	v_add_f32_e32 v3, v3, v6
	v_mul_f32_e32 v114, v7, v112
	v_sub_f32_e32 v6, v20, v7
	v_mul_f32_e32 v20, v103, v114
	v_fma_f32 v98, v114, v103, -v20
	v_fmac_f32_e32 v98, v114, v3
	v_add_f32_e32 v113, v21, v6
	v_add_f32_e32 v6, v20, v98
	v_sub_f32_e32 v21, v7, v6
	v_pk_add_f32 v[100:101], v[6:7], v[20:21] neg_lo:[0,1] neg_hi:[0,1]
	v_mov_b32_e32 v99, v6
	v_pk_add_f32 v[6:7], v[100:101], v[98:99] neg_lo:[0,1] neg_hi:[0,1]
	v_add_f32_e32 v7, v113, v7
	v_add_f32_e32 v6, v6, v7
	;; [unrolled: 1-line block ×3, first 2 shown]
	v_mul_f32_e32 v113, v112, v7
	v_mul_f32_e32 v20, v103, v113
	v_fma_f32 v98, v113, v103, -v20
	v_fmac_f32_e32 v98, v113, v3
	v_sub_f32_e32 v3, v21, v7
	v_add_f32_e32 v3, v6, v3
	v_add_f32_e32 v6, v20, v98
	v_sub_f32_e32 v21, v7, v6
	v_pk_add_f32 v[100:101], v[6:7], v[20:21] neg_lo:[0,1] neg_hi:[0,1]
	v_mov_b32_e32 v99, v6
	v_pk_add_f32 v[6:7], v[100:101], v[98:99] neg_lo:[0,1] neg_hi:[0,1]
	v_add_f32_e32 v3, v3, v7
	v_add_f32_e32 v3, v6, v3
	;; [unrolled: 1-line block ×4, first 2 shown]
	v_sub_f32_e32 v7, v6, v114
	v_mul_f32_e32 v3, v112, v3
	v_sub_f32_e32 v7, v113, v7
	v_add_f32_e32 v3, v7, v3
	v_add_f32_e32 v21, v6, v3
	v_mul_f32_e32 v98, v21, v21
	v_mov_b32_e32 v20, 0x3ecc95a3
	v_fmac_f32_e32 v20, 0x3e9b6dac, v98
	v_mov_b32_e32 v7, 0x3f2aaada
	v_fmac_f32_e32 v7, v98, v20
	v_cvt_f32_i32_e32 v20, v102
	v_sub_f32_e32 v6, v21, v6
	v_sub_f32_e32 v3, v3, v6
	v_ldexp_f32 v99, v21, 1
	v_mul_f32_e32 v21, v21, v98
	v_mov_b32_e32 v6, 0x3f317218
	s_mov_b32 s9, 0x3f317218
	v_pk_mul_f32 v[6:7], v[20:21], v[6:7]
	v_fma_f32 v98, v20, s9, -v6
	v_fmac_f32_e32 v98, 0xb102e308, v20
	v_pk_add_f32 v[20:21], v[6:7], v[98:99]
	v_sub_f32_e32 v99, v21, v99
	v_ldexp_f32 v3, v3, 1
	v_sub_f32_e32 v99, v7, v99
	v_add_f32_e32 v101, v3, v99
	v_mov_b32_e32 v100, v6
	v_pk_add_f32 v[6:7], v[20:21], v[6:7] neg_lo:[0,1] neg_hi:[0,1]
	v_pk_add_f32 v[102:103], v[20:21], v[100:101]
	v_mov_b32_e32 v7, v103
	v_mov_b32_e32 v99, v20
	v_pk_add_f32 v[112:113], v[98:99], v[6:7] neg_lo:[0,1] neg_hi:[0,1]
	v_pk_add_f32 v[6:7], v[98:99], v[6:7]
	v_mov_b32_e32 v98, v7
	v_pk_add_f32 v[114:115], v[98:99], v[20:21] neg_lo:[0,1] neg_hi:[0,1]
	v_mov_b32_e32 v3, v114
	v_pk_add_f32 v[116:117], v[102:103], v[2:3] neg_lo:[0,1] neg_hi:[0,1]
	v_mov_b32_e32 v6, v103
	v_mov_b32_e32 v102, v21
	;; [unrolled: 1-line block ×4, first 2 shown]
	v_pk_add_f32 v[6:7], v[6:7], v[102:103] neg_lo:[0,1] neg_hi:[0,1]
	v_mov_b32_e32 v100, v101
	v_mov_b32_e32 v101, v20
	v_pk_add_f32 v[6:7], v[100:101], v[6:7] neg_lo:[0,1] neg_hi:[0,1]
	v_mov_b32_e32 v116, v112
	v_pk_add_f32 v[20:21], v[116:117], v[6:7]
	v_mov_b32_e32 v100, v21
	v_pk_add_f32 v[100:101], v[20:21], v[100:101]
	v_pk_add_f32 v[98:99], v[98:99], v[100:101]
	v_mov_b32_e32 v21, v98
	v_pk_add_f32 v[102:103], v[20:21], v[112:113] neg_lo:[0,1] neg_hi:[0,1]
	v_mov_b32_e32 v7, v100
	v_sub_f32_e32 v3, v20, v102
	v_pk_add_f32 v[6:7], v[6:7], v[102:103] neg_lo:[0,1] neg_hi:[0,1]
	v_sub_f32_e32 v3, v112, v3
	s_mov_b32 s10, 0x7f800000
	v_add_f32_e32 v3, v6, v3
	s_mov_b32 s9, 0x33800000
	v_add_f32_e32 v3, v3, v7
	v_cmp_eq_f32_e32 vcc, s10, v35
	v_cmp_lt_f32_e64 s[10:11], |v35|, s9
	v_add_f32_e32 v3, v98, v3
	s_or_b64 vcc, vcc, s[10:11]
	v_cndmask_b32_e32 v3, v3, v35, vcc
	v_add_f32_e32 v3, v2, v3
.LBB472_346:
	s_or_b64 exec, exec, s[6:7]
	v_bfe_u32 v2, v3, 16, 1
	s_movk_i32 s9, 0x7fff
	v_add3_u32 v2, v3, v2, s9
	v_lshrrev_b32_e32 v6, 16, v2
	v_mov_b32_e32 v2, 0x7fc0
	v_cmp_o_f32_e32 vcc, v3, v3
	v_cndmask_b32_e32 v35, v2, v6, vcc
	v_lshlrev_b32_e32 v6, 16, v35
	v_max_f32_e32 v3, v6, v6
	v_min_f32_e32 v7, v3, v36
	v_cmp_u_f32_e32 vcc, v6, v6
	v_max_f32_e32 v3, v3, v36
	v_cndmask_b32_e32 v7, v7, v6, vcc
	v_cndmask_b32_e32 v3, v3, v6, vcc
	v_cndmask_b32_e64 v7, v7, v22, s[16:17]
	v_cndmask_b32_e64 v3, v3, v22, s[16:17]
	v_cmp_neq_f32_e32 vcc, v7, v3
	v_cmp_class_f32_e64 s[6:7], v7, s8
	s_or_b64 s[10:11], vcc, s[6:7]
	s_and_saveexec_b64 s[6:7], s[10:11]
	s_cbranch_execz .LBB472_348
; %bb.347:
	v_sub_f32_e32 v6, v7, v3
	s_mov_b32 s8, 0x3fb8aa3b
	v_mul_f32_e32 v7, 0x3fb8aa3b, v6
	v_fma_f32 v20, v6, s8, -v7
	v_rndne_f32_e32 v21, v7
	v_fmac_f32_e32 v20, 0x32a5705f, v6
	v_sub_f32_e32 v7, v7, v21
	v_add_f32_e32 v7, v7, v20
	v_exp_f32_e32 v7, v7
	v_cvt_i32_f32_e32 v20, v21
	s_mov_b32 s8, 0xc2ce8ed0
	v_cmp_ngt_f32_e32 vcc, s8, v6
	s_mov_b32 s8, 0x42b17218
	v_ldexp_f32 v7, v7, v20
	v_cndmask_b32_e32 v7, 0, v7, vcc
	v_mov_b32_e32 v20, 0x7f800000
	v_cmp_nlt_f32_e32 vcc, s8, v6
	v_cndmask_b32_e32 v116, v20, v7, vcc
	v_add_f32_e32 v20, 1.0, v116
	v_add_f32_e32 v6, -1.0, v20
	v_sub_f32_e32 v7, v6, v20
	v_add_f32_e32 v7, 1.0, v7
	v_sub_f32_e32 v6, v116, v6
	v_add_f32_e32 v21, v6, v7
	v_frexp_mant_f32_e32 v22, v20
	s_mov_b32 s8, 0x3f2aaaab
	v_cvt_f64_f32_e32 v[6:7], v20
	v_frexp_exp_i32_f64_e32 v6, v[6:7]
	v_cmp_gt_f32_e32 vcc, s8, v22
	v_subbrev_co_u32_e32 v22, vcc, 0, v6, vcc
	v_sub_u32_e32 v6, 0, v22
	v_ldexp_f32 v7, v20, v6
	v_add_f32_e32 v20, -1.0, v7
	v_add_f32_e32 v36, 1.0, v7
	v_ldexp_f32 v6, v21, v6
	v_add_f32_e32 v21, 1.0, v20
	v_add_f32_e32 v98, -1.0, v36
	v_sub_f32_e32 v21, v7, v21
	v_sub_f32_e32 v7, v7, v98
	v_add_f32_e32 v21, v6, v21
	v_add_f32_e32 v6, v6, v7
	;; [unrolled: 1-line block ×3, first 2 shown]
	v_rcp_f32_e32 v103, v102
	v_sub_f32_e32 v7, v36, v102
	v_add_f32_e32 v36, v6, v7
	v_add_f32_e32 v7, v20, v21
	v_mul_f32_e32 v113, v7, v103
	v_sub_f32_e32 v6, v20, v7
	v_mul_f32_e32 v20, v102, v113
	v_fma_f32 v98, v113, v102, -v20
	v_fmac_f32_e32 v98, v113, v36
	v_add_f32_e32 v112, v21, v6
	v_add_f32_e32 v6, v20, v98
	v_sub_f32_e32 v21, v7, v6
	v_pk_add_f32 v[100:101], v[6:7], v[20:21] neg_lo:[0,1] neg_hi:[0,1]
	v_mov_b32_e32 v99, v6
	v_pk_add_f32 v[6:7], v[100:101], v[98:99] neg_lo:[0,1] neg_hi:[0,1]
	v_add_f32_e32 v7, v112, v7
	v_add_f32_e32 v6, v6, v7
	;; [unrolled: 1-line block ×3, first 2 shown]
	v_mul_f32_e32 v112, v103, v7
	v_mul_f32_e32 v20, v102, v112
	v_fma_f32 v98, v112, v102, -v20
	v_fmac_f32_e32 v98, v112, v36
	v_sub_f32_e32 v21, v21, v7
	v_add_f32_e32 v36, v6, v21
	v_add_f32_e32 v6, v20, v98
	v_sub_f32_e32 v21, v7, v6
	v_pk_add_f32 v[100:101], v[6:7], v[20:21] neg_lo:[0,1] neg_hi:[0,1]
	v_mov_b32_e32 v99, v6
	v_pk_add_f32 v[6:7], v[100:101], v[98:99] neg_lo:[0,1] neg_hi:[0,1]
	v_add_f32_e32 v7, v36, v7
	v_add_f32_e32 v6, v6, v7
	;; [unrolled: 1-line block ×4, first 2 shown]
	v_sub_f32_e32 v7, v21, v113
	v_mul_f32_e32 v6, v103, v6
	v_sub_f32_e32 v7, v112, v7
	v_add_f32_e32 v6, v7, v6
	v_add_f32_e32 v36, v21, v6
	v_mul_f32_e32 v98, v36, v36
	v_mov_b32_e32 v20, 0x3ecc95a3
	v_fmac_f32_e32 v20, 0x3e9b6dac, v98
	v_mov_b32_e32 v7, 0x3f2aaada
	v_fmac_f32_e32 v7, v98, v20
	v_cvt_f32_i32_e32 v20, v22
	v_sub_f32_e32 v21, v36, v21
	v_sub_f32_e32 v6, v6, v21
	v_ldexp_f32 v22, v6, 1
	v_mul_f32_e32 v21, v36, v98
	v_mov_b32_e32 v6, 0x3f317218
	s_mov_b32 s8, 0x3f317218
	v_pk_mul_f32 v[6:7], v[20:21], v[6:7]
	v_fma_f32 v98, v20, s8, -v6
	v_ldexp_f32 v99, v36, 1
	v_fmac_f32_e32 v98, 0xb102e308, v20
	v_pk_add_f32 v[20:21], v[6:7], v[98:99]
	v_sub_f32_e32 v36, v21, v99
	v_sub_f32_e32 v36, v7, v36
	v_add_f32_e32 v101, v22, v36
	v_mov_b32_e32 v100, v6
	v_pk_add_f32 v[6:7], v[20:21], v[6:7] neg_lo:[0,1] neg_hi:[0,1]
	v_pk_add_f32 v[102:103], v[20:21], v[100:101]
	v_mov_b32_e32 v7, v103
	v_mov_b32_e32 v99, v20
	v_pk_add_f32 v[112:113], v[98:99], v[6:7] neg_lo:[0,1] neg_hi:[0,1]
	v_pk_add_f32 v[6:7], v[98:99], v[6:7]
	v_mov_b32_e32 v22, v7
	v_pk_add_f32 v[98:99], v[22:23], v[20:21] neg_lo:[0,1] neg_hi:[0,1]
	v_mov_b32_e32 v99, v98
	v_pk_add_f32 v[114:115], v[102:103], v[98:99] neg_lo:[0,1] neg_hi:[0,1]
	v_mov_b32_e32 v6, v103
	v_mov_b32_e32 v102, v21
	;; [unrolled: 1-line block ×4, first 2 shown]
	v_pk_add_f32 v[6:7], v[6:7], v[102:103] neg_lo:[0,1] neg_hi:[0,1]
	v_mov_b32_e32 v98, v101
	v_mov_b32_e32 v99, v20
	v_pk_add_f32 v[6:7], v[98:99], v[6:7] neg_lo:[0,1] neg_hi:[0,1]
	v_mov_b32_e32 v114, v112
	v_pk_add_f32 v[20:21], v[114:115], v[6:7]
	v_mov_b32_e32 v36, v21
	v_pk_add_f32 v[98:99], v[20:21], v[36:37]
	v_pk_add_f32 v[100:101], v[22:23], v[98:99]
	v_mov_b32_e32 v21, v100
	v_pk_add_f32 v[102:103], v[20:21], v[112:113] neg_lo:[0,1] neg_hi:[0,1]
	v_mov_b32_e32 v7, v98
	v_sub_f32_e32 v20, v20, v102
	v_pk_add_f32 v[6:7], v[6:7], v[102:103] neg_lo:[0,1] neg_hi:[0,1]
	v_sub_f32_e32 v20, v112, v20
	s_mov_b32 s10, 0x7f800000
	v_add_f32_e32 v6, v6, v20
	s_mov_b32 s8, 0x33800000
	v_add_f32_e32 v6, v6, v7
	v_cmp_eq_f32_e32 vcc, s10, v116
	v_cmp_lt_f32_e64 s[10:11], |v116|, s8
	v_add_f32_e32 v6, v100, v6
	s_or_b64 vcc, vcc, s[10:11]
	v_cndmask_b32_e32 v6, v6, v116, vcc
	v_add_f32_e32 v6, v3, v6
.LBB472_348:
	s_or_b64 exec, exec, s[6:7]
	v_bfe_u32 v3, v6, 16, 1
	v_add3_u32 v3, v6, v3, s9
	v_lshrrev_b32_e32 v3, 16, v3
	v_cmp_o_f32_e32 vcc, v6, v6
	v_cndmask_b32_e32 v36, v2, v3, vcc
	v_lshlrev_b32_e32 v3, 16, v36
	v_max_f32_e32 v2, v3, v3
	v_min_f32_e32 v6, v2, v37
	v_cmp_u_f32_e32 vcc, v3, v3
	v_max_f32_e32 v2, v2, v37
	v_cndmask_b32_e32 v6, v6, v3, vcc
	v_cndmask_b32_e32 v2, v2, v3, vcc
	v_cndmask_b32_e64 v6, v6, v23, s[18:19]
	v_cndmask_b32_e64 v2, v2, v23, s[18:19]
	s_movk_i32 s8, 0x1f8
	v_cmp_neq_f32_e32 vcc, v6, v2
	v_cmp_class_f32_e64 s[6:7], v6, s8
	s_or_b64 s[10:11], vcc, s[6:7]
	s_and_saveexec_b64 s[6:7], s[10:11]
	s_cbranch_execz .LBB472_350
; %bb.349:
	v_sub_f32_e32 v3, v6, v2
	s_mov_b32 s9, 0x3fb8aa3b
	v_mul_f32_e32 v6, 0x3fb8aa3b, v3
	v_fma_f32 v7, v3, s9, -v6
	v_rndne_f32_e32 v20, v6
	v_fmac_f32_e32 v7, 0x32a5705f, v3
	v_sub_f32_e32 v6, v6, v20
	v_add_f32_e32 v6, v6, v7
	v_exp_f32_e32 v6, v6
	v_cvt_i32_f32_e32 v7, v20
	s_mov_b32 s9, 0xc2ce8ed0
	v_cmp_ngt_f32_e32 vcc, s9, v3
	s_mov_b32 s9, 0x42b17218
	v_ldexp_f32 v6, v6, v7
	v_cndmask_b32_e32 v6, 0, v6, vcc
	v_mov_b32_e32 v7, 0x7f800000
	v_cmp_nlt_f32_e32 vcc, s9, v3
	v_cndmask_b32_e32 v37, v7, v6, vcc
	v_add_f32_e32 v3, 1.0, v37
	v_add_f32_e32 v6, -1.0, v3
	v_sub_f32_e32 v7, v6, v3
	v_add_f32_e32 v7, 1.0, v7
	v_sub_f32_e32 v6, v37, v6
	v_add_f32_e32 v20, v6, v7
	v_frexp_mant_f32_e32 v21, v3
	s_mov_b32 s9, 0x3f2aaaab
	v_cvt_f64_f32_e32 v[6:7], v3
	v_frexp_exp_i32_f64_e32 v6, v[6:7]
	v_cmp_gt_f32_e32 vcc, s9, v21
	v_subbrev_co_u32_e32 v100, vcc, 0, v6, vcc
	v_sub_u32_e32 v6, 0, v100
	v_ldexp_f32 v3, v3, v6
	v_ldexp_f32 v6, v20, v6
	v_add_f32_e32 v20, -1.0, v3
	v_add_f32_e32 v7, 1.0, v20
	v_sub_f32_e32 v7, v3, v7
	v_add_f32_e32 v21, v6, v7
	v_add_f32_e32 v7, 1.0, v3
	v_add_f32_e32 v22, -1.0, v7
	v_sub_f32_e32 v3, v3, v22
	v_add_f32_e32 v3, v6, v3
	v_add_f32_e32 v101, v7, v3
	v_rcp_f32_e32 v102, v101
	v_sub_f32_e32 v6, v7, v101
	v_add_f32_e32 v7, v20, v21
	v_add_f32_e32 v3, v3, v6
	v_mul_f32_e32 v112, v7, v102
	v_sub_f32_e32 v6, v20, v7
	v_mul_f32_e32 v20, v101, v112
	v_fma_f32 v22, v112, v101, -v20
	v_fmac_f32_e32 v22, v112, v3
	v_add_f32_e32 v103, v21, v6
	v_add_f32_e32 v6, v20, v22
	v_sub_f32_e32 v21, v7, v6
	v_pk_add_f32 v[98:99], v[6:7], v[20:21] neg_lo:[0,1] neg_hi:[0,1]
	v_mov_b32_e32 v23, v6
	v_pk_add_f32 v[6:7], v[98:99], v[22:23] neg_lo:[0,1] neg_hi:[0,1]
	v_add_f32_e32 v7, v103, v7
	v_add_f32_e32 v6, v6, v7
	;; [unrolled: 1-line block ×3, first 2 shown]
	v_mul_f32_e32 v103, v102, v7
	v_mul_f32_e32 v20, v101, v103
	v_fma_f32 v22, v103, v101, -v20
	v_fmac_f32_e32 v22, v103, v3
	v_sub_f32_e32 v3, v21, v7
	v_add_f32_e32 v3, v6, v3
	v_add_f32_e32 v6, v20, v22
	v_sub_f32_e32 v21, v7, v6
	v_pk_add_f32 v[98:99], v[6:7], v[20:21] neg_lo:[0,1] neg_hi:[0,1]
	v_mov_b32_e32 v23, v6
	v_pk_add_f32 v[6:7], v[98:99], v[22:23] neg_lo:[0,1] neg_hi:[0,1]
	v_add_f32_e32 v3, v3, v7
	v_add_f32_e32 v3, v6, v3
	;; [unrolled: 1-line block ×4, first 2 shown]
	v_sub_f32_e32 v7, v6, v112
	v_mul_f32_e32 v3, v102, v3
	v_sub_f32_e32 v7, v103, v7
	v_add_f32_e32 v3, v7, v3
	v_add_f32_e32 v21, v6, v3
	v_mul_f32_e32 v22, v21, v21
	v_mov_b32_e32 v20, 0x3ecc95a3
	v_fmac_f32_e32 v20, 0x3e9b6dac, v22
	v_mov_b32_e32 v7, 0x3f2aaada
	v_fmac_f32_e32 v7, v22, v20
	v_cvt_f32_i32_e32 v20, v100
	v_sub_f32_e32 v6, v21, v6
	v_sub_f32_e32 v3, v3, v6
	v_ldexp_f32 v23, v21, 1
	v_mul_f32_e32 v21, v21, v22
	v_mov_b32_e32 v6, 0x3f317218
	s_mov_b32 s9, 0x3f317218
	v_pk_mul_f32 v[6:7], v[20:21], v[6:7]
	v_fma_f32 v22, v20, s9, -v6
	v_fmac_f32_e32 v22, 0xb102e308, v20
	v_pk_add_f32 v[20:21], v[6:7], v[22:23]
	v_sub_f32_e32 v23, v21, v23
	v_ldexp_f32 v3, v3, 1
	v_sub_f32_e32 v23, v7, v23
	v_add_f32_e32 v99, v3, v23
	v_mov_b32_e32 v98, v6
	v_pk_add_f32 v[6:7], v[20:21], v[6:7] neg_lo:[0,1] neg_hi:[0,1]
	v_pk_add_f32 v[100:101], v[20:21], v[98:99]
	v_mov_b32_e32 v7, v101
	v_mov_b32_e32 v23, v20
	v_pk_add_f32 v[102:103], v[22:23], v[6:7] neg_lo:[0,1] neg_hi:[0,1]
	v_pk_add_f32 v[6:7], v[22:23], v[6:7]
	v_mov_b32_e32 v22, v7
	v_pk_add_f32 v[112:113], v[22:23], v[20:21] neg_lo:[0,1] neg_hi:[0,1]
	v_mov_b32_e32 v3, v112
	v_pk_add_f32 v[114:115], v[100:101], v[2:3] neg_lo:[0,1] neg_hi:[0,1]
	v_mov_b32_e32 v6, v101
	v_mov_b32_e32 v100, v21
	;; [unrolled: 1-line block ×4, first 2 shown]
	v_pk_add_f32 v[6:7], v[6:7], v[100:101] neg_lo:[0,1] neg_hi:[0,1]
	v_mov_b32_e32 v98, v99
	v_mov_b32_e32 v99, v20
	v_pk_add_f32 v[6:7], v[98:99], v[6:7] neg_lo:[0,1] neg_hi:[0,1]
	v_mov_b32_e32 v114, v102
	v_pk_add_f32 v[20:21], v[114:115], v[6:7]
	v_mov_b32_e32 v98, v21
	v_pk_add_f32 v[98:99], v[20:21], v[98:99]
	v_pk_add_f32 v[22:23], v[22:23], v[98:99]
	v_mov_b32_e32 v21, v22
	v_pk_add_f32 v[100:101], v[20:21], v[102:103] neg_lo:[0,1] neg_hi:[0,1]
	v_mov_b32_e32 v7, v98
	v_sub_f32_e32 v3, v20, v100
	v_pk_add_f32 v[6:7], v[6:7], v[100:101] neg_lo:[0,1] neg_hi:[0,1]
	v_sub_f32_e32 v3, v102, v3
	s_mov_b32 s10, 0x7f800000
	v_add_f32_e32 v3, v6, v3
	s_mov_b32 s9, 0x33800000
	v_add_f32_e32 v3, v3, v7
	v_cmp_eq_f32_e32 vcc, s10, v37
	v_cmp_lt_f32_e64 s[10:11], |v37|, s9
	v_add_f32_e32 v3, v22, v3
	s_or_b64 vcc, vcc, s[10:11]
	v_cndmask_b32_e32 v3, v3, v37, vcc
	v_add_f32_e32 v3, v2, v3
.LBB472_350:
	s_or_b64 exec, exec, s[6:7]
	v_bfe_u32 v2, v3, 16, 1
	s_movk_i32 s9, 0x7fff
	v_add3_u32 v2, v3, v2, s9
	v_lshrrev_b32_e32 v6, 16, v2
	v_mov_b32_e32 v2, 0x7fc0
	v_cmp_o_f32_e32 vcc, v3, v3
	v_cndmask_b32_e32 v37, v2, v6, vcc
	v_lshlrev_b32_e32 v6, 16, v37
	v_max_f32_e32 v3, v6, v6
	v_min_f32_e32 v7, v3, v52
	v_cmp_u_f32_e32 vcc, v6, v6
	v_max_f32_e32 v3, v3, v52
	v_cndmask_b32_e32 v7, v7, v6, vcc
	v_cndmask_b32_e32 v3, v3, v6, vcc
	v_cndmask_b32_e64 v7, v7, v50, s[20:21]
	v_cndmask_b32_e64 v3, v3, v50, s[20:21]
	v_cmp_neq_f32_e32 vcc, v7, v3
	v_cmp_class_f32_e64 s[6:7], v7, s8
	s_or_b64 s[10:11], vcc, s[6:7]
	s_and_saveexec_b64 s[6:7], s[10:11]
	s_cbranch_execz .LBB472_352
; %bb.351:
	v_sub_f32_e32 v6, v7, v3
	s_mov_b32 s8, 0x3fb8aa3b
	v_mul_f32_e32 v7, 0x3fb8aa3b, v6
	v_fma_f32 v20, v6, s8, -v7
	v_rndne_f32_e32 v21, v7
	v_fmac_f32_e32 v20, 0x32a5705f, v6
	v_sub_f32_e32 v7, v7, v21
	v_add_f32_e32 v7, v7, v20
	v_exp_f32_e32 v7, v7
	v_cvt_i32_f32_e32 v20, v21
	s_mov_b32 s8, 0xc2ce8ed0
	v_cmp_ngt_f32_e32 vcc, s8, v6
	s_mov_b32 s8, 0x42b17218
	v_ldexp_f32 v7, v7, v20
	v_cndmask_b32_e32 v7, 0, v7, vcc
	v_mov_b32_e32 v20, 0x7f800000
	v_cmp_nlt_f32_e32 vcc, s8, v6
	v_cndmask_b32_e32 v52, v20, v7, vcc
	v_add_f32_e32 v20, 1.0, v52
	v_add_f32_e32 v6, -1.0, v20
	v_sub_f32_e32 v7, v6, v20
	v_add_f32_e32 v7, 1.0, v7
	v_sub_f32_e32 v6, v52, v6
	v_add_f32_e32 v21, v6, v7
	v_frexp_mant_f32_e32 v22, v20
	s_mov_b32 s8, 0x3f2aaaab
	v_cvt_f64_f32_e32 v[6:7], v20
	v_frexp_exp_i32_f64_e32 v6, v[6:7]
	v_cmp_gt_f32_e32 vcc, s8, v22
	v_subbrev_co_u32_e32 v50, vcc, 0, v6, vcc
	v_sub_u32_e32 v6, 0, v50
	v_ldexp_f32 v7, v20, v6
	v_add_f32_e32 v20, -1.0, v7
	v_add_f32_e32 v22, 1.0, v7
	v_ldexp_f32 v6, v21, v6
	v_add_f32_e32 v21, 1.0, v20
	v_add_f32_e32 v23, -1.0, v22
	v_sub_f32_e32 v21, v7, v21
	v_sub_f32_e32 v7, v7, v23
	v_add_f32_e32 v21, v6, v21
	v_add_f32_e32 v6, v6, v7
	;; [unrolled: 1-line block ×3, first 2 shown]
	v_rcp_f32_e32 v102, v100
	v_sub_f32_e32 v7, v22, v100
	v_add_f32_e32 v101, v6, v7
	v_add_f32_e32 v7, v20, v21
	v_mul_f32_e32 v112, v7, v102
	v_sub_f32_e32 v6, v20, v7
	v_mul_f32_e32 v20, v100, v112
	v_fma_f32 v22, v112, v100, -v20
	v_fmac_f32_e32 v22, v112, v101
	v_add_f32_e32 v103, v21, v6
	v_add_f32_e32 v6, v20, v22
	v_sub_f32_e32 v21, v7, v6
	v_pk_add_f32 v[98:99], v[6:7], v[20:21] neg_lo:[0,1] neg_hi:[0,1]
	v_mov_b32_e32 v23, v6
	v_pk_add_f32 v[6:7], v[98:99], v[22:23] neg_lo:[0,1] neg_hi:[0,1]
	v_add_f32_e32 v7, v103, v7
	v_add_f32_e32 v6, v6, v7
	;; [unrolled: 1-line block ×3, first 2 shown]
	v_mul_f32_e32 v103, v102, v7
	v_mul_f32_e32 v20, v100, v103
	v_fma_f32 v22, v103, v100, -v20
	v_fmac_f32_e32 v22, v103, v101
	v_sub_f32_e32 v21, v21, v7
	v_add_f32_e32 v100, v6, v21
	v_add_f32_e32 v6, v20, v22
	v_sub_f32_e32 v21, v7, v6
	v_pk_add_f32 v[98:99], v[6:7], v[20:21] neg_lo:[0,1] neg_hi:[0,1]
	v_mov_b32_e32 v23, v6
	v_pk_add_f32 v[6:7], v[98:99], v[22:23] neg_lo:[0,1] neg_hi:[0,1]
	v_add_f32_e32 v7, v100, v7
	v_add_f32_e32 v6, v6, v7
	;; [unrolled: 1-line block ×4, first 2 shown]
	v_sub_f32_e32 v7, v21, v112
	v_mul_f32_e32 v6, v102, v6
	v_sub_f32_e32 v7, v103, v7
	v_add_f32_e32 v6, v7, v6
	v_add_f32_e32 v22, v21, v6
	v_mul_f32_e32 v98, v22, v22
	v_mov_b32_e32 v20, 0x3ecc95a3
	v_fmac_f32_e32 v20, 0x3e9b6dac, v98
	v_mov_b32_e32 v7, 0x3f2aaada
	v_fmac_f32_e32 v7, v98, v20
	v_cvt_f32_i32_e32 v20, v50
	v_sub_f32_e32 v21, v22, v21
	v_sub_f32_e32 v6, v6, v21
	v_ldexp_f32 v50, v6, 1
	v_mul_f32_e32 v21, v22, v98
	v_mov_b32_e32 v6, 0x3f317218
	s_mov_b32 s8, 0x3f317218
	v_pk_mul_f32 v[6:7], v[20:21], v[6:7]
	v_ldexp_f32 v23, v22, 1
	v_fma_f32 v22, v20, s8, -v6
	v_fmac_f32_e32 v22, 0xb102e308, v20
	v_pk_add_f32 v[20:21], v[6:7], v[22:23]
	v_sub_f32_e32 v23, v21, v23
	v_sub_f32_e32 v23, v7, v23
	v_add_f32_e32 v99, v50, v23
	v_mov_b32_e32 v98, v6
	v_pk_add_f32 v[6:7], v[20:21], v[6:7] neg_lo:[0,1] neg_hi:[0,1]
	v_pk_add_f32 v[100:101], v[20:21], v[98:99]
	v_mov_b32_e32 v7, v101
	v_mov_b32_e32 v23, v20
	v_pk_add_f32 v[102:103], v[22:23], v[6:7] neg_lo:[0,1] neg_hi:[0,1]
	v_pk_add_f32 v[6:7], v[22:23], v[6:7]
	v_mov_b32_e32 v22, v7
	v_pk_add_f32 v[112:113], v[22:23], v[20:21] neg_lo:[0,1] neg_hi:[0,1]
	v_mov_b32_e32 v23, v112
	v_pk_add_f32 v[114:115], v[100:101], v[22:23] neg_lo:[0,1] neg_hi:[0,1]
	v_mov_b32_e32 v6, v101
	v_mov_b32_e32 v100, v21
	;; [unrolled: 1-line block ×4, first 2 shown]
	v_pk_add_f32 v[6:7], v[6:7], v[100:101] neg_lo:[0,1] neg_hi:[0,1]
	v_mov_b32_e32 v98, v99
	v_mov_b32_e32 v99, v20
	v_pk_add_f32 v[6:7], v[98:99], v[6:7] neg_lo:[0,1] neg_hi:[0,1]
	v_mov_b32_e32 v114, v102
	v_pk_add_f32 v[20:21], v[114:115], v[6:7]
	v_mov_b32_e32 v50, v21
	v_pk_add_f32 v[98:99], v[20:21], v[50:51]
	v_pk_add_f32 v[22:23], v[22:23], v[98:99]
	v_mov_b32_e32 v21, v22
	v_pk_add_f32 v[100:101], v[20:21], v[102:103] neg_lo:[0,1] neg_hi:[0,1]
	v_mov_b32_e32 v7, v98
	v_sub_f32_e32 v20, v20, v100
	v_pk_add_f32 v[6:7], v[6:7], v[100:101] neg_lo:[0,1] neg_hi:[0,1]
	v_sub_f32_e32 v20, v102, v20
	s_mov_b32 s10, 0x7f800000
	v_add_f32_e32 v6, v6, v20
	s_mov_b32 s8, 0x33800000
	v_add_f32_e32 v6, v6, v7
	v_cmp_eq_f32_e32 vcc, s10, v52
	v_cmp_lt_f32_e64 s[10:11], |v52|, s8
	v_add_f32_e32 v6, v22, v6
	s_or_b64 vcc, vcc, s[10:11]
	v_cndmask_b32_e32 v6, v6, v52, vcc
	v_add_f32_e32 v6, v3, v6
.LBB472_352:
	s_or_b64 exec, exec, s[6:7]
	v_bfe_u32 v3, v6, 16, 1
	v_add3_u32 v3, v6, v3, s9
	v_lshrrev_b32_e32 v3, 16, v3
	v_cmp_o_f32_e32 vcc, v6, v6
	v_cndmask_b32_e32 v50, v2, v3, vcc
	v_lshlrev_b32_e32 v3, 16, v50
	v_max_f32_e32 v2, v3, v3
	v_min_f32_e32 v6, v2, v53
	v_cmp_u_f32_e32 vcc, v3, v3
	v_max_f32_e32 v2, v2, v53
	v_cndmask_b32_e32 v6, v6, v3, vcc
	v_cndmask_b32_e32 v2, v2, v3, vcc
	v_cndmask_b32_e64 v6, v6, v16, s[22:23]
	v_cndmask_b32_e64 v2, v2, v16, s[22:23]
	s_movk_i32 s8, 0x1f8
	v_cmp_neq_f32_e32 vcc, v6, v2
	v_cmp_class_f32_e64 s[6:7], v6, s8
	s_or_b64 s[10:11], vcc, s[6:7]
	s_and_saveexec_b64 s[6:7], s[10:11]
	s_cbranch_execz .LBB472_354
; %bb.353:
	v_sub_f32_e32 v3, v6, v2
	s_mov_b32 s9, 0x3fb8aa3b
	v_mul_f32_e32 v6, 0x3fb8aa3b, v3
	v_fma_f32 v7, v3, s9, -v6
	v_rndne_f32_e32 v16, v6
	v_fmac_f32_e32 v7, 0x32a5705f, v3
	v_sub_f32_e32 v6, v6, v16
	v_add_f32_e32 v6, v6, v7
	v_exp_f32_e32 v6, v6
	v_cvt_i32_f32_e32 v7, v16
	s_mov_b32 s9, 0xc2ce8ed0
	v_cmp_ngt_f32_e32 vcc, s9, v3
	s_mov_b32 s9, 0x42b17218
	v_ldexp_f32 v6, v6, v7
	v_cndmask_b32_e32 v6, 0, v6, vcc
	v_mov_b32_e32 v7, 0x7f800000
	v_cmp_nlt_f32_e32 vcc, s9, v3
	v_cndmask_b32_e32 v112, v7, v6, vcc
	v_add_f32_e32 v3, 1.0, v112
	v_add_f32_e32 v6, -1.0, v3
	v_sub_f32_e32 v7, v6, v3
	v_add_f32_e32 v7, 1.0, v7
	v_sub_f32_e32 v6, v112, v6
	v_add_f32_e32 v16, v6, v7
	v_frexp_mant_f32_e32 v20, v3
	s_mov_b32 s9, 0x3f2aaaab
	v_cvt_f64_f32_e32 v[6:7], v3
	v_frexp_exp_i32_f64_e32 v6, v[6:7]
	v_cmp_gt_f32_e32 vcc, s9, v20
	v_subbrev_co_u32_e32 v98, vcc, 0, v6, vcc
	v_sub_u32_e32 v6, 0, v98
	v_ldexp_f32 v3, v3, v6
	v_ldexp_f32 v6, v16, v6
	v_add_f32_e32 v16, -1.0, v3
	v_add_f32_e32 v7, 1.0, v16
	v_sub_f32_e32 v7, v3, v7
	v_add_f32_e32 v20, v6, v7
	v_add_f32_e32 v7, 1.0, v3
	v_add_f32_e32 v21, -1.0, v7
	v_sub_f32_e32 v3, v3, v21
	v_add_f32_e32 v3, v6, v3
	v_add_f32_e32 v99, v7, v3
	v_rcp_f32_e32 v100, v99
	v_sub_f32_e32 v6, v7, v99
	v_add_f32_e32 v7, v16, v20
	v_add_f32_e32 v3, v3, v6
	v_sub_f32_e32 v6, v16, v7
	v_mul_f32_e32 v101, v7, v100
	v_add_f32_e32 v16, v20, v6
	v_mul_f32_e32 v20, v99, v101
	v_fma_f32 v22, v101, v99, -v20
	v_fmac_f32_e32 v22, v101, v3
	v_add_f32_e32 v6, v20, v22
	v_sub_f32_e32 v21, v7, v6
	v_pk_add_f32 v[52:53], v[6:7], v[20:21] neg_lo:[0,1] neg_hi:[0,1]
	v_mov_b32_e32 v23, v6
	v_pk_add_f32 v[6:7], v[52:53], v[22:23] neg_lo:[0,1] neg_hi:[0,1]
	v_add_f32_e32 v7, v16, v7
	v_add_f32_e32 v6, v6, v7
	;; [unrolled: 1-line block ×3, first 2 shown]
	v_mul_f32_e32 v16, v100, v7
	v_mul_f32_e32 v20, v99, v16
	v_fma_f32 v22, v16, v99, -v20
	v_fmac_f32_e32 v22, v16, v3
	v_sub_f32_e32 v3, v21, v7
	v_add_f32_e32 v3, v6, v3
	v_add_f32_e32 v6, v20, v22
	v_sub_f32_e32 v21, v7, v6
	v_pk_add_f32 v[52:53], v[6:7], v[20:21] neg_lo:[0,1] neg_hi:[0,1]
	v_mov_b32_e32 v23, v6
	v_pk_add_f32 v[6:7], v[52:53], v[22:23] neg_lo:[0,1] neg_hi:[0,1]
	v_add_f32_e32 v3, v3, v7
	v_add_f32_e32 v3, v6, v3
	;; [unrolled: 1-line block ×4, first 2 shown]
	v_sub_f32_e32 v7, v6, v101
	v_mul_f32_e32 v3, v100, v3
	v_sub_f32_e32 v7, v16, v7
	v_add_f32_e32 v3, v7, v3
	v_add_f32_e32 v16, v6, v3
	v_mul_f32_e32 v21, v16, v16
	v_mov_b32_e32 v20, 0x3ecc95a3
	v_fmac_f32_e32 v20, 0x3e9b6dac, v21
	v_mov_b32_e32 v7, 0x3f2aaada
	v_fmac_f32_e32 v7, v21, v20
	v_cvt_f32_i32_e32 v20, v98
	v_sub_f32_e32 v6, v16, v6
	v_sub_f32_e32 v3, v3, v6
	v_mul_f32_e32 v21, v16, v21
	v_mov_b32_e32 v6, 0x3f317218
	s_mov_b32 s9, 0x3f317218
	v_pk_mul_f32 v[6:7], v[20:21], v[6:7]
	v_fma_f32 v22, v20, s9, -v6
	v_ldexp_f32 v23, v16, 1
	v_fmac_f32_e32 v22, 0xb102e308, v20
	v_pk_add_f32 v[20:21], v[6:7], v[22:23]
	v_sub_f32_e32 v16, v21, v23
	v_ldexp_f32 v3, v3, 1
	v_sub_f32_e32 v16, v7, v16
	v_add_f32_e32 v53, v3, v16
	v_mov_b32_e32 v52, v6
	v_pk_add_f32 v[6:7], v[20:21], v[6:7] neg_lo:[0,1] neg_hi:[0,1]
	v_pk_add_f32 v[98:99], v[20:21], v[52:53]
	v_mov_b32_e32 v7, v99
	v_mov_b32_e32 v23, v20
	v_pk_add_f32 v[100:101], v[22:23], v[6:7] neg_lo:[0,1] neg_hi:[0,1]
	v_pk_add_f32 v[6:7], v[22:23], v[6:7]
	v_mov_b32_e32 v16, v7
	v_pk_add_f32 v[22:23], v[16:17], v[20:21] neg_lo:[0,1] neg_hi:[0,1]
	v_mov_b32_e32 v3, v22
	v_pk_add_f32 v[102:103], v[98:99], v[2:3] neg_lo:[0,1] neg_hi:[0,1]
	v_mov_b32_e32 v6, v99
	v_mov_b32_e32 v98, v21
	;; [unrolled: 1-line block ×4, first 2 shown]
	v_pk_add_f32 v[6:7], v[6:7], v[98:99] neg_lo:[0,1] neg_hi:[0,1]
	v_mov_b32_e32 v22, v53
	v_mov_b32_e32 v23, v20
	v_pk_add_f32 v[6:7], v[22:23], v[6:7] neg_lo:[0,1] neg_hi:[0,1]
	v_mov_b32_e32 v102, v100
	v_pk_add_f32 v[20:21], v[102:103], v[6:7]
	v_mov_b32_e32 v22, v21
	v_pk_add_f32 v[22:23], v[20:21], v[22:23]
	v_pk_add_f32 v[52:53], v[16:17], v[22:23]
	v_mov_b32_e32 v21, v52
	v_pk_add_f32 v[98:99], v[20:21], v[100:101] neg_lo:[0,1] neg_hi:[0,1]
	v_mov_b32_e32 v7, v22
	v_sub_f32_e32 v3, v20, v98
	v_pk_add_f32 v[6:7], v[6:7], v[98:99] neg_lo:[0,1] neg_hi:[0,1]
	v_sub_f32_e32 v3, v100, v3
	s_mov_b32 s10, 0x7f800000
	v_add_f32_e32 v3, v6, v3
	s_mov_b32 s9, 0x33800000
	v_add_f32_e32 v3, v3, v7
	v_cmp_eq_f32_e32 vcc, s10, v112
	v_cmp_lt_f32_e64 s[10:11], |v112|, s9
	v_add_f32_e32 v3, v52, v3
	s_or_b64 vcc, vcc, s[10:11]
	v_cndmask_b32_e32 v3, v3, v112, vcc
	v_add_f32_e32 v3, v2, v3
.LBB472_354:
	s_or_b64 exec, exec, s[6:7]
	v_bfe_u32 v2, v3, 16, 1
	s_movk_i32 s9, 0x7fff
	v_add3_u32 v2, v3, v2, s9
	v_lshrrev_b32_e32 v6, 16, v2
	v_mov_b32_e32 v2, 0x7fc0
	v_cmp_o_f32_e32 vcc, v3, v3
	v_cndmask_b32_e32 v52, v2, v6, vcc
	v_lshlrev_b32_e32 v6, 16, v52
	v_max_f32_e32 v3, v6, v6
	v_min_f32_e32 v7, v3, v55
	v_cmp_u_f32_e32 vcc, v6, v6
	v_max_f32_e32 v3, v3, v55
	v_cndmask_b32_e32 v7, v7, v6, vcc
	v_cndmask_b32_e32 v3, v3, v6, vcc
	v_cndmask_b32_e64 v7, v7, v51, s[24:25]
	v_cndmask_b32_e64 v3, v3, v51, s[24:25]
	v_cmp_neq_f32_e32 vcc, v7, v3
	v_cmp_class_f32_e64 s[6:7], v7, s8
	s_or_b64 s[10:11], vcc, s[6:7]
	s_and_saveexec_b64 s[6:7], s[10:11]
	s_cbranch_execz .LBB472_356
; %bb.355:
	v_sub_f32_e32 v6, v7, v3
	s_mov_b32 s8, 0x3fb8aa3b
	v_mul_f32_e32 v7, 0x3fb8aa3b, v6
	v_fma_f32 v16, v6, s8, -v7
	v_rndne_f32_e32 v20, v7
	v_fmac_f32_e32 v16, 0x32a5705f, v6
	v_sub_f32_e32 v7, v7, v20
	v_add_f32_e32 v7, v7, v16
	v_exp_f32_e32 v7, v7
	v_cvt_i32_f32_e32 v16, v20
	s_mov_b32 s8, 0xc2ce8ed0
	v_cmp_ngt_f32_e32 vcc, s8, v6
	s_mov_b32 s8, 0x42b17218
	v_ldexp_f32 v7, v7, v16
	v_cndmask_b32_e32 v7, 0, v7, vcc
	v_mov_b32_e32 v16, 0x7f800000
	v_cmp_nlt_f32_e32 vcc, s8, v6
	v_cndmask_b32_e32 v51, v16, v7, vcc
	v_add_f32_e32 v16, 1.0, v51
	v_add_f32_e32 v6, -1.0, v16
	v_sub_f32_e32 v7, v6, v16
	v_add_f32_e32 v7, 1.0, v7
	v_sub_f32_e32 v6, v51, v6
	v_add_f32_e32 v20, v6, v7
	v_frexp_mant_f32_e32 v21, v16
	s_mov_b32 s8, 0x3f2aaaab
	v_cvt_f64_f32_e32 v[6:7], v16
	v_frexp_exp_i32_f64_e32 v6, v[6:7]
	v_cmp_gt_f32_e32 vcc, s8, v21
	v_subbrev_co_u32_e32 v53, vcc, 0, v6, vcc
	v_sub_u32_e32 v6, 0, v53
	v_ldexp_f32 v7, v16, v6
	v_add_f32_e32 v16, -1.0, v7
	v_add_f32_e32 v21, 1.0, v7
	v_ldexp_f32 v6, v20, v6
	v_add_f32_e32 v20, 1.0, v16
	v_add_f32_e32 v22, -1.0, v21
	v_sub_f32_e32 v20, v7, v20
	v_sub_f32_e32 v7, v7, v22
	v_add_f32_e32 v20, v6, v20
	v_add_f32_e32 v6, v6, v7
	;; [unrolled: 1-line block ×3, first 2 shown]
	v_rcp_f32_e32 v101, v55
	v_sub_f32_e32 v7, v21, v55
	v_add_f32_e32 v100, v6, v7
	v_add_f32_e32 v7, v16, v20
	v_sub_f32_e32 v6, v16, v7
	v_mul_f32_e32 v102, v7, v101
	v_add_f32_e32 v16, v20, v6
	v_mul_f32_e32 v20, v55, v102
	v_fma_f32 v22, v102, v55, -v20
	v_fmac_f32_e32 v22, v102, v100
	v_add_f32_e32 v6, v20, v22
	v_sub_f32_e32 v21, v7, v6
	v_pk_add_f32 v[98:99], v[6:7], v[20:21] neg_lo:[0,1] neg_hi:[0,1]
	v_mov_b32_e32 v23, v6
	v_pk_add_f32 v[6:7], v[98:99], v[22:23] neg_lo:[0,1] neg_hi:[0,1]
	v_add_f32_e32 v7, v16, v7
	v_add_f32_e32 v6, v6, v7
	;; [unrolled: 1-line block ×3, first 2 shown]
	v_mul_f32_e32 v16, v101, v7
	v_mul_f32_e32 v20, v55, v16
	v_fma_f32 v22, v16, v55, -v20
	v_fmac_f32_e32 v22, v16, v100
	v_sub_f32_e32 v21, v21, v7
	v_add_f32_e32 v55, v6, v21
	v_add_f32_e32 v6, v20, v22
	v_sub_f32_e32 v21, v7, v6
	v_pk_add_f32 v[98:99], v[6:7], v[20:21] neg_lo:[0,1] neg_hi:[0,1]
	v_mov_b32_e32 v23, v6
	v_pk_add_f32 v[6:7], v[98:99], v[22:23] neg_lo:[0,1] neg_hi:[0,1]
	v_add_f32_e32 v7, v55, v7
	v_add_f32_e32 v6, v6, v7
	;; [unrolled: 1-line block ×4, first 2 shown]
	v_sub_f32_e32 v7, v21, v102
	v_mul_f32_e32 v6, v101, v6
	v_sub_f32_e32 v7, v16, v7
	v_add_f32_e32 v6, v7, v6
	v_add_f32_e32 v16, v21, v6
	v_mul_f32_e32 v22, v16, v16
	v_mov_b32_e32 v20, 0x3ecc95a3
	v_fmac_f32_e32 v20, 0x3e9b6dac, v22
	v_mov_b32_e32 v7, 0x3f2aaada
	v_fmac_f32_e32 v7, v22, v20
	v_cvt_f32_i32_e32 v20, v53
	v_sub_f32_e32 v21, v16, v21
	v_sub_f32_e32 v6, v6, v21
	v_ldexp_f32 v53, v6, 1
	v_mul_f32_e32 v21, v16, v22
	v_mov_b32_e32 v6, 0x3f317218
	s_mov_b32 s8, 0x3f317218
	v_pk_mul_f32 v[6:7], v[20:21], v[6:7]
	v_fma_f32 v22, v20, s8, -v6
	v_ldexp_f32 v23, v16, 1
	v_fmac_f32_e32 v22, 0xb102e308, v20
	v_pk_add_f32 v[20:21], v[6:7], v[22:23]
	v_sub_f32_e32 v16, v21, v23
	v_sub_f32_e32 v16, v7, v16
	v_add_f32_e32 v99, v53, v16
	v_mov_b32_e32 v98, v6
	v_pk_add_f32 v[6:7], v[20:21], v[6:7] neg_lo:[0,1] neg_hi:[0,1]
	v_pk_add_f32 v[100:101], v[20:21], v[98:99]
	v_mov_b32_e32 v7, v101
	v_mov_b32_e32 v23, v20
	v_pk_add_f32 v[102:103], v[22:23], v[6:7] neg_lo:[0,1] neg_hi:[0,1]
	v_pk_add_f32 v[6:7], v[22:23], v[6:7]
	v_mov_b32_e32 v16, v7
	v_pk_add_f32 v[22:23], v[16:17], v[20:21] neg_lo:[0,1] neg_hi:[0,1]
	v_mov_b32_e32 v23, v22
	v_pk_add_f32 v[112:113], v[100:101], v[22:23] neg_lo:[0,1] neg_hi:[0,1]
	v_mov_b32_e32 v6, v101
	v_mov_b32_e32 v100, v21
	;; [unrolled: 1-line block ×4, first 2 shown]
	v_pk_add_f32 v[6:7], v[6:7], v[100:101] neg_lo:[0,1] neg_hi:[0,1]
	v_mov_b32_e32 v22, v99
	v_mov_b32_e32 v23, v20
	v_pk_add_f32 v[6:7], v[22:23], v[6:7] neg_lo:[0,1] neg_hi:[0,1]
	v_mov_b32_e32 v112, v102
	v_pk_add_f32 v[20:21], v[112:113], v[6:7]
	v_mov_b32_e32 v22, v21
	v_pk_add_f32 v[22:23], v[20:21], v[22:23]
	v_pk_add_f32 v[98:99], v[16:17], v[22:23]
	v_mov_b32_e32 v21, v98
	v_pk_add_f32 v[100:101], v[20:21], v[102:103] neg_lo:[0,1] neg_hi:[0,1]
	v_mov_b32_e32 v7, v22
	v_sub_f32_e32 v16, v20, v100
	v_pk_add_f32 v[6:7], v[6:7], v[100:101] neg_lo:[0,1] neg_hi:[0,1]
	v_sub_f32_e32 v16, v102, v16
	s_mov_b32 s10, 0x7f800000
	v_add_f32_e32 v6, v6, v16
	s_mov_b32 s8, 0x33800000
	v_add_f32_e32 v6, v6, v7
	v_cmp_eq_f32_e32 vcc, s10, v51
	v_cmp_lt_f32_e64 s[10:11], |v51|, s8
	v_add_f32_e32 v6, v98, v6
	s_or_b64 vcc, vcc, s[10:11]
	v_cndmask_b32_e32 v6, v6, v51, vcc
	v_add_f32_e32 v6, v3, v6
.LBB472_356:
	s_or_b64 exec, exec, s[6:7]
	v_bfe_u32 v3, v6, 16, 1
	v_add3_u32 v3, v6, v3, s9
	v_lshrrev_b32_e32 v3, 16, v3
	v_cmp_o_f32_e32 vcc, v6, v6
	v_cndmask_b32_e32 v51, v2, v3, vcc
	v_lshlrev_b32_e32 v3, 16, v51
	v_max_f32_e32 v2, v3, v3
	v_min_f32_e32 v6, v2, v64
	v_cmp_u_f32_e32 vcc, v3, v3
	v_max_f32_e32 v2, v2, v64
	v_cndmask_b32_e32 v6, v6, v3, vcc
	v_cndmask_b32_e32 v2, v2, v3, vcc
	v_cndmask_b32_e64 v6, v6, v17, s[26:27]
	v_cndmask_b32_e64 v2, v2, v17, s[26:27]
	s_movk_i32 s8, 0x1f8
	v_cmp_neq_f32_e32 vcc, v6, v2
	v_cmp_class_f32_e64 s[6:7], v6, s8
	s_or_b64 s[10:11], vcc, s[6:7]
	s_and_saveexec_b64 s[6:7], s[10:11]
	s_cbranch_execz .LBB472_358
; %bb.357:
	v_sub_f32_e32 v3, v6, v2
	s_mov_b32 s9, 0x3fb8aa3b
	v_mul_f32_e32 v6, 0x3fb8aa3b, v3
	v_fma_f32 v7, v3, s9, -v6
	v_rndne_f32_e32 v16, v6
	v_fmac_f32_e32 v7, 0x32a5705f, v3
	v_sub_f32_e32 v6, v6, v16
	v_add_f32_e32 v6, v6, v7
	v_exp_f32_e32 v6, v6
	v_cvt_i32_f32_e32 v7, v16
	s_mov_b32 s9, 0xc2ce8ed0
	v_cmp_ngt_f32_e32 vcc, s9, v3
	s_mov_b32 s9, 0x42b17218
	v_ldexp_f32 v6, v6, v7
	v_cndmask_b32_e32 v6, 0, v6, vcc
	v_mov_b32_e32 v7, 0x7f800000
	v_cmp_nlt_f32_e32 vcc, s9, v3
	v_cndmask_b32_e32 v53, v7, v6, vcc
	v_add_f32_e32 v3, 1.0, v53
	v_add_f32_e32 v6, -1.0, v3
	v_sub_f32_e32 v7, v6, v3
	v_add_f32_e32 v7, 1.0, v7
	v_sub_f32_e32 v6, v53, v6
	v_add_f32_e32 v16, v6, v7
	v_frexp_mant_f32_e32 v17, v3
	s_mov_b32 s9, 0x3f2aaaab
	v_cvt_f64_f32_e32 v[6:7], v3
	v_frexp_exp_i32_f64_e32 v6, v[6:7]
	v_cmp_gt_f32_e32 vcc, s9, v17
	v_subbrev_co_u32_e32 v55, vcc, 0, v6, vcc
	v_sub_u32_e32 v6, 0, v55
	v_ldexp_f32 v3, v3, v6
	v_ldexp_f32 v6, v16, v6
	v_add_f32_e32 v16, -1.0, v3
	v_add_f32_e32 v7, 1.0, v16
	v_sub_f32_e32 v7, v3, v7
	v_add_f32_e32 v17, v6, v7
	v_add_f32_e32 v7, 1.0, v3
	v_add_f32_e32 v20, -1.0, v7
	v_sub_f32_e32 v3, v3, v20
	v_add_f32_e32 v3, v6, v3
	v_add_f32_e32 v64, v7, v3
	v_rcp_f32_e32 v98, v64
	v_sub_f32_e32 v6, v7, v64
	v_add_f32_e32 v7, v16, v17
	v_add_f32_e32 v3, v3, v6
	v_mul_f32_e32 v100, v7, v98
	v_sub_f32_e32 v6, v16, v7
	v_mul_f32_e32 v16, v64, v100
	v_fma_f32 v20, v100, v64, -v16
	v_fmac_f32_e32 v20, v100, v3
	v_add_f32_e32 v99, v17, v6
	v_add_f32_e32 v6, v16, v20
	v_sub_f32_e32 v17, v7, v6
	v_pk_add_f32 v[22:23], v[6:7], v[16:17] neg_lo:[0,1] neg_hi:[0,1]
	v_mov_b32_e32 v21, v6
	v_pk_add_f32 v[6:7], v[22:23], v[20:21] neg_lo:[0,1] neg_hi:[0,1]
	v_add_f32_e32 v7, v99, v7
	v_add_f32_e32 v6, v6, v7
	;; [unrolled: 1-line block ×3, first 2 shown]
	v_mul_f32_e32 v99, v98, v7
	v_mul_f32_e32 v16, v64, v99
	v_fma_f32 v20, v99, v64, -v16
	v_fmac_f32_e32 v20, v99, v3
	v_sub_f32_e32 v3, v17, v7
	v_add_f32_e32 v3, v6, v3
	v_add_f32_e32 v6, v16, v20
	v_sub_f32_e32 v17, v7, v6
	v_pk_add_f32 v[22:23], v[6:7], v[16:17] neg_lo:[0,1] neg_hi:[0,1]
	v_mov_b32_e32 v21, v6
	v_pk_add_f32 v[6:7], v[22:23], v[20:21] neg_lo:[0,1] neg_hi:[0,1]
	v_add_f32_e32 v3, v3, v7
	v_add_f32_e32 v3, v6, v3
	;; [unrolled: 1-line block ×4, first 2 shown]
	v_sub_f32_e32 v7, v6, v100
	v_mul_f32_e32 v3, v98, v3
	v_sub_f32_e32 v7, v99, v7
	v_add_f32_e32 v3, v7, v3
	v_add_f32_e32 v17, v6, v3
	v_mul_f32_e32 v20, v17, v17
	v_mov_b32_e32 v16, 0x3ecc95a3
	v_fmac_f32_e32 v16, 0x3e9b6dac, v20
	v_mov_b32_e32 v7, 0x3f2aaada
	v_fmac_f32_e32 v7, v20, v16
	v_cvt_f32_i32_e32 v16, v55
	v_sub_f32_e32 v6, v17, v6
	v_sub_f32_e32 v3, v3, v6
	v_ldexp_f32 v21, v17, 1
	v_mul_f32_e32 v17, v17, v20
	v_mov_b32_e32 v6, 0x3f317218
	s_mov_b32 s9, 0x3f317218
	v_pk_mul_f32 v[6:7], v[16:17], v[6:7]
	v_fma_f32 v20, v16, s9, -v6
	v_fmac_f32_e32 v20, 0xb102e308, v16
	v_pk_add_f32 v[16:17], v[6:7], v[20:21]
	v_sub_f32_e32 v21, v17, v21
	v_ldexp_f32 v3, v3, 1
	v_sub_f32_e32 v21, v7, v21
	v_add_f32_e32 v23, v3, v21
	v_mov_b32_e32 v22, v6
	v_pk_add_f32 v[6:7], v[16:17], v[6:7] neg_lo:[0,1] neg_hi:[0,1]
	v_pk_add_f32 v[98:99], v[16:17], v[22:23]
	v_mov_b32_e32 v7, v99
	v_mov_b32_e32 v21, v16
	v_pk_add_f32 v[100:101], v[20:21], v[6:7] neg_lo:[0,1] neg_hi:[0,1]
	v_pk_add_f32 v[6:7], v[20:21], v[6:7]
	v_mov_b32_e32 v20, v7
	v_pk_add_f32 v[102:103], v[20:21], v[16:17] neg_lo:[0,1] neg_hi:[0,1]
	v_mov_b32_e32 v3, v102
	v_pk_add_f32 v[112:113], v[98:99], v[2:3] neg_lo:[0,1] neg_hi:[0,1]
	v_mov_b32_e32 v6, v99
	v_mov_b32_e32 v98, v17
	;; [unrolled: 1-line block ×4, first 2 shown]
	v_pk_add_f32 v[6:7], v[6:7], v[98:99] neg_lo:[0,1] neg_hi:[0,1]
	v_mov_b32_e32 v22, v23
	v_mov_b32_e32 v23, v16
	v_pk_add_f32 v[6:7], v[22:23], v[6:7] neg_lo:[0,1] neg_hi:[0,1]
	v_mov_b32_e32 v112, v100
	v_pk_add_f32 v[16:17], v[112:113], v[6:7]
	v_mov_b32_e32 v22, v17
	v_pk_add_f32 v[22:23], v[16:17], v[22:23]
	v_pk_add_f32 v[20:21], v[20:21], v[22:23]
	v_mov_b32_e32 v17, v20
	v_pk_add_f32 v[98:99], v[16:17], v[100:101] neg_lo:[0,1] neg_hi:[0,1]
	v_mov_b32_e32 v7, v22
	v_sub_f32_e32 v3, v16, v98
	v_pk_add_f32 v[6:7], v[6:7], v[98:99] neg_lo:[0,1] neg_hi:[0,1]
	v_sub_f32_e32 v3, v100, v3
	s_mov_b32 s10, 0x7f800000
	v_add_f32_e32 v3, v6, v3
	s_mov_b32 s9, 0x33800000
	v_add_f32_e32 v3, v3, v7
	v_cmp_eq_f32_e32 vcc, s10, v53
	v_cmp_lt_f32_e64 s[10:11], |v53|, s9
	v_add_f32_e32 v3, v20, v3
	s_or_b64 vcc, vcc, s[10:11]
	v_cndmask_b32_e32 v3, v3, v53, vcc
	v_add_f32_e32 v3, v2, v3
.LBB472_358:
	s_or_b64 exec, exec, s[6:7]
	v_bfe_u32 v2, v3, 16, 1
	s_movk_i32 s9, 0x7fff
	v_add3_u32 v2, v3, v2, s9
	v_lshrrev_b32_e32 v6, 16, v2
	v_mov_b32_e32 v2, 0x7fc0
	v_cmp_o_f32_e32 vcc, v3, v3
	v_cndmask_b32_e32 v53, v2, v6, vcc
	v_lshlrev_b32_e32 v6, 16, v53
	v_max_f32_e32 v3, v6, v6
	v_min_f32_e32 v7, v3, v66
	v_cmp_u_f32_e32 vcc, v6, v6
	v_max_f32_e32 v3, v3, v66
	v_cndmask_b32_e32 v7, v7, v6, vcc
	v_cndmask_b32_e32 v3, v3, v6, vcc
	v_cndmask_b32_e64 v7, v7, v54, s[28:29]
	v_cndmask_b32_e64 v3, v3, v54, s[28:29]
	v_cmp_neq_f32_e32 vcc, v7, v3
	v_cmp_class_f32_e64 s[6:7], v7, s8
	s_or_b64 s[10:11], vcc, s[6:7]
	s_and_saveexec_b64 s[6:7], s[10:11]
	s_cbranch_execz .LBB472_360
; %bb.359:
	v_sub_f32_e32 v6, v7, v3
	s_mov_b32 s8, 0x3fb8aa3b
	v_mul_f32_e32 v7, 0x3fb8aa3b, v6
	v_fma_f32 v16, v6, s8, -v7
	v_rndne_f32_e32 v17, v7
	v_fmac_f32_e32 v16, 0x32a5705f, v6
	v_sub_f32_e32 v7, v7, v17
	v_add_f32_e32 v7, v7, v16
	v_exp_f32_e32 v7, v7
	v_cvt_i32_f32_e32 v16, v17
	s_mov_b32 s8, 0xc2ce8ed0
	v_cmp_ngt_f32_e32 vcc, s8, v6
	s_mov_b32 s8, 0x42b17218
	v_ldexp_f32 v7, v7, v16
	v_cndmask_b32_e32 v7, 0, v7, vcc
	v_mov_b32_e32 v16, 0x7f800000
	v_cmp_nlt_f32_e32 vcc, s8, v6
	v_cndmask_b32_e32 v64, v16, v7, vcc
	v_add_f32_e32 v16, 1.0, v64
	v_add_f32_e32 v6, -1.0, v16
	v_sub_f32_e32 v7, v6, v16
	v_add_f32_e32 v7, 1.0, v7
	v_sub_f32_e32 v6, v64, v6
	v_add_f32_e32 v17, v6, v7
	v_frexp_mant_f32_e32 v20, v16
	s_mov_b32 s8, 0x3f2aaaab
	v_cvt_f64_f32_e32 v[6:7], v16
	v_frexp_exp_i32_f64_e32 v6, v[6:7]
	v_cmp_gt_f32_e32 vcc, s8, v20
	v_subbrev_co_u32_e32 v54, vcc, 0, v6, vcc
	v_sub_u32_e32 v6, 0, v54
	v_ldexp_f32 v7, v16, v6
	v_add_f32_e32 v16, -1.0, v7
	v_add_f32_e32 v20, 1.0, v7
	v_ldexp_f32 v6, v17, v6
	v_add_f32_e32 v17, 1.0, v16
	v_add_f32_e32 v21, -1.0, v20
	v_sub_f32_e32 v17, v7, v17
	v_sub_f32_e32 v7, v7, v21
	v_add_f32_e32 v17, v6, v17
	v_add_f32_e32 v6, v6, v7
	;; [unrolled: 1-line block ×3, first 2 shown]
	v_rcp_f32_e32 v98, v55
	v_sub_f32_e32 v7, v20, v55
	v_add_f32_e32 v66, v6, v7
	v_add_f32_e32 v7, v16, v17
	v_mul_f32_e32 v100, v7, v98
	v_sub_f32_e32 v6, v16, v7
	v_mul_f32_e32 v16, v55, v100
	v_fma_f32 v20, v100, v55, -v16
	v_fmac_f32_e32 v20, v100, v66
	v_add_f32_e32 v99, v17, v6
	v_add_f32_e32 v6, v16, v20
	v_sub_f32_e32 v17, v7, v6
	v_pk_add_f32 v[22:23], v[6:7], v[16:17] neg_lo:[0,1] neg_hi:[0,1]
	v_mov_b32_e32 v21, v6
	v_pk_add_f32 v[6:7], v[22:23], v[20:21] neg_lo:[0,1] neg_hi:[0,1]
	v_add_f32_e32 v7, v99, v7
	v_add_f32_e32 v6, v6, v7
	;; [unrolled: 1-line block ×3, first 2 shown]
	v_mul_f32_e32 v99, v98, v7
	v_mul_f32_e32 v16, v55, v99
	v_fma_f32 v20, v99, v55, -v16
	v_fmac_f32_e32 v20, v99, v66
	v_sub_f32_e32 v17, v17, v7
	v_add_f32_e32 v55, v6, v17
	v_add_f32_e32 v6, v16, v20
	v_sub_f32_e32 v17, v7, v6
	v_pk_add_f32 v[22:23], v[6:7], v[16:17] neg_lo:[0,1] neg_hi:[0,1]
	v_mov_b32_e32 v21, v6
	v_pk_add_f32 v[6:7], v[22:23], v[20:21] neg_lo:[0,1] neg_hi:[0,1]
	v_add_f32_e32 v7, v55, v7
	v_add_f32_e32 v6, v6, v7
	;; [unrolled: 1-line block ×4, first 2 shown]
	v_sub_f32_e32 v7, v17, v100
	v_mul_f32_e32 v6, v98, v6
	v_sub_f32_e32 v7, v99, v7
	v_add_f32_e32 v6, v7, v6
	v_add_f32_e32 v20, v17, v6
	v_mul_f32_e32 v22, v20, v20
	v_mov_b32_e32 v16, 0x3ecc95a3
	v_fmac_f32_e32 v16, 0x3e9b6dac, v22
	v_mov_b32_e32 v7, 0x3f2aaada
	v_fmac_f32_e32 v7, v22, v16
	v_cvt_f32_i32_e32 v16, v54
	v_sub_f32_e32 v17, v20, v17
	v_sub_f32_e32 v6, v6, v17
	v_ldexp_f32 v23, v6, 1
	v_mul_f32_e32 v17, v20, v22
	v_mov_b32_e32 v6, 0x3f317218
	s_mov_b32 s8, 0x3f317218
	v_pk_mul_f32 v[6:7], v[16:17], v[6:7]
	v_ldexp_f32 v21, v20, 1
	v_fma_f32 v20, v16, s8, -v6
	v_fmac_f32_e32 v20, 0xb102e308, v16
	v_pk_add_f32 v[16:17], v[6:7], v[20:21]
	v_sub_f32_e32 v21, v17, v21
	v_sub_f32_e32 v21, v7, v21
	v_add_f32_e32 v23, v23, v21
	v_mov_b32_e32 v22, v6
	v_pk_add_f32 v[6:7], v[16:17], v[6:7] neg_lo:[0,1] neg_hi:[0,1]
	v_pk_add_f32 v[54:55], v[16:17], v[22:23]
	v_mov_b32_e32 v7, v55
	v_mov_b32_e32 v21, v16
	v_pk_add_f32 v[98:99], v[20:21], v[6:7] neg_lo:[0,1] neg_hi:[0,1]
	v_pk_add_f32 v[6:7], v[20:21], v[6:7]
	v_mov_b32_e32 v20, v7
	v_pk_add_f32 v[100:101], v[20:21], v[16:17] neg_lo:[0,1] neg_hi:[0,1]
	v_mov_b32_e32 v21, v100
	v_pk_add_f32 v[102:103], v[54:55], v[20:21] neg_lo:[0,1] neg_hi:[0,1]
	v_mov_b32_e32 v6, v55
	v_mov_b32_e32 v54, v17
	v_mov_b32_e32 v55, v100
	v_mov_b32_e32 v99, v7
	v_pk_add_f32 v[6:7], v[6:7], v[54:55] neg_lo:[0,1] neg_hi:[0,1]
	v_mov_b32_e32 v22, v23
	v_mov_b32_e32 v23, v16
	v_pk_add_f32 v[6:7], v[22:23], v[6:7] neg_lo:[0,1] neg_hi:[0,1]
	v_mov_b32_e32 v102, v98
	v_pk_add_f32 v[16:17], v[102:103], v[6:7]
	v_mov_b32_e32 v22, v17
	v_pk_add_f32 v[22:23], v[16:17], v[22:23]
	v_pk_add_f32 v[20:21], v[20:21], v[22:23]
	v_mov_b32_e32 v17, v20
	v_pk_add_f32 v[54:55], v[16:17], v[98:99] neg_lo:[0,1] neg_hi:[0,1]
	v_mov_b32_e32 v7, v22
	v_sub_f32_e32 v16, v16, v54
	v_pk_add_f32 v[6:7], v[6:7], v[54:55] neg_lo:[0,1] neg_hi:[0,1]
	v_sub_f32_e32 v16, v98, v16
	s_mov_b32 s10, 0x7f800000
	v_add_f32_e32 v6, v6, v16
	s_mov_b32 s8, 0x33800000
	v_add_f32_e32 v6, v6, v7
	v_cmp_eq_f32_e32 vcc, s10, v64
	v_cmp_lt_f32_e64 s[10:11], |v64|, s8
	v_add_f32_e32 v6, v20, v6
	s_or_b64 vcc, vcc, s[10:11]
	v_cndmask_b32_e32 v6, v6, v64, vcc
	v_add_f32_e32 v6, v3, v6
.LBB472_360:
	s_or_b64 exec, exec, s[6:7]
	v_bfe_u32 v3, v6, 16, 1
	v_add3_u32 v3, v6, v3, s9
	v_lshrrev_b32_e32 v3, 16, v3
	v_cmp_o_f32_e32 vcc, v6, v6
	v_cndmask_b32_e32 v54, v2, v3, vcc
	v_lshlrev_b32_e32 v3, 16, v54
	v_max_f32_e32 v2, v3, v3
	v_min_f32_e32 v6, v2, v67
	v_cmp_u_f32_e32 vcc, v3, v3
	v_max_f32_e32 v2, v2, v67
	v_cndmask_b32_e32 v6, v6, v3, vcc
	v_cndmask_b32_e32 v2, v2, v3, vcc
	v_cndmask_b32_e64 v6, v6, v18, s[30:31]
	v_cndmask_b32_e64 v2, v2, v18, s[30:31]
	s_movk_i32 s8, 0x1f8
	v_cmp_neq_f32_e32 vcc, v6, v2
	v_cmp_class_f32_e64 s[6:7], v6, s8
	s_or_b64 s[10:11], vcc, s[6:7]
	s_and_saveexec_b64 s[6:7], s[10:11]
	s_cbranch_execz .LBB472_362
; %bb.361:
	v_sub_f32_e32 v3, v6, v2
	s_mov_b32 s9, 0x3fb8aa3b
	v_mul_f32_e32 v6, 0x3fb8aa3b, v3
	v_fma_f32 v7, v3, s9, -v6
	v_rndne_f32_e32 v16, v6
	v_fmac_f32_e32 v7, 0x32a5705f, v3
	v_sub_f32_e32 v6, v6, v16
	v_add_f32_e32 v6, v6, v7
	v_exp_f32_e32 v6, v6
	v_cvt_i32_f32_e32 v7, v16
	s_mov_b32 s9, 0xc2ce8ed0
	v_cmp_ngt_f32_e32 vcc, s9, v3
	s_mov_b32 s9, 0x42b17218
	v_ldexp_f32 v6, v6, v7
	v_cndmask_b32_e32 v6, 0, v6, vcc
	v_mov_b32_e32 v7, 0x7f800000
	v_cmp_nlt_f32_e32 vcc, s9, v3
	v_cndmask_b32_e32 v55, v7, v6, vcc
	v_add_f32_e32 v3, 1.0, v55
	v_add_f32_e32 v6, -1.0, v3
	v_sub_f32_e32 v7, v6, v3
	v_add_f32_e32 v7, 1.0, v7
	v_sub_f32_e32 v6, v55, v6
	v_add_f32_e32 v16, v6, v7
	v_frexp_mant_f32_e32 v17, v3
	s_mov_b32 s9, 0x3f2aaaab
	v_cvt_f64_f32_e32 v[6:7], v3
	v_frexp_exp_i32_f64_e32 v6, v[6:7]
	v_cmp_gt_f32_e32 vcc, s9, v17
	v_subbrev_co_u32_e32 v18, vcc, 0, v6, vcc
	v_sub_u32_e32 v6, 0, v18
	v_ldexp_f32 v3, v3, v6
	v_ldexp_f32 v6, v16, v6
	v_add_f32_e32 v16, -1.0, v3
	v_add_f32_e32 v7, 1.0, v16
	v_sub_f32_e32 v7, v3, v7
	v_add_f32_e32 v17, v6, v7
	v_add_f32_e32 v7, 1.0, v3
	v_add_f32_e32 v20, -1.0, v7
	v_sub_f32_e32 v3, v3, v20
	v_add_f32_e32 v3, v6, v3
	v_add_f32_e32 v64, v7, v3
	v_rcp_f32_e32 v66, v64
	v_sub_f32_e32 v6, v7, v64
	v_add_f32_e32 v7, v16, v17
	v_add_f32_e32 v3, v3, v6
	v_mul_f32_e32 v98, v7, v66
	v_sub_f32_e32 v6, v16, v7
	v_mul_f32_e32 v16, v64, v98
	v_fma_f32 v20, v98, v64, -v16
	v_fmac_f32_e32 v20, v98, v3
	v_add_f32_e32 v67, v17, v6
	v_add_f32_e32 v6, v16, v20
	v_sub_f32_e32 v17, v7, v6
	v_pk_add_f32 v[22:23], v[6:7], v[16:17] neg_lo:[0,1] neg_hi:[0,1]
	v_mov_b32_e32 v21, v6
	v_pk_add_f32 v[6:7], v[22:23], v[20:21] neg_lo:[0,1] neg_hi:[0,1]
	v_add_f32_e32 v7, v67, v7
	v_add_f32_e32 v6, v6, v7
	;; [unrolled: 1-line block ×3, first 2 shown]
	v_mul_f32_e32 v67, v66, v7
	v_mul_f32_e32 v16, v64, v67
	v_fma_f32 v20, v67, v64, -v16
	v_fmac_f32_e32 v20, v67, v3
	v_sub_f32_e32 v3, v17, v7
	v_add_f32_e32 v3, v6, v3
	v_add_f32_e32 v6, v16, v20
	v_sub_f32_e32 v17, v7, v6
	v_pk_add_f32 v[22:23], v[6:7], v[16:17] neg_lo:[0,1] neg_hi:[0,1]
	v_mov_b32_e32 v21, v6
	v_pk_add_f32 v[6:7], v[22:23], v[20:21] neg_lo:[0,1] neg_hi:[0,1]
	v_add_f32_e32 v3, v3, v7
	v_add_f32_e32 v3, v6, v3
	;; [unrolled: 1-line block ×4, first 2 shown]
	v_sub_f32_e32 v7, v6, v98
	v_mul_f32_e32 v3, v66, v3
	v_sub_f32_e32 v7, v67, v7
	v_add_f32_e32 v3, v7, v3
	v_add_f32_e32 v17, v6, v3
	v_mul_f32_e32 v20, v17, v17
	v_mov_b32_e32 v16, 0x3ecc95a3
	v_fmac_f32_e32 v16, 0x3e9b6dac, v20
	v_mov_b32_e32 v7, 0x3f2aaada
	v_fmac_f32_e32 v7, v20, v16
	v_cvt_f32_i32_e32 v16, v18
	v_sub_f32_e32 v6, v17, v6
	v_sub_f32_e32 v3, v3, v6
	v_ldexp_f32 v21, v17, 1
	v_mul_f32_e32 v17, v17, v20
	v_mov_b32_e32 v6, 0x3f317218
	s_mov_b32 s9, 0x3f317218
	v_pk_mul_f32 v[6:7], v[16:17], v[6:7]
	v_fma_f32 v20, v16, s9, -v6
	v_fmac_f32_e32 v20, 0xb102e308, v16
	v_pk_add_f32 v[16:17], v[6:7], v[20:21]
	v_sub_f32_e32 v18, v17, v21
	v_ldexp_f32 v3, v3, 1
	v_sub_f32_e32 v18, v7, v18
	v_add_f32_e32 v23, v3, v18
	v_mov_b32_e32 v22, v6
	v_pk_add_f32 v[6:7], v[16:17], v[6:7] neg_lo:[0,1] neg_hi:[0,1]
	v_pk_add_f32 v[66:67], v[16:17], v[22:23]
	v_mov_b32_e32 v7, v67
	v_mov_b32_e32 v21, v16
	v_pk_add_f32 v[98:99], v[20:21], v[6:7] neg_lo:[0,1] neg_hi:[0,1]
	v_pk_add_f32 v[6:7], v[20:21], v[6:7]
	v_mov_b32_e32 v18, v7
	v_pk_add_f32 v[20:21], v[18:19], v[16:17] neg_lo:[0,1] neg_hi:[0,1]
	v_mov_b32_e32 v3, v20
	v_pk_add_f32 v[100:101], v[66:67], v[2:3] neg_lo:[0,1] neg_hi:[0,1]
	v_mov_b32_e32 v6, v67
	v_mov_b32_e32 v66, v17
	;; [unrolled: 1-line block ×4, first 2 shown]
	v_pk_add_f32 v[6:7], v[6:7], v[66:67] neg_lo:[0,1] neg_hi:[0,1]
	v_mov_b32_e32 v20, v23
	v_mov_b32_e32 v21, v16
	v_pk_add_f32 v[6:7], v[20:21], v[6:7] neg_lo:[0,1] neg_hi:[0,1]
	v_mov_b32_e32 v100, v98
	v_pk_add_f32 v[16:17], v[100:101], v[6:7]
	v_mov_b32_e32 v20, v17
	v_pk_add_f32 v[20:21], v[16:17], v[20:21]
	v_pk_add_f32 v[22:23], v[18:19], v[20:21]
	v_mov_b32_e32 v17, v22
	v_pk_add_f32 v[66:67], v[16:17], v[98:99] neg_lo:[0,1] neg_hi:[0,1]
	v_mov_b32_e32 v7, v20
	v_sub_f32_e32 v3, v16, v66
	v_pk_add_f32 v[6:7], v[6:7], v[66:67] neg_lo:[0,1] neg_hi:[0,1]
	v_sub_f32_e32 v3, v98, v3
	s_mov_b32 s10, 0x7f800000
	v_add_f32_e32 v3, v6, v3
	s_mov_b32 s9, 0x33800000
	v_add_f32_e32 v3, v3, v7
	v_cmp_eq_f32_e32 vcc, s10, v55
	v_cmp_lt_f32_e64 s[10:11], |v55|, s9
	v_add_f32_e32 v3, v22, v3
	s_or_b64 vcc, vcc, s[10:11]
	v_cndmask_b32_e32 v3, v3, v55, vcc
	v_add_f32_e32 v3, v2, v3
.LBB472_362:
	s_or_b64 exec, exec, s[6:7]
	v_bfe_u32 v2, v3, 16, 1
	s_movk_i32 s9, 0x7fff
	v_add3_u32 v2, v3, v2, s9
	v_lshrrev_b32_e32 v6, 16, v2
	v_mov_b32_e32 v2, 0x7fc0
	v_cmp_o_f32_e32 vcc, v3, v3
	v_cndmask_b32_e32 v55, v2, v6, vcc
	v_lshlrev_b32_e32 v6, 16, v55
	v_max_f32_e32 v3, v6, v6
	v_min_f32_e32 v7, v3, v69
	v_cmp_u_f32_e32 vcc, v6, v6
	v_max_f32_e32 v3, v3, v69
	v_cndmask_b32_e32 v7, v7, v6, vcc
	v_cndmask_b32_e32 v3, v3, v6, vcc
	v_cndmask_b32_e64 v7, v7, v65, s[34:35]
	v_cndmask_b32_e64 v3, v3, v65, s[34:35]
	v_cmp_neq_f32_e32 vcc, v7, v3
	v_cmp_class_f32_e64 s[6:7], v7, s8
	s_or_b64 s[10:11], vcc, s[6:7]
	s_and_saveexec_b64 s[6:7], s[10:11]
	s_cbranch_execz .LBB472_364
; %bb.363:
	v_sub_f32_e32 v6, v7, v3
	s_mov_b32 s8, 0x3fb8aa3b
	v_mul_f32_e32 v7, 0x3fb8aa3b, v6
	v_fma_f32 v16, v6, s8, -v7
	v_rndne_f32_e32 v17, v7
	v_fmac_f32_e32 v16, 0x32a5705f, v6
	v_sub_f32_e32 v7, v7, v17
	v_add_f32_e32 v7, v7, v16
	v_exp_f32_e32 v7, v7
	v_cvt_i32_f32_e32 v16, v17
	s_mov_b32 s8, 0xc2ce8ed0
	v_cmp_ngt_f32_e32 vcc, s8, v6
	s_mov_b32 s8, 0x42b17218
	v_ldexp_f32 v7, v7, v16
	v_cndmask_b32_e32 v7, 0, v7, vcc
	v_mov_b32_e32 v16, 0x7f800000
	v_cmp_nlt_f32_e32 vcc, s8, v6
	v_cndmask_b32_e32 v69, v16, v7, vcc
	v_add_f32_e32 v16, 1.0, v69
	v_add_f32_e32 v6, -1.0, v16
	v_sub_f32_e32 v7, v6, v16
	v_add_f32_e32 v7, 1.0, v7
	v_sub_f32_e32 v6, v69, v6
	v_add_f32_e32 v17, v6, v7
	v_frexp_mant_f32_e32 v18, v16
	s_mov_b32 s8, 0x3f2aaaab
	v_cvt_f64_f32_e32 v[6:7], v16
	v_frexp_exp_i32_f64_e32 v6, v[6:7]
	v_cmp_gt_f32_e32 vcc, s8, v18
	v_subbrev_co_u32_e32 v18, vcc, 0, v6, vcc
	v_sub_u32_e32 v6, 0, v18
	v_ldexp_f32 v7, v16, v6
	v_add_f32_e32 v16, -1.0, v7
	v_add_f32_e32 v20, 1.0, v7
	v_ldexp_f32 v6, v17, v6
	v_add_f32_e32 v17, 1.0, v16
	v_add_f32_e32 v21, -1.0, v20
	v_sub_f32_e32 v17, v7, v17
	v_sub_f32_e32 v7, v7, v21
	v_add_f32_e32 v17, v6, v17
	v_add_f32_e32 v6, v6, v7
	;; [unrolled: 1-line block ×3, first 2 shown]
	v_rcp_f32_e32 v66, v64
	v_sub_f32_e32 v7, v20, v64
	v_add_f32_e32 v65, v6, v7
	v_add_f32_e32 v7, v16, v17
	v_mul_f32_e32 v98, v7, v66
	v_sub_f32_e32 v6, v16, v7
	v_mul_f32_e32 v16, v64, v98
	v_fma_f32 v20, v98, v64, -v16
	v_fmac_f32_e32 v20, v98, v65
	v_add_f32_e32 v67, v17, v6
	v_add_f32_e32 v6, v16, v20
	v_sub_f32_e32 v17, v7, v6
	v_pk_add_f32 v[22:23], v[6:7], v[16:17] neg_lo:[0,1] neg_hi:[0,1]
	v_mov_b32_e32 v21, v6
	v_pk_add_f32 v[6:7], v[22:23], v[20:21] neg_lo:[0,1] neg_hi:[0,1]
	v_add_f32_e32 v7, v67, v7
	v_add_f32_e32 v6, v6, v7
	;; [unrolled: 1-line block ×3, first 2 shown]
	v_mul_f32_e32 v67, v66, v7
	v_mul_f32_e32 v16, v64, v67
	v_fma_f32 v20, v67, v64, -v16
	v_fmac_f32_e32 v20, v67, v65
	v_sub_f32_e32 v17, v17, v7
	v_add_f32_e32 v64, v6, v17
	v_add_f32_e32 v6, v16, v20
	v_sub_f32_e32 v17, v7, v6
	v_pk_add_f32 v[22:23], v[6:7], v[16:17] neg_lo:[0,1] neg_hi:[0,1]
	v_mov_b32_e32 v21, v6
	v_pk_add_f32 v[6:7], v[22:23], v[20:21] neg_lo:[0,1] neg_hi:[0,1]
	v_add_f32_e32 v7, v64, v7
	v_add_f32_e32 v6, v6, v7
	v_add_f32_e32 v6, v17, v6
	v_add_f32_e32 v17, v98, v67
	v_sub_f32_e32 v7, v17, v98
	v_mul_f32_e32 v6, v66, v6
	v_sub_f32_e32 v7, v67, v7
	v_add_f32_e32 v6, v7, v6
	v_add_f32_e32 v20, v17, v6
	v_mul_f32_e32 v22, v20, v20
	v_mov_b32_e32 v16, 0x3ecc95a3
	v_fmac_f32_e32 v16, 0x3e9b6dac, v22
	v_mov_b32_e32 v7, 0x3f2aaada
	v_fmac_f32_e32 v7, v22, v16
	v_cvt_f32_i32_e32 v16, v18
	v_sub_f32_e32 v17, v20, v17
	v_sub_f32_e32 v6, v6, v17
	v_ldexp_f32 v18, v6, 1
	v_mul_f32_e32 v17, v20, v22
	v_mov_b32_e32 v6, 0x3f317218
	s_mov_b32 s8, 0x3f317218
	v_pk_mul_f32 v[6:7], v[16:17], v[6:7]
	v_ldexp_f32 v21, v20, 1
	v_fma_f32 v20, v16, s8, -v6
	v_fmac_f32_e32 v20, 0xb102e308, v16
	v_pk_add_f32 v[16:17], v[6:7], v[20:21]
	v_sub_f32_e32 v21, v17, v21
	v_sub_f32_e32 v21, v7, v21
	v_add_f32_e32 v23, v18, v21
	v_mov_b32_e32 v22, v6
	v_pk_add_f32 v[6:7], v[16:17], v[6:7] neg_lo:[0,1] neg_hi:[0,1]
	v_pk_add_f32 v[64:65], v[16:17], v[22:23]
	v_mov_b32_e32 v7, v65
	v_mov_b32_e32 v21, v16
	v_pk_add_f32 v[66:67], v[20:21], v[6:7] neg_lo:[0,1] neg_hi:[0,1]
	v_pk_add_f32 v[6:7], v[20:21], v[6:7]
	v_mov_b32_e32 v18, v7
	v_pk_add_f32 v[20:21], v[18:19], v[16:17] neg_lo:[0,1] neg_hi:[0,1]
	v_mov_b32_e32 v21, v20
	v_pk_add_f32 v[98:99], v[64:65], v[20:21] neg_lo:[0,1] neg_hi:[0,1]
	v_mov_b32_e32 v6, v65
	v_mov_b32_e32 v64, v17
	;; [unrolled: 1-line block ×4, first 2 shown]
	v_pk_add_f32 v[6:7], v[6:7], v[64:65] neg_lo:[0,1] neg_hi:[0,1]
	v_mov_b32_e32 v20, v23
	v_mov_b32_e32 v21, v16
	v_pk_add_f32 v[6:7], v[20:21], v[6:7] neg_lo:[0,1] neg_hi:[0,1]
	v_mov_b32_e32 v98, v66
	v_pk_add_f32 v[16:17], v[98:99], v[6:7]
	v_mov_b32_e32 v20, v17
	v_pk_add_f32 v[20:21], v[16:17], v[20:21]
	v_pk_add_f32 v[22:23], v[18:19], v[20:21]
	v_mov_b32_e32 v17, v22
	v_pk_add_f32 v[64:65], v[16:17], v[66:67] neg_lo:[0,1] neg_hi:[0,1]
	v_mov_b32_e32 v7, v20
	v_sub_f32_e32 v16, v16, v64
	v_pk_add_f32 v[6:7], v[6:7], v[64:65] neg_lo:[0,1] neg_hi:[0,1]
	v_sub_f32_e32 v16, v66, v16
	s_mov_b32 s10, 0x7f800000
	v_add_f32_e32 v6, v6, v16
	s_mov_b32 s8, 0x33800000
	v_add_f32_e32 v6, v6, v7
	v_cmp_eq_f32_e32 vcc, s10, v69
	v_cmp_lt_f32_e64 s[10:11], |v69|, s8
	v_add_f32_e32 v6, v22, v6
	s_or_b64 vcc, vcc, s[10:11]
	v_cndmask_b32_e32 v6, v6, v69, vcc
	v_add_f32_e32 v6, v3, v6
.LBB472_364:
	s_or_b64 exec, exec, s[6:7]
	v_bfe_u32 v3, v6, 16, 1
	v_add3_u32 v3, v6, v3, s9
	v_lshrrev_b32_e32 v3, 16, v3
	v_cmp_o_f32_e32 vcc, v6, v6
	v_cndmask_b32_e32 v64, v2, v3, vcc
	v_lshlrev_b32_e32 v3, 16, v64
	v_max_f32_e32 v2, v3, v3
	v_min_f32_e32 v6, v2, v70
	v_cmp_u_f32_e32 vcc, v3, v3
	v_max_f32_e32 v2, v2, v70
	v_cndmask_b32_e32 v6, v6, v3, vcc
	v_cndmask_b32_e32 v2, v2, v3, vcc
	v_cndmask_b32_e64 v6, v6, v19, s[36:37]
	v_cndmask_b32_e64 v2, v2, v19, s[36:37]
	s_movk_i32 s8, 0x1f8
	v_cmp_neq_f32_e32 vcc, v6, v2
	v_cmp_class_f32_e64 s[6:7], v6, s8
	s_or_b64 s[10:11], vcc, s[6:7]
	s_and_saveexec_b64 s[6:7], s[10:11]
	s_cbranch_execz .LBB472_366
; %bb.365:
	v_sub_f32_e32 v3, v6, v2
	s_mov_b32 s9, 0x3fb8aa3b
	v_mul_f32_e32 v6, 0x3fb8aa3b, v3
	v_fma_f32 v7, v3, s9, -v6
	v_rndne_f32_e32 v16, v6
	v_fmac_f32_e32 v7, 0x32a5705f, v3
	v_sub_f32_e32 v6, v6, v16
	v_add_f32_e32 v6, v6, v7
	v_exp_f32_e32 v6, v6
	v_cvt_i32_f32_e32 v7, v16
	s_mov_b32 s9, 0xc2ce8ed0
	v_cmp_ngt_f32_e32 vcc, s9, v3
	s_mov_b32 s9, 0x42b17218
	v_ldexp_f32 v6, v6, v7
	v_cndmask_b32_e32 v6, 0, v6, vcc
	v_mov_b32_e32 v7, 0x7f800000
	v_cmp_nlt_f32_e32 vcc, s9, v3
	v_cndmask_b32_e32 v65, v7, v6, vcc
	v_add_f32_e32 v3, 1.0, v65
	v_add_f32_e32 v6, -1.0, v3
	v_sub_f32_e32 v7, v6, v3
	v_add_f32_e32 v7, 1.0, v7
	v_sub_f32_e32 v6, v65, v6
	v_add_f32_e32 v16, v6, v7
	v_frexp_mant_f32_e32 v17, v3
	s_mov_b32 s9, 0x3f2aaaab
	v_cvt_f64_f32_e32 v[6:7], v3
	v_frexp_exp_i32_f64_e32 v6, v[6:7]
	v_cmp_gt_f32_e32 vcc, s9, v17
	v_subbrev_co_u32_e32 v22, vcc, 0, v6, vcc
	v_sub_u32_e32 v6, 0, v22
	v_ldexp_f32 v3, v3, v6
	v_ldexp_f32 v6, v16, v6
	v_add_f32_e32 v16, -1.0, v3
	v_add_f32_e32 v7, 1.0, v16
	v_sub_f32_e32 v7, v3, v7
	v_add_f32_e32 v17, v6, v7
	v_add_f32_e32 v7, 1.0, v3
	v_add_f32_e32 v18, -1.0, v7
	v_sub_f32_e32 v3, v3, v18
	v_add_f32_e32 v3, v6, v3
	v_add_f32_e32 v23, v7, v3
	v_rcp_f32_e32 v66, v23
	v_sub_f32_e32 v6, v7, v23
	v_add_f32_e32 v7, v16, v17
	v_add_f32_e32 v3, v3, v6
	v_mul_f32_e32 v69, v7, v66
	v_sub_f32_e32 v6, v16, v7
	v_mul_f32_e32 v16, v23, v69
	v_fma_f32 v18, v69, v23, -v16
	v_fmac_f32_e32 v18, v69, v3
	v_add_f32_e32 v67, v17, v6
	v_add_f32_e32 v6, v16, v18
	v_sub_f32_e32 v17, v7, v6
	v_pk_add_f32 v[20:21], v[6:7], v[16:17] neg_lo:[0,1] neg_hi:[0,1]
	v_mov_b32_e32 v19, v6
	v_pk_add_f32 v[6:7], v[20:21], v[18:19] neg_lo:[0,1] neg_hi:[0,1]
	v_add_f32_e32 v7, v67, v7
	v_add_f32_e32 v6, v6, v7
	v_add_f32_e32 v7, v17, v6
	v_mul_f32_e32 v67, v66, v7
	v_mul_f32_e32 v16, v23, v67
	v_fma_f32 v18, v67, v23, -v16
	v_fmac_f32_e32 v18, v67, v3
	v_sub_f32_e32 v3, v17, v7
	v_add_f32_e32 v3, v6, v3
	v_add_f32_e32 v6, v16, v18
	v_sub_f32_e32 v17, v7, v6
	v_pk_add_f32 v[20:21], v[6:7], v[16:17] neg_lo:[0,1] neg_hi:[0,1]
	v_mov_b32_e32 v19, v6
	v_pk_add_f32 v[6:7], v[20:21], v[18:19] neg_lo:[0,1] neg_hi:[0,1]
	v_add_f32_e32 v3, v3, v7
	v_add_f32_e32 v3, v6, v3
	;; [unrolled: 1-line block ×4, first 2 shown]
	v_sub_f32_e32 v7, v6, v69
	v_mul_f32_e32 v3, v66, v3
	v_sub_f32_e32 v7, v67, v7
	v_add_f32_e32 v3, v7, v3
	v_add_f32_e32 v17, v6, v3
	v_mul_f32_e32 v18, v17, v17
	v_mov_b32_e32 v16, 0x3ecc95a3
	v_fmac_f32_e32 v16, 0x3e9b6dac, v18
	v_mov_b32_e32 v7, 0x3f2aaada
	v_fmac_f32_e32 v7, v18, v16
	v_cvt_f32_i32_e32 v16, v22
	v_sub_f32_e32 v6, v17, v6
	v_sub_f32_e32 v3, v3, v6
	v_ldexp_f32 v19, v17, 1
	v_mul_f32_e32 v17, v17, v18
	v_mov_b32_e32 v6, 0x3f317218
	s_mov_b32 s9, 0x3f317218
	v_pk_mul_f32 v[6:7], v[16:17], v[6:7]
	v_fma_f32 v18, v16, s9, -v6
	v_fmac_f32_e32 v18, 0xb102e308, v16
	v_pk_add_f32 v[16:17], v[6:7], v[18:19]
	v_sub_f32_e32 v19, v17, v19
	v_ldexp_f32 v3, v3, 1
	v_sub_f32_e32 v19, v7, v19
	v_add_f32_e32 v21, v3, v19
	v_mov_b32_e32 v20, v6
	v_pk_add_f32 v[6:7], v[16:17], v[6:7] neg_lo:[0,1] neg_hi:[0,1]
	v_pk_add_f32 v[22:23], v[16:17], v[20:21]
	v_mov_b32_e32 v7, v23
	v_mov_b32_e32 v19, v16
	v_pk_add_f32 v[66:67], v[18:19], v[6:7] neg_lo:[0,1] neg_hi:[0,1]
	v_pk_add_f32 v[6:7], v[18:19], v[6:7]
	v_mov_b32_e32 v18, v7
	v_pk_add_f32 v[98:99], v[18:19], v[16:17] neg_lo:[0,1] neg_hi:[0,1]
	v_mov_b32_e32 v3, v98
	v_pk_add_f32 v[100:101], v[22:23], v[2:3] neg_lo:[0,1] neg_hi:[0,1]
	v_mov_b32_e32 v6, v23
	v_mov_b32_e32 v22, v17
	;; [unrolled: 1-line block ×4, first 2 shown]
	v_pk_add_f32 v[6:7], v[6:7], v[22:23] neg_lo:[0,1] neg_hi:[0,1]
	v_mov_b32_e32 v20, v21
	v_mov_b32_e32 v21, v16
	v_pk_add_f32 v[6:7], v[20:21], v[6:7] neg_lo:[0,1] neg_hi:[0,1]
	v_mov_b32_e32 v100, v66
	v_pk_add_f32 v[16:17], v[100:101], v[6:7]
	v_mov_b32_e32 v20, v17
	v_pk_add_f32 v[20:21], v[16:17], v[20:21]
	v_pk_add_f32 v[18:19], v[18:19], v[20:21]
	v_mov_b32_e32 v17, v18
	v_pk_add_f32 v[22:23], v[16:17], v[66:67] neg_lo:[0,1] neg_hi:[0,1]
	v_mov_b32_e32 v7, v20
	v_sub_f32_e32 v3, v16, v22
	v_pk_add_f32 v[6:7], v[6:7], v[22:23] neg_lo:[0,1] neg_hi:[0,1]
	v_sub_f32_e32 v3, v66, v3
	s_mov_b32 s10, 0x7f800000
	v_add_f32_e32 v3, v6, v3
	s_mov_b32 s9, 0x33800000
	v_add_f32_e32 v3, v3, v7
	v_cmp_eq_f32_e32 vcc, s10, v65
	v_cmp_lt_f32_e64 s[10:11], |v65|, s9
	v_add_f32_e32 v3, v18, v3
	s_or_b64 vcc, vcc, s[10:11]
	v_cndmask_b32_e32 v3, v3, v65, vcc
	v_add_f32_e32 v3, v2, v3
.LBB472_366:
	s_or_b64 exec, exec, s[6:7]
	v_bfe_u32 v2, v3, 16, 1
	s_movk_i32 s9, 0x7fff
	v_add3_u32 v2, v3, v2, s9
	v_lshrrev_b32_e32 v6, 16, v2
	v_mov_b32_e32 v2, 0x7fc0
	v_cmp_o_f32_e32 vcc, v3, v3
	v_cndmask_b32_e32 v65, v2, v6, vcc
	v_lshlrev_b32_e32 v6, 16, v65
	v_max_f32_e32 v3, v6, v6
	v_min_f32_e32 v7, v3, v80
	v_cmp_u_f32_e32 vcc, v6, v6
	v_max_f32_e32 v3, v3, v80
	v_cndmask_b32_e32 v7, v7, v6, vcc
	v_cndmask_b32_e32 v3, v3, v6, vcc
	v_cndmask_b32_e64 v7, v7, v68, s[38:39]
	v_cndmask_b32_e64 v3, v3, v68, s[38:39]
	v_cmp_neq_f32_e32 vcc, v7, v3
	v_cmp_class_f32_e64 s[6:7], v7, s8
	s_or_b64 s[10:11], vcc, s[6:7]
	s_and_saveexec_b64 s[6:7], s[10:11]
	s_cbranch_execz .LBB472_368
; %bb.367:
	v_sub_f32_e32 v6, v7, v3
	s_mov_b32 s8, 0x3fb8aa3b
	v_mul_f32_e32 v7, 0x3fb8aa3b, v6
	v_fma_f32 v16, v6, s8, -v7
	v_rndne_f32_e32 v17, v7
	v_fmac_f32_e32 v16, 0x32a5705f, v6
	v_sub_f32_e32 v7, v7, v17
	v_add_f32_e32 v7, v7, v16
	v_exp_f32_e32 v7, v7
	v_cvt_i32_f32_e32 v16, v17
	s_mov_b32 s8, 0xc2ce8ed0
	v_cmp_ngt_f32_e32 vcc, s8, v6
	s_mov_b32 s8, 0x42b17218
	v_ldexp_f32 v7, v7, v16
	v_cndmask_b32_e32 v7, 0, v7, vcc
	v_mov_b32_e32 v16, 0x7f800000
	v_cmp_nlt_f32_e32 vcc, s8, v6
	v_cndmask_b32_e32 v70, v16, v7, vcc
	v_add_f32_e32 v16, 1.0, v70
	v_add_f32_e32 v6, -1.0, v16
	v_sub_f32_e32 v7, v6, v16
	v_add_f32_e32 v7, 1.0, v7
	v_sub_f32_e32 v6, v70, v6
	v_add_f32_e32 v17, v6, v7
	v_frexp_mant_f32_e32 v18, v16
	s_mov_b32 s8, 0x3f2aaaab
	v_cvt_f64_f32_e32 v[6:7], v16
	v_frexp_exp_i32_f64_e32 v6, v[6:7]
	v_cmp_gt_f32_e32 vcc, s8, v18
	v_subbrev_co_u32_e32 v22, vcc, 0, v6, vcc
	v_sub_u32_e32 v6, 0, v22
	v_ldexp_f32 v7, v16, v6
	v_add_f32_e32 v16, -1.0, v7
	v_add_f32_e32 v18, 1.0, v7
	v_ldexp_f32 v6, v17, v6
	v_add_f32_e32 v17, 1.0, v16
	v_add_f32_e32 v19, -1.0, v18
	v_sub_f32_e32 v17, v7, v17
	v_sub_f32_e32 v7, v7, v19
	v_add_f32_e32 v17, v6, v17
	v_add_f32_e32 v6, v6, v7
	;; [unrolled: 1-line block ×3, first 2 shown]
	v_rcp_f32_e32 v67, v23
	v_sub_f32_e32 v7, v18, v23
	v_add_f32_e32 v66, v6, v7
	v_add_f32_e32 v7, v16, v17
	v_mul_f32_e32 v69, v7, v67
	v_sub_f32_e32 v6, v16, v7
	v_mul_f32_e32 v16, v23, v69
	v_fma_f32 v18, v69, v23, -v16
	v_fmac_f32_e32 v18, v69, v66
	v_add_f32_e32 v68, v17, v6
	v_add_f32_e32 v6, v16, v18
	v_sub_f32_e32 v17, v7, v6
	v_pk_add_f32 v[20:21], v[6:7], v[16:17] neg_lo:[0,1] neg_hi:[0,1]
	v_mov_b32_e32 v19, v6
	v_pk_add_f32 v[6:7], v[20:21], v[18:19] neg_lo:[0,1] neg_hi:[0,1]
	v_add_f32_e32 v7, v68, v7
	v_add_f32_e32 v6, v6, v7
	;; [unrolled: 1-line block ×3, first 2 shown]
	v_mul_f32_e32 v68, v67, v7
	v_mul_f32_e32 v16, v23, v68
	v_fma_f32 v18, v68, v23, -v16
	v_fmac_f32_e32 v18, v68, v66
	v_sub_f32_e32 v17, v17, v7
	v_add_f32_e32 v23, v6, v17
	v_add_f32_e32 v6, v16, v18
	v_sub_f32_e32 v17, v7, v6
	v_pk_add_f32 v[20:21], v[6:7], v[16:17] neg_lo:[0,1] neg_hi:[0,1]
	v_mov_b32_e32 v19, v6
	v_pk_add_f32 v[6:7], v[20:21], v[18:19] neg_lo:[0,1] neg_hi:[0,1]
	v_add_f32_e32 v7, v23, v7
	v_add_f32_e32 v6, v6, v7
	;; [unrolled: 1-line block ×4, first 2 shown]
	v_sub_f32_e32 v7, v17, v69
	v_mul_f32_e32 v6, v67, v6
	v_sub_f32_e32 v7, v68, v7
	v_add_f32_e32 v6, v7, v6
	v_add_f32_e32 v18, v17, v6
	v_mul_f32_e32 v20, v18, v18
	v_mov_b32_e32 v16, 0x3ecc95a3
	v_fmac_f32_e32 v16, 0x3e9b6dac, v20
	v_mov_b32_e32 v7, 0x3f2aaada
	v_fmac_f32_e32 v7, v20, v16
	v_cvt_f32_i32_e32 v16, v22
	v_sub_f32_e32 v17, v18, v17
	v_sub_f32_e32 v6, v6, v17
	v_ldexp_f32 v21, v6, 1
	v_mul_f32_e32 v17, v18, v20
	v_mov_b32_e32 v6, 0x3f317218
	s_mov_b32 s8, 0x3f317218
	v_pk_mul_f32 v[6:7], v[16:17], v[6:7]
	v_ldexp_f32 v19, v18, 1
	v_fma_f32 v18, v16, s8, -v6
	v_fmac_f32_e32 v18, 0xb102e308, v16
	v_pk_add_f32 v[16:17], v[6:7], v[18:19]
	v_sub_f32_e32 v19, v17, v19
	v_sub_f32_e32 v19, v7, v19
	v_add_f32_e32 v21, v21, v19
	v_mov_b32_e32 v20, v6
	v_pk_add_f32 v[6:7], v[16:17], v[6:7] neg_lo:[0,1] neg_hi:[0,1]
	v_pk_add_f32 v[22:23], v[16:17], v[20:21]
	v_mov_b32_e32 v7, v23
	v_mov_b32_e32 v19, v16
	v_pk_add_f32 v[66:67], v[18:19], v[6:7] neg_lo:[0,1] neg_hi:[0,1]
	v_pk_add_f32 v[6:7], v[18:19], v[6:7]
	v_mov_b32_e32 v18, v7
	v_pk_add_f32 v[68:69], v[18:19], v[16:17] neg_lo:[0,1] neg_hi:[0,1]
	v_mov_b32_e32 v19, v68
	v_pk_add_f32 v[98:99], v[22:23], v[18:19] neg_lo:[0,1] neg_hi:[0,1]
	v_mov_b32_e32 v6, v23
	v_mov_b32_e32 v22, v17
	;; [unrolled: 1-line block ×4, first 2 shown]
	v_pk_add_f32 v[6:7], v[6:7], v[22:23] neg_lo:[0,1] neg_hi:[0,1]
	v_mov_b32_e32 v20, v21
	v_mov_b32_e32 v21, v16
	v_pk_add_f32 v[6:7], v[20:21], v[6:7] neg_lo:[0,1] neg_hi:[0,1]
	v_mov_b32_e32 v98, v66
	v_pk_add_f32 v[16:17], v[98:99], v[6:7]
	v_mov_b32_e32 v20, v17
	v_pk_add_f32 v[20:21], v[16:17], v[20:21]
	v_pk_add_f32 v[18:19], v[18:19], v[20:21]
	v_mov_b32_e32 v17, v18
	v_pk_add_f32 v[22:23], v[16:17], v[66:67] neg_lo:[0,1] neg_hi:[0,1]
	v_mov_b32_e32 v7, v20
	v_sub_f32_e32 v16, v16, v22
	v_pk_add_f32 v[6:7], v[6:7], v[22:23] neg_lo:[0,1] neg_hi:[0,1]
	v_sub_f32_e32 v16, v66, v16
	s_mov_b32 s10, 0x7f800000
	v_add_f32_e32 v6, v6, v16
	s_mov_b32 s8, 0x33800000
	v_add_f32_e32 v6, v6, v7
	v_cmp_eq_f32_e32 vcc, s10, v70
	v_cmp_lt_f32_e64 s[10:11], |v70|, s8
	v_add_f32_e32 v6, v18, v6
	s_or_b64 vcc, vcc, s[10:11]
	v_cndmask_b32_e32 v6, v6, v70, vcc
	v_add_f32_e32 v6, v3, v6
.LBB472_368:
	s_or_b64 exec, exec, s[6:7]
	v_bfe_u32 v3, v6, 16, 1
	v_add3_u32 v3, v6, v3, s9
	v_lshrrev_b32_e32 v3, 16, v3
	v_cmp_o_f32_e32 vcc, v6, v6
	v_cndmask_b32_e32 v66, v2, v3, vcc
	v_lshlrev_b32_e32 v3, 16, v66
	v_max_f32_e32 v2, v3, v3
	v_min_f32_e32 v6, v2, v81
	v_cmp_u_f32_e32 vcc, v3, v3
	v_max_f32_e32 v2, v2, v81
	v_cndmask_b32_e32 v6, v6, v3, vcc
	v_cndmask_b32_e32 v2, v2, v3, vcc
	v_cndmask_b32_e64 v6, v6, v12, s[40:41]
	v_cndmask_b32_e64 v2, v2, v12, s[40:41]
	s_movk_i32 s8, 0x1f8
	v_cmp_neq_f32_e32 vcc, v6, v2
	v_cmp_class_f32_e64 s[6:7], v6, s8
	s_or_b64 s[10:11], vcc, s[6:7]
	s_and_saveexec_b64 s[6:7], s[10:11]
	s_cbranch_execz .LBB472_370
; %bb.369:
	v_sub_f32_e32 v3, v6, v2
	s_mov_b32 s9, 0x3fb8aa3b
	v_mul_f32_e32 v6, 0x3fb8aa3b, v3
	v_fma_f32 v7, v3, s9, -v6
	v_rndne_f32_e32 v12, v6
	v_fmac_f32_e32 v7, 0x32a5705f, v3
	v_sub_f32_e32 v6, v6, v12
	v_add_f32_e32 v6, v6, v7
	v_exp_f32_e32 v6, v6
	v_cvt_i32_f32_e32 v7, v12
	s_mov_b32 s9, 0xc2ce8ed0
	v_cmp_ngt_f32_e32 vcc, s9, v3
	s_mov_b32 s9, 0x42b17218
	v_ldexp_f32 v6, v6, v7
	v_cndmask_b32_e32 v6, 0, v6, vcc
	v_mov_b32_e32 v7, 0x7f800000
	v_cmp_nlt_f32_e32 vcc, s9, v3
	v_cndmask_b32_e32 v67, v7, v6, vcc
	v_add_f32_e32 v3, 1.0, v67
	v_add_f32_e32 v6, -1.0, v3
	v_sub_f32_e32 v7, v6, v3
	v_add_f32_e32 v7, 1.0, v7
	v_sub_f32_e32 v6, v67, v6
	v_add_f32_e32 v12, v6, v7
	v_frexp_mant_f32_e32 v16, v3
	s_mov_b32 s9, 0x3f2aaaab
	v_cvt_f64_f32_e32 v[6:7], v3
	v_frexp_exp_i32_f64_e32 v6, v[6:7]
	v_cmp_gt_f32_e32 vcc, s9, v16
	v_subbrev_co_u32_e32 v22, vcc, 0, v6, vcc
	v_sub_u32_e32 v6, 0, v22
	v_ldexp_f32 v3, v3, v6
	v_ldexp_f32 v6, v12, v6
	v_add_f32_e32 v12, -1.0, v3
	v_add_f32_e32 v7, 1.0, v12
	v_sub_f32_e32 v7, v3, v7
	v_add_f32_e32 v16, v6, v7
	v_add_f32_e32 v7, 1.0, v3
	v_add_f32_e32 v17, -1.0, v7
	v_sub_f32_e32 v3, v3, v17
	v_add_f32_e32 v3, v6, v3
	v_add_f32_e32 v23, v7, v3
	v_rcp_f32_e32 v68, v23
	v_sub_f32_e32 v6, v7, v23
	v_add_f32_e32 v7, v12, v16
	v_add_f32_e32 v3, v3, v6
	v_sub_f32_e32 v6, v12, v7
	v_mul_f32_e32 v69, v7, v68
	v_add_f32_e32 v12, v16, v6
	v_mul_f32_e32 v16, v23, v69
	v_fma_f32 v18, v69, v23, -v16
	v_fmac_f32_e32 v18, v69, v3
	v_add_f32_e32 v6, v16, v18
	v_sub_f32_e32 v17, v7, v6
	v_pk_add_f32 v[20:21], v[6:7], v[16:17] neg_lo:[0,1] neg_hi:[0,1]
	v_mov_b32_e32 v19, v6
	v_pk_add_f32 v[6:7], v[20:21], v[18:19] neg_lo:[0,1] neg_hi:[0,1]
	v_add_f32_e32 v7, v12, v7
	v_add_f32_e32 v6, v6, v7
	;; [unrolled: 1-line block ×3, first 2 shown]
	v_mul_f32_e32 v12, v68, v7
	v_mul_f32_e32 v16, v23, v12
	v_fma_f32 v18, v12, v23, -v16
	v_fmac_f32_e32 v18, v12, v3
	v_sub_f32_e32 v3, v17, v7
	v_add_f32_e32 v3, v6, v3
	v_add_f32_e32 v6, v16, v18
	v_sub_f32_e32 v17, v7, v6
	v_pk_add_f32 v[20:21], v[6:7], v[16:17] neg_lo:[0,1] neg_hi:[0,1]
	v_mov_b32_e32 v19, v6
	v_pk_add_f32 v[6:7], v[20:21], v[18:19] neg_lo:[0,1] neg_hi:[0,1]
	v_add_f32_e32 v3, v3, v7
	v_add_f32_e32 v3, v6, v3
	;; [unrolled: 1-line block ×4, first 2 shown]
	v_sub_f32_e32 v7, v6, v69
	v_mul_f32_e32 v3, v68, v3
	v_sub_f32_e32 v7, v12, v7
	v_add_f32_e32 v3, v7, v3
	v_add_f32_e32 v12, v6, v3
	v_mul_f32_e32 v17, v12, v12
	v_mov_b32_e32 v16, 0x3ecc95a3
	v_fmac_f32_e32 v16, 0x3e9b6dac, v17
	v_mov_b32_e32 v7, 0x3f2aaada
	v_fmac_f32_e32 v7, v17, v16
	v_cvt_f32_i32_e32 v16, v22
	v_sub_f32_e32 v6, v12, v6
	v_sub_f32_e32 v3, v3, v6
	v_mul_f32_e32 v17, v12, v17
	v_mov_b32_e32 v6, 0x3f317218
	s_mov_b32 s9, 0x3f317218
	v_pk_mul_f32 v[6:7], v[16:17], v[6:7]
	v_fma_f32 v18, v16, s9, -v6
	v_ldexp_f32 v19, v12, 1
	v_fmac_f32_e32 v18, 0xb102e308, v16
	v_pk_add_f32 v[16:17], v[6:7], v[18:19]
	v_sub_f32_e32 v12, v17, v19
	v_ldexp_f32 v3, v3, 1
	v_sub_f32_e32 v12, v7, v12
	v_add_f32_e32 v21, v3, v12
	v_mov_b32_e32 v20, v6
	v_pk_add_f32 v[6:7], v[16:17], v[6:7] neg_lo:[0,1] neg_hi:[0,1]
	v_pk_add_f32 v[22:23], v[16:17], v[20:21]
	v_mov_b32_e32 v7, v23
	v_mov_b32_e32 v19, v16
	v_pk_add_f32 v[68:69], v[18:19], v[6:7] neg_lo:[0,1] neg_hi:[0,1]
	v_pk_add_f32 v[6:7], v[18:19], v[6:7]
	v_mov_b32_e32 v12, v7
	v_pk_add_f32 v[18:19], v[12:13], v[16:17] neg_lo:[0,1] neg_hi:[0,1]
	v_mov_b32_e32 v3, v18
	v_pk_add_f32 v[80:81], v[22:23], v[2:3] neg_lo:[0,1] neg_hi:[0,1]
	v_mov_b32_e32 v6, v23
	v_mov_b32_e32 v22, v17
	;; [unrolled: 1-line block ×4, first 2 shown]
	v_pk_add_f32 v[6:7], v[6:7], v[22:23] neg_lo:[0,1] neg_hi:[0,1]
	v_mov_b32_e32 v18, v21
	v_mov_b32_e32 v19, v16
	v_pk_add_f32 v[6:7], v[18:19], v[6:7] neg_lo:[0,1] neg_hi:[0,1]
	v_mov_b32_e32 v80, v68
	v_pk_add_f32 v[16:17], v[80:81], v[6:7]
	v_mov_b32_e32 v18, v17
	v_pk_add_f32 v[18:19], v[16:17], v[18:19]
	v_pk_add_f32 v[20:21], v[12:13], v[18:19]
	v_mov_b32_e32 v17, v20
	v_pk_add_f32 v[22:23], v[16:17], v[68:69] neg_lo:[0,1] neg_hi:[0,1]
	v_mov_b32_e32 v7, v18
	v_sub_f32_e32 v3, v16, v22
	v_pk_add_f32 v[6:7], v[6:7], v[22:23] neg_lo:[0,1] neg_hi:[0,1]
	v_sub_f32_e32 v3, v68, v3
	s_mov_b32 s10, 0x7f800000
	v_add_f32_e32 v3, v6, v3
	s_mov_b32 s9, 0x33800000
	v_add_f32_e32 v3, v3, v7
	v_cmp_eq_f32_e32 vcc, s10, v67
	v_cmp_lt_f32_e64 s[10:11], |v67|, s9
	v_add_f32_e32 v3, v20, v3
	s_or_b64 vcc, vcc, s[10:11]
	v_cndmask_b32_e32 v3, v3, v67, vcc
	v_add_f32_e32 v3, v2, v3
.LBB472_370:
	s_or_b64 exec, exec, s[6:7]
	v_bfe_u32 v2, v3, 16, 1
	s_movk_i32 s9, 0x7fff
	v_add3_u32 v2, v3, v2, s9
	v_lshrrev_b32_e32 v6, 16, v2
	v_mov_b32_e32 v2, 0x7fc0
	v_cmp_o_f32_e32 vcc, v3, v3
	v_cndmask_b32_e32 v67, v2, v6, vcc
	v_lshlrev_b32_e32 v6, 16, v67
	v_max_f32_e32 v3, v6, v6
	v_min_f32_e32 v7, v3, v83
	v_cmp_u_f32_e32 vcc, v6, v6
	v_max_f32_e32 v3, v3, v83
	v_cndmask_b32_e32 v7, v7, v6, vcc
	v_cndmask_b32_e32 v3, v3, v6, vcc
	v_cndmask_b32_e64 v7, v7, v71, s[42:43]
	v_cndmask_b32_e64 v3, v3, v71, s[42:43]
	v_cmp_neq_f32_e32 vcc, v7, v3
	v_cmp_class_f32_e64 s[6:7], v7, s8
	s_or_b64 s[10:11], vcc, s[6:7]
	s_and_saveexec_b64 s[6:7], s[10:11]
	s_cbranch_execz .LBB472_372
; %bb.371:
	v_sub_f32_e32 v6, v7, v3
	s_mov_b32 s8, 0x3fb8aa3b
	v_mul_f32_e32 v7, 0x3fb8aa3b, v6
	v_fma_f32 v12, v6, s8, -v7
	v_rndne_f32_e32 v16, v7
	v_fmac_f32_e32 v12, 0x32a5705f, v6
	v_sub_f32_e32 v7, v7, v16
	v_add_f32_e32 v7, v7, v12
	v_exp_f32_e32 v7, v7
	v_cvt_i32_f32_e32 v12, v16
	s_mov_b32 s8, 0xc2ce8ed0
	v_cmp_ngt_f32_e32 vcc, s8, v6
	s_mov_b32 s8, 0x42b17218
	v_ldexp_f32 v7, v7, v12
	v_cndmask_b32_e32 v7, 0, v7, vcc
	v_mov_b32_e32 v12, 0x7f800000
	v_cmp_nlt_f32_e32 vcc, s8, v6
	v_cndmask_b32_e32 v80, v12, v7, vcc
	v_add_f32_e32 v12, 1.0, v80
	v_add_f32_e32 v6, -1.0, v12
	v_sub_f32_e32 v7, v6, v12
	v_add_f32_e32 v7, 1.0, v7
	v_sub_f32_e32 v6, v80, v6
	v_add_f32_e32 v16, v6, v7
	v_frexp_mant_f32_e32 v17, v12
	s_mov_b32 s8, 0x3f2aaaab
	v_cvt_f64_f32_e32 v[6:7], v12
	v_frexp_exp_i32_f64_e32 v6, v[6:7]
	v_cmp_gt_f32_e32 vcc, s8, v17
	v_subbrev_co_u32_e32 v22, vcc, 0, v6, vcc
	v_sub_u32_e32 v6, 0, v22
	v_ldexp_f32 v7, v12, v6
	v_add_f32_e32 v12, -1.0, v7
	v_add_f32_e32 v17, 1.0, v7
	v_ldexp_f32 v6, v16, v6
	v_add_f32_e32 v16, 1.0, v12
	v_add_f32_e32 v18, -1.0, v17
	v_sub_f32_e32 v16, v7, v16
	v_sub_f32_e32 v7, v7, v18
	v_add_f32_e32 v16, v6, v16
	v_add_f32_e32 v6, v6, v7
	;; [unrolled: 1-line block ×3, first 2 shown]
	v_rcp_f32_e32 v69, v23
	v_sub_f32_e32 v7, v17, v23
	v_add_f32_e32 v68, v6, v7
	v_add_f32_e32 v7, v12, v16
	v_sub_f32_e32 v6, v12, v7
	v_mul_f32_e32 v70, v7, v69
	v_add_f32_e32 v12, v16, v6
	v_mul_f32_e32 v16, v23, v70
	v_fma_f32 v18, v70, v23, -v16
	v_fmac_f32_e32 v18, v70, v68
	v_add_f32_e32 v6, v16, v18
	v_sub_f32_e32 v17, v7, v6
	v_pk_add_f32 v[20:21], v[6:7], v[16:17] neg_lo:[0,1] neg_hi:[0,1]
	v_mov_b32_e32 v19, v6
	v_pk_add_f32 v[6:7], v[20:21], v[18:19] neg_lo:[0,1] neg_hi:[0,1]
	v_add_f32_e32 v7, v12, v7
	v_add_f32_e32 v6, v6, v7
	;; [unrolled: 1-line block ×3, first 2 shown]
	v_mul_f32_e32 v12, v69, v7
	v_mul_f32_e32 v16, v23, v12
	v_fma_f32 v18, v12, v23, -v16
	v_fmac_f32_e32 v18, v12, v68
	v_sub_f32_e32 v17, v17, v7
	v_add_f32_e32 v23, v6, v17
	v_add_f32_e32 v6, v16, v18
	v_sub_f32_e32 v17, v7, v6
	v_pk_add_f32 v[20:21], v[6:7], v[16:17] neg_lo:[0,1] neg_hi:[0,1]
	v_mov_b32_e32 v19, v6
	v_pk_add_f32 v[6:7], v[20:21], v[18:19] neg_lo:[0,1] neg_hi:[0,1]
	v_add_f32_e32 v7, v23, v7
	v_add_f32_e32 v6, v6, v7
	;; [unrolled: 1-line block ×4, first 2 shown]
	v_sub_f32_e32 v7, v17, v70
	v_mul_f32_e32 v6, v69, v6
	v_sub_f32_e32 v7, v12, v7
	v_add_f32_e32 v6, v7, v6
	v_add_f32_e32 v12, v17, v6
	v_mul_f32_e32 v18, v12, v12
	v_mov_b32_e32 v16, 0x3ecc95a3
	v_fmac_f32_e32 v16, 0x3e9b6dac, v18
	v_mov_b32_e32 v7, 0x3f2aaada
	v_fmac_f32_e32 v7, v18, v16
	v_cvt_f32_i32_e32 v16, v22
	v_sub_f32_e32 v17, v12, v17
	v_sub_f32_e32 v6, v6, v17
	v_ldexp_f32 v20, v6, 1
	v_mul_f32_e32 v17, v12, v18
	v_mov_b32_e32 v6, 0x3f317218
	s_mov_b32 s8, 0x3f317218
	v_pk_mul_f32 v[6:7], v[16:17], v[6:7]
	v_fma_f32 v18, v16, s8, -v6
	v_ldexp_f32 v19, v12, 1
	v_fmac_f32_e32 v18, 0xb102e308, v16
	v_pk_add_f32 v[16:17], v[6:7], v[18:19]
	v_sub_f32_e32 v12, v17, v19
	v_sub_f32_e32 v12, v7, v12
	v_add_f32_e32 v21, v20, v12
	v_mov_b32_e32 v20, v6
	v_pk_add_f32 v[6:7], v[16:17], v[6:7] neg_lo:[0,1] neg_hi:[0,1]
	v_pk_add_f32 v[22:23], v[16:17], v[20:21]
	v_mov_b32_e32 v7, v23
	v_mov_b32_e32 v19, v16
	v_pk_add_f32 v[68:69], v[18:19], v[6:7] neg_lo:[0,1] neg_hi:[0,1]
	v_pk_add_f32 v[6:7], v[18:19], v[6:7]
	v_mov_b32_e32 v12, v7
	v_pk_add_f32 v[18:19], v[12:13], v[16:17] neg_lo:[0,1] neg_hi:[0,1]
	v_mov_b32_e32 v19, v18
	v_pk_add_f32 v[70:71], v[22:23], v[18:19] neg_lo:[0,1] neg_hi:[0,1]
	v_mov_b32_e32 v6, v23
	v_mov_b32_e32 v22, v17
	;; [unrolled: 1-line block ×4, first 2 shown]
	v_pk_add_f32 v[6:7], v[6:7], v[22:23] neg_lo:[0,1] neg_hi:[0,1]
	v_mov_b32_e32 v18, v21
	v_mov_b32_e32 v19, v16
	v_pk_add_f32 v[6:7], v[18:19], v[6:7] neg_lo:[0,1] neg_hi:[0,1]
	v_mov_b32_e32 v70, v68
	v_pk_add_f32 v[16:17], v[70:71], v[6:7]
	v_mov_b32_e32 v18, v17
	v_pk_add_f32 v[18:19], v[16:17], v[18:19]
	v_pk_add_f32 v[20:21], v[12:13], v[18:19]
	v_mov_b32_e32 v17, v20
	v_pk_add_f32 v[22:23], v[16:17], v[68:69] neg_lo:[0,1] neg_hi:[0,1]
	v_mov_b32_e32 v7, v18
	v_sub_f32_e32 v12, v16, v22
	v_pk_add_f32 v[6:7], v[6:7], v[22:23] neg_lo:[0,1] neg_hi:[0,1]
	v_sub_f32_e32 v12, v68, v12
	s_mov_b32 s10, 0x7f800000
	v_add_f32_e32 v6, v6, v12
	s_mov_b32 s8, 0x33800000
	v_add_f32_e32 v6, v6, v7
	v_cmp_eq_f32_e32 vcc, s10, v80
	v_cmp_lt_f32_e64 s[10:11], |v80|, s8
	v_add_f32_e32 v6, v20, v6
	s_or_b64 vcc, vcc, s[10:11]
	v_cndmask_b32_e32 v6, v6, v80, vcc
	v_add_f32_e32 v6, v3, v6
.LBB472_372:
	s_or_b64 exec, exec, s[6:7]
	v_bfe_u32 v3, v6, 16, 1
	v_add3_u32 v3, v6, v3, s9
	v_lshrrev_b32_e32 v3, 16, v3
	v_cmp_o_f32_e32 vcc, v6, v6
	v_cndmask_b32_e32 v68, v2, v3, vcc
	v_lshlrev_b32_e32 v3, 16, v68
	v_max_f32_e32 v2, v3, v3
	v_min_f32_e32 v6, v2, v84
	v_cmp_u_f32_e32 vcc, v3, v3
	v_max_f32_e32 v2, v2, v84
	v_cndmask_b32_e32 v6, v6, v3, vcc
	v_cndmask_b32_e32 v2, v2, v3, vcc
	v_cndmask_b32_e64 v6, v6, v13, s[44:45]
	v_cndmask_b32_e64 v2, v2, v13, s[44:45]
	s_movk_i32 s8, 0x1f8
	v_cmp_neq_f32_e32 vcc, v6, v2
	v_cmp_class_f32_e64 s[6:7], v6, s8
	s_or_b64 s[10:11], vcc, s[6:7]
	s_and_saveexec_b64 s[6:7], s[10:11]
	s_cbranch_execz .LBB472_374
; %bb.373:
	v_sub_f32_e32 v3, v6, v2
	s_mov_b32 s9, 0x3fb8aa3b
	v_mul_f32_e32 v6, 0x3fb8aa3b, v3
	v_fma_f32 v7, v3, s9, -v6
	v_rndne_f32_e32 v12, v6
	v_fmac_f32_e32 v7, 0x32a5705f, v3
	v_sub_f32_e32 v6, v6, v12
	v_add_f32_e32 v6, v6, v7
	v_exp_f32_e32 v6, v6
	v_cvt_i32_f32_e32 v7, v12
	s_mov_b32 s9, 0xc2ce8ed0
	v_cmp_ngt_f32_e32 vcc, s9, v3
	s_mov_b32 s9, 0x42b17218
	v_ldexp_f32 v6, v6, v7
	v_cndmask_b32_e32 v6, 0, v6, vcc
	v_mov_b32_e32 v7, 0x7f800000
	v_cmp_nlt_f32_e32 vcc, s9, v3
	v_cndmask_b32_e32 v69, v7, v6, vcc
	v_add_f32_e32 v3, 1.0, v69
	v_add_f32_e32 v6, -1.0, v3
	v_sub_f32_e32 v7, v6, v3
	v_add_f32_e32 v7, 1.0, v7
	v_sub_f32_e32 v6, v69, v6
	v_add_f32_e32 v12, v6, v7
	v_frexp_mant_f32_e32 v13, v3
	s_mov_b32 s9, 0x3f2aaaab
	v_cvt_f64_f32_e32 v[6:7], v3
	v_frexp_exp_i32_f64_e32 v6, v[6:7]
	v_cmp_gt_f32_e32 vcc, s9, v13
	v_subbrev_co_u32_e32 v20, vcc, 0, v6, vcc
	v_sub_u32_e32 v6, 0, v20
	v_ldexp_f32 v3, v3, v6
	v_ldexp_f32 v6, v12, v6
	v_add_f32_e32 v12, -1.0, v3
	v_add_f32_e32 v7, 1.0, v12
	v_sub_f32_e32 v7, v3, v7
	v_add_f32_e32 v13, v6, v7
	v_add_f32_e32 v7, 1.0, v3
	v_add_f32_e32 v16, -1.0, v7
	v_sub_f32_e32 v3, v3, v16
	v_add_f32_e32 v3, v6, v3
	v_add_f32_e32 v21, v7, v3
	v_rcp_f32_e32 v22, v21
	v_sub_f32_e32 v6, v7, v21
	v_add_f32_e32 v7, v12, v13
	v_add_f32_e32 v3, v3, v6
	v_mul_f32_e32 v70, v7, v22
	v_sub_f32_e32 v6, v12, v7
	v_mul_f32_e32 v12, v21, v70
	v_fma_f32 v16, v70, v21, -v12
	v_fmac_f32_e32 v16, v70, v3
	v_add_f32_e32 v23, v13, v6
	v_add_f32_e32 v6, v12, v16
	v_sub_f32_e32 v13, v7, v6
	v_pk_add_f32 v[18:19], v[6:7], v[12:13] neg_lo:[0,1] neg_hi:[0,1]
	v_mov_b32_e32 v17, v6
	v_pk_add_f32 v[6:7], v[18:19], v[16:17] neg_lo:[0,1] neg_hi:[0,1]
	v_add_f32_e32 v7, v23, v7
	v_add_f32_e32 v6, v6, v7
	;; [unrolled: 1-line block ×3, first 2 shown]
	v_mul_f32_e32 v23, v22, v7
	v_mul_f32_e32 v12, v21, v23
	v_fma_f32 v16, v23, v21, -v12
	v_fmac_f32_e32 v16, v23, v3
	v_sub_f32_e32 v3, v13, v7
	v_add_f32_e32 v3, v6, v3
	v_add_f32_e32 v6, v12, v16
	v_sub_f32_e32 v13, v7, v6
	v_pk_add_f32 v[18:19], v[6:7], v[12:13] neg_lo:[0,1] neg_hi:[0,1]
	v_mov_b32_e32 v17, v6
	v_pk_add_f32 v[6:7], v[18:19], v[16:17] neg_lo:[0,1] neg_hi:[0,1]
	v_add_f32_e32 v3, v3, v7
	v_add_f32_e32 v3, v6, v3
	;; [unrolled: 1-line block ×4, first 2 shown]
	v_sub_f32_e32 v7, v6, v70
	v_mul_f32_e32 v3, v22, v3
	v_sub_f32_e32 v7, v23, v7
	v_add_f32_e32 v3, v7, v3
	v_add_f32_e32 v13, v6, v3
	v_mul_f32_e32 v16, v13, v13
	v_mov_b32_e32 v12, 0x3ecc95a3
	v_fmac_f32_e32 v12, 0x3e9b6dac, v16
	v_mov_b32_e32 v7, 0x3f2aaada
	v_fmac_f32_e32 v7, v16, v12
	v_cvt_f32_i32_e32 v12, v20
	v_sub_f32_e32 v6, v13, v6
	v_sub_f32_e32 v3, v3, v6
	v_ldexp_f32 v17, v13, 1
	v_mul_f32_e32 v13, v13, v16
	v_mov_b32_e32 v6, 0x3f317218
	s_mov_b32 s9, 0x3f317218
	v_pk_mul_f32 v[6:7], v[12:13], v[6:7]
	v_fma_f32 v16, v12, s9, -v6
	v_fmac_f32_e32 v16, 0xb102e308, v12
	v_pk_add_f32 v[12:13], v[6:7], v[16:17]
	v_sub_f32_e32 v17, v13, v17
	v_ldexp_f32 v3, v3, 1
	v_sub_f32_e32 v17, v7, v17
	v_add_f32_e32 v19, v3, v17
	v_mov_b32_e32 v18, v6
	v_pk_add_f32 v[6:7], v[12:13], v[6:7] neg_lo:[0,1] neg_hi:[0,1]
	v_pk_add_f32 v[20:21], v[12:13], v[18:19]
	v_mov_b32_e32 v7, v21
	v_mov_b32_e32 v17, v12
	v_pk_add_f32 v[22:23], v[16:17], v[6:7] neg_lo:[0,1] neg_hi:[0,1]
	v_pk_add_f32 v[6:7], v[16:17], v[6:7]
	v_mov_b32_e32 v16, v7
	v_pk_add_f32 v[70:71], v[16:17], v[12:13] neg_lo:[0,1] neg_hi:[0,1]
	v_mov_b32_e32 v3, v70
	v_pk_add_f32 v[80:81], v[20:21], v[2:3] neg_lo:[0,1] neg_hi:[0,1]
	v_mov_b32_e32 v6, v21
	v_mov_b32_e32 v20, v13
	v_mov_b32_e32 v21, v70
	v_mov_b32_e32 v23, v7
	v_pk_add_f32 v[6:7], v[6:7], v[20:21] neg_lo:[0,1] neg_hi:[0,1]
	v_mov_b32_e32 v18, v19
	v_mov_b32_e32 v19, v12
	v_pk_add_f32 v[6:7], v[18:19], v[6:7] neg_lo:[0,1] neg_hi:[0,1]
	v_mov_b32_e32 v80, v22
	v_pk_add_f32 v[12:13], v[80:81], v[6:7]
	v_mov_b32_e32 v18, v13
	v_pk_add_f32 v[18:19], v[12:13], v[18:19]
	v_pk_add_f32 v[16:17], v[16:17], v[18:19]
	v_mov_b32_e32 v13, v16
	v_pk_add_f32 v[20:21], v[12:13], v[22:23] neg_lo:[0,1] neg_hi:[0,1]
	v_mov_b32_e32 v7, v18
	v_sub_f32_e32 v3, v12, v20
	v_pk_add_f32 v[6:7], v[6:7], v[20:21] neg_lo:[0,1] neg_hi:[0,1]
	v_sub_f32_e32 v3, v22, v3
	s_mov_b32 s10, 0x7f800000
	v_add_f32_e32 v3, v6, v3
	s_mov_b32 s9, 0x33800000
	v_add_f32_e32 v3, v3, v7
	v_cmp_eq_f32_e32 vcc, s10, v69
	v_cmp_lt_f32_e64 s[10:11], |v69|, s9
	v_add_f32_e32 v3, v16, v3
	s_or_b64 vcc, vcc, s[10:11]
	v_cndmask_b32_e32 v3, v3, v69, vcc
	v_add_f32_e32 v3, v2, v3
.LBB472_374:
	s_or_b64 exec, exec, s[6:7]
	v_bfe_u32 v2, v3, 16, 1
	s_movk_i32 s9, 0x7fff
	v_add3_u32 v2, v3, v2, s9
	v_lshrrev_b32_e32 v6, 16, v2
	v_mov_b32_e32 v2, 0x7fc0
	v_cmp_o_f32_e32 vcc, v3, v3
	v_cndmask_b32_e32 v69, v2, v6, vcc
	v_lshlrev_b32_e32 v6, 16, v69
	v_max_f32_e32 v3, v6, v6
	v_min_f32_e32 v7, v3, v86
	v_cmp_u_f32_e32 vcc, v6, v6
	v_max_f32_e32 v3, v3, v86
	v_cndmask_b32_e32 v7, v7, v6, vcc
	v_cndmask_b32_e32 v3, v3, v6, vcc
	v_cndmask_b32_e64 v7, v7, v82, s[46:47]
	v_cndmask_b32_e64 v3, v3, v82, s[46:47]
	v_cmp_neq_f32_e32 vcc, v7, v3
	v_cmp_class_f32_e64 s[6:7], v7, s8
	s_or_b64 s[10:11], vcc, s[6:7]
	s_and_saveexec_b64 s[6:7], s[10:11]
	s_cbranch_execz .LBB472_376
; %bb.375:
	v_sub_f32_e32 v6, v7, v3
	s_mov_b32 s8, 0x3fb8aa3b
	v_mul_f32_e32 v7, 0x3fb8aa3b, v6
	v_fma_f32 v12, v6, s8, -v7
	v_rndne_f32_e32 v13, v7
	v_fmac_f32_e32 v12, 0x32a5705f, v6
	v_sub_f32_e32 v7, v7, v13
	v_add_f32_e32 v7, v7, v12
	v_exp_f32_e32 v7, v7
	v_cvt_i32_f32_e32 v12, v13
	s_mov_b32 s8, 0xc2ce8ed0
	v_cmp_ngt_f32_e32 vcc, s8, v6
	s_mov_b32 s8, 0x42b17218
	v_ldexp_f32 v7, v7, v12
	v_cndmask_b32_e32 v7, 0, v7, vcc
	v_mov_b32_e32 v12, 0x7f800000
	v_cmp_nlt_f32_e32 vcc, s8, v6
	v_cndmask_b32_e32 v82, v12, v7, vcc
	v_add_f32_e32 v12, 1.0, v82
	v_add_f32_e32 v6, -1.0, v12
	v_sub_f32_e32 v7, v6, v12
	v_add_f32_e32 v7, 1.0, v7
	v_sub_f32_e32 v6, v82, v6
	v_add_f32_e32 v13, v6, v7
	v_frexp_mant_f32_e32 v16, v12
	s_mov_b32 s8, 0x3f2aaaab
	v_cvt_f64_f32_e32 v[6:7], v12
	v_frexp_exp_i32_f64_e32 v6, v[6:7]
	v_cmp_gt_f32_e32 vcc, s8, v16
	v_subbrev_co_u32_e32 v20, vcc, 0, v6, vcc
	v_sub_u32_e32 v6, 0, v20
	v_ldexp_f32 v7, v12, v6
	v_add_f32_e32 v12, -1.0, v7
	v_add_f32_e32 v16, 1.0, v7
	v_ldexp_f32 v6, v13, v6
	v_add_f32_e32 v13, 1.0, v12
	v_add_f32_e32 v17, -1.0, v16
	v_sub_f32_e32 v13, v7, v13
	v_sub_f32_e32 v7, v7, v17
	v_add_f32_e32 v13, v6, v13
	v_add_f32_e32 v6, v6, v7
	;; [unrolled: 1-line block ×3, first 2 shown]
	v_rcp_f32_e32 v23, v21
	v_sub_f32_e32 v7, v16, v21
	v_add_f32_e32 v22, v6, v7
	v_add_f32_e32 v7, v12, v13
	v_mul_f32_e32 v71, v7, v23
	v_sub_f32_e32 v6, v12, v7
	v_mul_f32_e32 v12, v21, v71
	v_fma_f32 v16, v71, v21, -v12
	v_fmac_f32_e32 v16, v71, v22
	v_add_f32_e32 v70, v13, v6
	v_add_f32_e32 v6, v12, v16
	v_sub_f32_e32 v13, v7, v6
	v_pk_add_f32 v[18:19], v[6:7], v[12:13] neg_lo:[0,1] neg_hi:[0,1]
	v_mov_b32_e32 v17, v6
	v_pk_add_f32 v[6:7], v[18:19], v[16:17] neg_lo:[0,1] neg_hi:[0,1]
	v_add_f32_e32 v7, v70, v7
	v_add_f32_e32 v6, v6, v7
	;; [unrolled: 1-line block ×3, first 2 shown]
	v_mul_f32_e32 v70, v23, v7
	v_mul_f32_e32 v12, v21, v70
	v_fma_f32 v16, v70, v21, -v12
	v_fmac_f32_e32 v16, v70, v22
	v_sub_f32_e32 v13, v13, v7
	v_add_f32_e32 v21, v6, v13
	v_add_f32_e32 v6, v12, v16
	v_sub_f32_e32 v13, v7, v6
	v_pk_add_f32 v[18:19], v[6:7], v[12:13] neg_lo:[0,1] neg_hi:[0,1]
	v_mov_b32_e32 v17, v6
	v_pk_add_f32 v[6:7], v[18:19], v[16:17] neg_lo:[0,1] neg_hi:[0,1]
	v_add_f32_e32 v7, v21, v7
	v_add_f32_e32 v6, v6, v7
	;; [unrolled: 1-line block ×4, first 2 shown]
	v_sub_f32_e32 v7, v13, v71
	v_mul_f32_e32 v6, v23, v6
	v_sub_f32_e32 v7, v70, v7
	v_add_f32_e32 v6, v7, v6
	v_add_f32_e32 v16, v13, v6
	v_mul_f32_e32 v18, v16, v16
	v_mov_b32_e32 v12, 0x3ecc95a3
	v_fmac_f32_e32 v12, 0x3e9b6dac, v18
	v_mov_b32_e32 v7, 0x3f2aaada
	v_fmac_f32_e32 v7, v18, v12
	v_cvt_f32_i32_e32 v12, v20
	v_sub_f32_e32 v13, v16, v13
	v_sub_f32_e32 v6, v6, v13
	v_ldexp_f32 v19, v6, 1
	v_mul_f32_e32 v13, v16, v18
	v_mov_b32_e32 v6, 0x3f317218
	s_mov_b32 s8, 0x3f317218
	v_pk_mul_f32 v[6:7], v[12:13], v[6:7]
	v_ldexp_f32 v17, v16, 1
	v_fma_f32 v16, v12, s8, -v6
	v_fmac_f32_e32 v16, 0xb102e308, v12
	v_pk_add_f32 v[12:13], v[6:7], v[16:17]
	v_sub_f32_e32 v17, v13, v17
	v_sub_f32_e32 v17, v7, v17
	v_add_f32_e32 v19, v19, v17
	v_mov_b32_e32 v18, v6
	v_pk_add_f32 v[6:7], v[12:13], v[6:7] neg_lo:[0,1] neg_hi:[0,1]
	v_pk_add_f32 v[20:21], v[12:13], v[18:19]
	v_mov_b32_e32 v7, v21
	v_mov_b32_e32 v17, v12
	v_pk_add_f32 v[22:23], v[16:17], v[6:7] neg_lo:[0,1] neg_hi:[0,1]
	v_pk_add_f32 v[6:7], v[16:17], v[6:7]
	v_mov_b32_e32 v16, v7
	v_pk_add_f32 v[70:71], v[16:17], v[12:13] neg_lo:[0,1] neg_hi:[0,1]
	v_mov_b32_e32 v17, v70
	v_pk_add_f32 v[80:81], v[20:21], v[16:17] neg_lo:[0,1] neg_hi:[0,1]
	v_mov_b32_e32 v6, v21
	v_mov_b32_e32 v20, v13
	;; [unrolled: 1-line block ×4, first 2 shown]
	v_pk_add_f32 v[6:7], v[6:7], v[20:21] neg_lo:[0,1] neg_hi:[0,1]
	v_mov_b32_e32 v18, v19
	v_mov_b32_e32 v19, v12
	v_pk_add_f32 v[6:7], v[18:19], v[6:7] neg_lo:[0,1] neg_hi:[0,1]
	v_mov_b32_e32 v80, v22
	v_pk_add_f32 v[12:13], v[80:81], v[6:7]
	v_mov_b32_e32 v18, v13
	v_pk_add_f32 v[18:19], v[12:13], v[18:19]
	v_pk_add_f32 v[16:17], v[16:17], v[18:19]
	v_mov_b32_e32 v13, v16
	v_pk_add_f32 v[20:21], v[12:13], v[22:23] neg_lo:[0,1] neg_hi:[0,1]
	v_mov_b32_e32 v7, v18
	v_sub_f32_e32 v12, v12, v20
	v_pk_add_f32 v[6:7], v[6:7], v[20:21] neg_lo:[0,1] neg_hi:[0,1]
	v_sub_f32_e32 v12, v22, v12
	s_mov_b32 s10, 0x7f800000
	v_add_f32_e32 v6, v6, v12
	s_mov_b32 s8, 0x33800000
	v_add_f32_e32 v6, v6, v7
	v_cmp_eq_f32_e32 vcc, s10, v82
	v_cmp_lt_f32_e64 s[10:11], |v82|, s8
	v_add_f32_e32 v6, v16, v6
	s_or_b64 vcc, vcc, s[10:11]
	v_cndmask_b32_e32 v6, v6, v82, vcc
	v_add_f32_e32 v6, v3, v6
.LBB472_376:
	s_or_b64 exec, exec, s[6:7]
	v_bfe_u32 v3, v6, 16, 1
	v_add3_u32 v3, v6, v3, s9
	v_lshrrev_b32_e32 v3, 16, v3
	v_cmp_o_f32_e32 vcc, v6, v6
	v_cndmask_b32_e32 v70, v2, v3, vcc
	v_lshlrev_b32_e32 v3, 16, v70
	v_max_f32_e32 v2, v3, v3
	v_min_f32_e32 v6, v2, v87
	v_cmp_u_f32_e32 vcc, v3, v3
	v_max_f32_e32 v2, v2, v87
	v_cndmask_b32_e32 v6, v6, v3, vcc
	v_cndmask_b32_e32 v2, v2, v3, vcc
	v_cndmask_b32_e64 v6, v6, v14, s[48:49]
	v_cndmask_b32_e64 v2, v2, v14, s[48:49]
	s_movk_i32 s8, 0x1f8
	v_cmp_neq_f32_e32 vcc, v6, v2
	v_cmp_class_f32_e64 s[6:7], v6, s8
	s_or_b64 s[10:11], vcc, s[6:7]
	s_and_saveexec_b64 s[6:7], s[10:11]
	s_cbranch_execz .LBB472_378
; %bb.377:
	v_sub_f32_e32 v3, v6, v2
	s_mov_b32 s9, 0x3fb8aa3b
	v_mul_f32_e32 v6, 0x3fb8aa3b, v3
	v_fma_f32 v7, v3, s9, -v6
	v_rndne_f32_e32 v12, v6
	v_fmac_f32_e32 v7, 0x32a5705f, v3
	v_sub_f32_e32 v6, v6, v12
	v_add_f32_e32 v6, v6, v7
	v_exp_f32_e32 v6, v6
	v_cvt_i32_f32_e32 v7, v12
	s_mov_b32 s9, 0xc2ce8ed0
	v_cmp_ngt_f32_e32 vcc, s9, v3
	s_mov_b32 s9, 0x42b17218
	v_ldexp_f32 v6, v6, v7
	v_cndmask_b32_e32 v6, 0, v6, vcc
	v_mov_b32_e32 v7, 0x7f800000
	v_cmp_nlt_f32_e32 vcc, s9, v3
	v_cndmask_b32_e32 v71, v7, v6, vcc
	v_add_f32_e32 v3, 1.0, v71
	v_add_f32_e32 v6, -1.0, v3
	v_sub_f32_e32 v7, v6, v3
	v_add_f32_e32 v7, 1.0, v7
	v_sub_f32_e32 v6, v71, v6
	v_add_f32_e32 v12, v6, v7
	v_frexp_mant_f32_e32 v13, v3
	s_mov_b32 s9, 0x3f2aaaab
	v_cvt_f64_f32_e32 v[6:7], v3
	v_frexp_exp_i32_f64_e32 v6, v[6:7]
	v_cmp_gt_f32_e32 vcc, s9, v13
	v_subbrev_co_u32_e32 v14, vcc, 0, v6, vcc
	v_sub_u32_e32 v6, 0, v14
	v_ldexp_f32 v3, v3, v6
	v_ldexp_f32 v6, v12, v6
	v_add_f32_e32 v12, -1.0, v3
	v_add_f32_e32 v7, 1.0, v12
	v_sub_f32_e32 v7, v3, v7
	v_add_f32_e32 v13, v6, v7
	v_add_f32_e32 v7, 1.0, v3
	v_add_f32_e32 v16, -1.0, v7
	v_sub_f32_e32 v3, v3, v16
	v_add_f32_e32 v3, v6, v3
	v_add_f32_e32 v20, v7, v3
	v_rcp_f32_e32 v21, v20
	v_sub_f32_e32 v6, v7, v20
	v_add_f32_e32 v7, v12, v13
	v_add_f32_e32 v3, v3, v6
	v_mul_f32_e32 v23, v7, v21
	v_sub_f32_e32 v6, v12, v7
	v_mul_f32_e32 v12, v20, v23
	v_fma_f32 v16, v23, v20, -v12
	v_fmac_f32_e32 v16, v23, v3
	v_add_f32_e32 v22, v13, v6
	v_add_f32_e32 v6, v12, v16
	v_sub_f32_e32 v13, v7, v6
	v_pk_add_f32 v[18:19], v[6:7], v[12:13] neg_lo:[0,1] neg_hi:[0,1]
	v_mov_b32_e32 v17, v6
	v_pk_add_f32 v[6:7], v[18:19], v[16:17] neg_lo:[0,1] neg_hi:[0,1]
	v_add_f32_e32 v7, v22, v7
	v_add_f32_e32 v6, v6, v7
	v_add_f32_e32 v7, v13, v6
	v_mul_f32_e32 v22, v21, v7
	v_mul_f32_e32 v12, v20, v22
	v_fma_f32 v16, v22, v20, -v12
	v_fmac_f32_e32 v16, v22, v3
	v_sub_f32_e32 v3, v13, v7
	v_add_f32_e32 v3, v6, v3
	v_add_f32_e32 v6, v12, v16
	v_sub_f32_e32 v13, v7, v6
	v_pk_add_f32 v[18:19], v[6:7], v[12:13] neg_lo:[0,1] neg_hi:[0,1]
	v_mov_b32_e32 v17, v6
	v_pk_add_f32 v[6:7], v[18:19], v[16:17] neg_lo:[0,1] neg_hi:[0,1]
	v_add_f32_e32 v3, v3, v7
	v_add_f32_e32 v3, v6, v3
	v_add_f32_e32 v6, v23, v22
	v_add_f32_e32 v3, v13, v3
	v_sub_f32_e32 v7, v6, v23
	v_mul_f32_e32 v3, v21, v3
	v_sub_f32_e32 v7, v22, v7
	v_add_f32_e32 v3, v7, v3
	v_add_f32_e32 v13, v6, v3
	v_mul_f32_e32 v16, v13, v13
	v_mov_b32_e32 v12, 0x3ecc95a3
	v_fmac_f32_e32 v12, 0x3e9b6dac, v16
	v_mov_b32_e32 v7, 0x3f2aaada
	v_fmac_f32_e32 v7, v16, v12
	v_cvt_f32_i32_e32 v12, v14
	v_sub_f32_e32 v6, v13, v6
	v_sub_f32_e32 v3, v3, v6
	v_ldexp_f32 v17, v13, 1
	v_mul_f32_e32 v13, v13, v16
	v_mov_b32_e32 v6, 0x3f317218
	s_mov_b32 s9, 0x3f317218
	v_pk_mul_f32 v[6:7], v[12:13], v[6:7]
	v_fma_f32 v16, v12, s9, -v6
	v_fmac_f32_e32 v16, 0xb102e308, v12
	v_pk_add_f32 v[12:13], v[6:7], v[16:17]
	v_sub_f32_e32 v14, v13, v17
	v_ldexp_f32 v3, v3, 1
	v_sub_f32_e32 v14, v7, v14
	v_add_f32_e32 v19, v3, v14
	v_mov_b32_e32 v18, v6
	v_pk_add_f32 v[6:7], v[12:13], v[6:7] neg_lo:[0,1] neg_hi:[0,1]
	v_pk_add_f32 v[20:21], v[12:13], v[18:19]
	v_mov_b32_e32 v7, v21
	v_mov_b32_e32 v17, v12
	v_pk_add_f32 v[22:23], v[16:17], v[6:7] neg_lo:[0,1] neg_hi:[0,1]
	v_pk_add_f32 v[6:7], v[16:17], v[6:7]
	v_mov_b32_e32 v14, v7
	v_pk_add_f32 v[16:17], v[14:15], v[12:13] neg_lo:[0,1] neg_hi:[0,1]
	v_mov_b32_e32 v3, v16
	v_pk_add_f32 v[80:81], v[20:21], v[2:3] neg_lo:[0,1] neg_hi:[0,1]
	v_mov_b32_e32 v6, v21
	v_mov_b32_e32 v20, v13
	;; [unrolled: 1-line block ×4, first 2 shown]
	v_pk_add_f32 v[6:7], v[6:7], v[20:21] neg_lo:[0,1] neg_hi:[0,1]
	v_mov_b32_e32 v16, v19
	v_mov_b32_e32 v17, v12
	v_pk_add_f32 v[6:7], v[16:17], v[6:7] neg_lo:[0,1] neg_hi:[0,1]
	v_mov_b32_e32 v80, v22
	v_pk_add_f32 v[12:13], v[80:81], v[6:7]
	v_mov_b32_e32 v16, v13
	v_pk_add_f32 v[16:17], v[12:13], v[16:17]
	v_pk_add_f32 v[18:19], v[14:15], v[16:17]
	v_mov_b32_e32 v13, v18
	v_pk_add_f32 v[20:21], v[12:13], v[22:23] neg_lo:[0,1] neg_hi:[0,1]
	v_mov_b32_e32 v7, v16
	v_sub_f32_e32 v3, v12, v20
	v_pk_add_f32 v[6:7], v[6:7], v[20:21] neg_lo:[0,1] neg_hi:[0,1]
	v_sub_f32_e32 v3, v22, v3
	s_mov_b32 s10, 0x7f800000
	v_add_f32_e32 v3, v6, v3
	s_mov_b32 s9, 0x33800000
	v_add_f32_e32 v3, v3, v7
	v_cmp_eq_f32_e32 vcc, s10, v71
	v_cmp_lt_f32_e64 s[10:11], |v71|, s9
	v_add_f32_e32 v3, v18, v3
	s_or_b64 vcc, vcc, s[10:11]
	v_cndmask_b32_e32 v3, v3, v71, vcc
	v_add_f32_e32 v3, v2, v3
.LBB472_378:
	s_or_b64 exec, exec, s[6:7]
	v_bfe_u32 v2, v3, 16, 1
	s_movk_i32 s9, 0x7fff
	v_add3_u32 v2, v3, v2, s9
	v_lshrrev_b32_e32 v6, 16, v2
	v_mov_b32_e32 v2, 0x7fc0
	v_cmp_o_f32_e32 vcc, v3, v3
	v_cndmask_b32_e32 v71, v2, v6, vcc
	v_lshlrev_b32_e32 v6, 16, v71
	v_max_f32_e32 v3, v6, v6
	v_min_f32_e32 v7, v3, v96
	v_cmp_u_f32_e32 vcc, v6, v6
	v_max_f32_e32 v3, v3, v96
	v_cndmask_b32_e32 v7, v7, v6, vcc
	v_cndmask_b32_e32 v3, v3, v6, vcc
	v_cndmask_b32_e64 v7, v7, v85, s[50:51]
	v_cndmask_b32_e64 v3, v3, v85, s[50:51]
	v_cmp_neq_f32_e32 vcc, v7, v3
	v_cmp_class_f32_e64 s[6:7], v7, s8
	s_or_b64 s[10:11], vcc, s[6:7]
	s_and_saveexec_b64 s[6:7], s[10:11]
	s_cbranch_execz .LBB472_380
; %bb.379:
	v_sub_f32_e32 v6, v7, v3
	s_mov_b32 s8, 0x3fb8aa3b
	v_mul_f32_e32 v7, 0x3fb8aa3b, v6
	v_fma_f32 v12, v6, s8, -v7
	v_rndne_f32_e32 v13, v7
	v_fmac_f32_e32 v12, 0x32a5705f, v6
	v_sub_f32_e32 v7, v7, v13
	v_add_f32_e32 v7, v7, v12
	v_exp_f32_e32 v7, v7
	v_cvt_i32_f32_e32 v12, v13
	s_mov_b32 s8, 0xc2ce8ed0
	v_cmp_ngt_f32_e32 vcc, s8, v6
	s_mov_b32 s8, 0x42b17218
	v_ldexp_f32 v7, v7, v12
	v_cndmask_b32_e32 v7, 0, v7, vcc
	v_mov_b32_e32 v12, 0x7f800000
	v_cmp_nlt_f32_e32 vcc, s8, v6
	v_cndmask_b32_e32 v82, v12, v7, vcc
	v_add_f32_e32 v12, 1.0, v82
	v_add_f32_e32 v6, -1.0, v12
	v_sub_f32_e32 v7, v6, v12
	v_add_f32_e32 v7, 1.0, v7
	v_sub_f32_e32 v6, v82, v6
	v_add_f32_e32 v13, v6, v7
	v_frexp_mant_f32_e32 v14, v12
	s_mov_b32 s8, 0x3f2aaaab
	v_cvt_f64_f32_e32 v[6:7], v12
	v_frexp_exp_i32_f64_e32 v6, v[6:7]
	v_cmp_gt_f32_e32 vcc, s8, v14
	v_subbrev_co_u32_e32 v14, vcc, 0, v6, vcc
	v_sub_u32_e32 v6, 0, v14
	v_ldexp_f32 v7, v12, v6
	v_add_f32_e32 v12, -1.0, v7
	v_add_f32_e32 v16, 1.0, v7
	v_ldexp_f32 v6, v13, v6
	v_add_f32_e32 v13, 1.0, v12
	v_add_f32_e32 v17, -1.0, v16
	v_sub_f32_e32 v13, v7, v13
	v_sub_f32_e32 v7, v7, v17
	v_add_f32_e32 v13, v6, v13
	v_add_f32_e32 v6, v6, v7
	;; [unrolled: 1-line block ×3, first 2 shown]
	v_rcp_f32_e32 v22, v20
	v_sub_f32_e32 v7, v16, v20
	v_add_f32_e32 v21, v6, v7
	v_add_f32_e32 v7, v12, v13
	v_mul_f32_e32 v80, v7, v22
	v_sub_f32_e32 v6, v12, v7
	v_mul_f32_e32 v12, v20, v80
	v_fma_f32 v16, v80, v20, -v12
	v_fmac_f32_e32 v16, v80, v21
	v_add_f32_e32 v23, v13, v6
	v_add_f32_e32 v6, v12, v16
	v_sub_f32_e32 v13, v7, v6
	v_pk_add_f32 v[18:19], v[6:7], v[12:13] neg_lo:[0,1] neg_hi:[0,1]
	v_mov_b32_e32 v17, v6
	v_pk_add_f32 v[6:7], v[18:19], v[16:17] neg_lo:[0,1] neg_hi:[0,1]
	v_add_f32_e32 v7, v23, v7
	v_add_f32_e32 v6, v6, v7
	;; [unrolled: 1-line block ×3, first 2 shown]
	v_mul_f32_e32 v23, v22, v7
	v_mul_f32_e32 v12, v20, v23
	v_fma_f32 v16, v23, v20, -v12
	v_fmac_f32_e32 v16, v23, v21
	v_sub_f32_e32 v13, v13, v7
	v_add_f32_e32 v20, v6, v13
	v_add_f32_e32 v6, v12, v16
	v_sub_f32_e32 v13, v7, v6
	v_pk_add_f32 v[18:19], v[6:7], v[12:13] neg_lo:[0,1] neg_hi:[0,1]
	v_mov_b32_e32 v17, v6
	v_pk_add_f32 v[6:7], v[18:19], v[16:17] neg_lo:[0,1] neg_hi:[0,1]
	v_add_f32_e32 v7, v20, v7
	v_add_f32_e32 v6, v6, v7
	;; [unrolled: 1-line block ×4, first 2 shown]
	v_sub_f32_e32 v7, v13, v80
	v_mul_f32_e32 v6, v22, v6
	v_sub_f32_e32 v7, v23, v7
	v_add_f32_e32 v6, v7, v6
	v_add_f32_e32 v16, v13, v6
	v_mul_f32_e32 v18, v16, v16
	v_mov_b32_e32 v12, 0x3ecc95a3
	v_fmac_f32_e32 v12, 0x3e9b6dac, v18
	v_mov_b32_e32 v7, 0x3f2aaada
	v_fmac_f32_e32 v7, v18, v12
	v_cvt_f32_i32_e32 v12, v14
	v_sub_f32_e32 v13, v16, v13
	v_sub_f32_e32 v6, v6, v13
	v_ldexp_f32 v14, v6, 1
	v_mul_f32_e32 v13, v16, v18
	v_mov_b32_e32 v6, 0x3f317218
	s_mov_b32 s8, 0x3f317218
	v_pk_mul_f32 v[6:7], v[12:13], v[6:7]
	v_ldexp_f32 v17, v16, 1
	v_fma_f32 v16, v12, s8, -v6
	v_fmac_f32_e32 v16, 0xb102e308, v12
	v_pk_add_f32 v[12:13], v[6:7], v[16:17]
	v_sub_f32_e32 v17, v13, v17
	v_sub_f32_e32 v17, v7, v17
	v_add_f32_e32 v19, v14, v17
	v_mov_b32_e32 v18, v6
	v_pk_add_f32 v[6:7], v[12:13], v[6:7] neg_lo:[0,1] neg_hi:[0,1]
	v_pk_add_f32 v[20:21], v[12:13], v[18:19]
	v_mov_b32_e32 v7, v21
	v_mov_b32_e32 v17, v12
	v_pk_add_f32 v[22:23], v[16:17], v[6:7] neg_lo:[0,1] neg_hi:[0,1]
	v_pk_add_f32 v[6:7], v[16:17], v[6:7]
	v_mov_b32_e32 v14, v7
	v_pk_add_f32 v[16:17], v[14:15], v[12:13] neg_lo:[0,1] neg_hi:[0,1]
	v_mov_b32_e32 v17, v16
	v_pk_add_f32 v[80:81], v[20:21], v[16:17] neg_lo:[0,1] neg_hi:[0,1]
	v_mov_b32_e32 v6, v21
	v_mov_b32_e32 v20, v13
	;; [unrolled: 1-line block ×4, first 2 shown]
	v_pk_add_f32 v[6:7], v[6:7], v[20:21] neg_lo:[0,1] neg_hi:[0,1]
	v_mov_b32_e32 v16, v19
	v_mov_b32_e32 v17, v12
	v_pk_add_f32 v[6:7], v[16:17], v[6:7] neg_lo:[0,1] neg_hi:[0,1]
	v_mov_b32_e32 v80, v22
	v_pk_add_f32 v[12:13], v[80:81], v[6:7]
	v_mov_b32_e32 v16, v13
	v_pk_add_f32 v[16:17], v[12:13], v[16:17]
	v_pk_add_f32 v[18:19], v[14:15], v[16:17]
	v_mov_b32_e32 v13, v18
	v_pk_add_f32 v[20:21], v[12:13], v[22:23] neg_lo:[0,1] neg_hi:[0,1]
	v_mov_b32_e32 v7, v16
	v_sub_f32_e32 v12, v12, v20
	v_pk_add_f32 v[6:7], v[6:7], v[20:21] neg_lo:[0,1] neg_hi:[0,1]
	v_sub_f32_e32 v12, v22, v12
	s_mov_b32 s10, 0x7f800000
	v_add_f32_e32 v6, v6, v12
	s_mov_b32 s8, 0x33800000
	v_add_f32_e32 v6, v6, v7
	v_cmp_eq_f32_e32 vcc, s10, v82
	v_cmp_lt_f32_e64 s[10:11], |v82|, s8
	v_add_f32_e32 v6, v18, v6
	s_or_b64 vcc, vcc, s[10:11]
	v_cndmask_b32_e32 v6, v6, v82, vcc
	v_add_f32_e32 v6, v3, v6
.LBB472_380:
	s_or_b64 exec, exec, s[6:7]
	v_bfe_u32 v3, v6, 16, 1
	v_add3_u32 v3, v6, v3, s9
	v_lshrrev_b32_e32 v3, 16, v3
	v_cmp_o_f32_e32 vcc, v6, v6
	v_cndmask_b32_e32 v80, v2, v3, vcc
	v_lshlrev_b32_e32 v3, 16, v80
	v_max_f32_e32 v2, v3, v3
	v_min_f32_e32 v6, v2, v97
	v_cmp_u_f32_e32 vcc, v3, v3
	v_max_f32_e32 v2, v2, v97
	v_cndmask_b32_e32 v6, v6, v3, vcc
	v_cndmask_b32_e32 v2, v2, v3, vcc
	v_cndmask_b32_e64 v6, v6, v15, s[52:53]
	v_cndmask_b32_e64 v2, v2, v15, s[52:53]
	s_movk_i32 s6, 0x1f8
	v_cmp_neq_f32_e32 vcc, v6, v2
	v_cmp_class_f32_e64 s[6:7], v6, s6
	s_or_b64 s[8:9], vcc, s[6:7]
	s_and_saveexec_b64 s[6:7], s[8:9]
	s_cbranch_execz .LBB472_382
; %bb.381:
	v_sub_f32_e32 v3, v6, v2
	s_mov_b32 s8, 0x3fb8aa3b
	v_mul_f32_e32 v6, 0x3fb8aa3b, v3
	v_fma_f32 v7, v3, s8, -v6
	v_rndne_f32_e32 v12, v6
	v_fmac_f32_e32 v7, 0x32a5705f, v3
	v_sub_f32_e32 v6, v6, v12
	v_add_f32_e32 v6, v6, v7
	v_exp_f32_e32 v6, v6
	v_cvt_i32_f32_e32 v7, v12
	s_mov_b32 s8, 0xc2ce8ed0
	v_cmp_ngt_f32_e32 vcc, s8, v3
	s_mov_b32 s8, 0x42b17218
	v_ldexp_f32 v6, v6, v7
	v_cndmask_b32_e32 v6, 0, v6, vcc
	v_mov_b32_e32 v7, 0x7f800000
	v_cmp_nlt_f32_e32 vcc, s8, v3
	v_cndmask_b32_e32 v81, v7, v6, vcc
	v_add_f32_e32 v3, 1.0, v81
	v_add_f32_e32 v6, -1.0, v3
	v_sub_f32_e32 v7, v6, v3
	v_add_f32_e32 v7, 1.0, v7
	v_sub_f32_e32 v6, v81, v6
	v_add_f32_e32 v12, v6, v7
	v_frexp_mant_f32_e32 v13, v3
	s_mov_b32 s8, 0x3f2aaaab
	v_cvt_f64_f32_e32 v[6:7], v3
	v_frexp_exp_i32_f64_e32 v6, v[6:7]
	v_cmp_gt_f32_e32 vcc, s8, v13
	v_subbrev_co_u32_e32 v18, vcc, 0, v6, vcc
	v_sub_u32_e32 v6, 0, v18
	v_ldexp_f32 v3, v3, v6
	v_ldexp_f32 v6, v12, v6
	v_add_f32_e32 v12, -1.0, v3
	v_add_f32_e32 v7, 1.0, v12
	v_sub_f32_e32 v7, v3, v7
	v_add_f32_e32 v13, v6, v7
	v_add_f32_e32 v7, 1.0, v3
	v_add_f32_e32 v14, -1.0, v7
	v_sub_f32_e32 v3, v3, v14
	v_add_f32_e32 v3, v6, v3
	v_add_f32_e32 v19, v7, v3
	v_rcp_f32_e32 v20, v19
	v_sub_f32_e32 v6, v7, v19
	v_add_f32_e32 v7, v12, v13
	v_add_f32_e32 v3, v3, v6
	v_mul_f32_e32 v22, v7, v20
	v_sub_f32_e32 v6, v12, v7
	v_mul_f32_e32 v12, v19, v22
	v_fma_f32 v14, v22, v19, -v12
	v_fmac_f32_e32 v14, v22, v3
	v_add_f32_e32 v21, v13, v6
	v_add_f32_e32 v6, v12, v14
	v_sub_f32_e32 v13, v7, v6
	v_pk_add_f32 v[16:17], v[6:7], v[12:13] neg_lo:[0,1] neg_hi:[0,1]
	v_mov_b32_e32 v15, v6
	v_pk_add_f32 v[6:7], v[16:17], v[14:15] neg_lo:[0,1] neg_hi:[0,1]
	v_add_f32_e32 v7, v21, v7
	v_add_f32_e32 v6, v6, v7
	;; [unrolled: 1-line block ×3, first 2 shown]
	v_mul_f32_e32 v21, v20, v7
	v_mul_f32_e32 v12, v19, v21
	v_fma_f32 v14, v21, v19, -v12
	v_fmac_f32_e32 v14, v21, v3
	v_sub_f32_e32 v3, v13, v7
	v_add_f32_e32 v3, v6, v3
	v_add_f32_e32 v6, v12, v14
	v_sub_f32_e32 v13, v7, v6
	v_pk_add_f32 v[16:17], v[6:7], v[12:13] neg_lo:[0,1] neg_hi:[0,1]
	v_mov_b32_e32 v15, v6
	v_pk_add_f32 v[6:7], v[16:17], v[14:15] neg_lo:[0,1] neg_hi:[0,1]
	v_add_f32_e32 v3, v3, v7
	v_add_f32_e32 v3, v6, v3
	;; [unrolled: 1-line block ×4, first 2 shown]
	v_sub_f32_e32 v7, v6, v22
	v_mul_f32_e32 v3, v20, v3
	v_sub_f32_e32 v7, v21, v7
	v_add_f32_e32 v3, v7, v3
	v_add_f32_e32 v13, v6, v3
	v_mul_f32_e32 v14, v13, v13
	v_mov_b32_e32 v12, 0x3ecc95a3
	v_fmac_f32_e32 v12, 0x3e9b6dac, v14
	v_mov_b32_e32 v7, 0x3f2aaada
	v_fmac_f32_e32 v7, v14, v12
	v_cvt_f32_i32_e32 v12, v18
	v_sub_f32_e32 v6, v13, v6
	v_sub_f32_e32 v3, v3, v6
	v_ldexp_f32 v15, v13, 1
	v_mul_f32_e32 v13, v13, v14
	v_mov_b32_e32 v6, 0x3f317218
	s_mov_b32 s8, 0x3f317218
	v_pk_mul_f32 v[6:7], v[12:13], v[6:7]
	v_fma_f32 v14, v12, s8, -v6
	v_fmac_f32_e32 v14, 0xb102e308, v12
	v_pk_add_f32 v[12:13], v[6:7], v[14:15]
	v_sub_f32_e32 v15, v13, v15
	v_ldexp_f32 v3, v3, 1
	v_sub_f32_e32 v15, v7, v15
	v_add_f32_e32 v17, v3, v15
	v_mov_b32_e32 v16, v6
	v_pk_add_f32 v[6:7], v[12:13], v[6:7] neg_lo:[0,1] neg_hi:[0,1]
	v_pk_add_f32 v[18:19], v[12:13], v[16:17]
	v_mov_b32_e32 v7, v19
	v_mov_b32_e32 v15, v12
	v_pk_add_f32 v[20:21], v[14:15], v[6:7] neg_lo:[0,1] neg_hi:[0,1]
	v_pk_add_f32 v[6:7], v[14:15], v[6:7]
	v_mov_b32_e32 v14, v7
	v_pk_add_f32 v[22:23], v[14:15], v[12:13] neg_lo:[0,1] neg_hi:[0,1]
	v_mov_b32_e32 v3, v22
	v_pk_add_f32 v[82:83], v[18:19], v[2:3] neg_lo:[0,1] neg_hi:[0,1]
	v_mov_b32_e32 v6, v19
	v_mov_b32_e32 v18, v13
	;; [unrolled: 1-line block ×4, first 2 shown]
	v_pk_add_f32 v[6:7], v[6:7], v[18:19] neg_lo:[0,1] neg_hi:[0,1]
	v_mov_b32_e32 v16, v17
	v_mov_b32_e32 v17, v12
	v_pk_add_f32 v[6:7], v[16:17], v[6:7] neg_lo:[0,1] neg_hi:[0,1]
	v_mov_b32_e32 v82, v20
	v_pk_add_f32 v[12:13], v[82:83], v[6:7]
	v_mov_b32_e32 v16, v13
	v_pk_add_f32 v[16:17], v[12:13], v[16:17]
	v_pk_add_f32 v[14:15], v[14:15], v[16:17]
	v_mov_b32_e32 v13, v14
	v_pk_add_f32 v[18:19], v[12:13], v[20:21] neg_lo:[0,1] neg_hi:[0,1]
	v_mov_b32_e32 v7, v16
	v_sub_f32_e32 v3, v12, v18
	v_pk_add_f32 v[6:7], v[6:7], v[18:19] neg_lo:[0,1] neg_hi:[0,1]
	v_sub_f32_e32 v3, v20, v3
	s_mov_b32 s9, 0x7f800000
	v_add_f32_e32 v3, v6, v3
	s_mov_b32 s8, 0x33800000
	v_add_f32_e32 v3, v3, v7
	v_cmp_eq_f32_e32 vcc, s9, v81
	v_cmp_lt_f32_e64 s[8:9], |v81|, s8
	v_add_f32_e32 v3, v14, v3
	s_or_b64 vcc, vcc, s[8:9]
	v_cndmask_b32_e32 v3, v3, v81, vcc
	v_add_f32_e32 v3, v2, v3
.LBB472_382:
	s_or_b64 exec, exec, s[6:7]
	v_bfe_u32 v2, v3, 16, 1
	s_movk_i32 s6, 0x7fff
	v_add3_u32 v2, v3, v2, s6
	v_lshrrev_b32_e32 v2, 16, v2
	v_mov_b32_e32 v6, 0x7fc0
	v_cmp_o_f32_e32 vcc, v3, v3
	v_cndmask_b32_e32 v81, v6, v2, vcc
	s_and_saveexec_b64 s[6:7], s[56:57]
	s_cbranch_execz .LBB472_384
; %bb.383:
	s_mov_b32 s8, 0x20000
	v_or_b32_sdwa v2, v81, s8 dst_sel:DWORD dst_unused:UNUSED_PAD src0_sel:WORD_0 src1_sel:DWORD
	flat_store_dword v[24:25], v2 offset:256
.LBB472_384:
	s_or_b64 exec, exec, s[6:7]
.LBB472_385:
	v_add_co_u32_e32 v0, vcc, v10, v0
	v_addc_co_u32_e32 v1, vcc, v11, v1, vcc
	v_add_co_u32_e32 v0, vcc, v0, v26
	v_addc_co_u32_e32 v1, vcc, v1, v27, vcc
	s_waitcnt lgkmcnt(0)
	; wave barrier
	s_waitcnt lgkmcnt(0)
	s_and_saveexec_b64 s[6:7], s[4:5]
	s_xor_b64 s[4:5], exec, s[6:7]
	s_cbranch_execz .LBB472_387
; %bb.386:
	s_mov_b32 s6, 0x5040100
	v_perm_b32 v5, v37, v36, s6
	v_perm_b32 v4, v35, v34, s6
	;; [unrolled: 1-line block ×4, first 2 shown]
	ds_write_b128 v29, v[2:5]
	v_perm_b32 v5, v65, v64, s6
	v_perm_b32 v4, v55, v54, s6
	;; [unrolled: 1-line block ×4, first 2 shown]
	ds_write_b128 v29, v[2:5] offset:16
	v_perm_b32 v5, v81, v80, s6
	v_perm_b32 v4, v71, v70, s6
	;; [unrolled: 1-line block ×4, first 2 shown]
	ds_write_b128 v29, v[2:5] offset:32
	s_waitcnt lgkmcnt(0)
	; wave barrier
	s_waitcnt lgkmcnt(0)
	ds_read_u16 v2, v48
	ds_read_u16 v3, v48 offset:128
	ds_read_u16 v4, v48 offset:256
	;; [unrolled: 1-line block ×23, first 2 shown]
	v_add_co_u32_e32 v0, vcc, v0, v48
	v_addc_co_u32_e32 v1, vcc, 0, v1, vcc
	s_waitcnt lgkmcnt(0)
	flat_store_short v[0:1], v2
	flat_store_short v[0:1], v3 offset:128
	flat_store_short v[0:1], v4 offset:256
	;; [unrolled: 1-line block ×23, first 2 shown]
                                        ; implicit-def: $vgpr2_vgpr3_vgpr4_vgpr5
                                        ; implicit-def: $vgpr6_vgpr7_vgpr8_vgpr9
                                        ; implicit-def: $vgpr28
                                        ; implicit-def: $vgpr29
                                        ; implicit-def: $vgpr30
                                        ; implicit-def: $vgpr31
                                        ; implicit-def: $vgpr32
                                        ; implicit-def: $vgpr33
                                        ; implicit-def: $vgpr34
                                        ; implicit-def: $vgpr35
                                        ; implicit-def: $vgpr36
                                        ; implicit-def: $vgpr37
                                        ; implicit-def: $vgpr50
                                        ; implicit-def: $vgpr52
                                        ; implicit-def: $vgpr51
                                        ; implicit-def: $vgpr53
                                        ; implicit-def: $vgpr54
                                        ; implicit-def: $vgpr55
                                        ; implicit-def: $vgpr64
                                        ; implicit-def: $vgpr65
                                        ; implicit-def: $vgpr66
                                        ; implicit-def: $vgpr67
                                        ; implicit-def: $vgpr68
                                        ; implicit-def: $vgpr69
                                        ; implicit-def: $vgpr70
                                        ; implicit-def: $vgpr71
                                        ; implicit-def: $vgpr80
                                        ; implicit-def: $vgpr81
                                        ; implicit-def: $vgpr49
                                        ; implicit-def: $vgpr38
                                        ; implicit-def: $vgpr39
                                        ; implicit-def: $vgpr0
                                        ; implicit-def: $vgpr1
                                        ; implicit-def: $vgpr48
.LBB472_387:
	s_andn2_saveexec_b64 s[6:7], s[4:5]
	s_cbranch_execz .LBB472_528
; %bb.388:
	s_mov_b32 s4, 0x5040100
	v_perm_b32 v13, v37, v36, s4
	v_perm_b32 v12, v35, v34, s4
	;; [unrolled: 1-line block ×4, first 2 shown]
	ds_write_b128 v29, v[10:13]
	v_perm_b32 v13, v65, v64, s4
	v_perm_b32 v12, v55, v54, s4
	;; [unrolled: 1-line block ×4, first 2 shown]
	ds_write_b128 v29, v[10:13] offset:16
	v_perm_b32 v13, v81, v80, s4
	v_perm_b32 v12, v71, v70, s4
	;; [unrolled: 1-line block ×4, first 2 shown]
	ds_write_b128 v29, v[10:13] offset:32
	s_waitcnt lgkmcnt(0)
	; wave barrier
	s_waitcnt lgkmcnt(0)
	ds_read_u16 v3, v48
	ds_read_u16 v2, v48 offset:128
	ds_read_u16 v7, v48 offset:256
	;; [unrolled: 1-line block ×23, first 2 shown]
	v_add_co_u32_e32 v0, vcc, v0, v48
	v_addc_co_u32_e32 v1, vcc, 0, v1, vcc
	v_mov_b32_e32 v29, 0
	v_cmp_lt_u32_e32 vcc, v28, v38
	s_and_saveexec_b64 s[4:5], vcc
	s_cbranch_execz .LBB472_390
; %bb.389:
	s_waitcnt lgkmcnt(0)
	flat_store_short v[0:1], v3
.LBB472_390:
	s_or_b64 exec, exec, s[4:5]
	v_add_u32_e32 v32, 64, v28
	v_cmp_lt_u32_e32 vcc, v32, v38
	s_and_saveexec_b64 s[4:5], vcc
	s_cbranch_execz .LBB472_392
; %bb.391:
	s_waitcnt lgkmcnt(0)
	flat_store_short v[0:1], v2 offset:128
.LBB472_392:
	s_or_b64 exec, exec, s[4:5]
	v_add_u32_e32 v32, 0x80, v28
	v_cmp_lt_u32_e32 vcc, v32, v38
	s_and_saveexec_b64 s[4:5], vcc
	s_cbranch_execz .LBB472_394
; %bb.393:
	s_waitcnt lgkmcnt(0)
	flat_store_short v[0:1], v7 offset:256
.LBB472_394:
	;; [unrolled: 9-line block ×15, first 2 shown]
	s_or_b64 exec, exec, s[4:5]
	v_or_b32_e32 v32, 0x400, v28
	v_cmp_lt_u32_e32 vcc, v32, v38
	s_and_saveexec_b64 s[4:5], vcc
	s_cbranch_execz .LBB472_422
; %bb.421:
	s_waitcnt lgkmcnt(0)
	flat_store_short v[0:1], v24 offset:2048
.LBB472_422:
	s_or_b64 exec, exec, s[4:5]
	v_add_u32_e32 v32, 0x440, v28
	v_cmp_lt_u32_e32 vcc, v32, v38
	s_and_saveexec_b64 s[4:5], vcc
	s_cbranch_execz .LBB472_424
; %bb.423:
	s_waitcnt lgkmcnt(0)
	flat_store_short v[0:1], v30 offset:2176
.LBB472_424:
	s_or_b64 exec, exec, s[4:5]
	v_add_u32_e32 v32, 0x480, v28
	;; [unrolled: 9-line block ×7, first 2 shown]
	v_cmp_lt_u32_e32 vcc, v32, v38
	s_and_saveexec_b64 s[4:5], vcc
	s_cbranch_execz .LBB472_436
; %bb.435:
	s_waitcnt lgkmcnt(0)
	flat_store_short v[0:1], v31 offset:2944
.LBB472_436:
	s_or_b64 exec, exec, s[4:5]
	v_cmp_lt_u64_e32 vcc, 1, v[8:9]
	s_and_saveexec_b64 s[8:9], vcc
	s_cbranch_execz .LBB472_527
; %bb.437:
	s_add_u32 s4, 0, 0xaaaa0000
	s_addc_u32 s5, 0, 42
	s_add_i32 s5, s5, 0xaaaaa80
	s_mul_hi_u32 s13, s4, 0xffffffe8
	s_sub_i32 s13, s13, s4
	s_mul_i32 s14, s5, 0xffffffe8
	s_mul_i32 s10, s4, 0xffffffe8
	s_add_i32 s13, s13, s14
	s_mul_hi_u32 s11, s5, s10
	s_mul_i32 s12, s5, s10
	s_mul_i32 s15, s4, s13
	s_mul_hi_u32 s10, s4, s10
	s_mul_hi_u32 s14, s4, s13
	s_add_u32 s10, s10, s15
	s_addc_u32 s14, 0, s14
	s_add_u32 s10, s10, s12
	s_mul_hi_u32 s15, s5, s13
	s_addc_u32 s10, s14, s11
	s_addc_u32 s11, s15, 0
	s_mul_i32 s12, s5, s13
	v_add_co_u32_e32 v0, vcc, -1, v38
	s_add_u32 s10, s10, s12
	v_addc_co_u32_e32 v1, vcc, -1, v39, vcc
	v_mov_b32_e32 v8, s10
	s_addc_u32 s11, 0, s11
	v_add_co_u32_e32 v32, vcc, s4, v8
	s_cmp_lg_u64 vcc, 0
	s_addc_u32 s10, s5, s11
	v_mad_u64_u32 v[8:9], s[4:5], v0, s10, 0
	v_mul_hi_u32 v33, v0, v32
	v_add_co_u32_e32 v34, vcc, v33, v8
	v_addc_co_u32_e32 v35, vcc, 0, v9, vcc
	v_mad_u64_u32 v[32:33], s[4:5], v1, v32, 0
	v_add_co_u32_e32 v32, vcc, v34, v32
	v_mad_u64_u32 v[8:9], s[4:5], v1, s10, 0
	v_addc_co_u32_e32 v32, vcc, v35, v33, vcc
	v_addc_co_u32_e32 v9, vcc, 0, v9, vcc
	v_add_co_u32_e32 v34, vcc, v32, v8
	v_addc_co_u32_e32 v35, vcc, 0, v9, vcc
	v_mad_u64_u32 v[8:9], s[4:5], v34, 24, 0
	v_mov_b32_e32 v32, v9
	v_mad_u64_u32 v[32:33], s[4:5], v35, 24, v[32:33]
	v_sub_co_u32_e32 v8, vcc, v0, v8
	v_subb_co_u32_e32 v9, vcc, v1, v32, vcc
	v_subrev_co_u32_e32 v32, vcc, 24, v8
	v_subbrev_co_u32_e32 v33, vcc, 0, v9, vcc
	v_cmp_lt_u32_e32 vcc, 23, v32
	v_cndmask_b32_e64 v32, 0, -1, vcc
	v_cmp_eq_u32_e32 vcc, 0, v33
	v_cndmask_b32_e32 v32, -1, v32, vcc
	v_add_co_u32_e32 v33, vcc, 2, v34
	v_addc_co_u32_e32 v36, vcc, 0, v35, vcc
	v_add_co_u32_e32 v37, vcc, 1, v34
	v_cmp_lt_u32_e64 s[4:5], 23, v8
	v_addc_co_u32_e32 v38, vcc, 0, v35, vcc
	v_cndmask_b32_e64 v8, 0, -1, s[4:5]
	v_cmp_eq_u32_e64 s[4:5], 0, v9
	v_cmp_ne_u32_e32 vcc, 0, v32
	v_cndmask_b32_e64 v8, -1, v8, s[4:5]
	v_cndmask_b32_e32 v32, v38, v36, vcc
	v_cmp_ne_u32_e64 s[4:5], 0, v8
	v_cndmask_b32_e32 v8, v37, v33, vcc
	v_cndmask_b32_e64 v9, v35, v32, s[4:5]
	v_cndmask_b32_e64 v8, v34, v8, s[4:5]
	v_cmp_eq_u64_e32 vcc, v[8:9], v[28:29]
	s_and_b64 exec, exec, vcc
	s_cbranch_execz .LBB472_527
; %bb.438:
	v_mul_hi_u32_u24_e32 v8, 24, v28
	v_sub_co_u32_e32 v0, vcc, v0, v49
	v_subb_co_u32_e32 v1, vcc, v1, v8, vcc
	v_cmp_lt_i64_e32 vcc, 11, v[0:1]
	s_mov_b64 s[4:5], 0
	s_mov_b64 s[16:17], 0
	;; [unrolled: 1-line block ×4, first 2 shown]
	s_and_saveexec_b64 s[10:11], vcc
	s_xor_b64 s[10:11], exec, s[10:11]
	s_cbranch_execnz .LBB472_444
; %bb.439:
	s_andn2_saveexec_b64 s[10:11], s[10:11]
	s_cbranch_execnz .LBB472_489
.LBB472_440:
	s_or_b64 exec, exec, s[10:11]
	s_and_saveexec_b64 s[10:11], s[16:17]
	s_cbranch_execnz .LBB472_506
.LBB472_441:
	s_or_b64 exec, exec, s[10:11]
	s_and_saveexec_b64 s[10:11], s[14:15]
	s_cbranch_execnz .LBB472_507
.LBB472_442:
	s_or_b64 exec, exec, s[10:11]
	s_and_saveexec_b64 s[10:11], s[12:13]
	s_xor_b64 s[10:11], exec, s[10:11]
	s_cbranch_execnz .LBB472_508
.LBB472_443:
	s_or_b64 exec, exec, s[10:11]
	s_and_b64 exec, exec, s[4:5]
	s_cbranch_execnz .LBB472_509
	s_branch .LBB472_527
.LBB472_444:
	v_cmp_lt_i64_e32 vcc, 17, v[0:1]
	s_and_saveexec_b64 s[18:19], vcc
	s_xor_b64 s[18:19], exec, s[18:19]
	s_cbranch_execz .LBB472_466
; %bb.445:
	v_cmp_lt_i64_e32 vcc, 20, v[0:1]
                                        ; implicit-def: $vgpr12
	s_and_saveexec_b64 s[20:21], vcc
	s_xor_b64 s[20:21], exec, s[20:21]
	s_cbranch_execz .LBB472_455
; %bb.446:
	v_cmp_lt_i64_e32 vcc, 21, v[0:1]
	s_mov_b64 s[22:23], 0
                                        ; implicit-def: $vgpr12
	s_and_saveexec_b64 s[12:13], vcc
	s_xor_b64 s[12:13], exec, s[12:13]
	s_cbranch_execz .LBB472_452
; %bb.447:
	v_cmp_lt_i64_e32 vcc, 22, v[0:1]
	s_and_saveexec_b64 s[22:23], vcc
	s_xor_b64 s[22:23], exec, s[22:23]
	s_cbranch_execz .LBB472_449
; %bb.448:
	s_waitcnt lgkmcnt(0)
	flat_store_short v[4:5], v31
                                        ; implicit-def: $vgpr27
.LBB472_449:
	s_or_saveexec_b64 s[22:23], s[22:23]
	s_mov_b64 s[24:25], 0
	s_xor_b64 exec, exec, s[22:23]
; %bb.450:
	s_mov_b64 s[24:25], exec
; %bb.451:
	s_or_b64 exec, exec, s[22:23]
	s_and_b64 s[22:23], s[24:25], exec
	s_waitcnt lgkmcnt(0)
	v_mov_b32_e32 v12, v27
                                        ; implicit-def: $vgpr13
.LBB472_452:
	s_andn2_saveexec_b64 s[12:13], s[12:13]
; %bb.453:
	s_mov_b64 s[14:15], exec
                                        ; implicit-def: $vgpr12
; %bb.454:
	s_or_b64 exec, exec, s[12:13]
	s_and_b64 s[12:13], s[22:23], exec
	s_and_b64 s[14:15], s[14:15], exec
                                        ; implicit-def: $vgpr26
                                        ; implicit-def: $vgpr14
                                        ; implicit-def: $vgpr23
.LBB472_455:
	s_andn2_saveexec_b64 s[20:21], s[20:21]
	s_cbranch_execz .LBB472_465
; %bb.456:
	v_cmp_lt_i64_e32 vcc, 18, v[0:1]
	s_mov_b64 s[22:23], 0
	s_and_saveexec_b64 s[16:17], vcc
	s_xor_b64 s[16:17], exec, s[16:17]
	s_cbranch_execz .LBB472_462
; %bb.457:
	v_cmp_lt_i64_e32 vcc, 19, v[0:1]
	s_and_saveexec_b64 s[24:25], vcc
	s_xor_b64 s[24:25], exec, s[24:25]
; %bb.458:
	s_mov_b64 s[22:23], exec
                                        ; implicit-def: $vgpr23
; %bb.459:
	s_andn2_saveexec_b64 s[24:25], s[24:25]
	s_cbranch_execz .LBB472_461
; %bb.460:
	s_waitcnt lgkmcnt(0)
	flat_store_short v[4:5], v23
                                        ; implicit-def: $vgpr14
.LBB472_461:
	s_or_b64 exec, exec, s[24:25]
	s_and_b64 s[22:23], s[22:23], exec
                                        ; implicit-def: $vgpr26
.LBB472_462:
	s_andn2_saveexec_b64 s[16:17], s[16:17]
	s_cbranch_execz .LBB472_464
; %bb.463:
	s_waitcnt lgkmcnt(0)
	flat_store_short v[4:5], v26
                                        ; implicit-def: $vgpr14
.LBB472_464:
	s_or_b64 exec, exec, s[16:17]
	s_and_b64 s[16:17], s[22:23], exec
                                        ; implicit-def: $vgpr12
                                        ; implicit-def: $vgpr13
.LBB472_465:
	s_or_b64 exec, exec, s[20:21]
	s_and_b64 s[12:13], s[12:13], exec
	s_and_b64 s[14:15], s[14:15], exec
	;; [unrolled: 1-line block ×3, first 2 shown]
                                        ; implicit-def: $vgpr20
                                        ; implicit-def: $vgpr15
                                        ; implicit-def: $vgpr16
                                        ; implicit-def: $vgpr24
                                        ; implicit-def: $vgpr30
.LBB472_466:
	s_andn2_saveexec_b64 s[18:19], s[18:19]
	s_cbranch_execz .LBB472_488
; %bb.467:
	v_cmp_lt_i64_e32 vcc, 14, v[0:1]
	s_mov_b64 s[20:21], s[12:13]
	s_and_saveexec_b64 s[22:23], vcc
	s_xor_b64 s[22:23], exec, s[22:23]
	s_cbranch_execz .LBB472_477
; %bb.468:
	v_cmp_lt_i64_e32 vcc, 15, v[0:1]
	s_and_saveexec_b64 s[20:21], vcc
	s_xor_b64 s[20:21], exec, s[20:21]
	s_cbranch_execz .LBB472_474
; %bb.469:
	v_cmp_lt_i64_e32 vcc, 16, v[0:1]
	s_and_saveexec_b64 s[24:25], vcc
	s_xor_b64 s[24:25], exec, s[24:25]
	s_cbranch_execz .LBB472_471
; %bb.470:
	s_waitcnt lgkmcnt(0)
	flat_store_short v[4:5], v30
                                        ; implicit-def: $vgpr24
.LBB472_471:
	s_andn2_saveexec_b64 s[24:25], s[24:25]
	s_cbranch_execz .LBB472_473
; %bb.472:
	s_waitcnt lgkmcnt(0)
	flat_store_short v[4:5], v24
.LBB472_473:
	s_or_b64 exec, exec, s[24:25]
                                        ; implicit-def: $vgpr12
.LBB472_474:
	s_or_saveexec_b64 s[20:21], s[20:21]
	s_mov_b64 s[24:25], s[12:13]
	s_xor_b64 exec, exec, s[20:21]
; %bb.475:
	s_or_b64 s[24:25], s[12:13], exec
; %bb.476:
	s_or_b64 exec, exec, s[20:21]
	s_andn2_b64 s[20:21], s[12:13], exec
	s_and_b64 s[24:25], s[24:25], exec
	s_or_b64 s[20:21], s[20:21], s[24:25]
                                        ; implicit-def: $vgpr20
                                        ; implicit-def: $vgpr15
                                        ; implicit-def: $vgpr16
.LBB472_477:
	s_or_saveexec_b64 s[22:23], s[22:23]
	s_mov_b64 s[24:25], s[14:15]
                                        ; implicit-def: $vgpr13
	s_xor_b64 exec, exec, s[22:23]
	s_cbranch_execz .LBB472_487
; %bb.478:
	v_cmp_lt_i64_e32 vcc, 12, v[0:1]
	s_mov_b64 s[26:27], s[14:15]
	s_mov_b64 s[28:29], s[20:21]
                                        ; implicit-def: $vgpr12
                                        ; implicit-def: $vgpr13
	s_and_saveexec_b64 s[24:25], vcc
	s_xor_b64 s[24:25], exec, s[24:25]
	s_cbranch_execz .LBB472_484
; %bb.479:
	v_cmp_lt_i64_e32 vcc, 13, v[0:1]
	s_mov_b64 s[26:27], s[20:21]
	s_and_saveexec_b64 s[28:29], vcc
	s_xor_b64 s[28:29], exec, s[28:29]
; %bb.480:
	s_or_b64 s[26:27], s[20:21], exec
                                        ; implicit-def: $vgpr15
; %bb.481:
	s_or_saveexec_b64 s[28:29], s[28:29]
	s_mov_b64 vcc, s[14:15]
	s_xor_b64 exec, exec, s[28:29]
; %bb.482:
	s_or_b64 vcc, s[14:15], exec
                                        ; implicit-def: $vgpr16
; %bb.483:
	s_or_b64 exec, exec, s[28:29]
	s_andn2_b64 s[28:29], s[20:21], exec
	s_and_b64 s[26:27], s[26:27], exec
	s_or_b64 s[28:29], s[28:29], s[26:27]
	s_andn2_b64 s[26:27], s[14:15], exec
	s_and_b64 vcc, vcc, exec
	s_or_b64 s[26:27], s[26:27], vcc
	s_waitcnt lgkmcnt(0)
	v_mov_b32_e32 v12, v16
	v_mov_b32_e32 v13, v15
                                        ; implicit-def: $vgpr20
.LBB472_484:
	s_andn2_saveexec_b64 s[24:25], s[24:25]
	s_cbranch_execz .LBB472_486
; %bb.485:
	s_or_b64 s[26:27], s[26:27], exec
                                        ; implicit-def: $vgpr12
	s_waitcnt lgkmcnt(0)
	v_mov_b32_e32 v13, v20
.LBB472_486:
	s_or_b64 exec, exec, s[24:25]
	s_andn2_b64 s[20:21], s[20:21], exec
	s_and_b64 s[24:25], s[28:29], exec
	s_or_b64 s[20:21], s[20:21], s[24:25]
	s_andn2_b64 s[24:25], s[14:15], exec
	s_and_b64 s[26:27], s[26:27], exec
	s_or_b64 s[24:25], s[24:25], s[26:27]
.LBB472_487:
	s_or_b64 exec, exec, s[22:23]
	s_andn2_b64 s[12:13], s[12:13], exec
	s_and_b64 s[20:21], s[20:21], exec
	s_or_b64 s[12:13], s[12:13], s[20:21]
	s_andn2_b64 s[14:15], s[14:15], exec
	s_and_b64 s[20:21], s[24:25], exec
	s_or_b64 s[14:15], s[14:15], s[20:21]
                                        ; implicit-def: $vgpr14
.LBB472_488:
	s_or_b64 exec, exec, s[18:19]
	s_and_b64 s[12:13], s[12:13], exec
	s_and_b64 s[14:15], s[14:15], exec
	;; [unrolled: 1-line block ×3, first 2 shown]
                                        ; implicit-def: $vgpr19
                                        ; implicit-def: $vgpr17
                                        ; implicit-def: $vgpr18
                                        ; implicit-def: $vgpr25
                                        ; implicit-def: $vgpr22
                                        ; implicit-def: $vgpr21
	s_andn2_saveexec_b64 s[10:11], s[10:11]
	s_cbranch_execz .LBB472_440
.LBB472_489:
	v_cmp_lt_i64_e32 vcc, 5, v[0:1]
	s_mov_b64 s[20:21], -1
	s_mov_b64 s[18:19], s[16:17]
	s_mov_b64 s[22:23], s[14:15]
	;; [unrolled: 1-line block ×3, first 2 shown]
                                        ; implicit-def: $vgpr12
                                        ; implicit-def: $vgpr13
                                        ; implicit-def: $vgpr14
	s_and_saveexec_b64 s[4:5], vcc
	s_cbranch_execz .LBB472_505
; %bb.490:
	v_cmp_lt_i64_e32 vcc, 8, v[0:1]
	s_mov_b64 s[18:19], s[16:17]
                                        ; implicit-def: $vgpr14
	s_and_saveexec_b64 s[20:21], vcc
	s_xor_b64 s[20:21], exec, s[20:21]
	s_cbranch_execz .LBB472_500
; %bb.491:
	v_cmp_lt_i64_e32 vcc, 9, v[0:1]
	s_and_saveexec_b64 s[18:19], vcc
	s_xor_b64 s[18:19], exec, s[18:19]
	s_cbranch_execz .LBB472_497
; %bb.492:
	v_cmp_lt_i64_e32 vcc, 10, v[0:1]
	s_and_saveexec_b64 s[22:23], vcc
	s_xor_b64 s[22:23], exec, s[22:23]
; %bb.493:
                                        ; implicit-def: $vgpr22
; %bb.494:
	s_andn2_saveexec_b64 s[22:23], s[22:23]
	s_cbranch_execz .LBB472_496
; %bb.495:
	s_waitcnt lgkmcnt(0)
	v_mov_b32_e32 v21, v22
.LBB472_496:
	s_or_b64 exec, exec, s[22:23]
                                        ; implicit-def: $vgpr25
.LBB472_497:
	s_andn2_saveexec_b64 s[18:19], s[18:19]
	s_cbranch_execz .LBB472_499
; %bb.498:
	s_waitcnt lgkmcnt(0)
	v_mov_b32_e32 v21, v25
.LBB472_499:
	s_or_b64 exec, exec, s[18:19]
	s_or_b64 s[18:19], s[16:17], exec
	s_waitcnt lgkmcnt(0)
	v_mov_b32_e32 v14, v21
                                        ; implicit-def: $vgpr19
                                        ; implicit-def: $vgpr17
                                        ; implicit-def: $vgpr18
.LBB472_500:
	s_or_saveexec_b64 s[20:21], s[20:21]
	s_mov_b64 s[22:23], s[14:15]
	s_mov_b64 s[26:27], s[12:13]
                                        ; implicit-def: $vgpr12
                                        ; implicit-def: $vgpr13
	s_xor_b64 exec, exec, s[20:21]
	s_cbranch_execz .LBB472_504
; %bb.501:
	v_cmp_lt_i64_e32 vcc, 6, v[0:1]
	s_mov_b64 s[26:27], -1
	s_mov_b64 s[24:25], s[18:19]
	s_mov_b64 s[22:23], s[14:15]
	s_and_saveexec_b64 s[28:29], vcc
; %bb.502:
	v_cmp_lt_i64_e32 vcc, 7, v[0:1]
	s_andn2_b64 s[24:25], s[18:19], exec
	s_and_b64 vcc, vcc, exec
	s_xor_b64 s[26:27], exec, -1
	s_or_b64 s[22:23], s[14:15], exec
	s_or_b64 s[24:25], s[24:25], vcc
                                        ; implicit-def: $vgpr19
; %bb.503:
	s_or_b64 exec, exec, s[28:29]
	s_andn2_b64 s[28:29], s[12:13], exec
	s_and_b64 s[26:27], s[26:27], exec
	s_or_b64 s[26:27], s[28:29], s[26:27]
	s_andn2_b64 s[28:29], s[14:15], exec
	s_and_b64 s[22:23], s[22:23], exec
	s_andn2_b64 s[18:19], s[18:19], exec
	s_and_b64 s[24:25], s[24:25], exec
	s_or_b64 s[22:23], s[28:29], s[22:23]
	s_or_b64 s[18:19], s[18:19], s[24:25]
	s_waitcnt lgkmcnt(0)
	v_mov_b32_e32 v12, v19
	v_mov_b32_e32 v13, v17
	;; [unrolled: 1-line block ×3, first 2 shown]
.LBB472_504:
	s_or_b64 exec, exec, s[20:21]
	s_andn2_b64 s[24:25], s[12:13], exec
	s_and_b64 s[26:27], s[26:27], exec
	s_or_b64 s[24:25], s[24:25], s[26:27]
	s_andn2_b64 s[26:27], s[14:15], exec
	s_and_b64 s[22:23], s[22:23], exec
	s_or_b64 s[22:23], s[26:27], s[22:23]
	s_andn2_b64 s[26:27], s[16:17], exec
	s_and_b64 s[18:19], s[18:19], exec
	s_xor_b64 s[20:21], exec, -1
	s_or_b64 s[18:19], s[26:27], s[18:19]
.LBB472_505:
	s_or_b64 exec, exec, s[4:5]
	s_and_b64 s[4:5], s[20:21], exec
	s_andn2_b64 s[12:13], s[12:13], exec
	s_and_b64 s[20:21], s[24:25], exec
	s_or_b64 s[12:13], s[12:13], s[20:21]
	s_andn2_b64 s[14:15], s[14:15], exec
	s_and_b64 s[20:21], s[22:23], exec
	s_andn2_b64 s[16:17], s[16:17], exec
	s_and_b64 s[18:19], s[18:19], exec
	s_or_b64 s[14:15], s[14:15], s[20:21]
	s_or_b64 s[16:17], s[16:17], s[18:19]
	s_or_b64 exec, exec, s[10:11]
	s_and_saveexec_b64 s[10:11], s[16:17]
	s_cbranch_execz .LBB472_441
.LBB472_506:
	s_andn2_b64 s[14:15], s[14:15], exec
	s_waitcnt lgkmcnt(0)
	flat_store_short v[4:5], v14
                                        ; implicit-def: $vgpr12
                                        ; implicit-def: $vgpr13
	s_or_b64 exec, exec, s[10:11]
	s_and_saveexec_b64 s[10:11], s[14:15]
	s_cbranch_execz .LBB472_442
.LBB472_507:
	s_waitcnt lgkmcnt(0)
	flat_store_short v[4:5], v13
                                        ; implicit-def: $vgpr12
	s_or_b64 exec, exec, s[10:11]
	s_and_saveexec_b64 s[10:11], s[12:13]
	s_xor_b64 s[10:11], exec, s[10:11]
	s_cbranch_execz .LBB472_443
.LBB472_508:
	s_waitcnt lgkmcnt(0)
	flat_store_short v[4:5], v12
	s_or_b64 exec, exec, s[10:11]
	s_and_b64 exec, exec, s[4:5]
	s_cbranch_execz .LBB472_527
.LBB472_509:
	v_cmp_lt_i64_e32 vcc, 2, v[0:1]
	s_and_saveexec_b64 s[4:5], vcc
	s_xor_b64 s[4:5], exec, s[4:5]
	s_cbranch_execz .LBB472_519
; %bb.510:
	v_cmp_lt_i64_e32 vcc, 3, v[0:1]
	s_and_saveexec_b64 s[10:11], vcc
	s_xor_b64 s[10:11], exec, s[10:11]
	s_cbranch_execz .LBB472_516
; %bb.511:
	;; [unrolled: 5-line block ×3, first 2 shown]
	s_waitcnt lgkmcnt(0)
	flat_store_short v[4:5], v11
                                        ; implicit-def: $vgpr4_vgpr5
                                        ; implicit-def: $vgpr6
.LBB472_513:
	s_andn2_saveexec_b64 s[12:13], s[12:13]
	s_cbranch_execz .LBB472_515
; %bb.514:
	s_waitcnt lgkmcnt(0)
	flat_store_short v[4:5], v6
.LBB472_515:
	s_or_b64 exec, exec, s[12:13]
                                        ; implicit-def: $vgpr4_vgpr5
                                        ; implicit-def: $vgpr10
.LBB472_516:
	s_andn2_saveexec_b64 s[10:11], s[10:11]
	s_cbranch_execz .LBB472_518
; %bb.517:
	s_waitcnt lgkmcnt(0)
	flat_store_short v[4:5], v10
.LBB472_518:
	s_or_b64 exec, exec, s[10:11]
                                        ; implicit-def: $vgpr0_vgpr1
                                        ; implicit-def: $vgpr4_vgpr5
                                        ; implicit-def: $vgpr7
                                        ; implicit-def: $vgpr2
                                        ; implicit-def: $vgpr3
.LBB472_519:
	s_andn2_saveexec_b64 s[4:5], s[4:5]
	s_cbranch_execz .LBB472_527
; %bb.520:
	v_cmp_lt_i64_e32 vcc, 1, v[0:1]
	s_and_saveexec_b64 s[4:5], vcc
	s_xor_b64 s[4:5], exec, s[4:5]
	s_cbranch_execz .LBB472_522
; %bb.521:
	s_waitcnt lgkmcnt(0)
	flat_store_short v[4:5], v7
                                        ; implicit-def: $vgpr4_vgpr5
                                        ; implicit-def: $vgpr2
                                        ; implicit-def: $vgpr0_vgpr1
                                        ; implicit-def: $vgpr3
.LBB472_522:
	s_andn2_saveexec_b64 s[4:5], s[4:5]
	s_cbranch_execz .LBB472_527
; %bb.523:
	v_cmp_ne_u64_e32 vcc, 1, v[0:1]
	s_and_saveexec_b64 s[4:5], vcc
	s_xor_b64 s[4:5], exec, s[4:5]
	s_cbranch_execz .LBB472_525
; %bb.524:
	s_waitcnt lgkmcnt(0)
	flat_store_short v[4:5], v3
                                        ; implicit-def: $vgpr4_vgpr5
                                        ; implicit-def: $vgpr2
.LBB472_525:
	s_andn2_saveexec_b64 s[4:5], s[4:5]
	s_cbranch_execz .LBB472_527
; %bb.526:
	s_waitcnt lgkmcnt(0)
	flat_store_short v[4:5], v2
.LBB472_527:
	s_or_b64 exec, exec, s[8:9]
.LBB472_528:
	s_or_b64 exec, exec, s[6:7]
	v_readlane_b32 s30, v40, 0
	v_readlane_b32 s31, v40, 1
	s_or_saveexec_b64 s[4:5], -1
	buffer_load_dword v40, off, s[0:3], s32 ; 4-byte Folded Reload
	s_mov_b64 exec, s[4:5]
	s_waitcnt vmcnt(0) lgkmcnt(0)
	s_setpc_b64 s[30:31]
.Lfunc_end472:
	.size	_ZZZN7rocprim17ROCPRIM_400000_NS6detail9scan_implILNS1_25lookback_scan_determinismE0ELb0ELb0ENS0_14default_configEPKN3c108BFloat16EPS6_S6_ZZZN2at6native31launch_logcumsumexp_cuda_kernelERKNSA_10TensorBaseESE_lENKUlvE_clEvENKUlvE4_clEvEUlS6_S6_E_S6_EEDaPvRmT3_T4_T5_mT6_P12ihipStream_tbENKUlT_T0_E_clISt17integral_constantIbLb1EESV_EEDaSQ_SR_ENKUlSQ_E_clINS1_13target_configIS4_NS1_20scan_config_selectorIS6_EENS1_11comp_targetILNS1_3genE4ELNS1_11target_archE910ELNS1_3gpuE8ELNS1_3repE0EEELNS0_4arch9wavefront6targetE1EEEEEDaSQ_, .Lfunc_end472-_ZZZN7rocprim17ROCPRIM_400000_NS6detail9scan_implILNS1_25lookback_scan_determinismE0ELb0ELb0ENS0_14default_configEPKN3c108BFloat16EPS6_S6_ZZZN2at6native31launch_logcumsumexp_cuda_kernelERKNSA_10TensorBaseESE_lENKUlvE_clEvENKUlvE4_clEvEUlS6_S6_E_S6_EEDaPvRmT3_T4_T5_mT6_P12ihipStream_tbENKUlT_T0_E_clISt17integral_constantIbLb1EESV_EEDaSQ_SR_ENKUlSQ_E_clINS1_13target_configIS4_NS1_20scan_config_selectorIS6_EENS1_11comp_targetILNS1_3genE4ELNS1_11target_archE910ELNS1_3gpuE8ELNS1_3repE0EEELNS0_4arch9wavefront6targetE1EEEEEDaSQ_
                                        ; -- End function
	.section	.AMDGPU.csdata,"",@progbits
; Function info:
; codeLenInByte = 113328
; NumSgprs: 84
; NumVgprs: 215
; NumAgprs: 0
; TotalNumVgprs: 215
; ScratchSize: 8
; MemoryBound: 0
	.section	.text._ZN7rocprim17ROCPRIM_400000_NS6detail17trampoline_kernelINS0_14default_configENS1_20scan_config_selectorIN3c108BFloat16EEEZZNS1_9scan_implILNS1_25lookback_scan_determinismE0ELb0ELb0ES3_PKS6_PS6_S6_ZZZN2at6native31launch_logcumsumexp_cuda_kernelERKNSD_10TensorBaseESH_lENKUlvE_clEvENKUlvE4_clEvEUlS6_S6_E_S6_EEDaPvRmT3_T4_T5_mT6_P12ihipStream_tbENKUlT_T0_E_clISt17integral_constantIbLb1EESY_EEDaST_SU_EUlST_E_NS1_11comp_targetILNS1_3genE4ELNS1_11target_archE910ELNS1_3gpuE8ELNS1_3repE0EEENS1_30default_config_static_selectorELNS0_4arch9wavefront6targetE1EEEvT1_,"axG",@progbits,_ZN7rocprim17ROCPRIM_400000_NS6detail17trampoline_kernelINS0_14default_configENS1_20scan_config_selectorIN3c108BFloat16EEEZZNS1_9scan_implILNS1_25lookback_scan_determinismE0ELb0ELb0ES3_PKS6_PS6_S6_ZZZN2at6native31launch_logcumsumexp_cuda_kernelERKNSD_10TensorBaseESH_lENKUlvE_clEvENKUlvE4_clEvEUlS6_S6_E_S6_EEDaPvRmT3_T4_T5_mT6_P12ihipStream_tbENKUlT_T0_E_clISt17integral_constantIbLb1EESY_EEDaST_SU_EUlST_E_NS1_11comp_targetILNS1_3genE4ELNS1_11target_archE910ELNS1_3gpuE8ELNS1_3repE0EEENS1_30default_config_static_selectorELNS0_4arch9wavefront6targetE1EEEvT1_,comdat
	.globl	_ZN7rocprim17ROCPRIM_400000_NS6detail17trampoline_kernelINS0_14default_configENS1_20scan_config_selectorIN3c108BFloat16EEEZZNS1_9scan_implILNS1_25lookback_scan_determinismE0ELb0ELb0ES3_PKS6_PS6_S6_ZZZN2at6native31launch_logcumsumexp_cuda_kernelERKNSD_10TensorBaseESH_lENKUlvE_clEvENKUlvE4_clEvEUlS6_S6_E_S6_EEDaPvRmT3_T4_T5_mT6_P12ihipStream_tbENKUlT_T0_E_clISt17integral_constantIbLb1EESY_EEDaST_SU_EUlST_E_NS1_11comp_targetILNS1_3genE4ELNS1_11target_archE910ELNS1_3gpuE8ELNS1_3repE0EEENS1_30default_config_static_selectorELNS0_4arch9wavefront6targetE1EEEvT1_ ; -- Begin function _ZN7rocprim17ROCPRIM_400000_NS6detail17trampoline_kernelINS0_14default_configENS1_20scan_config_selectorIN3c108BFloat16EEEZZNS1_9scan_implILNS1_25lookback_scan_determinismE0ELb0ELb0ES3_PKS6_PS6_S6_ZZZN2at6native31launch_logcumsumexp_cuda_kernelERKNSD_10TensorBaseESH_lENKUlvE_clEvENKUlvE4_clEvEUlS6_S6_E_S6_EEDaPvRmT3_T4_T5_mT6_P12ihipStream_tbENKUlT_T0_E_clISt17integral_constantIbLb1EESY_EEDaST_SU_EUlST_E_NS1_11comp_targetILNS1_3genE4ELNS1_11target_archE910ELNS1_3gpuE8ELNS1_3repE0EEENS1_30default_config_static_selectorELNS0_4arch9wavefront6targetE1EEEvT1_
	.p2align	8
	.type	_ZN7rocprim17ROCPRIM_400000_NS6detail17trampoline_kernelINS0_14default_configENS1_20scan_config_selectorIN3c108BFloat16EEEZZNS1_9scan_implILNS1_25lookback_scan_determinismE0ELb0ELb0ES3_PKS6_PS6_S6_ZZZN2at6native31launch_logcumsumexp_cuda_kernelERKNSD_10TensorBaseESH_lENKUlvE_clEvENKUlvE4_clEvEUlS6_S6_E_S6_EEDaPvRmT3_T4_T5_mT6_P12ihipStream_tbENKUlT_T0_E_clISt17integral_constantIbLb1EESY_EEDaST_SU_EUlST_E_NS1_11comp_targetILNS1_3genE4ELNS1_11target_archE910ELNS1_3gpuE8ELNS1_3repE0EEENS1_30default_config_static_selectorELNS0_4arch9wavefront6targetE1EEEvT1_,@function
_ZN7rocprim17ROCPRIM_400000_NS6detail17trampoline_kernelINS0_14default_configENS1_20scan_config_selectorIN3c108BFloat16EEEZZNS1_9scan_implILNS1_25lookback_scan_determinismE0ELb0ELb0ES3_PKS6_PS6_S6_ZZZN2at6native31launch_logcumsumexp_cuda_kernelERKNSD_10TensorBaseESH_lENKUlvE_clEvENKUlvE4_clEvEUlS6_S6_E_S6_EEDaPvRmT3_T4_T5_mT6_P12ihipStream_tbENKUlT_T0_E_clISt17integral_constantIbLb1EESY_EEDaST_SU_EUlST_E_NS1_11comp_targetILNS1_3genE4ELNS1_11target_archE910ELNS1_3gpuE8ELNS1_3repE0EEENS1_30default_config_static_selectorELNS0_4arch9wavefront6targetE1EEEvT1_: ; @_ZN7rocprim17ROCPRIM_400000_NS6detail17trampoline_kernelINS0_14default_configENS1_20scan_config_selectorIN3c108BFloat16EEEZZNS1_9scan_implILNS1_25lookback_scan_determinismE0ELb0ELb0ES3_PKS6_PS6_S6_ZZZN2at6native31launch_logcumsumexp_cuda_kernelERKNSD_10TensorBaseESH_lENKUlvE_clEvENKUlvE4_clEvEUlS6_S6_E_S6_EEDaPvRmT3_T4_T5_mT6_P12ihipStream_tbENKUlT_T0_E_clISt17integral_constantIbLb1EESY_EEDaST_SU_EUlST_E_NS1_11comp_targetILNS1_3genE4ELNS1_11target_archE910ELNS1_3gpuE8ELNS1_3repE0EEENS1_30default_config_static_selectorELNS0_4arch9wavefront6targetE1EEEvT1_
; %bb.0:
	s_add_u32 flat_scratch_lo, s6, s9
	s_addc_u32 flat_scratch_hi, s7, 0
	s_add_u32 s0, s0, s9
	s_load_dwordx8 s[8:15], s[4:5], 0x0
	s_addc_u32 s1, s1, 0
	s_load_dwordx8 s[16:23], s[4:5], 0x20
	s_mov_b64 s[6:7], src_private_base
	v_mov_b32_e32 v31, v0
	s_waitcnt lgkmcnt(0)
	v_mov_b32_e32 v1, s11
	v_mov_b32_e32 v2, s10
	buffer_store_dword v1, off, s[0:3], 0 offset:12
	buffer_store_dword v2, off, s[0:3], 0 offset:8
	v_mov_b32_e32 v1, s9
	buffer_store_dword v1, off, s[0:3], 0 offset:4
	v_mov_b32_e32 v1, s8
	buffer_store_dword v1, off, s[0:3], 0
	v_mov_b32_e32 v1, s15
	buffer_store_dword v1, off, s[0:3], 0 offset:28
	v_mov_b32_e32 v1, s14
	buffer_store_dword v1, off, s[0:3], 0 offset:24
	;; [unrolled: 2-line block ×7, first 2 shown]
	v_mov_b32_e32 v1, s16
	s_load_dwordx8 s[8:15], s[4:5], 0x40
	buffer_store_dword v1, off, s[0:3], 0 offset:32
	v_mov_b32_e32 v1, s23
	buffer_store_dword v1, off, s[0:3], 0 offset:60
	v_mov_b32_e32 v1, s22
	;; [unrolled: 2-line block ×4, first 2 shown]
	buffer_store_dword v1, off, s[0:3], 0 offset:48
	s_waitcnt lgkmcnt(0)
	v_mov_b32_e32 v1, s11
	buffer_store_dword v1, off, s[0:3], 0 offset:76
	v_mov_b32_e32 v1, s10
	buffer_store_dword v1, off, s[0:3], 0 offset:72
	;; [unrolled: 2-line block ×7, first 2 shown]
	v_mov_b32_e32 v1, s12
	s_add_u32 s8, s4, 0x60
	buffer_store_dword v1, off, s[0:3], 0 offset:80
	s_addc_u32 s9, s5, 0
	v_mov_b32_e32 v0, 0
	v_mov_b32_e32 v1, s7
	s_movk_i32 s32, 0x1c00
	s_getpc_b64 s[4:5]
	s_add_u32 s4, s4, _ZZZN7rocprim17ROCPRIM_400000_NS6detail9scan_implILNS1_25lookback_scan_determinismE0ELb0ELb0ENS0_14default_configEPKN3c108BFloat16EPS6_S6_ZZZN2at6native31launch_logcumsumexp_cuda_kernelERKNSA_10TensorBaseESE_lENKUlvE_clEvENKUlvE4_clEvEUlS6_S6_E_S6_EEDaPvRmT3_T4_T5_mT6_P12ihipStream_tbENKUlT_T0_E_clISt17integral_constantIbLb1EESV_EEDaSQ_SR_ENKUlSQ_E_clINS1_13target_configIS4_NS1_20scan_config_selectorIS6_EENS1_11comp_targetILNS1_3genE4ELNS1_11target_archE910ELNS1_3gpuE8ELNS1_3repE0EEELNS0_4arch9wavefront6targetE1EEEEEDaSQ_@rel32@lo+4
	s_addc_u32 s5, s5, _ZZZN7rocprim17ROCPRIM_400000_NS6detail9scan_implILNS1_25lookback_scan_determinismE0ELb0ELb0ENS0_14default_configEPKN3c108BFloat16EPS6_S6_ZZZN2at6native31launch_logcumsumexp_cuda_kernelERKNSA_10TensorBaseESE_lENKUlvE_clEvENKUlvE4_clEvEUlS6_S6_E_S6_EEDaPvRmT3_T4_T5_mT6_P12ihipStream_tbENKUlT_T0_E_clISt17integral_constantIbLb1EESV_EEDaSQ_SR_ENKUlSQ_E_clINS1_13target_configIS4_NS1_20scan_config_selectorIS6_EENS1_11comp_targetILNS1_3genE4ELNS1_11target_archE910ELNS1_3gpuE8ELNS1_3repE0EEELNS0_4arch9wavefront6targetE1EEEEEDaSQ_@rel32@hi+12
	s_swappc_b64 s[30:31], s[4:5]
	s_endpgm
	.section	.rodata,"a",@progbits
	.p2align	6, 0x0
	.amdhsa_kernel _ZN7rocprim17ROCPRIM_400000_NS6detail17trampoline_kernelINS0_14default_configENS1_20scan_config_selectorIN3c108BFloat16EEEZZNS1_9scan_implILNS1_25lookback_scan_determinismE0ELb0ELb0ES3_PKS6_PS6_S6_ZZZN2at6native31launch_logcumsumexp_cuda_kernelERKNSD_10TensorBaseESH_lENKUlvE_clEvENKUlvE4_clEvEUlS6_S6_E_S6_EEDaPvRmT3_T4_T5_mT6_P12ihipStream_tbENKUlT_T0_E_clISt17integral_constantIbLb1EESY_EEDaST_SU_EUlST_E_NS1_11comp_targetILNS1_3genE4ELNS1_11target_archE910ELNS1_3gpuE8ELNS1_3repE0EEENS1_30default_config_static_selectorELNS0_4arch9wavefront6targetE1EEEvT1_
		.amdhsa_group_segment_fixed_size 3072
		.amdhsa_private_segment_fixed_size 120
		.amdhsa_kernarg_size 352
		.amdhsa_user_sgpr_count 8
		.amdhsa_user_sgpr_private_segment_buffer 1
		.amdhsa_user_sgpr_dispatch_ptr 0
		.amdhsa_user_sgpr_queue_ptr 0
		.amdhsa_user_sgpr_kernarg_segment_ptr 1
		.amdhsa_user_sgpr_dispatch_id 0
		.amdhsa_user_sgpr_flat_scratch_init 1
		.amdhsa_user_sgpr_kernarg_preload_length 0
		.amdhsa_user_sgpr_kernarg_preload_offset 0
		.amdhsa_user_sgpr_private_segment_size 0
		.amdhsa_uses_dynamic_stack 0
		.amdhsa_system_sgpr_private_segment_wavefront_offset 1
		.amdhsa_system_sgpr_workgroup_id_x 1
		.amdhsa_system_sgpr_workgroup_id_y 0
		.amdhsa_system_sgpr_workgroup_id_z 0
		.amdhsa_system_sgpr_workgroup_info 0
		.amdhsa_system_vgpr_workitem_id 0
		.amdhsa_next_free_vgpr 215
		.amdhsa_next_free_sgpr 80
		.amdhsa_accum_offset 216
		.amdhsa_reserve_vcc 1
		.amdhsa_reserve_flat_scratch 1
		.amdhsa_float_round_mode_32 0
		.amdhsa_float_round_mode_16_64 0
		.amdhsa_float_denorm_mode_32 3
		.amdhsa_float_denorm_mode_16_64 3
		.amdhsa_dx10_clamp 1
		.amdhsa_ieee_mode 1
		.amdhsa_fp16_overflow 0
		.amdhsa_tg_split 0
		.amdhsa_exception_fp_ieee_invalid_op 0
		.amdhsa_exception_fp_denorm_src 0
		.amdhsa_exception_fp_ieee_div_zero 0
		.amdhsa_exception_fp_ieee_overflow 0
		.amdhsa_exception_fp_ieee_underflow 0
		.amdhsa_exception_fp_ieee_inexact 0
		.amdhsa_exception_int_div_zero 0
	.end_amdhsa_kernel
	.section	.text._ZN7rocprim17ROCPRIM_400000_NS6detail17trampoline_kernelINS0_14default_configENS1_20scan_config_selectorIN3c108BFloat16EEEZZNS1_9scan_implILNS1_25lookback_scan_determinismE0ELb0ELb0ES3_PKS6_PS6_S6_ZZZN2at6native31launch_logcumsumexp_cuda_kernelERKNSD_10TensorBaseESH_lENKUlvE_clEvENKUlvE4_clEvEUlS6_S6_E_S6_EEDaPvRmT3_T4_T5_mT6_P12ihipStream_tbENKUlT_T0_E_clISt17integral_constantIbLb1EESY_EEDaST_SU_EUlST_E_NS1_11comp_targetILNS1_3genE4ELNS1_11target_archE910ELNS1_3gpuE8ELNS1_3repE0EEENS1_30default_config_static_selectorELNS0_4arch9wavefront6targetE1EEEvT1_,"axG",@progbits,_ZN7rocprim17ROCPRIM_400000_NS6detail17trampoline_kernelINS0_14default_configENS1_20scan_config_selectorIN3c108BFloat16EEEZZNS1_9scan_implILNS1_25lookback_scan_determinismE0ELb0ELb0ES3_PKS6_PS6_S6_ZZZN2at6native31launch_logcumsumexp_cuda_kernelERKNSD_10TensorBaseESH_lENKUlvE_clEvENKUlvE4_clEvEUlS6_S6_E_S6_EEDaPvRmT3_T4_T5_mT6_P12ihipStream_tbENKUlT_T0_E_clISt17integral_constantIbLb1EESY_EEDaST_SU_EUlST_E_NS1_11comp_targetILNS1_3genE4ELNS1_11target_archE910ELNS1_3gpuE8ELNS1_3repE0EEENS1_30default_config_static_selectorELNS0_4arch9wavefront6targetE1EEEvT1_,comdat
.Lfunc_end473:
	.size	_ZN7rocprim17ROCPRIM_400000_NS6detail17trampoline_kernelINS0_14default_configENS1_20scan_config_selectorIN3c108BFloat16EEEZZNS1_9scan_implILNS1_25lookback_scan_determinismE0ELb0ELb0ES3_PKS6_PS6_S6_ZZZN2at6native31launch_logcumsumexp_cuda_kernelERKNSD_10TensorBaseESH_lENKUlvE_clEvENKUlvE4_clEvEUlS6_S6_E_S6_EEDaPvRmT3_T4_T5_mT6_P12ihipStream_tbENKUlT_T0_E_clISt17integral_constantIbLb1EESY_EEDaST_SU_EUlST_E_NS1_11comp_targetILNS1_3genE4ELNS1_11target_archE910ELNS1_3gpuE8ELNS1_3repE0EEENS1_30default_config_static_selectorELNS0_4arch9wavefront6targetE1EEEvT1_, .Lfunc_end473-_ZN7rocprim17ROCPRIM_400000_NS6detail17trampoline_kernelINS0_14default_configENS1_20scan_config_selectorIN3c108BFloat16EEEZZNS1_9scan_implILNS1_25lookback_scan_determinismE0ELb0ELb0ES3_PKS6_PS6_S6_ZZZN2at6native31launch_logcumsumexp_cuda_kernelERKNSD_10TensorBaseESH_lENKUlvE_clEvENKUlvE4_clEvEUlS6_S6_E_S6_EEDaPvRmT3_T4_T5_mT6_P12ihipStream_tbENKUlT_T0_E_clISt17integral_constantIbLb1EESY_EEDaST_SU_EUlST_E_NS1_11comp_targetILNS1_3genE4ELNS1_11target_archE910ELNS1_3gpuE8ELNS1_3repE0EEENS1_30default_config_static_selectorELNS0_4arch9wavefront6targetE1EEEvT1_
                                        ; -- End function
	.section	.AMDGPU.csdata,"",@progbits
; Kernel info:
; codeLenInByte = 396
; NumSgprs: 86
; NumVgprs: 215
; NumAgprs: 0
; TotalNumVgprs: 215
; ScratchSize: 120
; MemoryBound: 0
; FloatMode: 240
; IeeeMode: 1
; LDSByteSize: 3072 bytes/workgroup (compile time only)
; SGPRBlocks: 10
; VGPRBlocks: 26
; NumSGPRsForWavesPerEU: 86
; NumVGPRsForWavesPerEU: 215
; AccumOffset: 216
; Occupancy: 2
; WaveLimiterHint : 1
; COMPUTE_PGM_RSRC2:SCRATCH_EN: 1
; COMPUTE_PGM_RSRC2:USER_SGPR: 8
; COMPUTE_PGM_RSRC2:TRAP_HANDLER: 0
; COMPUTE_PGM_RSRC2:TGID_X_EN: 1
; COMPUTE_PGM_RSRC2:TGID_Y_EN: 0
; COMPUTE_PGM_RSRC2:TGID_Z_EN: 0
; COMPUTE_PGM_RSRC2:TIDIG_COMP_CNT: 0
; COMPUTE_PGM_RSRC3_GFX90A:ACCUM_OFFSET: 53
; COMPUTE_PGM_RSRC3_GFX90A:TG_SPLIT: 0
	.section	.text._ZN7rocprim17ROCPRIM_400000_NS6detail17trampoline_kernelINS0_14default_configENS1_20scan_config_selectorIN3c108BFloat16EEEZZNS1_9scan_implILNS1_25lookback_scan_determinismE0ELb0ELb0ES3_PKS6_PS6_S6_ZZZN2at6native31launch_logcumsumexp_cuda_kernelERKNSD_10TensorBaseESH_lENKUlvE_clEvENKUlvE4_clEvEUlS6_S6_E_S6_EEDaPvRmT3_T4_T5_mT6_P12ihipStream_tbENKUlT_T0_E_clISt17integral_constantIbLb1EESY_EEDaST_SU_EUlST_E_NS1_11comp_targetILNS1_3genE3ELNS1_11target_archE908ELNS1_3gpuE7ELNS1_3repE0EEENS1_30default_config_static_selectorELNS0_4arch9wavefront6targetE1EEEvT1_,"axG",@progbits,_ZN7rocprim17ROCPRIM_400000_NS6detail17trampoline_kernelINS0_14default_configENS1_20scan_config_selectorIN3c108BFloat16EEEZZNS1_9scan_implILNS1_25lookback_scan_determinismE0ELb0ELb0ES3_PKS6_PS6_S6_ZZZN2at6native31launch_logcumsumexp_cuda_kernelERKNSD_10TensorBaseESH_lENKUlvE_clEvENKUlvE4_clEvEUlS6_S6_E_S6_EEDaPvRmT3_T4_T5_mT6_P12ihipStream_tbENKUlT_T0_E_clISt17integral_constantIbLb1EESY_EEDaST_SU_EUlST_E_NS1_11comp_targetILNS1_3genE3ELNS1_11target_archE908ELNS1_3gpuE7ELNS1_3repE0EEENS1_30default_config_static_selectorELNS0_4arch9wavefront6targetE1EEEvT1_,comdat
	.globl	_ZN7rocprim17ROCPRIM_400000_NS6detail17trampoline_kernelINS0_14default_configENS1_20scan_config_selectorIN3c108BFloat16EEEZZNS1_9scan_implILNS1_25lookback_scan_determinismE0ELb0ELb0ES3_PKS6_PS6_S6_ZZZN2at6native31launch_logcumsumexp_cuda_kernelERKNSD_10TensorBaseESH_lENKUlvE_clEvENKUlvE4_clEvEUlS6_S6_E_S6_EEDaPvRmT3_T4_T5_mT6_P12ihipStream_tbENKUlT_T0_E_clISt17integral_constantIbLb1EESY_EEDaST_SU_EUlST_E_NS1_11comp_targetILNS1_3genE3ELNS1_11target_archE908ELNS1_3gpuE7ELNS1_3repE0EEENS1_30default_config_static_selectorELNS0_4arch9wavefront6targetE1EEEvT1_ ; -- Begin function _ZN7rocprim17ROCPRIM_400000_NS6detail17trampoline_kernelINS0_14default_configENS1_20scan_config_selectorIN3c108BFloat16EEEZZNS1_9scan_implILNS1_25lookback_scan_determinismE0ELb0ELb0ES3_PKS6_PS6_S6_ZZZN2at6native31launch_logcumsumexp_cuda_kernelERKNSD_10TensorBaseESH_lENKUlvE_clEvENKUlvE4_clEvEUlS6_S6_E_S6_EEDaPvRmT3_T4_T5_mT6_P12ihipStream_tbENKUlT_T0_E_clISt17integral_constantIbLb1EESY_EEDaST_SU_EUlST_E_NS1_11comp_targetILNS1_3genE3ELNS1_11target_archE908ELNS1_3gpuE7ELNS1_3repE0EEENS1_30default_config_static_selectorELNS0_4arch9wavefront6targetE1EEEvT1_
	.p2align	8
	.type	_ZN7rocprim17ROCPRIM_400000_NS6detail17trampoline_kernelINS0_14default_configENS1_20scan_config_selectorIN3c108BFloat16EEEZZNS1_9scan_implILNS1_25lookback_scan_determinismE0ELb0ELb0ES3_PKS6_PS6_S6_ZZZN2at6native31launch_logcumsumexp_cuda_kernelERKNSD_10TensorBaseESH_lENKUlvE_clEvENKUlvE4_clEvEUlS6_S6_E_S6_EEDaPvRmT3_T4_T5_mT6_P12ihipStream_tbENKUlT_T0_E_clISt17integral_constantIbLb1EESY_EEDaST_SU_EUlST_E_NS1_11comp_targetILNS1_3genE3ELNS1_11target_archE908ELNS1_3gpuE7ELNS1_3repE0EEENS1_30default_config_static_selectorELNS0_4arch9wavefront6targetE1EEEvT1_,@function
_ZN7rocprim17ROCPRIM_400000_NS6detail17trampoline_kernelINS0_14default_configENS1_20scan_config_selectorIN3c108BFloat16EEEZZNS1_9scan_implILNS1_25lookback_scan_determinismE0ELb0ELb0ES3_PKS6_PS6_S6_ZZZN2at6native31launch_logcumsumexp_cuda_kernelERKNSD_10TensorBaseESH_lENKUlvE_clEvENKUlvE4_clEvEUlS6_S6_E_S6_EEDaPvRmT3_T4_T5_mT6_P12ihipStream_tbENKUlT_T0_E_clISt17integral_constantIbLb1EESY_EEDaST_SU_EUlST_E_NS1_11comp_targetILNS1_3genE3ELNS1_11target_archE908ELNS1_3gpuE7ELNS1_3repE0EEENS1_30default_config_static_selectorELNS0_4arch9wavefront6targetE1EEEvT1_: ; @_ZN7rocprim17ROCPRIM_400000_NS6detail17trampoline_kernelINS0_14default_configENS1_20scan_config_selectorIN3c108BFloat16EEEZZNS1_9scan_implILNS1_25lookback_scan_determinismE0ELb0ELb0ES3_PKS6_PS6_S6_ZZZN2at6native31launch_logcumsumexp_cuda_kernelERKNSD_10TensorBaseESH_lENKUlvE_clEvENKUlvE4_clEvEUlS6_S6_E_S6_EEDaPvRmT3_T4_T5_mT6_P12ihipStream_tbENKUlT_T0_E_clISt17integral_constantIbLb1EESY_EEDaST_SU_EUlST_E_NS1_11comp_targetILNS1_3genE3ELNS1_11target_archE908ELNS1_3gpuE7ELNS1_3repE0EEENS1_30default_config_static_selectorELNS0_4arch9wavefront6targetE1EEEvT1_
; %bb.0:
	.section	.rodata,"a",@progbits
	.p2align	6, 0x0
	.amdhsa_kernel _ZN7rocprim17ROCPRIM_400000_NS6detail17trampoline_kernelINS0_14default_configENS1_20scan_config_selectorIN3c108BFloat16EEEZZNS1_9scan_implILNS1_25lookback_scan_determinismE0ELb0ELb0ES3_PKS6_PS6_S6_ZZZN2at6native31launch_logcumsumexp_cuda_kernelERKNSD_10TensorBaseESH_lENKUlvE_clEvENKUlvE4_clEvEUlS6_S6_E_S6_EEDaPvRmT3_T4_T5_mT6_P12ihipStream_tbENKUlT_T0_E_clISt17integral_constantIbLb1EESY_EEDaST_SU_EUlST_E_NS1_11comp_targetILNS1_3genE3ELNS1_11target_archE908ELNS1_3gpuE7ELNS1_3repE0EEENS1_30default_config_static_selectorELNS0_4arch9wavefront6targetE1EEEvT1_
		.amdhsa_group_segment_fixed_size 0
		.amdhsa_private_segment_fixed_size 0
		.amdhsa_kernarg_size 96
		.amdhsa_user_sgpr_count 6
		.amdhsa_user_sgpr_private_segment_buffer 1
		.amdhsa_user_sgpr_dispatch_ptr 0
		.amdhsa_user_sgpr_queue_ptr 0
		.amdhsa_user_sgpr_kernarg_segment_ptr 1
		.amdhsa_user_sgpr_dispatch_id 0
		.amdhsa_user_sgpr_flat_scratch_init 0
		.amdhsa_user_sgpr_kernarg_preload_length 0
		.amdhsa_user_sgpr_kernarg_preload_offset 0
		.amdhsa_user_sgpr_private_segment_size 0
		.amdhsa_uses_dynamic_stack 0
		.amdhsa_system_sgpr_private_segment_wavefront_offset 0
		.amdhsa_system_sgpr_workgroup_id_x 1
		.amdhsa_system_sgpr_workgroup_id_y 0
		.amdhsa_system_sgpr_workgroup_id_z 0
		.amdhsa_system_sgpr_workgroup_info 0
		.amdhsa_system_vgpr_workitem_id 0
		.amdhsa_next_free_vgpr 1
		.amdhsa_next_free_sgpr 0
		.amdhsa_accum_offset 4
		.amdhsa_reserve_vcc 0
		.amdhsa_reserve_flat_scratch 0
		.amdhsa_float_round_mode_32 0
		.amdhsa_float_round_mode_16_64 0
		.amdhsa_float_denorm_mode_32 3
		.amdhsa_float_denorm_mode_16_64 3
		.amdhsa_dx10_clamp 1
		.amdhsa_ieee_mode 1
		.amdhsa_fp16_overflow 0
		.amdhsa_tg_split 0
		.amdhsa_exception_fp_ieee_invalid_op 0
		.amdhsa_exception_fp_denorm_src 0
		.amdhsa_exception_fp_ieee_div_zero 0
		.amdhsa_exception_fp_ieee_overflow 0
		.amdhsa_exception_fp_ieee_underflow 0
		.amdhsa_exception_fp_ieee_inexact 0
		.amdhsa_exception_int_div_zero 0
	.end_amdhsa_kernel
	.section	.text._ZN7rocprim17ROCPRIM_400000_NS6detail17trampoline_kernelINS0_14default_configENS1_20scan_config_selectorIN3c108BFloat16EEEZZNS1_9scan_implILNS1_25lookback_scan_determinismE0ELb0ELb0ES3_PKS6_PS6_S6_ZZZN2at6native31launch_logcumsumexp_cuda_kernelERKNSD_10TensorBaseESH_lENKUlvE_clEvENKUlvE4_clEvEUlS6_S6_E_S6_EEDaPvRmT3_T4_T5_mT6_P12ihipStream_tbENKUlT_T0_E_clISt17integral_constantIbLb1EESY_EEDaST_SU_EUlST_E_NS1_11comp_targetILNS1_3genE3ELNS1_11target_archE908ELNS1_3gpuE7ELNS1_3repE0EEENS1_30default_config_static_selectorELNS0_4arch9wavefront6targetE1EEEvT1_,"axG",@progbits,_ZN7rocprim17ROCPRIM_400000_NS6detail17trampoline_kernelINS0_14default_configENS1_20scan_config_selectorIN3c108BFloat16EEEZZNS1_9scan_implILNS1_25lookback_scan_determinismE0ELb0ELb0ES3_PKS6_PS6_S6_ZZZN2at6native31launch_logcumsumexp_cuda_kernelERKNSD_10TensorBaseESH_lENKUlvE_clEvENKUlvE4_clEvEUlS6_S6_E_S6_EEDaPvRmT3_T4_T5_mT6_P12ihipStream_tbENKUlT_T0_E_clISt17integral_constantIbLb1EESY_EEDaST_SU_EUlST_E_NS1_11comp_targetILNS1_3genE3ELNS1_11target_archE908ELNS1_3gpuE7ELNS1_3repE0EEENS1_30default_config_static_selectorELNS0_4arch9wavefront6targetE1EEEvT1_,comdat
.Lfunc_end474:
	.size	_ZN7rocprim17ROCPRIM_400000_NS6detail17trampoline_kernelINS0_14default_configENS1_20scan_config_selectorIN3c108BFloat16EEEZZNS1_9scan_implILNS1_25lookback_scan_determinismE0ELb0ELb0ES3_PKS6_PS6_S6_ZZZN2at6native31launch_logcumsumexp_cuda_kernelERKNSD_10TensorBaseESH_lENKUlvE_clEvENKUlvE4_clEvEUlS6_S6_E_S6_EEDaPvRmT3_T4_T5_mT6_P12ihipStream_tbENKUlT_T0_E_clISt17integral_constantIbLb1EESY_EEDaST_SU_EUlST_E_NS1_11comp_targetILNS1_3genE3ELNS1_11target_archE908ELNS1_3gpuE7ELNS1_3repE0EEENS1_30default_config_static_selectorELNS0_4arch9wavefront6targetE1EEEvT1_, .Lfunc_end474-_ZN7rocprim17ROCPRIM_400000_NS6detail17trampoline_kernelINS0_14default_configENS1_20scan_config_selectorIN3c108BFloat16EEEZZNS1_9scan_implILNS1_25lookback_scan_determinismE0ELb0ELb0ES3_PKS6_PS6_S6_ZZZN2at6native31launch_logcumsumexp_cuda_kernelERKNSD_10TensorBaseESH_lENKUlvE_clEvENKUlvE4_clEvEUlS6_S6_E_S6_EEDaPvRmT3_T4_T5_mT6_P12ihipStream_tbENKUlT_T0_E_clISt17integral_constantIbLb1EESY_EEDaST_SU_EUlST_E_NS1_11comp_targetILNS1_3genE3ELNS1_11target_archE908ELNS1_3gpuE7ELNS1_3repE0EEENS1_30default_config_static_selectorELNS0_4arch9wavefront6targetE1EEEvT1_
                                        ; -- End function
	.section	.AMDGPU.csdata,"",@progbits
; Kernel info:
; codeLenInByte = 0
; NumSgprs: 4
; NumVgprs: 0
; NumAgprs: 0
; TotalNumVgprs: 0
; ScratchSize: 0
; MemoryBound: 0
; FloatMode: 240
; IeeeMode: 1
; LDSByteSize: 0 bytes/workgroup (compile time only)
; SGPRBlocks: 0
; VGPRBlocks: 0
; NumSGPRsForWavesPerEU: 4
; NumVGPRsForWavesPerEU: 1
; AccumOffset: 4
; Occupancy: 8
; WaveLimiterHint : 0
; COMPUTE_PGM_RSRC2:SCRATCH_EN: 0
; COMPUTE_PGM_RSRC2:USER_SGPR: 6
; COMPUTE_PGM_RSRC2:TRAP_HANDLER: 0
; COMPUTE_PGM_RSRC2:TGID_X_EN: 1
; COMPUTE_PGM_RSRC2:TGID_Y_EN: 0
; COMPUTE_PGM_RSRC2:TGID_Z_EN: 0
; COMPUTE_PGM_RSRC2:TIDIG_COMP_CNT: 0
; COMPUTE_PGM_RSRC3_GFX90A:ACCUM_OFFSET: 0
; COMPUTE_PGM_RSRC3_GFX90A:TG_SPLIT: 0
	.section	.text._ZN7rocprim17ROCPRIM_400000_NS6detail17trampoline_kernelINS0_14default_configENS1_20scan_config_selectorIN3c108BFloat16EEEZZNS1_9scan_implILNS1_25lookback_scan_determinismE0ELb0ELb0ES3_PKS6_PS6_S6_ZZZN2at6native31launch_logcumsumexp_cuda_kernelERKNSD_10TensorBaseESH_lENKUlvE_clEvENKUlvE4_clEvEUlS6_S6_E_S6_EEDaPvRmT3_T4_T5_mT6_P12ihipStream_tbENKUlT_T0_E_clISt17integral_constantIbLb1EESY_EEDaST_SU_EUlST_E_NS1_11comp_targetILNS1_3genE2ELNS1_11target_archE906ELNS1_3gpuE6ELNS1_3repE0EEENS1_30default_config_static_selectorELNS0_4arch9wavefront6targetE1EEEvT1_,"axG",@progbits,_ZN7rocprim17ROCPRIM_400000_NS6detail17trampoline_kernelINS0_14default_configENS1_20scan_config_selectorIN3c108BFloat16EEEZZNS1_9scan_implILNS1_25lookback_scan_determinismE0ELb0ELb0ES3_PKS6_PS6_S6_ZZZN2at6native31launch_logcumsumexp_cuda_kernelERKNSD_10TensorBaseESH_lENKUlvE_clEvENKUlvE4_clEvEUlS6_S6_E_S6_EEDaPvRmT3_T4_T5_mT6_P12ihipStream_tbENKUlT_T0_E_clISt17integral_constantIbLb1EESY_EEDaST_SU_EUlST_E_NS1_11comp_targetILNS1_3genE2ELNS1_11target_archE906ELNS1_3gpuE6ELNS1_3repE0EEENS1_30default_config_static_selectorELNS0_4arch9wavefront6targetE1EEEvT1_,comdat
	.globl	_ZN7rocprim17ROCPRIM_400000_NS6detail17trampoline_kernelINS0_14default_configENS1_20scan_config_selectorIN3c108BFloat16EEEZZNS1_9scan_implILNS1_25lookback_scan_determinismE0ELb0ELb0ES3_PKS6_PS6_S6_ZZZN2at6native31launch_logcumsumexp_cuda_kernelERKNSD_10TensorBaseESH_lENKUlvE_clEvENKUlvE4_clEvEUlS6_S6_E_S6_EEDaPvRmT3_T4_T5_mT6_P12ihipStream_tbENKUlT_T0_E_clISt17integral_constantIbLb1EESY_EEDaST_SU_EUlST_E_NS1_11comp_targetILNS1_3genE2ELNS1_11target_archE906ELNS1_3gpuE6ELNS1_3repE0EEENS1_30default_config_static_selectorELNS0_4arch9wavefront6targetE1EEEvT1_ ; -- Begin function _ZN7rocprim17ROCPRIM_400000_NS6detail17trampoline_kernelINS0_14default_configENS1_20scan_config_selectorIN3c108BFloat16EEEZZNS1_9scan_implILNS1_25lookback_scan_determinismE0ELb0ELb0ES3_PKS6_PS6_S6_ZZZN2at6native31launch_logcumsumexp_cuda_kernelERKNSD_10TensorBaseESH_lENKUlvE_clEvENKUlvE4_clEvEUlS6_S6_E_S6_EEDaPvRmT3_T4_T5_mT6_P12ihipStream_tbENKUlT_T0_E_clISt17integral_constantIbLb1EESY_EEDaST_SU_EUlST_E_NS1_11comp_targetILNS1_3genE2ELNS1_11target_archE906ELNS1_3gpuE6ELNS1_3repE0EEENS1_30default_config_static_selectorELNS0_4arch9wavefront6targetE1EEEvT1_
	.p2align	8
	.type	_ZN7rocprim17ROCPRIM_400000_NS6detail17trampoline_kernelINS0_14default_configENS1_20scan_config_selectorIN3c108BFloat16EEEZZNS1_9scan_implILNS1_25lookback_scan_determinismE0ELb0ELb0ES3_PKS6_PS6_S6_ZZZN2at6native31launch_logcumsumexp_cuda_kernelERKNSD_10TensorBaseESH_lENKUlvE_clEvENKUlvE4_clEvEUlS6_S6_E_S6_EEDaPvRmT3_T4_T5_mT6_P12ihipStream_tbENKUlT_T0_E_clISt17integral_constantIbLb1EESY_EEDaST_SU_EUlST_E_NS1_11comp_targetILNS1_3genE2ELNS1_11target_archE906ELNS1_3gpuE6ELNS1_3repE0EEENS1_30default_config_static_selectorELNS0_4arch9wavefront6targetE1EEEvT1_,@function
_ZN7rocprim17ROCPRIM_400000_NS6detail17trampoline_kernelINS0_14default_configENS1_20scan_config_selectorIN3c108BFloat16EEEZZNS1_9scan_implILNS1_25lookback_scan_determinismE0ELb0ELb0ES3_PKS6_PS6_S6_ZZZN2at6native31launch_logcumsumexp_cuda_kernelERKNSD_10TensorBaseESH_lENKUlvE_clEvENKUlvE4_clEvEUlS6_S6_E_S6_EEDaPvRmT3_T4_T5_mT6_P12ihipStream_tbENKUlT_T0_E_clISt17integral_constantIbLb1EESY_EEDaST_SU_EUlST_E_NS1_11comp_targetILNS1_3genE2ELNS1_11target_archE906ELNS1_3gpuE6ELNS1_3repE0EEENS1_30default_config_static_selectorELNS0_4arch9wavefront6targetE1EEEvT1_: ; @_ZN7rocprim17ROCPRIM_400000_NS6detail17trampoline_kernelINS0_14default_configENS1_20scan_config_selectorIN3c108BFloat16EEEZZNS1_9scan_implILNS1_25lookback_scan_determinismE0ELb0ELb0ES3_PKS6_PS6_S6_ZZZN2at6native31launch_logcumsumexp_cuda_kernelERKNSD_10TensorBaseESH_lENKUlvE_clEvENKUlvE4_clEvEUlS6_S6_E_S6_EEDaPvRmT3_T4_T5_mT6_P12ihipStream_tbENKUlT_T0_E_clISt17integral_constantIbLb1EESY_EEDaST_SU_EUlST_E_NS1_11comp_targetILNS1_3genE2ELNS1_11target_archE906ELNS1_3gpuE6ELNS1_3repE0EEENS1_30default_config_static_selectorELNS0_4arch9wavefront6targetE1EEEvT1_
; %bb.0:
	.section	.rodata,"a",@progbits
	.p2align	6, 0x0
	.amdhsa_kernel _ZN7rocprim17ROCPRIM_400000_NS6detail17trampoline_kernelINS0_14default_configENS1_20scan_config_selectorIN3c108BFloat16EEEZZNS1_9scan_implILNS1_25lookback_scan_determinismE0ELb0ELb0ES3_PKS6_PS6_S6_ZZZN2at6native31launch_logcumsumexp_cuda_kernelERKNSD_10TensorBaseESH_lENKUlvE_clEvENKUlvE4_clEvEUlS6_S6_E_S6_EEDaPvRmT3_T4_T5_mT6_P12ihipStream_tbENKUlT_T0_E_clISt17integral_constantIbLb1EESY_EEDaST_SU_EUlST_E_NS1_11comp_targetILNS1_3genE2ELNS1_11target_archE906ELNS1_3gpuE6ELNS1_3repE0EEENS1_30default_config_static_selectorELNS0_4arch9wavefront6targetE1EEEvT1_
		.amdhsa_group_segment_fixed_size 0
		.amdhsa_private_segment_fixed_size 0
		.amdhsa_kernarg_size 96
		.amdhsa_user_sgpr_count 6
		.amdhsa_user_sgpr_private_segment_buffer 1
		.amdhsa_user_sgpr_dispatch_ptr 0
		.amdhsa_user_sgpr_queue_ptr 0
		.amdhsa_user_sgpr_kernarg_segment_ptr 1
		.amdhsa_user_sgpr_dispatch_id 0
		.amdhsa_user_sgpr_flat_scratch_init 0
		.amdhsa_user_sgpr_kernarg_preload_length 0
		.amdhsa_user_sgpr_kernarg_preload_offset 0
		.amdhsa_user_sgpr_private_segment_size 0
		.amdhsa_uses_dynamic_stack 0
		.amdhsa_system_sgpr_private_segment_wavefront_offset 0
		.amdhsa_system_sgpr_workgroup_id_x 1
		.amdhsa_system_sgpr_workgroup_id_y 0
		.amdhsa_system_sgpr_workgroup_id_z 0
		.amdhsa_system_sgpr_workgroup_info 0
		.amdhsa_system_vgpr_workitem_id 0
		.amdhsa_next_free_vgpr 1
		.amdhsa_next_free_sgpr 0
		.amdhsa_accum_offset 4
		.amdhsa_reserve_vcc 0
		.amdhsa_reserve_flat_scratch 0
		.amdhsa_float_round_mode_32 0
		.amdhsa_float_round_mode_16_64 0
		.amdhsa_float_denorm_mode_32 3
		.amdhsa_float_denorm_mode_16_64 3
		.amdhsa_dx10_clamp 1
		.amdhsa_ieee_mode 1
		.amdhsa_fp16_overflow 0
		.amdhsa_tg_split 0
		.amdhsa_exception_fp_ieee_invalid_op 0
		.amdhsa_exception_fp_denorm_src 0
		.amdhsa_exception_fp_ieee_div_zero 0
		.amdhsa_exception_fp_ieee_overflow 0
		.amdhsa_exception_fp_ieee_underflow 0
		.amdhsa_exception_fp_ieee_inexact 0
		.amdhsa_exception_int_div_zero 0
	.end_amdhsa_kernel
	.section	.text._ZN7rocprim17ROCPRIM_400000_NS6detail17trampoline_kernelINS0_14default_configENS1_20scan_config_selectorIN3c108BFloat16EEEZZNS1_9scan_implILNS1_25lookback_scan_determinismE0ELb0ELb0ES3_PKS6_PS6_S6_ZZZN2at6native31launch_logcumsumexp_cuda_kernelERKNSD_10TensorBaseESH_lENKUlvE_clEvENKUlvE4_clEvEUlS6_S6_E_S6_EEDaPvRmT3_T4_T5_mT6_P12ihipStream_tbENKUlT_T0_E_clISt17integral_constantIbLb1EESY_EEDaST_SU_EUlST_E_NS1_11comp_targetILNS1_3genE2ELNS1_11target_archE906ELNS1_3gpuE6ELNS1_3repE0EEENS1_30default_config_static_selectorELNS0_4arch9wavefront6targetE1EEEvT1_,"axG",@progbits,_ZN7rocprim17ROCPRIM_400000_NS6detail17trampoline_kernelINS0_14default_configENS1_20scan_config_selectorIN3c108BFloat16EEEZZNS1_9scan_implILNS1_25lookback_scan_determinismE0ELb0ELb0ES3_PKS6_PS6_S6_ZZZN2at6native31launch_logcumsumexp_cuda_kernelERKNSD_10TensorBaseESH_lENKUlvE_clEvENKUlvE4_clEvEUlS6_S6_E_S6_EEDaPvRmT3_T4_T5_mT6_P12ihipStream_tbENKUlT_T0_E_clISt17integral_constantIbLb1EESY_EEDaST_SU_EUlST_E_NS1_11comp_targetILNS1_3genE2ELNS1_11target_archE906ELNS1_3gpuE6ELNS1_3repE0EEENS1_30default_config_static_selectorELNS0_4arch9wavefront6targetE1EEEvT1_,comdat
.Lfunc_end475:
	.size	_ZN7rocprim17ROCPRIM_400000_NS6detail17trampoline_kernelINS0_14default_configENS1_20scan_config_selectorIN3c108BFloat16EEEZZNS1_9scan_implILNS1_25lookback_scan_determinismE0ELb0ELb0ES3_PKS6_PS6_S6_ZZZN2at6native31launch_logcumsumexp_cuda_kernelERKNSD_10TensorBaseESH_lENKUlvE_clEvENKUlvE4_clEvEUlS6_S6_E_S6_EEDaPvRmT3_T4_T5_mT6_P12ihipStream_tbENKUlT_T0_E_clISt17integral_constantIbLb1EESY_EEDaST_SU_EUlST_E_NS1_11comp_targetILNS1_3genE2ELNS1_11target_archE906ELNS1_3gpuE6ELNS1_3repE0EEENS1_30default_config_static_selectorELNS0_4arch9wavefront6targetE1EEEvT1_, .Lfunc_end475-_ZN7rocprim17ROCPRIM_400000_NS6detail17trampoline_kernelINS0_14default_configENS1_20scan_config_selectorIN3c108BFloat16EEEZZNS1_9scan_implILNS1_25lookback_scan_determinismE0ELb0ELb0ES3_PKS6_PS6_S6_ZZZN2at6native31launch_logcumsumexp_cuda_kernelERKNSD_10TensorBaseESH_lENKUlvE_clEvENKUlvE4_clEvEUlS6_S6_E_S6_EEDaPvRmT3_T4_T5_mT6_P12ihipStream_tbENKUlT_T0_E_clISt17integral_constantIbLb1EESY_EEDaST_SU_EUlST_E_NS1_11comp_targetILNS1_3genE2ELNS1_11target_archE906ELNS1_3gpuE6ELNS1_3repE0EEENS1_30default_config_static_selectorELNS0_4arch9wavefront6targetE1EEEvT1_
                                        ; -- End function
	.section	.AMDGPU.csdata,"",@progbits
; Kernel info:
; codeLenInByte = 0
; NumSgprs: 4
; NumVgprs: 0
; NumAgprs: 0
; TotalNumVgprs: 0
; ScratchSize: 0
; MemoryBound: 0
; FloatMode: 240
; IeeeMode: 1
; LDSByteSize: 0 bytes/workgroup (compile time only)
; SGPRBlocks: 0
; VGPRBlocks: 0
; NumSGPRsForWavesPerEU: 4
; NumVGPRsForWavesPerEU: 1
; AccumOffset: 4
; Occupancy: 8
; WaveLimiterHint : 0
; COMPUTE_PGM_RSRC2:SCRATCH_EN: 0
; COMPUTE_PGM_RSRC2:USER_SGPR: 6
; COMPUTE_PGM_RSRC2:TRAP_HANDLER: 0
; COMPUTE_PGM_RSRC2:TGID_X_EN: 1
; COMPUTE_PGM_RSRC2:TGID_Y_EN: 0
; COMPUTE_PGM_RSRC2:TGID_Z_EN: 0
; COMPUTE_PGM_RSRC2:TIDIG_COMP_CNT: 0
; COMPUTE_PGM_RSRC3_GFX90A:ACCUM_OFFSET: 0
; COMPUTE_PGM_RSRC3_GFX90A:TG_SPLIT: 0
	.section	.text._ZN7rocprim17ROCPRIM_400000_NS6detail17trampoline_kernelINS0_14default_configENS1_20scan_config_selectorIN3c108BFloat16EEEZZNS1_9scan_implILNS1_25lookback_scan_determinismE0ELb0ELb0ES3_PKS6_PS6_S6_ZZZN2at6native31launch_logcumsumexp_cuda_kernelERKNSD_10TensorBaseESH_lENKUlvE_clEvENKUlvE4_clEvEUlS6_S6_E_S6_EEDaPvRmT3_T4_T5_mT6_P12ihipStream_tbENKUlT_T0_E_clISt17integral_constantIbLb1EESY_EEDaST_SU_EUlST_E_NS1_11comp_targetILNS1_3genE10ELNS1_11target_archE1201ELNS1_3gpuE5ELNS1_3repE0EEENS1_30default_config_static_selectorELNS0_4arch9wavefront6targetE1EEEvT1_,"axG",@progbits,_ZN7rocprim17ROCPRIM_400000_NS6detail17trampoline_kernelINS0_14default_configENS1_20scan_config_selectorIN3c108BFloat16EEEZZNS1_9scan_implILNS1_25lookback_scan_determinismE0ELb0ELb0ES3_PKS6_PS6_S6_ZZZN2at6native31launch_logcumsumexp_cuda_kernelERKNSD_10TensorBaseESH_lENKUlvE_clEvENKUlvE4_clEvEUlS6_S6_E_S6_EEDaPvRmT3_T4_T5_mT6_P12ihipStream_tbENKUlT_T0_E_clISt17integral_constantIbLb1EESY_EEDaST_SU_EUlST_E_NS1_11comp_targetILNS1_3genE10ELNS1_11target_archE1201ELNS1_3gpuE5ELNS1_3repE0EEENS1_30default_config_static_selectorELNS0_4arch9wavefront6targetE1EEEvT1_,comdat
	.globl	_ZN7rocprim17ROCPRIM_400000_NS6detail17trampoline_kernelINS0_14default_configENS1_20scan_config_selectorIN3c108BFloat16EEEZZNS1_9scan_implILNS1_25lookback_scan_determinismE0ELb0ELb0ES3_PKS6_PS6_S6_ZZZN2at6native31launch_logcumsumexp_cuda_kernelERKNSD_10TensorBaseESH_lENKUlvE_clEvENKUlvE4_clEvEUlS6_S6_E_S6_EEDaPvRmT3_T4_T5_mT6_P12ihipStream_tbENKUlT_T0_E_clISt17integral_constantIbLb1EESY_EEDaST_SU_EUlST_E_NS1_11comp_targetILNS1_3genE10ELNS1_11target_archE1201ELNS1_3gpuE5ELNS1_3repE0EEENS1_30default_config_static_selectorELNS0_4arch9wavefront6targetE1EEEvT1_ ; -- Begin function _ZN7rocprim17ROCPRIM_400000_NS6detail17trampoline_kernelINS0_14default_configENS1_20scan_config_selectorIN3c108BFloat16EEEZZNS1_9scan_implILNS1_25lookback_scan_determinismE0ELb0ELb0ES3_PKS6_PS6_S6_ZZZN2at6native31launch_logcumsumexp_cuda_kernelERKNSD_10TensorBaseESH_lENKUlvE_clEvENKUlvE4_clEvEUlS6_S6_E_S6_EEDaPvRmT3_T4_T5_mT6_P12ihipStream_tbENKUlT_T0_E_clISt17integral_constantIbLb1EESY_EEDaST_SU_EUlST_E_NS1_11comp_targetILNS1_3genE10ELNS1_11target_archE1201ELNS1_3gpuE5ELNS1_3repE0EEENS1_30default_config_static_selectorELNS0_4arch9wavefront6targetE1EEEvT1_
	.p2align	8
	.type	_ZN7rocprim17ROCPRIM_400000_NS6detail17trampoline_kernelINS0_14default_configENS1_20scan_config_selectorIN3c108BFloat16EEEZZNS1_9scan_implILNS1_25lookback_scan_determinismE0ELb0ELb0ES3_PKS6_PS6_S6_ZZZN2at6native31launch_logcumsumexp_cuda_kernelERKNSD_10TensorBaseESH_lENKUlvE_clEvENKUlvE4_clEvEUlS6_S6_E_S6_EEDaPvRmT3_T4_T5_mT6_P12ihipStream_tbENKUlT_T0_E_clISt17integral_constantIbLb1EESY_EEDaST_SU_EUlST_E_NS1_11comp_targetILNS1_3genE10ELNS1_11target_archE1201ELNS1_3gpuE5ELNS1_3repE0EEENS1_30default_config_static_selectorELNS0_4arch9wavefront6targetE1EEEvT1_,@function
_ZN7rocprim17ROCPRIM_400000_NS6detail17trampoline_kernelINS0_14default_configENS1_20scan_config_selectorIN3c108BFloat16EEEZZNS1_9scan_implILNS1_25lookback_scan_determinismE0ELb0ELb0ES3_PKS6_PS6_S6_ZZZN2at6native31launch_logcumsumexp_cuda_kernelERKNSD_10TensorBaseESH_lENKUlvE_clEvENKUlvE4_clEvEUlS6_S6_E_S6_EEDaPvRmT3_T4_T5_mT6_P12ihipStream_tbENKUlT_T0_E_clISt17integral_constantIbLb1EESY_EEDaST_SU_EUlST_E_NS1_11comp_targetILNS1_3genE10ELNS1_11target_archE1201ELNS1_3gpuE5ELNS1_3repE0EEENS1_30default_config_static_selectorELNS0_4arch9wavefront6targetE1EEEvT1_: ; @_ZN7rocprim17ROCPRIM_400000_NS6detail17trampoline_kernelINS0_14default_configENS1_20scan_config_selectorIN3c108BFloat16EEEZZNS1_9scan_implILNS1_25lookback_scan_determinismE0ELb0ELb0ES3_PKS6_PS6_S6_ZZZN2at6native31launch_logcumsumexp_cuda_kernelERKNSD_10TensorBaseESH_lENKUlvE_clEvENKUlvE4_clEvEUlS6_S6_E_S6_EEDaPvRmT3_T4_T5_mT6_P12ihipStream_tbENKUlT_T0_E_clISt17integral_constantIbLb1EESY_EEDaST_SU_EUlST_E_NS1_11comp_targetILNS1_3genE10ELNS1_11target_archE1201ELNS1_3gpuE5ELNS1_3repE0EEENS1_30default_config_static_selectorELNS0_4arch9wavefront6targetE1EEEvT1_
; %bb.0:
	.section	.rodata,"a",@progbits
	.p2align	6, 0x0
	.amdhsa_kernel _ZN7rocprim17ROCPRIM_400000_NS6detail17trampoline_kernelINS0_14default_configENS1_20scan_config_selectorIN3c108BFloat16EEEZZNS1_9scan_implILNS1_25lookback_scan_determinismE0ELb0ELb0ES3_PKS6_PS6_S6_ZZZN2at6native31launch_logcumsumexp_cuda_kernelERKNSD_10TensorBaseESH_lENKUlvE_clEvENKUlvE4_clEvEUlS6_S6_E_S6_EEDaPvRmT3_T4_T5_mT6_P12ihipStream_tbENKUlT_T0_E_clISt17integral_constantIbLb1EESY_EEDaST_SU_EUlST_E_NS1_11comp_targetILNS1_3genE10ELNS1_11target_archE1201ELNS1_3gpuE5ELNS1_3repE0EEENS1_30default_config_static_selectorELNS0_4arch9wavefront6targetE1EEEvT1_
		.amdhsa_group_segment_fixed_size 0
		.amdhsa_private_segment_fixed_size 0
		.amdhsa_kernarg_size 96
		.amdhsa_user_sgpr_count 6
		.amdhsa_user_sgpr_private_segment_buffer 1
		.amdhsa_user_sgpr_dispatch_ptr 0
		.amdhsa_user_sgpr_queue_ptr 0
		.amdhsa_user_sgpr_kernarg_segment_ptr 1
		.amdhsa_user_sgpr_dispatch_id 0
		.amdhsa_user_sgpr_flat_scratch_init 0
		.amdhsa_user_sgpr_kernarg_preload_length 0
		.amdhsa_user_sgpr_kernarg_preload_offset 0
		.amdhsa_user_sgpr_private_segment_size 0
		.amdhsa_uses_dynamic_stack 0
		.amdhsa_system_sgpr_private_segment_wavefront_offset 0
		.amdhsa_system_sgpr_workgroup_id_x 1
		.amdhsa_system_sgpr_workgroup_id_y 0
		.amdhsa_system_sgpr_workgroup_id_z 0
		.amdhsa_system_sgpr_workgroup_info 0
		.amdhsa_system_vgpr_workitem_id 0
		.amdhsa_next_free_vgpr 1
		.amdhsa_next_free_sgpr 0
		.amdhsa_accum_offset 4
		.amdhsa_reserve_vcc 0
		.amdhsa_reserve_flat_scratch 0
		.amdhsa_float_round_mode_32 0
		.amdhsa_float_round_mode_16_64 0
		.amdhsa_float_denorm_mode_32 3
		.amdhsa_float_denorm_mode_16_64 3
		.amdhsa_dx10_clamp 1
		.amdhsa_ieee_mode 1
		.amdhsa_fp16_overflow 0
		.amdhsa_tg_split 0
		.amdhsa_exception_fp_ieee_invalid_op 0
		.amdhsa_exception_fp_denorm_src 0
		.amdhsa_exception_fp_ieee_div_zero 0
		.amdhsa_exception_fp_ieee_overflow 0
		.amdhsa_exception_fp_ieee_underflow 0
		.amdhsa_exception_fp_ieee_inexact 0
		.amdhsa_exception_int_div_zero 0
	.end_amdhsa_kernel
	.section	.text._ZN7rocprim17ROCPRIM_400000_NS6detail17trampoline_kernelINS0_14default_configENS1_20scan_config_selectorIN3c108BFloat16EEEZZNS1_9scan_implILNS1_25lookback_scan_determinismE0ELb0ELb0ES3_PKS6_PS6_S6_ZZZN2at6native31launch_logcumsumexp_cuda_kernelERKNSD_10TensorBaseESH_lENKUlvE_clEvENKUlvE4_clEvEUlS6_S6_E_S6_EEDaPvRmT3_T4_T5_mT6_P12ihipStream_tbENKUlT_T0_E_clISt17integral_constantIbLb1EESY_EEDaST_SU_EUlST_E_NS1_11comp_targetILNS1_3genE10ELNS1_11target_archE1201ELNS1_3gpuE5ELNS1_3repE0EEENS1_30default_config_static_selectorELNS0_4arch9wavefront6targetE1EEEvT1_,"axG",@progbits,_ZN7rocprim17ROCPRIM_400000_NS6detail17trampoline_kernelINS0_14default_configENS1_20scan_config_selectorIN3c108BFloat16EEEZZNS1_9scan_implILNS1_25lookback_scan_determinismE0ELb0ELb0ES3_PKS6_PS6_S6_ZZZN2at6native31launch_logcumsumexp_cuda_kernelERKNSD_10TensorBaseESH_lENKUlvE_clEvENKUlvE4_clEvEUlS6_S6_E_S6_EEDaPvRmT3_T4_T5_mT6_P12ihipStream_tbENKUlT_T0_E_clISt17integral_constantIbLb1EESY_EEDaST_SU_EUlST_E_NS1_11comp_targetILNS1_3genE10ELNS1_11target_archE1201ELNS1_3gpuE5ELNS1_3repE0EEENS1_30default_config_static_selectorELNS0_4arch9wavefront6targetE1EEEvT1_,comdat
.Lfunc_end476:
	.size	_ZN7rocprim17ROCPRIM_400000_NS6detail17trampoline_kernelINS0_14default_configENS1_20scan_config_selectorIN3c108BFloat16EEEZZNS1_9scan_implILNS1_25lookback_scan_determinismE0ELb0ELb0ES3_PKS6_PS6_S6_ZZZN2at6native31launch_logcumsumexp_cuda_kernelERKNSD_10TensorBaseESH_lENKUlvE_clEvENKUlvE4_clEvEUlS6_S6_E_S6_EEDaPvRmT3_T4_T5_mT6_P12ihipStream_tbENKUlT_T0_E_clISt17integral_constantIbLb1EESY_EEDaST_SU_EUlST_E_NS1_11comp_targetILNS1_3genE10ELNS1_11target_archE1201ELNS1_3gpuE5ELNS1_3repE0EEENS1_30default_config_static_selectorELNS0_4arch9wavefront6targetE1EEEvT1_, .Lfunc_end476-_ZN7rocprim17ROCPRIM_400000_NS6detail17trampoline_kernelINS0_14default_configENS1_20scan_config_selectorIN3c108BFloat16EEEZZNS1_9scan_implILNS1_25lookback_scan_determinismE0ELb0ELb0ES3_PKS6_PS6_S6_ZZZN2at6native31launch_logcumsumexp_cuda_kernelERKNSD_10TensorBaseESH_lENKUlvE_clEvENKUlvE4_clEvEUlS6_S6_E_S6_EEDaPvRmT3_T4_T5_mT6_P12ihipStream_tbENKUlT_T0_E_clISt17integral_constantIbLb1EESY_EEDaST_SU_EUlST_E_NS1_11comp_targetILNS1_3genE10ELNS1_11target_archE1201ELNS1_3gpuE5ELNS1_3repE0EEENS1_30default_config_static_selectorELNS0_4arch9wavefront6targetE1EEEvT1_
                                        ; -- End function
	.section	.AMDGPU.csdata,"",@progbits
; Kernel info:
; codeLenInByte = 0
; NumSgprs: 4
; NumVgprs: 0
; NumAgprs: 0
; TotalNumVgprs: 0
; ScratchSize: 0
; MemoryBound: 0
; FloatMode: 240
; IeeeMode: 1
; LDSByteSize: 0 bytes/workgroup (compile time only)
; SGPRBlocks: 0
; VGPRBlocks: 0
; NumSGPRsForWavesPerEU: 4
; NumVGPRsForWavesPerEU: 1
; AccumOffset: 4
; Occupancy: 8
; WaveLimiterHint : 0
; COMPUTE_PGM_RSRC2:SCRATCH_EN: 0
; COMPUTE_PGM_RSRC2:USER_SGPR: 6
; COMPUTE_PGM_RSRC2:TRAP_HANDLER: 0
; COMPUTE_PGM_RSRC2:TGID_X_EN: 1
; COMPUTE_PGM_RSRC2:TGID_Y_EN: 0
; COMPUTE_PGM_RSRC2:TGID_Z_EN: 0
; COMPUTE_PGM_RSRC2:TIDIG_COMP_CNT: 0
; COMPUTE_PGM_RSRC3_GFX90A:ACCUM_OFFSET: 0
; COMPUTE_PGM_RSRC3_GFX90A:TG_SPLIT: 0
	.section	.text._ZN7rocprim17ROCPRIM_400000_NS6detail17trampoline_kernelINS0_14default_configENS1_20scan_config_selectorIN3c108BFloat16EEEZZNS1_9scan_implILNS1_25lookback_scan_determinismE0ELb0ELb0ES3_PKS6_PS6_S6_ZZZN2at6native31launch_logcumsumexp_cuda_kernelERKNSD_10TensorBaseESH_lENKUlvE_clEvENKUlvE4_clEvEUlS6_S6_E_S6_EEDaPvRmT3_T4_T5_mT6_P12ihipStream_tbENKUlT_T0_E_clISt17integral_constantIbLb1EESY_EEDaST_SU_EUlST_E_NS1_11comp_targetILNS1_3genE10ELNS1_11target_archE1200ELNS1_3gpuE4ELNS1_3repE0EEENS1_30default_config_static_selectorELNS0_4arch9wavefront6targetE1EEEvT1_,"axG",@progbits,_ZN7rocprim17ROCPRIM_400000_NS6detail17trampoline_kernelINS0_14default_configENS1_20scan_config_selectorIN3c108BFloat16EEEZZNS1_9scan_implILNS1_25lookback_scan_determinismE0ELb0ELb0ES3_PKS6_PS6_S6_ZZZN2at6native31launch_logcumsumexp_cuda_kernelERKNSD_10TensorBaseESH_lENKUlvE_clEvENKUlvE4_clEvEUlS6_S6_E_S6_EEDaPvRmT3_T4_T5_mT6_P12ihipStream_tbENKUlT_T0_E_clISt17integral_constantIbLb1EESY_EEDaST_SU_EUlST_E_NS1_11comp_targetILNS1_3genE10ELNS1_11target_archE1200ELNS1_3gpuE4ELNS1_3repE0EEENS1_30default_config_static_selectorELNS0_4arch9wavefront6targetE1EEEvT1_,comdat
	.globl	_ZN7rocprim17ROCPRIM_400000_NS6detail17trampoline_kernelINS0_14default_configENS1_20scan_config_selectorIN3c108BFloat16EEEZZNS1_9scan_implILNS1_25lookback_scan_determinismE0ELb0ELb0ES3_PKS6_PS6_S6_ZZZN2at6native31launch_logcumsumexp_cuda_kernelERKNSD_10TensorBaseESH_lENKUlvE_clEvENKUlvE4_clEvEUlS6_S6_E_S6_EEDaPvRmT3_T4_T5_mT6_P12ihipStream_tbENKUlT_T0_E_clISt17integral_constantIbLb1EESY_EEDaST_SU_EUlST_E_NS1_11comp_targetILNS1_3genE10ELNS1_11target_archE1200ELNS1_3gpuE4ELNS1_3repE0EEENS1_30default_config_static_selectorELNS0_4arch9wavefront6targetE1EEEvT1_ ; -- Begin function _ZN7rocprim17ROCPRIM_400000_NS6detail17trampoline_kernelINS0_14default_configENS1_20scan_config_selectorIN3c108BFloat16EEEZZNS1_9scan_implILNS1_25lookback_scan_determinismE0ELb0ELb0ES3_PKS6_PS6_S6_ZZZN2at6native31launch_logcumsumexp_cuda_kernelERKNSD_10TensorBaseESH_lENKUlvE_clEvENKUlvE4_clEvEUlS6_S6_E_S6_EEDaPvRmT3_T4_T5_mT6_P12ihipStream_tbENKUlT_T0_E_clISt17integral_constantIbLb1EESY_EEDaST_SU_EUlST_E_NS1_11comp_targetILNS1_3genE10ELNS1_11target_archE1200ELNS1_3gpuE4ELNS1_3repE0EEENS1_30default_config_static_selectorELNS0_4arch9wavefront6targetE1EEEvT1_
	.p2align	8
	.type	_ZN7rocprim17ROCPRIM_400000_NS6detail17trampoline_kernelINS0_14default_configENS1_20scan_config_selectorIN3c108BFloat16EEEZZNS1_9scan_implILNS1_25lookback_scan_determinismE0ELb0ELb0ES3_PKS6_PS6_S6_ZZZN2at6native31launch_logcumsumexp_cuda_kernelERKNSD_10TensorBaseESH_lENKUlvE_clEvENKUlvE4_clEvEUlS6_S6_E_S6_EEDaPvRmT3_T4_T5_mT6_P12ihipStream_tbENKUlT_T0_E_clISt17integral_constantIbLb1EESY_EEDaST_SU_EUlST_E_NS1_11comp_targetILNS1_3genE10ELNS1_11target_archE1200ELNS1_3gpuE4ELNS1_3repE0EEENS1_30default_config_static_selectorELNS0_4arch9wavefront6targetE1EEEvT1_,@function
_ZN7rocprim17ROCPRIM_400000_NS6detail17trampoline_kernelINS0_14default_configENS1_20scan_config_selectorIN3c108BFloat16EEEZZNS1_9scan_implILNS1_25lookback_scan_determinismE0ELb0ELb0ES3_PKS6_PS6_S6_ZZZN2at6native31launch_logcumsumexp_cuda_kernelERKNSD_10TensorBaseESH_lENKUlvE_clEvENKUlvE4_clEvEUlS6_S6_E_S6_EEDaPvRmT3_T4_T5_mT6_P12ihipStream_tbENKUlT_T0_E_clISt17integral_constantIbLb1EESY_EEDaST_SU_EUlST_E_NS1_11comp_targetILNS1_3genE10ELNS1_11target_archE1200ELNS1_3gpuE4ELNS1_3repE0EEENS1_30default_config_static_selectorELNS0_4arch9wavefront6targetE1EEEvT1_: ; @_ZN7rocprim17ROCPRIM_400000_NS6detail17trampoline_kernelINS0_14default_configENS1_20scan_config_selectorIN3c108BFloat16EEEZZNS1_9scan_implILNS1_25lookback_scan_determinismE0ELb0ELb0ES3_PKS6_PS6_S6_ZZZN2at6native31launch_logcumsumexp_cuda_kernelERKNSD_10TensorBaseESH_lENKUlvE_clEvENKUlvE4_clEvEUlS6_S6_E_S6_EEDaPvRmT3_T4_T5_mT6_P12ihipStream_tbENKUlT_T0_E_clISt17integral_constantIbLb1EESY_EEDaST_SU_EUlST_E_NS1_11comp_targetILNS1_3genE10ELNS1_11target_archE1200ELNS1_3gpuE4ELNS1_3repE0EEENS1_30default_config_static_selectorELNS0_4arch9wavefront6targetE1EEEvT1_
; %bb.0:
	.section	.rodata,"a",@progbits
	.p2align	6, 0x0
	.amdhsa_kernel _ZN7rocprim17ROCPRIM_400000_NS6detail17trampoline_kernelINS0_14default_configENS1_20scan_config_selectorIN3c108BFloat16EEEZZNS1_9scan_implILNS1_25lookback_scan_determinismE0ELb0ELb0ES3_PKS6_PS6_S6_ZZZN2at6native31launch_logcumsumexp_cuda_kernelERKNSD_10TensorBaseESH_lENKUlvE_clEvENKUlvE4_clEvEUlS6_S6_E_S6_EEDaPvRmT3_T4_T5_mT6_P12ihipStream_tbENKUlT_T0_E_clISt17integral_constantIbLb1EESY_EEDaST_SU_EUlST_E_NS1_11comp_targetILNS1_3genE10ELNS1_11target_archE1200ELNS1_3gpuE4ELNS1_3repE0EEENS1_30default_config_static_selectorELNS0_4arch9wavefront6targetE1EEEvT1_
		.amdhsa_group_segment_fixed_size 0
		.amdhsa_private_segment_fixed_size 0
		.amdhsa_kernarg_size 96
		.amdhsa_user_sgpr_count 6
		.amdhsa_user_sgpr_private_segment_buffer 1
		.amdhsa_user_sgpr_dispatch_ptr 0
		.amdhsa_user_sgpr_queue_ptr 0
		.amdhsa_user_sgpr_kernarg_segment_ptr 1
		.amdhsa_user_sgpr_dispatch_id 0
		.amdhsa_user_sgpr_flat_scratch_init 0
		.amdhsa_user_sgpr_kernarg_preload_length 0
		.amdhsa_user_sgpr_kernarg_preload_offset 0
		.amdhsa_user_sgpr_private_segment_size 0
		.amdhsa_uses_dynamic_stack 0
		.amdhsa_system_sgpr_private_segment_wavefront_offset 0
		.amdhsa_system_sgpr_workgroup_id_x 1
		.amdhsa_system_sgpr_workgroup_id_y 0
		.amdhsa_system_sgpr_workgroup_id_z 0
		.amdhsa_system_sgpr_workgroup_info 0
		.amdhsa_system_vgpr_workitem_id 0
		.amdhsa_next_free_vgpr 1
		.amdhsa_next_free_sgpr 0
		.amdhsa_accum_offset 4
		.amdhsa_reserve_vcc 0
		.amdhsa_reserve_flat_scratch 0
		.amdhsa_float_round_mode_32 0
		.amdhsa_float_round_mode_16_64 0
		.amdhsa_float_denorm_mode_32 3
		.amdhsa_float_denorm_mode_16_64 3
		.amdhsa_dx10_clamp 1
		.amdhsa_ieee_mode 1
		.amdhsa_fp16_overflow 0
		.amdhsa_tg_split 0
		.amdhsa_exception_fp_ieee_invalid_op 0
		.amdhsa_exception_fp_denorm_src 0
		.amdhsa_exception_fp_ieee_div_zero 0
		.amdhsa_exception_fp_ieee_overflow 0
		.amdhsa_exception_fp_ieee_underflow 0
		.amdhsa_exception_fp_ieee_inexact 0
		.amdhsa_exception_int_div_zero 0
	.end_amdhsa_kernel
	.section	.text._ZN7rocprim17ROCPRIM_400000_NS6detail17trampoline_kernelINS0_14default_configENS1_20scan_config_selectorIN3c108BFloat16EEEZZNS1_9scan_implILNS1_25lookback_scan_determinismE0ELb0ELb0ES3_PKS6_PS6_S6_ZZZN2at6native31launch_logcumsumexp_cuda_kernelERKNSD_10TensorBaseESH_lENKUlvE_clEvENKUlvE4_clEvEUlS6_S6_E_S6_EEDaPvRmT3_T4_T5_mT6_P12ihipStream_tbENKUlT_T0_E_clISt17integral_constantIbLb1EESY_EEDaST_SU_EUlST_E_NS1_11comp_targetILNS1_3genE10ELNS1_11target_archE1200ELNS1_3gpuE4ELNS1_3repE0EEENS1_30default_config_static_selectorELNS0_4arch9wavefront6targetE1EEEvT1_,"axG",@progbits,_ZN7rocprim17ROCPRIM_400000_NS6detail17trampoline_kernelINS0_14default_configENS1_20scan_config_selectorIN3c108BFloat16EEEZZNS1_9scan_implILNS1_25lookback_scan_determinismE0ELb0ELb0ES3_PKS6_PS6_S6_ZZZN2at6native31launch_logcumsumexp_cuda_kernelERKNSD_10TensorBaseESH_lENKUlvE_clEvENKUlvE4_clEvEUlS6_S6_E_S6_EEDaPvRmT3_T4_T5_mT6_P12ihipStream_tbENKUlT_T0_E_clISt17integral_constantIbLb1EESY_EEDaST_SU_EUlST_E_NS1_11comp_targetILNS1_3genE10ELNS1_11target_archE1200ELNS1_3gpuE4ELNS1_3repE0EEENS1_30default_config_static_selectorELNS0_4arch9wavefront6targetE1EEEvT1_,comdat
.Lfunc_end477:
	.size	_ZN7rocprim17ROCPRIM_400000_NS6detail17trampoline_kernelINS0_14default_configENS1_20scan_config_selectorIN3c108BFloat16EEEZZNS1_9scan_implILNS1_25lookback_scan_determinismE0ELb0ELb0ES3_PKS6_PS6_S6_ZZZN2at6native31launch_logcumsumexp_cuda_kernelERKNSD_10TensorBaseESH_lENKUlvE_clEvENKUlvE4_clEvEUlS6_S6_E_S6_EEDaPvRmT3_T4_T5_mT6_P12ihipStream_tbENKUlT_T0_E_clISt17integral_constantIbLb1EESY_EEDaST_SU_EUlST_E_NS1_11comp_targetILNS1_3genE10ELNS1_11target_archE1200ELNS1_3gpuE4ELNS1_3repE0EEENS1_30default_config_static_selectorELNS0_4arch9wavefront6targetE1EEEvT1_, .Lfunc_end477-_ZN7rocprim17ROCPRIM_400000_NS6detail17trampoline_kernelINS0_14default_configENS1_20scan_config_selectorIN3c108BFloat16EEEZZNS1_9scan_implILNS1_25lookback_scan_determinismE0ELb0ELb0ES3_PKS6_PS6_S6_ZZZN2at6native31launch_logcumsumexp_cuda_kernelERKNSD_10TensorBaseESH_lENKUlvE_clEvENKUlvE4_clEvEUlS6_S6_E_S6_EEDaPvRmT3_T4_T5_mT6_P12ihipStream_tbENKUlT_T0_E_clISt17integral_constantIbLb1EESY_EEDaST_SU_EUlST_E_NS1_11comp_targetILNS1_3genE10ELNS1_11target_archE1200ELNS1_3gpuE4ELNS1_3repE0EEENS1_30default_config_static_selectorELNS0_4arch9wavefront6targetE1EEEvT1_
                                        ; -- End function
	.section	.AMDGPU.csdata,"",@progbits
; Kernel info:
; codeLenInByte = 0
; NumSgprs: 4
; NumVgprs: 0
; NumAgprs: 0
; TotalNumVgprs: 0
; ScratchSize: 0
; MemoryBound: 0
; FloatMode: 240
; IeeeMode: 1
; LDSByteSize: 0 bytes/workgroup (compile time only)
; SGPRBlocks: 0
; VGPRBlocks: 0
; NumSGPRsForWavesPerEU: 4
; NumVGPRsForWavesPerEU: 1
; AccumOffset: 4
; Occupancy: 8
; WaveLimiterHint : 0
; COMPUTE_PGM_RSRC2:SCRATCH_EN: 0
; COMPUTE_PGM_RSRC2:USER_SGPR: 6
; COMPUTE_PGM_RSRC2:TRAP_HANDLER: 0
; COMPUTE_PGM_RSRC2:TGID_X_EN: 1
; COMPUTE_PGM_RSRC2:TGID_Y_EN: 0
; COMPUTE_PGM_RSRC2:TGID_Z_EN: 0
; COMPUTE_PGM_RSRC2:TIDIG_COMP_CNT: 0
; COMPUTE_PGM_RSRC3_GFX90A:ACCUM_OFFSET: 0
; COMPUTE_PGM_RSRC3_GFX90A:TG_SPLIT: 0
	.section	.text._ZN7rocprim17ROCPRIM_400000_NS6detail17trampoline_kernelINS0_14default_configENS1_20scan_config_selectorIN3c108BFloat16EEEZZNS1_9scan_implILNS1_25lookback_scan_determinismE0ELb0ELb0ES3_PKS6_PS6_S6_ZZZN2at6native31launch_logcumsumexp_cuda_kernelERKNSD_10TensorBaseESH_lENKUlvE_clEvENKUlvE4_clEvEUlS6_S6_E_S6_EEDaPvRmT3_T4_T5_mT6_P12ihipStream_tbENKUlT_T0_E_clISt17integral_constantIbLb1EESY_EEDaST_SU_EUlST_E_NS1_11comp_targetILNS1_3genE9ELNS1_11target_archE1100ELNS1_3gpuE3ELNS1_3repE0EEENS1_30default_config_static_selectorELNS0_4arch9wavefront6targetE1EEEvT1_,"axG",@progbits,_ZN7rocprim17ROCPRIM_400000_NS6detail17trampoline_kernelINS0_14default_configENS1_20scan_config_selectorIN3c108BFloat16EEEZZNS1_9scan_implILNS1_25lookback_scan_determinismE0ELb0ELb0ES3_PKS6_PS6_S6_ZZZN2at6native31launch_logcumsumexp_cuda_kernelERKNSD_10TensorBaseESH_lENKUlvE_clEvENKUlvE4_clEvEUlS6_S6_E_S6_EEDaPvRmT3_T4_T5_mT6_P12ihipStream_tbENKUlT_T0_E_clISt17integral_constantIbLb1EESY_EEDaST_SU_EUlST_E_NS1_11comp_targetILNS1_3genE9ELNS1_11target_archE1100ELNS1_3gpuE3ELNS1_3repE0EEENS1_30default_config_static_selectorELNS0_4arch9wavefront6targetE1EEEvT1_,comdat
	.globl	_ZN7rocprim17ROCPRIM_400000_NS6detail17trampoline_kernelINS0_14default_configENS1_20scan_config_selectorIN3c108BFloat16EEEZZNS1_9scan_implILNS1_25lookback_scan_determinismE0ELb0ELb0ES3_PKS6_PS6_S6_ZZZN2at6native31launch_logcumsumexp_cuda_kernelERKNSD_10TensorBaseESH_lENKUlvE_clEvENKUlvE4_clEvEUlS6_S6_E_S6_EEDaPvRmT3_T4_T5_mT6_P12ihipStream_tbENKUlT_T0_E_clISt17integral_constantIbLb1EESY_EEDaST_SU_EUlST_E_NS1_11comp_targetILNS1_3genE9ELNS1_11target_archE1100ELNS1_3gpuE3ELNS1_3repE0EEENS1_30default_config_static_selectorELNS0_4arch9wavefront6targetE1EEEvT1_ ; -- Begin function _ZN7rocprim17ROCPRIM_400000_NS6detail17trampoline_kernelINS0_14default_configENS1_20scan_config_selectorIN3c108BFloat16EEEZZNS1_9scan_implILNS1_25lookback_scan_determinismE0ELb0ELb0ES3_PKS6_PS6_S6_ZZZN2at6native31launch_logcumsumexp_cuda_kernelERKNSD_10TensorBaseESH_lENKUlvE_clEvENKUlvE4_clEvEUlS6_S6_E_S6_EEDaPvRmT3_T4_T5_mT6_P12ihipStream_tbENKUlT_T0_E_clISt17integral_constantIbLb1EESY_EEDaST_SU_EUlST_E_NS1_11comp_targetILNS1_3genE9ELNS1_11target_archE1100ELNS1_3gpuE3ELNS1_3repE0EEENS1_30default_config_static_selectorELNS0_4arch9wavefront6targetE1EEEvT1_
	.p2align	8
	.type	_ZN7rocprim17ROCPRIM_400000_NS6detail17trampoline_kernelINS0_14default_configENS1_20scan_config_selectorIN3c108BFloat16EEEZZNS1_9scan_implILNS1_25lookback_scan_determinismE0ELb0ELb0ES3_PKS6_PS6_S6_ZZZN2at6native31launch_logcumsumexp_cuda_kernelERKNSD_10TensorBaseESH_lENKUlvE_clEvENKUlvE4_clEvEUlS6_S6_E_S6_EEDaPvRmT3_T4_T5_mT6_P12ihipStream_tbENKUlT_T0_E_clISt17integral_constantIbLb1EESY_EEDaST_SU_EUlST_E_NS1_11comp_targetILNS1_3genE9ELNS1_11target_archE1100ELNS1_3gpuE3ELNS1_3repE0EEENS1_30default_config_static_selectorELNS0_4arch9wavefront6targetE1EEEvT1_,@function
_ZN7rocprim17ROCPRIM_400000_NS6detail17trampoline_kernelINS0_14default_configENS1_20scan_config_selectorIN3c108BFloat16EEEZZNS1_9scan_implILNS1_25lookback_scan_determinismE0ELb0ELb0ES3_PKS6_PS6_S6_ZZZN2at6native31launch_logcumsumexp_cuda_kernelERKNSD_10TensorBaseESH_lENKUlvE_clEvENKUlvE4_clEvEUlS6_S6_E_S6_EEDaPvRmT3_T4_T5_mT6_P12ihipStream_tbENKUlT_T0_E_clISt17integral_constantIbLb1EESY_EEDaST_SU_EUlST_E_NS1_11comp_targetILNS1_3genE9ELNS1_11target_archE1100ELNS1_3gpuE3ELNS1_3repE0EEENS1_30default_config_static_selectorELNS0_4arch9wavefront6targetE1EEEvT1_: ; @_ZN7rocprim17ROCPRIM_400000_NS6detail17trampoline_kernelINS0_14default_configENS1_20scan_config_selectorIN3c108BFloat16EEEZZNS1_9scan_implILNS1_25lookback_scan_determinismE0ELb0ELb0ES3_PKS6_PS6_S6_ZZZN2at6native31launch_logcumsumexp_cuda_kernelERKNSD_10TensorBaseESH_lENKUlvE_clEvENKUlvE4_clEvEUlS6_S6_E_S6_EEDaPvRmT3_T4_T5_mT6_P12ihipStream_tbENKUlT_T0_E_clISt17integral_constantIbLb1EESY_EEDaST_SU_EUlST_E_NS1_11comp_targetILNS1_3genE9ELNS1_11target_archE1100ELNS1_3gpuE3ELNS1_3repE0EEENS1_30default_config_static_selectorELNS0_4arch9wavefront6targetE1EEEvT1_
; %bb.0:
	.section	.rodata,"a",@progbits
	.p2align	6, 0x0
	.amdhsa_kernel _ZN7rocprim17ROCPRIM_400000_NS6detail17trampoline_kernelINS0_14default_configENS1_20scan_config_selectorIN3c108BFloat16EEEZZNS1_9scan_implILNS1_25lookback_scan_determinismE0ELb0ELb0ES3_PKS6_PS6_S6_ZZZN2at6native31launch_logcumsumexp_cuda_kernelERKNSD_10TensorBaseESH_lENKUlvE_clEvENKUlvE4_clEvEUlS6_S6_E_S6_EEDaPvRmT3_T4_T5_mT6_P12ihipStream_tbENKUlT_T0_E_clISt17integral_constantIbLb1EESY_EEDaST_SU_EUlST_E_NS1_11comp_targetILNS1_3genE9ELNS1_11target_archE1100ELNS1_3gpuE3ELNS1_3repE0EEENS1_30default_config_static_selectorELNS0_4arch9wavefront6targetE1EEEvT1_
		.amdhsa_group_segment_fixed_size 0
		.amdhsa_private_segment_fixed_size 0
		.amdhsa_kernarg_size 96
		.amdhsa_user_sgpr_count 6
		.amdhsa_user_sgpr_private_segment_buffer 1
		.amdhsa_user_sgpr_dispatch_ptr 0
		.amdhsa_user_sgpr_queue_ptr 0
		.amdhsa_user_sgpr_kernarg_segment_ptr 1
		.amdhsa_user_sgpr_dispatch_id 0
		.amdhsa_user_sgpr_flat_scratch_init 0
		.amdhsa_user_sgpr_kernarg_preload_length 0
		.amdhsa_user_sgpr_kernarg_preload_offset 0
		.amdhsa_user_sgpr_private_segment_size 0
		.amdhsa_uses_dynamic_stack 0
		.amdhsa_system_sgpr_private_segment_wavefront_offset 0
		.amdhsa_system_sgpr_workgroup_id_x 1
		.amdhsa_system_sgpr_workgroup_id_y 0
		.amdhsa_system_sgpr_workgroup_id_z 0
		.amdhsa_system_sgpr_workgroup_info 0
		.amdhsa_system_vgpr_workitem_id 0
		.amdhsa_next_free_vgpr 1
		.amdhsa_next_free_sgpr 0
		.amdhsa_accum_offset 4
		.amdhsa_reserve_vcc 0
		.amdhsa_reserve_flat_scratch 0
		.amdhsa_float_round_mode_32 0
		.amdhsa_float_round_mode_16_64 0
		.amdhsa_float_denorm_mode_32 3
		.amdhsa_float_denorm_mode_16_64 3
		.amdhsa_dx10_clamp 1
		.amdhsa_ieee_mode 1
		.amdhsa_fp16_overflow 0
		.amdhsa_tg_split 0
		.amdhsa_exception_fp_ieee_invalid_op 0
		.amdhsa_exception_fp_denorm_src 0
		.amdhsa_exception_fp_ieee_div_zero 0
		.amdhsa_exception_fp_ieee_overflow 0
		.amdhsa_exception_fp_ieee_underflow 0
		.amdhsa_exception_fp_ieee_inexact 0
		.amdhsa_exception_int_div_zero 0
	.end_amdhsa_kernel
	.section	.text._ZN7rocprim17ROCPRIM_400000_NS6detail17trampoline_kernelINS0_14default_configENS1_20scan_config_selectorIN3c108BFloat16EEEZZNS1_9scan_implILNS1_25lookback_scan_determinismE0ELb0ELb0ES3_PKS6_PS6_S6_ZZZN2at6native31launch_logcumsumexp_cuda_kernelERKNSD_10TensorBaseESH_lENKUlvE_clEvENKUlvE4_clEvEUlS6_S6_E_S6_EEDaPvRmT3_T4_T5_mT6_P12ihipStream_tbENKUlT_T0_E_clISt17integral_constantIbLb1EESY_EEDaST_SU_EUlST_E_NS1_11comp_targetILNS1_3genE9ELNS1_11target_archE1100ELNS1_3gpuE3ELNS1_3repE0EEENS1_30default_config_static_selectorELNS0_4arch9wavefront6targetE1EEEvT1_,"axG",@progbits,_ZN7rocprim17ROCPRIM_400000_NS6detail17trampoline_kernelINS0_14default_configENS1_20scan_config_selectorIN3c108BFloat16EEEZZNS1_9scan_implILNS1_25lookback_scan_determinismE0ELb0ELb0ES3_PKS6_PS6_S6_ZZZN2at6native31launch_logcumsumexp_cuda_kernelERKNSD_10TensorBaseESH_lENKUlvE_clEvENKUlvE4_clEvEUlS6_S6_E_S6_EEDaPvRmT3_T4_T5_mT6_P12ihipStream_tbENKUlT_T0_E_clISt17integral_constantIbLb1EESY_EEDaST_SU_EUlST_E_NS1_11comp_targetILNS1_3genE9ELNS1_11target_archE1100ELNS1_3gpuE3ELNS1_3repE0EEENS1_30default_config_static_selectorELNS0_4arch9wavefront6targetE1EEEvT1_,comdat
.Lfunc_end478:
	.size	_ZN7rocprim17ROCPRIM_400000_NS6detail17trampoline_kernelINS0_14default_configENS1_20scan_config_selectorIN3c108BFloat16EEEZZNS1_9scan_implILNS1_25lookback_scan_determinismE0ELb0ELb0ES3_PKS6_PS6_S6_ZZZN2at6native31launch_logcumsumexp_cuda_kernelERKNSD_10TensorBaseESH_lENKUlvE_clEvENKUlvE4_clEvEUlS6_S6_E_S6_EEDaPvRmT3_T4_T5_mT6_P12ihipStream_tbENKUlT_T0_E_clISt17integral_constantIbLb1EESY_EEDaST_SU_EUlST_E_NS1_11comp_targetILNS1_3genE9ELNS1_11target_archE1100ELNS1_3gpuE3ELNS1_3repE0EEENS1_30default_config_static_selectorELNS0_4arch9wavefront6targetE1EEEvT1_, .Lfunc_end478-_ZN7rocprim17ROCPRIM_400000_NS6detail17trampoline_kernelINS0_14default_configENS1_20scan_config_selectorIN3c108BFloat16EEEZZNS1_9scan_implILNS1_25lookback_scan_determinismE0ELb0ELb0ES3_PKS6_PS6_S6_ZZZN2at6native31launch_logcumsumexp_cuda_kernelERKNSD_10TensorBaseESH_lENKUlvE_clEvENKUlvE4_clEvEUlS6_S6_E_S6_EEDaPvRmT3_T4_T5_mT6_P12ihipStream_tbENKUlT_T0_E_clISt17integral_constantIbLb1EESY_EEDaST_SU_EUlST_E_NS1_11comp_targetILNS1_3genE9ELNS1_11target_archE1100ELNS1_3gpuE3ELNS1_3repE0EEENS1_30default_config_static_selectorELNS0_4arch9wavefront6targetE1EEEvT1_
                                        ; -- End function
	.section	.AMDGPU.csdata,"",@progbits
; Kernel info:
; codeLenInByte = 0
; NumSgprs: 4
; NumVgprs: 0
; NumAgprs: 0
; TotalNumVgprs: 0
; ScratchSize: 0
; MemoryBound: 0
; FloatMode: 240
; IeeeMode: 1
; LDSByteSize: 0 bytes/workgroup (compile time only)
; SGPRBlocks: 0
; VGPRBlocks: 0
; NumSGPRsForWavesPerEU: 4
; NumVGPRsForWavesPerEU: 1
; AccumOffset: 4
; Occupancy: 8
; WaveLimiterHint : 0
; COMPUTE_PGM_RSRC2:SCRATCH_EN: 0
; COMPUTE_PGM_RSRC2:USER_SGPR: 6
; COMPUTE_PGM_RSRC2:TRAP_HANDLER: 0
; COMPUTE_PGM_RSRC2:TGID_X_EN: 1
; COMPUTE_PGM_RSRC2:TGID_Y_EN: 0
; COMPUTE_PGM_RSRC2:TGID_Z_EN: 0
; COMPUTE_PGM_RSRC2:TIDIG_COMP_CNT: 0
; COMPUTE_PGM_RSRC3_GFX90A:ACCUM_OFFSET: 0
; COMPUTE_PGM_RSRC3_GFX90A:TG_SPLIT: 0
	.section	.text._ZN7rocprim17ROCPRIM_400000_NS6detail17trampoline_kernelINS0_14default_configENS1_20scan_config_selectorIN3c108BFloat16EEEZZNS1_9scan_implILNS1_25lookback_scan_determinismE0ELb0ELb0ES3_PKS6_PS6_S6_ZZZN2at6native31launch_logcumsumexp_cuda_kernelERKNSD_10TensorBaseESH_lENKUlvE_clEvENKUlvE4_clEvEUlS6_S6_E_S6_EEDaPvRmT3_T4_T5_mT6_P12ihipStream_tbENKUlT_T0_E_clISt17integral_constantIbLb1EESY_EEDaST_SU_EUlST_E_NS1_11comp_targetILNS1_3genE8ELNS1_11target_archE1030ELNS1_3gpuE2ELNS1_3repE0EEENS1_30default_config_static_selectorELNS0_4arch9wavefront6targetE1EEEvT1_,"axG",@progbits,_ZN7rocprim17ROCPRIM_400000_NS6detail17trampoline_kernelINS0_14default_configENS1_20scan_config_selectorIN3c108BFloat16EEEZZNS1_9scan_implILNS1_25lookback_scan_determinismE0ELb0ELb0ES3_PKS6_PS6_S6_ZZZN2at6native31launch_logcumsumexp_cuda_kernelERKNSD_10TensorBaseESH_lENKUlvE_clEvENKUlvE4_clEvEUlS6_S6_E_S6_EEDaPvRmT3_T4_T5_mT6_P12ihipStream_tbENKUlT_T0_E_clISt17integral_constantIbLb1EESY_EEDaST_SU_EUlST_E_NS1_11comp_targetILNS1_3genE8ELNS1_11target_archE1030ELNS1_3gpuE2ELNS1_3repE0EEENS1_30default_config_static_selectorELNS0_4arch9wavefront6targetE1EEEvT1_,comdat
	.globl	_ZN7rocprim17ROCPRIM_400000_NS6detail17trampoline_kernelINS0_14default_configENS1_20scan_config_selectorIN3c108BFloat16EEEZZNS1_9scan_implILNS1_25lookback_scan_determinismE0ELb0ELb0ES3_PKS6_PS6_S6_ZZZN2at6native31launch_logcumsumexp_cuda_kernelERKNSD_10TensorBaseESH_lENKUlvE_clEvENKUlvE4_clEvEUlS6_S6_E_S6_EEDaPvRmT3_T4_T5_mT6_P12ihipStream_tbENKUlT_T0_E_clISt17integral_constantIbLb1EESY_EEDaST_SU_EUlST_E_NS1_11comp_targetILNS1_3genE8ELNS1_11target_archE1030ELNS1_3gpuE2ELNS1_3repE0EEENS1_30default_config_static_selectorELNS0_4arch9wavefront6targetE1EEEvT1_ ; -- Begin function _ZN7rocprim17ROCPRIM_400000_NS6detail17trampoline_kernelINS0_14default_configENS1_20scan_config_selectorIN3c108BFloat16EEEZZNS1_9scan_implILNS1_25lookback_scan_determinismE0ELb0ELb0ES3_PKS6_PS6_S6_ZZZN2at6native31launch_logcumsumexp_cuda_kernelERKNSD_10TensorBaseESH_lENKUlvE_clEvENKUlvE4_clEvEUlS6_S6_E_S6_EEDaPvRmT3_T4_T5_mT6_P12ihipStream_tbENKUlT_T0_E_clISt17integral_constantIbLb1EESY_EEDaST_SU_EUlST_E_NS1_11comp_targetILNS1_3genE8ELNS1_11target_archE1030ELNS1_3gpuE2ELNS1_3repE0EEENS1_30default_config_static_selectorELNS0_4arch9wavefront6targetE1EEEvT1_
	.p2align	8
	.type	_ZN7rocprim17ROCPRIM_400000_NS6detail17trampoline_kernelINS0_14default_configENS1_20scan_config_selectorIN3c108BFloat16EEEZZNS1_9scan_implILNS1_25lookback_scan_determinismE0ELb0ELb0ES3_PKS6_PS6_S6_ZZZN2at6native31launch_logcumsumexp_cuda_kernelERKNSD_10TensorBaseESH_lENKUlvE_clEvENKUlvE4_clEvEUlS6_S6_E_S6_EEDaPvRmT3_T4_T5_mT6_P12ihipStream_tbENKUlT_T0_E_clISt17integral_constantIbLb1EESY_EEDaST_SU_EUlST_E_NS1_11comp_targetILNS1_3genE8ELNS1_11target_archE1030ELNS1_3gpuE2ELNS1_3repE0EEENS1_30default_config_static_selectorELNS0_4arch9wavefront6targetE1EEEvT1_,@function
_ZN7rocprim17ROCPRIM_400000_NS6detail17trampoline_kernelINS0_14default_configENS1_20scan_config_selectorIN3c108BFloat16EEEZZNS1_9scan_implILNS1_25lookback_scan_determinismE0ELb0ELb0ES3_PKS6_PS6_S6_ZZZN2at6native31launch_logcumsumexp_cuda_kernelERKNSD_10TensorBaseESH_lENKUlvE_clEvENKUlvE4_clEvEUlS6_S6_E_S6_EEDaPvRmT3_T4_T5_mT6_P12ihipStream_tbENKUlT_T0_E_clISt17integral_constantIbLb1EESY_EEDaST_SU_EUlST_E_NS1_11comp_targetILNS1_3genE8ELNS1_11target_archE1030ELNS1_3gpuE2ELNS1_3repE0EEENS1_30default_config_static_selectorELNS0_4arch9wavefront6targetE1EEEvT1_: ; @_ZN7rocprim17ROCPRIM_400000_NS6detail17trampoline_kernelINS0_14default_configENS1_20scan_config_selectorIN3c108BFloat16EEEZZNS1_9scan_implILNS1_25lookback_scan_determinismE0ELb0ELb0ES3_PKS6_PS6_S6_ZZZN2at6native31launch_logcumsumexp_cuda_kernelERKNSD_10TensorBaseESH_lENKUlvE_clEvENKUlvE4_clEvEUlS6_S6_E_S6_EEDaPvRmT3_T4_T5_mT6_P12ihipStream_tbENKUlT_T0_E_clISt17integral_constantIbLb1EESY_EEDaST_SU_EUlST_E_NS1_11comp_targetILNS1_3genE8ELNS1_11target_archE1030ELNS1_3gpuE2ELNS1_3repE0EEENS1_30default_config_static_selectorELNS0_4arch9wavefront6targetE1EEEvT1_
; %bb.0:
	.section	.rodata,"a",@progbits
	.p2align	6, 0x0
	.amdhsa_kernel _ZN7rocprim17ROCPRIM_400000_NS6detail17trampoline_kernelINS0_14default_configENS1_20scan_config_selectorIN3c108BFloat16EEEZZNS1_9scan_implILNS1_25lookback_scan_determinismE0ELb0ELb0ES3_PKS6_PS6_S6_ZZZN2at6native31launch_logcumsumexp_cuda_kernelERKNSD_10TensorBaseESH_lENKUlvE_clEvENKUlvE4_clEvEUlS6_S6_E_S6_EEDaPvRmT3_T4_T5_mT6_P12ihipStream_tbENKUlT_T0_E_clISt17integral_constantIbLb1EESY_EEDaST_SU_EUlST_E_NS1_11comp_targetILNS1_3genE8ELNS1_11target_archE1030ELNS1_3gpuE2ELNS1_3repE0EEENS1_30default_config_static_selectorELNS0_4arch9wavefront6targetE1EEEvT1_
		.amdhsa_group_segment_fixed_size 0
		.amdhsa_private_segment_fixed_size 0
		.amdhsa_kernarg_size 96
		.amdhsa_user_sgpr_count 6
		.amdhsa_user_sgpr_private_segment_buffer 1
		.amdhsa_user_sgpr_dispatch_ptr 0
		.amdhsa_user_sgpr_queue_ptr 0
		.amdhsa_user_sgpr_kernarg_segment_ptr 1
		.amdhsa_user_sgpr_dispatch_id 0
		.amdhsa_user_sgpr_flat_scratch_init 0
		.amdhsa_user_sgpr_kernarg_preload_length 0
		.amdhsa_user_sgpr_kernarg_preload_offset 0
		.amdhsa_user_sgpr_private_segment_size 0
		.amdhsa_uses_dynamic_stack 0
		.amdhsa_system_sgpr_private_segment_wavefront_offset 0
		.amdhsa_system_sgpr_workgroup_id_x 1
		.amdhsa_system_sgpr_workgroup_id_y 0
		.amdhsa_system_sgpr_workgroup_id_z 0
		.amdhsa_system_sgpr_workgroup_info 0
		.amdhsa_system_vgpr_workitem_id 0
		.amdhsa_next_free_vgpr 1
		.amdhsa_next_free_sgpr 0
		.amdhsa_accum_offset 4
		.amdhsa_reserve_vcc 0
		.amdhsa_reserve_flat_scratch 0
		.amdhsa_float_round_mode_32 0
		.amdhsa_float_round_mode_16_64 0
		.amdhsa_float_denorm_mode_32 3
		.amdhsa_float_denorm_mode_16_64 3
		.amdhsa_dx10_clamp 1
		.amdhsa_ieee_mode 1
		.amdhsa_fp16_overflow 0
		.amdhsa_tg_split 0
		.amdhsa_exception_fp_ieee_invalid_op 0
		.amdhsa_exception_fp_denorm_src 0
		.amdhsa_exception_fp_ieee_div_zero 0
		.amdhsa_exception_fp_ieee_overflow 0
		.amdhsa_exception_fp_ieee_underflow 0
		.amdhsa_exception_fp_ieee_inexact 0
		.amdhsa_exception_int_div_zero 0
	.end_amdhsa_kernel
	.section	.text._ZN7rocprim17ROCPRIM_400000_NS6detail17trampoline_kernelINS0_14default_configENS1_20scan_config_selectorIN3c108BFloat16EEEZZNS1_9scan_implILNS1_25lookback_scan_determinismE0ELb0ELb0ES3_PKS6_PS6_S6_ZZZN2at6native31launch_logcumsumexp_cuda_kernelERKNSD_10TensorBaseESH_lENKUlvE_clEvENKUlvE4_clEvEUlS6_S6_E_S6_EEDaPvRmT3_T4_T5_mT6_P12ihipStream_tbENKUlT_T0_E_clISt17integral_constantIbLb1EESY_EEDaST_SU_EUlST_E_NS1_11comp_targetILNS1_3genE8ELNS1_11target_archE1030ELNS1_3gpuE2ELNS1_3repE0EEENS1_30default_config_static_selectorELNS0_4arch9wavefront6targetE1EEEvT1_,"axG",@progbits,_ZN7rocprim17ROCPRIM_400000_NS6detail17trampoline_kernelINS0_14default_configENS1_20scan_config_selectorIN3c108BFloat16EEEZZNS1_9scan_implILNS1_25lookback_scan_determinismE0ELb0ELb0ES3_PKS6_PS6_S6_ZZZN2at6native31launch_logcumsumexp_cuda_kernelERKNSD_10TensorBaseESH_lENKUlvE_clEvENKUlvE4_clEvEUlS6_S6_E_S6_EEDaPvRmT3_T4_T5_mT6_P12ihipStream_tbENKUlT_T0_E_clISt17integral_constantIbLb1EESY_EEDaST_SU_EUlST_E_NS1_11comp_targetILNS1_3genE8ELNS1_11target_archE1030ELNS1_3gpuE2ELNS1_3repE0EEENS1_30default_config_static_selectorELNS0_4arch9wavefront6targetE1EEEvT1_,comdat
.Lfunc_end479:
	.size	_ZN7rocprim17ROCPRIM_400000_NS6detail17trampoline_kernelINS0_14default_configENS1_20scan_config_selectorIN3c108BFloat16EEEZZNS1_9scan_implILNS1_25lookback_scan_determinismE0ELb0ELb0ES3_PKS6_PS6_S6_ZZZN2at6native31launch_logcumsumexp_cuda_kernelERKNSD_10TensorBaseESH_lENKUlvE_clEvENKUlvE4_clEvEUlS6_S6_E_S6_EEDaPvRmT3_T4_T5_mT6_P12ihipStream_tbENKUlT_T0_E_clISt17integral_constantIbLb1EESY_EEDaST_SU_EUlST_E_NS1_11comp_targetILNS1_3genE8ELNS1_11target_archE1030ELNS1_3gpuE2ELNS1_3repE0EEENS1_30default_config_static_selectorELNS0_4arch9wavefront6targetE1EEEvT1_, .Lfunc_end479-_ZN7rocprim17ROCPRIM_400000_NS6detail17trampoline_kernelINS0_14default_configENS1_20scan_config_selectorIN3c108BFloat16EEEZZNS1_9scan_implILNS1_25lookback_scan_determinismE0ELb0ELb0ES3_PKS6_PS6_S6_ZZZN2at6native31launch_logcumsumexp_cuda_kernelERKNSD_10TensorBaseESH_lENKUlvE_clEvENKUlvE4_clEvEUlS6_S6_E_S6_EEDaPvRmT3_T4_T5_mT6_P12ihipStream_tbENKUlT_T0_E_clISt17integral_constantIbLb1EESY_EEDaST_SU_EUlST_E_NS1_11comp_targetILNS1_3genE8ELNS1_11target_archE1030ELNS1_3gpuE2ELNS1_3repE0EEENS1_30default_config_static_selectorELNS0_4arch9wavefront6targetE1EEEvT1_
                                        ; -- End function
	.section	.AMDGPU.csdata,"",@progbits
; Kernel info:
; codeLenInByte = 0
; NumSgprs: 4
; NumVgprs: 0
; NumAgprs: 0
; TotalNumVgprs: 0
; ScratchSize: 0
; MemoryBound: 0
; FloatMode: 240
; IeeeMode: 1
; LDSByteSize: 0 bytes/workgroup (compile time only)
; SGPRBlocks: 0
; VGPRBlocks: 0
; NumSGPRsForWavesPerEU: 4
; NumVGPRsForWavesPerEU: 1
; AccumOffset: 4
; Occupancy: 8
; WaveLimiterHint : 0
; COMPUTE_PGM_RSRC2:SCRATCH_EN: 0
; COMPUTE_PGM_RSRC2:USER_SGPR: 6
; COMPUTE_PGM_RSRC2:TRAP_HANDLER: 0
; COMPUTE_PGM_RSRC2:TGID_X_EN: 1
; COMPUTE_PGM_RSRC2:TGID_Y_EN: 0
; COMPUTE_PGM_RSRC2:TGID_Z_EN: 0
; COMPUTE_PGM_RSRC2:TIDIG_COMP_CNT: 0
; COMPUTE_PGM_RSRC3_GFX90A:ACCUM_OFFSET: 0
; COMPUTE_PGM_RSRC3_GFX90A:TG_SPLIT: 0
	.section	.text._ZN7rocprim17ROCPRIM_400000_NS6detail17trampoline_kernelINS0_14default_configENS1_20scan_config_selectorIN3c108BFloat16EEEZZNS1_9scan_implILNS1_25lookback_scan_determinismE0ELb0ELb0ES3_PKS6_PS6_S6_ZZZN2at6native31launch_logcumsumexp_cuda_kernelERKNSD_10TensorBaseESH_lENKUlvE_clEvENKUlvE4_clEvEUlS6_S6_E_S6_EEDaPvRmT3_T4_T5_mT6_P12ihipStream_tbENKUlT_T0_E_clISt17integral_constantIbLb1EESY_EEDaST_SU_EUlST_E0_NS1_11comp_targetILNS1_3genE0ELNS1_11target_archE4294967295ELNS1_3gpuE0ELNS1_3repE0EEENS1_30default_config_static_selectorELNS0_4arch9wavefront6targetE1EEEvT1_,"axG",@progbits,_ZN7rocprim17ROCPRIM_400000_NS6detail17trampoline_kernelINS0_14default_configENS1_20scan_config_selectorIN3c108BFloat16EEEZZNS1_9scan_implILNS1_25lookback_scan_determinismE0ELb0ELb0ES3_PKS6_PS6_S6_ZZZN2at6native31launch_logcumsumexp_cuda_kernelERKNSD_10TensorBaseESH_lENKUlvE_clEvENKUlvE4_clEvEUlS6_S6_E_S6_EEDaPvRmT3_T4_T5_mT6_P12ihipStream_tbENKUlT_T0_E_clISt17integral_constantIbLb1EESY_EEDaST_SU_EUlST_E0_NS1_11comp_targetILNS1_3genE0ELNS1_11target_archE4294967295ELNS1_3gpuE0ELNS1_3repE0EEENS1_30default_config_static_selectorELNS0_4arch9wavefront6targetE1EEEvT1_,comdat
	.globl	_ZN7rocprim17ROCPRIM_400000_NS6detail17trampoline_kernelINS0_14default_configENS1_20scan_config_selectorIN3c108BFloat16EEEZZNS1_9scan_implILNS1_25lookback_scan_determinismE0ELb0ELb0ES3_PKS6_PS6_S6_ZZZN2at6native31launch_logcumsumexp_cuda_kernelERKNSD_10TensorBaseESH_lENKUlvE_clEvENKUlvE4_clEvEUlS6_S6_E_S6_EEDaPvRmT3_T4_T5_mT6_P12ihipStream_tbENKUlT_T0_E_clISt17integral_constantIbLb1EESY_EEDaST_SU_EUlST_E0_NS1_11comp_targetILNS1_3genE0ELNS1_11target_archE4294967295ELNS1_3gpuE0ELNS1_3repE0EEENS1_30default_config_static_selectorELNS0_4arch9wavefront6targetE1EEEvT1_ ; -- Begin function _ZN7rocprim17ROCPRIM_400000_NS6detail17trampoline_kernelINS0_14default_configENS1_20scan_config_selectorIN3c108BFloat16EEEZZNS1_9scan_implILNS1_25lookback_scan_determinismE0ELb0ELb0ES3_PKS6_PS6_S6_ZZZN2at6native31launch_logcumsumexp_cuda_kernelERKNSD_10TensorBaseESH_lENKUlvE_clEvENKUlvE4_clEvEUlS6_S6_E_S6_EEDaPvRmT3_T4_T5_mT6_P12ihipStream_tbENKUlT_T0_E_clISt17integral_constantIbLb1EESY_EEDaST_SU_EUlST_E0_NS1_11comp_targetILNS1_3genE0ELNS1_11target_archE4294967295ELNS1_3gpuE0ELNS1_3repE0EEENS1_30default_config_static_selectorELNS0_4arch9wavefront6targetE1EEEvT1_
	.p2align	8
	.type	_ZN7rocprim17ROCPRIM_400000_NS6detail17trampoline_kernelINS0_14default_configENS1_20scan_config_selectorIN3c108BFloat16EEEZZNS1_9scan_implILNS1_25lookback_scan_determinismE0ELb0ELb0ES3_PKS6_PS6_S6_ZZZN2at6native31launch_logcumsumexp_cuda_kernelERKNSD_10TensorBaseESH_lENKUlvE_clEvENKUlvE4_clEvEUlS6_S6_E_S6_EEDaPvRmT3_T4_T5_mT6_P12ihipStream_tbENKUlT_T0_E_clISt17integral_constantIbLb1EESY_EEDaST_SU_EUlST_E0_NS1_11comp_targetILNS1_3genE0ELNS1_11target_archE4294967295ELNS1_3gpuE0ELNS1_3repE0EEENS1_30default_config_static_selectorELNS0_4arch9wavefront6targetE1EEEvT1_,@function
_ZN7rocprim17ROCPRIM_400000_NS6detail17trampoline_kernelINS0_14default_configENS1_20scan_config_selectorIN3c108BFloat16EEEZZNS1_9scan_implILNS1_25lookback_scan_determinismE0ELb0ELb0ES3_PKS6_PS6_S6_ZZZN2at6native31launch_logcumsumexp_cuda_kernelERKNSD_10TensorBaseESH_lENKUlvE_clEvENKUlvE4_clEvEUlS6_S6_E_S6_EEDaPvRmT3_T4_T5_mT6_P12ihipStream_tbENKUlT_T0_E_clISt17integral_constantIbLb1EESY_EEDaST_SU_EUlST_E0_NS1_11comp_targetILNS1_3genE0ELNS1_11target_archE4294967295ELNS1_3gpuE0ELNS1_3repE0EEENS1_30default_config_static_selectorELNS0_4arch9wavefront6targetE1EEEvT1_: ; @_ZN7rocprim17ROCPRIM_400000_NS6detail17trampoline_kernelINS0_14default_configENS1_20scan_config_selectorIN3c108BFloat16EEEZZNS1_9scan_implILNS1_25lookback_scan_determinismE0ELb0ELb0ES3_PKS6_PS6_S6_ZZZN2at6native31launch_logcumsumexp_cuda_kernelERKNSD_10TensorBaseESH_lENKUlvE_clEvENKUlvE4_clEvEUlS6_S6_E_S6_EEDaPvRmT3_T4_T5_mT6_P12ihipStream_tbENKUlT_T0_E_clISt17integral_constantIbLb1EESY_EEDaST_SU_EUlST_E0_NS1_11comp_targetILNS1_3genE0ELNS1_11target_archE4294967295ELNS1_3gpuE0ELNS1_3repE0EEENS1_30default_config_static_selectorELNS0_4arch9wavefront6targetE1EEEvT1_
; %bb.0:
	.section	.rodata,"a",@progbits
	.p2align	6, 0x0
	.amdhsa_kernel _ZN7rocprim17ROCPRIM_400000_NS6detail17trampoline_kernelINS0_14default_configENS1_20scan_config_selectorIN3c108BFloat16EEEZZNS1_9scan_implILNS1_25lookback_scan_determinismE0ELb0ELb0ES3_PKS6_PS6_S6_ZZZN2at6native31launch_logcumsumexp_cuda_kernelERKNSD_10TensorBaseESH_lENKUlvE_clEvENKUlvE4_clEvEUlS6_S6_E_S6_EEDaPvRmT3_T4_T5_mT6_P12ihipStream_tbENKUlT_T0_E_clISt17integral_constantIbLb1EESY_EEDaST_SU_EUlST_E0_NS1_11comp_targetILNS1_3genE0ELNS1_11target_archE4294967295ELNS1_3gpuE0ELNS1_3repE0EEENS1_30default_config_static_selectorELNS0_4arch9wavefront6targetE1EEEvT1_
		.amdhsa_group_segment_fixed_size 0
		.amdhsa_private_segment_fixed_size 0
		.amdhsa_kernarg_size 32
		.amdhsa_user_sgpr_count 6
		.amdhsa_user_sgpr_private_segment_buffer 1
		.amdhsa_user_sgpr_dispatch_ptr 0
		.amdhsa_user_sgpr_queue_ptr 0
		.amdhsa_user_sgpr_kernarg_segment_ptr 1
		.amdhsa_user_sgpr_dispatch_id 0
		.amdhsa_user_sgpr_flat_scratch_init 0
		.amdhsa_user_sgpr_kernarg_preload_length 0
		.amdhsa_user_sgpr_kernarg_preload_offset 0
		.amdhsa_user_sgpr_private_segment_size 0
		.amdhsa_uses_dynamic_stack 0
		.amdhsa_system_sgpr_private_segment_wavefront_offset 0
		.amdhsa_system_sgpr_workgroup_id_x 1
		.amdhsa_system_sgpr_workgroup_id_y 0
		.amdhsa_system_sgpr_workgroup_id_z 0
		.amdhsa_system_sgpr_workgroup_info 0
		.amdhsa_system_vgpr_workitem_id 0
		.amdhsa_next_free_vgpr 1
		.amdhsa_next_free_sgpr 0
		.amdhsa_accum_offset 4
		.amdhsa_reserve_vcc 0
		.amdhsa_reserve_flat_scratch 0
		.amdhsa_float_round_mode_32 0
		.amdhsa_float_round_mode_16_64 0
		.amdhsa_float_denorm_mode_32 3
		.amdhsa_float_denorm_mode_16_64 3
		.amdhsa_dx10_clamp 1
		.amdhsa_ieee_mode 1
		.amdhsa_fp16_overflow 0
		.amdhsa_tg_split 0
		.amdhsa_exception_fp_ieee_invalid_op 0
		.amdhsa_exception_fp_denorm_src 0
		.amdhsa_exception_fp_ieee_div_zero 0
		.amdhsa_exception_fp_ieee_overflow 0
		.amdhsa_exception_fp_ieee_underflow 0
		.amdhsa_exception_fp_ieee_inexact 0
		.amdhsa_exception_int_div_zero 0
	.end_amdhsa_kernel
	.section	.text._ZN7rocprim17ROCPRIM_400000_NS6detail17trampoline_kernelINS0_14default_configENS1_20scan_config_selectorIN3c108BFloat16EEEZZNS1_9scan_implILNS1_25lookback_scan_determinismE0ELb0ELb0ES3_PKS6_PS6_S6_ZZZN2at6native31launch_logcumsumexp_cuda_kernelERKNSD_10TensorBaseESH_lENKUlvE_clEvENKUlvE4_clEvEUlS6_S6_E_S6_EEDaPvRmT3_T4_T5_mT6_P12ihipStream_tbENKUlT_T0_E_clISt17integral_constantIbLb1EESY_EEDaST_SU_EUlST_E0_NS1_11comp_targetILNS1_3genE0ELNS1_11target_archE4294967295ELNS1_3gpuE0ELNS1_3repE0EEENS1_30default_config_static_selectorELNS0_4arch9wavefront6targetE1EEEvT1_,"axG",@progbits,_ZN7rocprim17ROCPRIM_400000_NS6detail17trampoline_kernelINS0_14default_configENS1_20scan_config_selectorIN3c108BFloat16EEEZZNS1_9scan_implILNS1_25lookback_scan_determinismE0ELb0ELb0ES3_PKS6_PS6_S6_ZZZN2at6native31launch_logcumsumexp_cuda_kernelERKNSD_10TensorBaseESH_lENKUlvE_clEvENKUlvE4_clEvEUlS6_S6_E_S6_EEDaPvRmT3_T4_T5_mT6_P12ihipStream_tbENKUlT_T0_E_clISt17integral_constantIbLb1EESY_EEDaST_SU_EUlST_E0_NS1_11comp_targetILNS1_3genE0ELNS1_11target_archE4294967295ELNS1_3gpuE0ELNS1_3repE0EEENS1_30default_config_static_selectorELNS0_4arch9wavefront6targetE1EEEvT1_,comdat
.Lfunc_end480:
	.size	_ZN7rocprim17ROCPRIM_400000_NS6detail17trampoline_kernelINS0_14default_configENS1_20scan_config_selectorIN3c108BFloat16EEEZZNS1_9scan_implILNS1_25lookback_scan_determinismE0ELb0ELb0ES3_PKS6_PS6_S6_ZZZN2at6native31launch_logcumsumexp_cuda_kernelERKNSD_10TensorBaseESH_lENKUlvE_clEvENKUlvE4_clEvEUlS6_S6_E_S6_EEDaPvRmT3_T4_T5_mT6_P12ihipStream_tbENKUlT_T0_E_clISt17integral_constantIbLb1EESY_EEDaST_SU_EUlST_E0_NS1_11comp_targetILNS1_3genE0ELNS1_11target_archE4294967295ELNS1_3gpuE0ELNS1_3repE0EEENS1_30default_config_static_selectorELNS0_4arch9wavefront6targetE1EEEvT1_, .Lfunc_end480-_ZN7rocprim17ROCPRIM_400000_NS6detail17trampoline_kernelINS0_14default_configENS1_20scan_config_selectorIN3c108BFloat16EEEZZNS1_9scan_implILNS1_25lookback_scan_determinismE0ELb0ELb0ES3_PKS6_PS6_S6_ZZZN2at6native31launch_logcumsumexp_cuda_kernelERKNSD_10TensorBaseESH_lENKUlvE_clEvENKUlvE4_clEvEUlS6_S6_E_S6_EEDaPvRmT3_T4_T5_mT6_P12ihipStream_tbENKUlT_T0_E_clISt17integral_constantIbLb1EESY_EEDaST_SU_EUlST_E0_NS1_11comp_targetILNS1_3genE0ELNS1_11target_archE4294967295ELNS1_3gpuE0ELNS1_3repE0EEENS1_30default_config_static_selectorELNS0_4arch9wavefront6targetE1EEEvT1_
                                        ; -- End function
	.section	.AMDGPU.csdata,"",@progbits
; Kernel info:
; codeLenInByte = 0
; NumSgprs: 4
; NumVgprs: 0
; NumAgprs: 0
; TotalNumVgprs: 0
; ScratchSize: 0
; MemoryBound: 0
; FloatMode: 240
; IeeeMode: 1
; LDSByteSize: 0 bytes/workgroup (compile time only)
; SGPRBlocks: 0
; VGPRBlocks: 0
; NumSGPRsForWavesPerEU: 4
; NumVGPRsForWavesPerEU: 1
; AccumOffset: 4
; Occupancy: 8
; WaveLimiterHint : 0
; COMPUTE_PGM_RSRC2:SCRATCH_EN: 0
; COMPUTE_PGM_RSRC2:USER_SGPR: 6
; COMPUTE_PGM_RSRC2:TRAP_HANDLER: 0
; COMPUTE_PGM_RSRC2:TGID_X_EN: 1
; COMPUTE_PGM_RSRC2:TGID_Y_EN: 0
; COMPUTE_PGM_RSRC2:TGID_Z_EN: 0
; COMPUTE_PGM_RSRC2:TIDIG_COMP_CNT: 0
; COMPUTE_PGM_RSRC3_GFX90A:ACCUM_OFFSET: 0
; COMPUTE_PGM_RSRC3_GFX90A:TG_SPLIT: 0
	.section	.text._ZN7rocprim17ROCPRIM_400000_NS6detail17trampoline_kernelINS0_14default_configENS1_20scan_config_selectorIN3c108BFloat16EEEZZNS1_9scan_implILNS1_25lookback_scan_determinismE0ELb0ELb0ES3_PKS6_PS6_S6_ZZZN2at6native31launch_logcumsumexp_cuda_kernelERKNSD_10TensorBaseESH_lENKUlvE_clEvENKUlvE4_clEvEUlS6_S6_E_S6_EEDaPvRmT3_T4_T5_mT6_P12ihipStream_tbENKUlT_T0_E_clISt17integral_constantIbLb1EESY_EEDaST_SU_EUlST_E0_NS1_11comp_targetILNS1_3genE5ELNS1_11target_archE942ELNS1_3gpuE9ELNS1_3repE0EEENS1_30default_config_static_selectorELNS0_4arch9wavefront6targetE1EEEvT1_,"axG",@progbits,_ZN7rocprim17ROCPRIM_400000_NS6detail17trampoline_kernelINS0_14default_configENS1_20scan_config_selectorIN3c108BFloat16EEEZZNS1_9scan_implILNS1_25lookback_scan_determinismE0ELb0ELb0ES3_PKS6_PS6_S6_ZZZN2at6native31launch_logcumsumexp_cuda_kernelERKNSD_10TensorBaseESH_lENKUlvE_clEvENKUlvE4_clEvEUlS6_S6_E_S6_EEDaPvRmT3_T4_T5_mT6_P12ihipStream_tbENKUlT_T0_E_clISt17integral_constantIbLb1EESY_EEDaST_SU_EUlST_E0_NS1_11comp_targetILNS1_3genE5ELNS1_11target_archE942ELNS1_3gpuE9ELNS1_3repE0EEENS1_30default_config_static_selectorELNS0_4arch9wavefront6targetE1EEEvT1_,comdat
	.globl	_ZN7rocprim17ROCPRIM_400000_NS6detail17trampoline_kernelINS0_14default_configENS1_20scan_config_selectorIN3c108BFloat16EEEZZNS1_9scan_implILNS1_25lookback_scan_determinismE0ELb0ELb0ES3_PKS6_PS6_S6_ZZZN2at6native31launch_logcumsumexp_cuda_kernelERKNSD_10TensorBaseESH_lENKUlvE_clEvENKUlvE4_clEvEUlS6_S6_E_S6_EEDaPvRmT3_T4_T5_mT6_P12ihipStream_tbENKUlT_T0_E_clISt17integral_constantIbLb1EESY_EEDaST_SU_EUlST_E0_NS1_11comp_targetILNS1_3genE5ELNS1_11target_archE942ELNS1_3gpuE9ELNS1_3repE0EEENS1_30default_config_static_selectorELNS0_4arch9wavefront6targetE1EEEvT1_ ; -- Begin function _ZN7rocprim17ROCPRIM_400000_NS6detail17trampoline_kernelINS0_14default_configENS1_20scan_config_selectorIN3c108BFloat16EEEZZNS1_9scan_implILNS1_25lookback_scan_determinismE0ELb0ELb0ES3_PKS6_PS6_S6_ZZZN2at6native31launch_logcumsumexp_cuda_kernelERKNSD_10TensorBaseESH_lENKUlvE_clEvENKUlvE4_clEvEUlS6_S6_E_S6_EEDaPvRmT3_T4_T5_mT6_P12ihipStream_tbENKUlT_T0_E_clISt17integral_constantIbLb1EESY_EEDaST_SU_EUlST_E0_NS1_11comp_targetILNS1_3genE5ELNS1_11target_archE942ELNS1_3gpuE9ELNS1_3repE0EEENS1_30default_config_static_selectorELNS0_4arch9wavefront6targetE1EEEvT1_
	.p2align	8
	.type	_ZN7rocprim17ROCPRIM_400000_NS6detail17trampoline_kernelINS0_14default_configENS1_20scan_config_selectorIN3c108BFloat16EEEZZNS1_9scan_implILNS1_25lookback_scan_determinismE0ELb0ELb0ES3_PKS6_PS6_S6_ZZZN2at6native31launch_logcumsumexp_cuda_kernelERKNSD_10TensorBaseESH_lENKUlvE_clEvENKUlvE4_clEvEUlS6_S6_E_S6_EEDaPvRmT3_T4_T5_mT6_P12ihipStream_tbENKUlT_T0_E_clISt17integral_constantIbLb1EESY_EEDaST_SU_EUlST_E0_NS1_11comp_targetILNS1_3genE5ELNS1_11target_archE942ELNS1_3gpuE9ELNS1_3repE0EEENS1_30default_config_static_selectorELNS0_4arch9wavefront6targetE1EEEvT1_,@function
_ZN7rocprim17ROCPRIM_400000_NS6detail17trampoline_kernelINS0_14default_configENS1_20scan_config_selectorIN3c108BFloat16EEEZZNS1_9scan_implILNS1_25lookback_scan_determinismE0ELb0ELb0ES3_PKS6_PS6_S6_ZZZN2at6native31launch_logcumsumexp_cuda_kernelERKNSD_10TensorBaseESH_lENKUlvE_clEvENKUlvE4_clEvEUlS6_S6_E_S6_EEDaPvRmT3_T4_T5_mT6_P12ihipStream_tbENKUlT_T0_E_clISt17integral_constantIbLb1EESY_EEDaST_SU_EUlST_E0_NS1_11comp_targetILNS1_3genE5ELNS1_11target_archE942ELNS1_3gpuE9ELNS1_3repE0EEENS1_30default_config_static_selectorELNS0_4arch9wavefront6targetE1EEEvT1_: ; @_ZN7rocprim17ROCPRIM_400000_NS6detail17trampoline_kernelINS0_14default_configENS1_20scan_config_selectorIN3c108BFloat16EEEZZNS1_9scan_implILNS1_25lookback_scan_determinismE0ELb0ELb0ES3_PKS6_PS6_S6_ZZZN2at6native31launch_logcumsumexp_cuda_kernelERKNSD_10TensorBaseESH_lENKUlvE_clEvENKUlvE4_clEvEUlS6_S6_E_S6_EEDaPvRmT3_T4_T5_mT6_P12ihipStream_tbENKUlT_T0_E_clISt17integral_constantIbLb1EESY_EEDaST_SU_EUlST_E0_NS1_11comp_targetILNS1_3genE5ELNS1_11target_archE942ELNS1_3gpuE9ELNS1_3repE0EEENS1_30default_config_static_selectorELNS0_4arch9wavefront6targetE1EEEvT1_
; %bb.0:
	.section	.rodata,"a",@progbits
	.p2align	6, 0x0
	.amdhsa_kernel _ZN7rocprim17ROCPRIM_400000_NS6detail17trampoline_kernelINS0_14default_configENS1_20scan_config_selectorIN3c108BFloat16EEEZZNS1_9scan_implILNS1_25lookback_scan_determinismE0ELb0ELb0ES3_PKS6_PS6_S6_ZZZN2at6native31launch_logcumsumexp_cuda_kernelERKNSD_10TensorBaseESH_lENKUlvE_clEvENKUlvE4_clEvEUlS6_S6_E_S6_EEDaPvRmT3_T4_T5_mT6_P12ihipStream_tbENKUlT_T0_E_clISt17integral_constantIbLb1EESY_EEDaST_SU_EUlST_E0_NS1_11comp_targetILNS1_3genE5ELNS1_11target_archE942ELNS1_3gpuE9ELNS1_3repE0EEENS1_30default_config_static_selectorELNS0_4arch9wavefront6targetE1EEEvT1_
		.amdhsa_group_segment_fixed_size 0
		.amdhsa_private_segment_fixed_size 0
		.amdhsa_kernarg_size 32
		.amdhsa_user_sgpr_count 6
		.amdhsa_user_sgpr_private_segment_buffer 1
		.amdhsa_user_sgpr_dispatch_ptr 0
		.amdhsa_user_sgpr_queue_ptr 0
		.amdhsa_user_sgpr_kernarg_segment_ptr 1
		.amdhsa_user_sgpr_dispatch_id 0
		.amdhsa_user_sgpr_flat_scratch_init 0
		.amdhsa_user_sgpr_kernarg_preload_length 0
		.amdhsa_user_sgpr_kernarg_preload_offset 0
		.amdhsa_user_sgpr_private_segment_size 0
		.amdhsa_uses_dynamic_stack 0
		.amdhsa_system_sgpr_private_segment_wavefront_offset 0
		.amdhsa_system_sgpr_workgroup_id_x 1
		.amdhsa_system_sgpr_workgroup_id_y 0
		.amdhsa_system_sgpr_workgroup_id_z 0
		.amdhsa_system_sgpr_workgroup_info 0
		.amdhsa_system_vgpr_workitem_id 0
		.amdhsa_next_free_vgpr 1
		.amdhsa_next_free_sgpr 0
		.amdhsa_accum_offset 4
		.amdhsa_reserve_vcc 0
		.amdhsa_reserve_flat_scratch 0
		.amdhsa_float_round_mode_32 0
		.amdhsa_float_round_mode_16_64 0
		.amdhsa_float_denorm_mode_32 3
		.amdhsa_float_denorm_mode_16_64 3
		.amdhsa_dx10_clamp 1
		.amdhsa_ieee_mode 1
		.amdhsa_fp16_overflow 0
		.amdhsa_tg_split 0
		.amdhsa_exception_fp_ieee_invalid_op 0
		.amdhsa_exception_fp_denorm_src 0
		.amdhsa_exception_fp_ieee_div_zero 0
		.amdhsa_exception_fp_ieee_overflow 0
		.amdhsa_exception_fp_ieee_underflow 0
		.amdhsa_exception_fp_ieee_inexact 0
		.amdhsa_exception_int_div_zero 0
	.end_amdhsa_kernel
	.section	.text._ZN7rocprim17ROCPRIM_400000_NS6detail17trampoline_kernelINS0_14default_configENS1_20scan_config_selectorIN3c108BFloat16EEEZZNS1_9scan_implILNS1_25lookback_scan_determinismE0ELb0ELb0ES3_PKS6_PS6_S6_ZZZN2at6native31launch_logcumsumexp_cuda_kernelERKNSD_10TensorBaseESH_lENKUlvE_clEvENKUlvE4_clEvEUlS6_S6_E_S6_EEDaPvRmT3_T4_T5_mT6_P12ihipStream_tbENKUlT_T0_E_clISt17integral_constantIbLb1EESY_EEDaST_SU_EUlST_E0_NS1_11comp_targetILNS1_3genE5ELNS1_11target_archE942ELNS1_3gpuE9ELNS1_3repE0EEENS1_30default_config_static_selectorELNS0_4arch9wavefront6targetE1EEEvT1_,"axG",@progbits,_ZN7rocprim17ROCPRIM_400000_NS6detail17trampoline_kernelINS0_14default_configENS1_20scan_config_selectorIN3c108BFloat16EEEZZNS1_9scan_implILNS1_25lookback_scan_determinismE0ELb0ELb0ES3_PKS6_PS6_S6_ZZZN2at6native31launch_logcumsumexp_cuda_kernelERKNSD_10TensorBaseESH_lENKUlvE_clEvENKUlvE4_clEvEUlS6_S6_E_S6_EEDaPvRmT3_T4_T5_mT6_P12ihipStream_tbENKUlT_T0_E_clISt17integral_constantIbLb1EESY_EEDaST_SU_EUlST_E0_NS1_11comp_targetILNS1_3genE5ELNS1_11target_archE942ELNS1_3gpuE9ELNS1_3repE0EEENS1_30default_config_static_selectorELNS0_4arch9wavefront6targetE1EEEvT1_,comdat
.Lfunc_end481:
	.size	_ZN7rocprim17ROCPRIM_400000_NS6detail17trampoline_kernelINS0_14default_configENS1_20scan_config_selectorIN3c108BFloat16EEEZZNS1_9scan_implILNS1_25lookback_scan_determinismE0ELb0ELb0ES3_PKS6_PS6_S6_ZZZN2at6native31launch_logcumsumexp_cuda_kernelERKNSD_10TensorBaseESH_lENKUlvE_clEvENKUlvE4_clEvEUlS6_S6_E_S6_EEDaPvRmT3_T4_T5_mT6_P12ihipStream_tbENKUlT_T0_E_clISt17integral_constantIbLb1EESY_EEDaST_SU_EUlST_E0_NS1_11comp_targetILNS1_3genE5ELNS1_11target_archE942ELNS1_3gpuE9ELNS1_3repE0EEENS1_30default_config_static_selectorELNS0_4arch9wavefront6targetE1EEEvT1_, .Lfunc_end481-_ZN7rocprim17ROCPRIM_400000_NS6detail17trampoline_kernelINS0_14default_configENS1_20scan_config_selectorIN3c108BFloat16EEEZZNS1_9scan_implILNS1_25lookback_scan_determinismE0ELb0ELb0ES3_PKS6_PS6_S6_ZZZN2at6native31launch_logcumsumexp_cuda_kernelERKNSD_10TensorBaseESH_lENKUlvE_clEvENKUlvE4_clEvEUlS6_S6_E_S6_EEDaPvRmT3_T4_T5_mT6_P12ihipStream_tbENKUlT_T0_E_clISt17integral_constantIbLb1EESY_EEDaST_SU_EUlST_E0_NS1_11comp_targetILNS1_3genE5ELNS1_11target_archE942ELNS1_3gpuE9ELNS1_3repE0EEENS1_30default_config_static_selectorELNS0_4arch9wavefront6targetE1EEEvT1_
                                        ; -- End function
	.section	.AMDGPU.csdata,"",@progbits
; Kernel info:
; codeLenInByte = 0
; NumSgprs: 4
; NumVgprs: 0
; NumAgprs: 0
; TotalNumVgprs: 0
; ScratchSize: 0
; MemoryBound: 0
; FloatMode: 240
; IeeeMode: 1
; LDSByteSize: 0 bytes/workgroup (compile time only)
; SGPRBlocks: 0
; VGPRBlocks: 0
; NumSGPRsForWavesPerEU: 4
; NumVGPRsForWavesPerEU: 1
; AccumOffset: 4
; Occupancy: 8
; WaveLimiterHint : 0
; COMPUTE_PGM_RSRC2:SCRATCH_EN: 0
; COMPUTE_PGM_RSRC2:USER_SGPR: 6
; COMPUTE_PGM_RSRC2:TRAP_HANDLER: 0
; COMPUTE_PGM_RSRC2:TGID_X_EN: 1
; COMPUTE_PGM_RSRC2:TGID_Y_EN: 0
; COMPUTE_PGM_RSRC2:TGID_Z_EN: 0
; COMPUTE_PGM_RSRC2:TIDIG_COMP_CNT: 0
; COMPUTE_PGM_RSRC3_GFX90A:ACCUM_OFFSET: 0
; COMPUTE_PGM_RSRC3_GFX90A:TG_SPLIT: 0
	.section	.text._ZN7rocprim17ROCPRIM_400000_NS6detail17trampoline_kernelINS0_14default_configENS1_20scan_config_selectorIN3c108BFloat16EEEZZNS1_9scan_implILNS1_25lookback_scan_determinismE0ELb0ELb0ES3_PKS6_PS6_S6_ZZZN2at6native31launch_logcumsumexp_cuda_kernelERKNSD_10TensorBaseESH_lENKUlvE_clEvENKUlvE4_clEvEUlS6_S6_E_S6_EEDaPvRmT3_T4_T5_mT6_P12ihipStream_tbENKUlT_T0_E_clISt17integral_constantIbLb1EESY_EEDaST_SU_EUlST_E0_NS1_11comp_targetILNS1_3genE4ELNS1_11target_archE910ELNS1_3gpuE8ELNS1_3repE0EEENS1_30default_config_static_selectorELNS0_4arch9wavefront6targetE1EEEvT1_,"axG",@progbits,_ZN7rocprim17ROCPRIM_400000_NS6detail17trampoline_kernelINS0_14default_configENS1_20scan_config_selectorIN3c108BFloat16EEEZZNS1_9scan_implILNS1_25lookback_scan_determinismE0ELb0ELb0ES3_PKS6_PS6_S6_ZZZN2at6native31launch_logcumsumexp_cuda_kernelERKNSD_10TensorBaseESH_lENKUlvE_clEvENKUlvE4_clEvEUlS6_S6_E_S6_EEDaPvRmT3_T4_T5_mT6_P12ihipStream_tbENKUlT_T0_E_clISt17integral_constantIbLb1EESY_EEDaST_SU_EUlST_E0_NS1_11comp_targetILNS1_3genE4ELNS1_11target_archE910ELNS1_3gpuE8ELNS1_3repE0EEENS1_30default_config_static_selectorELNS0_4arch9wavefront6targetE1EEEvT1_,comdat
	.globl	_ZN7rocprim17ROCPRIM_400000_NS6detail17trampoline_kernelINS0_14default_configENS1_20scan_config_selectorIN3c108BFloat16EEEZZNS1_9scan_implILNS1_25lookback_scan_determinismE0ELb0ELb0ES3_PKS6_PS6_S6_ZZZN2at6native31launch_logcumsumexp_cuda_kernelERKNSD_10TensorBaseESH_lENKUlvE_clEvENKUlvE4_clEvEUlS6_S6_E_S6_EEDaPvRmT3_T4_T5_mT6_P12ihipStream_tbENKUlT_T0_E_clISt17integral_constantIbLb1EESY_EEDaST_SU_EUlST_E0_NS1_11comp_targetILNS1_3genE4ELNS1_11target_archE910ELNS1_3gpuE8ELNS1_3repE0EEENS1_30default_config_static_selectorELNS0_4arch9wavefront6targetE1EEEvT1_ ; -- Begin function _ZN7rocprim17ROCPRIM_400000_NS6detail17trampoline_kernelINS0_14default_configENS1_20scan_config_selectorIN3c108BFloat16EEEZZNS1_9scan_implILNS1_25lookback_scan_determinismE0ELb0ELb0ES3_PKS6_PS6_S6_ZZZN2at6native31launch_logcumsumexp_cuda_kernelERKNSD_10TensorBaseESH_lENKUlvE_clEvENKUlvE4_clEvEUlS6_S6_E_S6_EEDaPvRmT3_T4_T5_mT6_P12ihipStream_tbENKUlT_T0_E_clISt17integral_constantIbLb1EESY_EEDaST_SU_EUlST_E0_NS1_11comp_targetILNS1_3genE4ELNS1_11target_archE910ELNS1_3gpuE8ELNS1_3repE0EEENS1_30default_config_static_selectorELNS0_4arch9wavefront6targetE1EEEvT1_
	.p2align	8
	.type	_ZN7rocprim17ROCPRIM_400000_NS6detail17trampoline_kernelINS0_14default_configENS1_20scan_config_selectorIN3c108BFloat16EEEZZNS1_9scan_implILNS1_25lookback_scan_determinismE0ELb0ELb0ES3_PKS6_PS6_S6_ZZZN2at6native31launch_logcumsumexp_cuda_kernelERKNSD_10TensorBaseESH_lENKUlvE_clEvENKUlvE4_clEvEUlS6_S6_E_S6_EEDaPvRmT3_T4_T5_mT6_P12ihipStream_tbENKUlT_T0_E_clISt17integral_constantIbLb1EESY_EEDaST_SU_EUlST_E0_NS1_11comp_targetILNS1_3genE4ELNS1_11target_archE910ELNS1_3gpuE8ELNS1_3repE0EEENS1_30default_config_static_selectorELNS0_4arch9wavefront6targetE1EEEvT1_,@function
_ZN7rocprim17ROCPRIM_400000_NS6detail17trampoline_kernelINS0_14default_configENS1_20scan_config_selectorIN3c108BFloat16EEEZZNS1_9scan_implILNS1_25lookback_scan_determinismE0ELb0ELb0ES3_PKS6_PS6_S6_ZZZN2at6native31launch_logcumsumexp_cuda_kernelERKNSD_10TensorBaseESH_lENKUlvE_clEvENKUlvE4_clEvEUlS6_S6_E_S6_EEDaPvRmT3_T4_T5_mT6_P12ihipStream_tbENKUlT_T0_E_clISt17integral_constantIbLb1EESY_EEDaST_SU_EUlST_E0_NS1_11comp_targetILNS1_3genE4ELNS1_11target_archE910ELNS1_3gpuE8ELNS1_3repE0EEENS1_30default_config_static_selectorELNS0_4arch9wavefront6targetE1EEEvT1_: ; @_ZN7rocprim17ROCPRIM_400000_NS6detail17trampoline_kernelINS0_14default_configENS1_20scan_config_selectorIN3c108BFloat16EEEZZNS1_9scan_implILNS1_25lookback_scan_determinismE0ELb0ELb0ES3_PKS6_PS6_S6_ZZZN2at6native31launch_logcumsumexp_cuda_kernelERKNSD_10TensorBaseESH_lENKUlvE_clEvENKUlvE4_clEvEUlS6_S6_E_S6_EEDaPvRmT3_T4_T5_mT6_P12ihipStream_tbENKUlT_T0_E_clISt17integral_constantIbLb1EESY_EEDaST_SU_EUlST_E0_NS1_11comp_targetILNS1_3genE4ELNS1_11target_archE910ELNS1_3gpuE8ELNS1_3repE0EEENS1_30default_config_static_selectorELNS0_4arch9wavefront6targetE1EEEvT1_
; %bb.0:
	s_load_dwordx4 s[52:55], s[4:5], 0x0
	v_mov_b32_e32 v1, 0
	v_lshlrev_b32_e32 v14, 1, v0
	s_waitcnt lgkmcnt(0)
	global_load_ushort v2, v1, s[52:53]
	v_cmp_gt_u32_e64 s[2:3], s54, v0
	s_waitcnt vmcnt(0)
	v_mov_b32_e32 v3, v2
	s_mov_b64 s[0:1], exec
                                        ; implicit-def: $vgpr75 : SGPR spill to VGPR lane
	v_writelane_b32 v75, s2, 0
	v_writelane_b32 v75, s3, 1
	s_and_b64 s[2:3], s[0:1], s[2:3]
	s_mov_b64 exec, s[2:3]
	s_cbranch_execz .LBB482_2
; %bb.1:
	global_load_ushort v3, v14, s[52:53]
.LBB482_2:
	s_or_b64 exec, exec, s[0:1]
	v_or_b32_e32 v1, 64, v0
	v_mov_b32_e32 v4, v2
	v_cmp_gt_u32_e64 s[2:3], s54, v1
	s_mov_b64 s[0:1], exec
	v_writelane_b32 v75, s2, 2
	v_writelane_b32 v75, s3, 3
	s_and_b64 s[2:3], s[0:1], s[2:3]
	s_mov_b64 exec, s[2:3]
	s_cbranch_execz .LBB482_4
; %bb.3:
	global_load_ushort v4, v14, s[52:53] offset:128
.LBB482_4:
	s_or_b64 exec, exec, s[0:1]
	v_or_b32_e32 v1, 0x80, v0
	v_cmp_gt_u32_e64 s[2:3], s54, v1
	v_mov_b32_e32 v5, v2
	v_writelane_b32 v75, s2, 4
	v_writelane_b32 v75, s3, 5
	s_and_saveexec_b64 s[0:1], s[2:3]
	s_cbranch_execz .LBB482_6
; %bb.5:
	global_load_ushort v5, v14, s[52:53] offset:256
.LBB482_6:
	s_or_b64 exec, exec, s[0:1]
	v_or_b32_e32 v1, 0xc0, v0
	v_cmp_gt_u32_e64 s[46:47], s54, v1
	v_mov_b32_e32 v6, v2
	s_and_saveexec_b64 s[0:1], s[46:47]
	s_cbranch_execz .LBB482_8
; %bb.7:
	global_load_ushort v6, v14, s[52:53] offset:384
.LBB482_8:
	s_or_b64 exec, exec, s[0:1]
	v_or_b32_e32 v1, 0x100, v0
	v_cmp_gt_u32_e64 s[6:7], s54, v1
	v_mov_b32_e32 v7, v2
	;; [unrolled: 9-line block ×20, first 2 shown]
	s_and_saveexec_b64 s[0:1], s[44:45]
	s_cbranch_execz .LBB482_46
; %bb.45:
	global_load_ushort v26, v14, s[52:53] offset:2816
.LBB482_46:
	s_or_b64 exec, exec, s[0:1]
	v_or_b32_e32 v1, 0x5c0, v0
	v_cmp_gt_u32_e64 s[0:1], s54, v1
	v_writelane_b32 v75, s0, 6
	v_cmp_le_u32_e64 s[48:49], s54, v1
	v_writelane_b32 v75, s1, 7
	s_and_saveexec_b64 s[0:1], s[48:49]
	s_xor_b64 s[0:1], exec, s[0:1]
; %bb.47:
	v_mov_b32_e32 v1, 0
; %bb.48:
	s_andn2_saveexec_b64 s[0:1], s[0:1]
	s_cbranch_execz .LBB482_50
; %bb.49:
	global_load_ushort v2, v14, s[52:53] offset:2944
	v_mov_b32_e32 v1, 0
.LBB482_50:
	s_or_b64 exec, exec, s[0:1]
	s_waitcnt vmcnt(0)
	ds_write_b16 v14, v3
	ds_write_b16 v14, v4 offset:128
	ds_write_b16 v14, v5 offset:256
	;; [unrolled: 1-line block ×23, first 2 shown]
	v_mad_u32_u24 v6, v0, 46, v14
	s_waitcnt lgkmcnt(0)
	; wave barrier
	s_waitcnt lgkmcnt(0)
	ds_read_b128 v[2:5], v6
	ds_read_b128 v[10:13], v6 offset:16
	ds_read_b128 v[6:9], v6 offset:32
	s_movk_i32 s33, 0x1f8
	s_waitcnt lgkmcnt(0)
	v_lshlrev_b32_e32 v50, 16, v2
	v_and_b32_e32 v15, 0xffff0000, v2
	v_max_f32_e32 v25, v15, v15
	v_max_f32_e32 v53, v50, v50
	v_min_f32_e32 v51, v53, v25
	v_cmp_u_f32_e64 s[94:95], v50, v50
	v_cndmask_b32_e64 v16, v51, v50, s[94:95]
	v_cmp_u_f32_e64 s[48:49], v15, v15
	v_max_f32_e32 v52, v53, v25
	v_cndmask_b32_e64 v17, v16, v15, s[48:49]
	v_cndmask_b32_e64 v16, v52, v50, s[94:95]
	;; [unrolled: 1-line block ×3, first 2 shown]
	v_cmp_neq_f32_e64 s[50:51], v17, v16
	v_cmp_class_f32_e64 s[0:1], v17, s33
	s_or_b64 s[50:51], s[50:51], s[0:1]
	v_mov_b32_e32 v18, v50
	; wave barrier
	s_and_saveexec_b64 s[0:1], s[50:51]
	s_cbranch_execz .LBB482_52
; %bb.51:
	v_sub_f32_e32 v17, v17, v16
	s_mov_b32 s2, 0x3fb8aa3b
	v_mul_f32_e32 v18, 0x3fb8aa3b, v17
	v_fma_f32 v19, v17, s2, -v18
	v_rndne_f32_e32 v20, v18
	v_fmac_f32_e32 v19, 0x32a5705f, v17
	v_sub_f32_e32 v18, v18, v20
	v_add_f32_e32 v18, v18, v19
	v_exp_f32_e32 v18, v18
	v_cvt_i32_f32_e32 v19, v20
	s_mov_b32 s2, 0xc2ce8ed0
	v_cmp_ngt_f32_e64 s[50:51], s2, v17
	s_mov_b32 s2, 0x42b17218
	v_ldexp_f32 v18, v18, v19
	v_cndmask_b32_e64 v18, 0, v18, s[50:51]
	v_mov_b32_e32 v19, 0x7f800000
	v_cmp_nlt_f32_e64 s[50:51], s2, v17
	v_cndmask_b32_e64 v36, v19, v18, s[50:51]
	v_add_f32_e32 v17, 1.0, v36
	v_add_f32_e32 v18, -1.0, v17
	v_sub_f32_e32 v19, v18, v17
	v_add_f32_e32 v19, 1.0, v19
	v_sub_f32_e32 v18, v36, v18
	v_add_f32_e32 v20, v18, v19
	v_frexp_mant_f32_e32 v21, v17
	s_mov_b32 s2, 0x3f2aaaab
	v_cvt_f64_f32_e32 v[18:19], v17
	v_frexp_exp_i32_f64_e32 v18, v[18:19]
	v_cmp_gt_f32_e64 s[50:51], s2, v21
	v_subbrev_co_u32_e64 v24, s[50:51], 0, v18, s[50:51]
	v_sub_u32_e32 v18, 0, v24
	v_ldexp_f32 v17, v17, v18
	v_ldexp_f32 v18, v20, v18
	v_add_f32_e32 v20, -1.0, v17
	v_add_f32_e32 v19, 1.0, v20
	v_sub_f32_e32 v19, v17, v19
	v_add_f32_e32 v21, v18, v19
	v_add_f32_e32 v19, 1.0, v17
	v_add_f32_e32 v22, -1.0, v19
	v_sub_f32_e32 v17, v17, v22
	v_add_f32_e32 v17, v18, v17
	v_add_f32_e32 v28, v19, v17
	v_rcp_f32_e32 v29, v28
	v_sub_f32_e32 v18, v19, v28
	v_add_f32_e32 v19, v20, v21
	v_add_f32_e32 v17, v17, v18
	v_mul_f32_e32 v31, v19, v29
	v_sub_f32_e32 v18, v20, v19
	v_mul_f32_e32 v20, v28, v31
	v_fma_f32 v22, v31, v28, -v20
	v_fmac_f32_e32 v22, v31, v17
	v_add_f32_e32 v30, v21, v18
	v_add_f32_e32 v18, v20, v22
	v_sub_f32_e32 v21, v19, v18
	v_pk_add_f32 v[26:27], v[18:19], v[20:21] neg_lo:[0,1] neg_hi:[0,1]
	v_mov_b32_e32 v23, v18
	v_pk_add_f32 v[18:19], v[26:27], v[22:23] neg_lo:[0,1] neg_hi:[0,1]
	v_add_f32_e32 v19, v30, v19
	v_add_f32_e32 v18, v18, v19
	;; [unrolled: 1-line block ×3, first 2 shown]
	v_mul_f32_e32 v30, v29, v19
	v_mul_f32_e32 v20, v28, v30
	v_fma_f32 v22, v30, v28, -v20
	v_fmac_f32_e32 v22, v30, v17
	v_sub_f32_e32 v17, v21, v19
	v_add_f32_e32 v17, v18, v17
	v_add_f32_e32 v18, v20, v22
	v_sub_f32_e32 v21, v19, v18
	v_pk_add_f32 v[26:27], v[18:19], v[20:21] neg_lo:[0,1] neg_hi:[0,1]
	v_mov_b32_e32 v23, v18
	v_pk_add_f32 v[18:19], v[26:27], v[22:23] neg_lo:[0,1] neg_hi:[0,1]
	v_add_f32_e32 v17, v17, v19
	v_add_f32_e32 v17, v18, v17
	;; [unrolled: 1-line block ×4, first 2 shown]
	v_sub_f32_e32 v19, v18, v31
	v_mul_f32_e32 v17, v29, v17
	v_sub_f32_e32 v19, v30, v19
	v_add_f32_e32 v17, v19, v17
	v_add_f32_e32 v21, v18, v17
	v_mul_f32_e32 v22, v21, v21
	v_mov_b32_e32 v20, 0x3ecc95a3
	v_fmac_f32_e32 v20, 0x3e9b6dac, v22
	v_mov_b32_e32 v19, 0x3f2aaada
	v_fmac_f32_e32 v19, v22, v20
	v_cvt_f32_i32_e32 v20, v24
	v_sub_f32_e32 v18, v21, v18
	v_sub_f32_e32 v17, v17, v18
	v_ldexp_f32 v23, v21, 1
	v_mul_f32_e32 v21, v21, v22
	v_mov_b32_e32 v18, 0x3f317218
	s_mov_b32 s2, 0x3f317218
	v_pk_mul_f32 v[18:19], v[20:21], v[18:19]
	v_fma_f32 v22, v20, s2, -v18
	v_fmac_f32_e32 v22, 0xb102e308, v20
	v_pk_add_f32 v[20:21], v[18:19], v[22:23]
	v_sub_f32_e32 v23, v21, v23
	v_ldexp_f32 v17, v17, 1
	v_sub_f32_e32 v23, v19, v23
	v_add_f32_e32 v27, v17, v23
	v_mov_b32_e32 v26, v18
	v_pk_add_f32 v[18:19], v[20:21], v[18:19] neg_lo:[0,1] neg_hi:[0,1]
	v_pk_add_f32 v[28:29], v[20:21], v[26:27]
	v_mov_b32_e32 v19, v29
	v_mov_b32_e32 v23, v20
	v_pk_add_f32 v[30:31], v[22:23], v[18:19] neg_lo:[0,1] neg_hi:[0,1]
	v_pk_add_f32 v[18:19], v[22:23], v[18:19]
	v_mov_b32_e32 v22, v19
	v_pk_add_f32 v[32:33], v[22:23], v[20:21] neg_lo:[0,1] neg_hi:[0,1]
	v_mov_b32_e32 v17, v32
	v_pk_add_f32 v[34:35], v[28:29], v[16:17] neg_lo:[0,1] neg_hi:[0,1]
	v_mov_b32_e32 v18, v29
	v_mov_b32_e32 v28, v21
	;; [unrolled: 1-line block ×4, first 2 shown]
	v_pk_add_f32 v[18:19], v[18:19], v[28:29] neg_lo:[0,1] neg_hi:[0,1]
	v_mov_b32_e32 v26, v27
	v_mov_b32_e32 v27, v20
	v_pk_add_f32 v[18:19], v[26:27], v[18:19] neg_lo:[0,1] neg_hi:[0,1]
	v_mov_b32_e32 v34, v30
	v_pk_add_f32 v[20:21], v[34:35], v[18:19]
	v_mov_b32_e32 v24, v21
	v_pk_add_f32 v[26:27], v[20:21], v[24:25]
	v_pk_add_f32 v[22:23], v[22:23], v[26:27]
	v_mov_b32_e32 v21, v22
	v_pk_add_f32 v[28:29], v[20:21], v[30:31] neg_lo:[0,1] neg_hi:[0,1]
	v_mov_b32_e32 v19, v26
	v_sub_f32_e32 v17, v20, v28
	v_pk_add_f32 v[18:19], v[18:19], v[28:29] neg_lo:[0,1] neg_hi:[0,1]
	v_sub_f32_e32 v17, v30, v17
	s_mov_b32 s3, 0x7f800000
	v_add_f32_e32 v17, v18, v17
	s_mov_b32 s2, 0x33800000
	v_add_f32_e32 v17, v17, v19
	v_cmp_eq_f32_e64 s[50:51], s3, v36
	v_cmp_lt_f32_e64 s[52:53], |v36|, s2
	v_add_f32_e32 v17, v22, v17
	s_or_b64 s[50:51], s[50:51], s[52:53]
	v_cndmask_b32_e64 v17, v17, v36, s[50:51]
	v_add_f32_e32 v18, v16, v17
.LBB482_52:
	s_or_b64 exec, exec, s[0:1]
	v_bfe_u32 v16, v18, 16, 1
	s_movk_i32 s54, 0x7fff
	v_add3_u32 v16, v18, v16, s54
	v_and_b32_e32 v16, 0xffff0000, v16
	v_mov_b32_e32 v17, 0x7fc00000
	v_cmp_o_f32_e64 s[50:51], v18, v18
	v_cndmask_b32_e64 v20, v17, v16, s[50:51]
	v_lshlrev_b32_e32 v16, 16, v3
	v_max_f32_e32 v19, v20, v20
	v_max_f32_e32 v18, v16, v16
	v_min_f32_e32 v21, v19, v18
	v_cmp_u_f32_e64 s[52:53], v20, v20
	v_max_f32_e32 v19, v19, v18
	v_cndmask_b32_e64 v21, v21, v20, s[52:53]
	v_cmp_u_f32_e64 s[50:51], v16, v16
	v_cndmask_b32_e64 v19, v19, v20, s[52:53]
	v_cndmask_b32_e64 v21, v21, v16, s[50:51]
	;; [unrolled: 1-line block ×3, first 2 shown]
	v_cmp_neq_f32_e64 s[52:53], v21, v19
	v_cmp_class_f32_e64 s[0:1], v21, s33
	s_or_b64 s[52:53], s[52:53], s[0:1]
	s_and_saveexec_b64 s[0:1], s[52:53]
	s_cbranch_execz .LBB482_54
; %bb.53:
	v_sub_f32_e32 v20, v21, v19
	s_mov_b32 s2, 0x3fb8aa3b
	v_mul_f32_e32 v21, 0x3fb8aa3b, v20
	v_fma_f32 v22, v20, s2, -v21
	v_rndne_f32_e32 v23, v21
	v_fmac_f32_e32 v22, 0x32a5705f, v20
	v_sub_f32_e32 v21, v21, v23
	v_add_f32_e32 v21, v21, v22
	v_exp_f32_e32 v21, v21
	v_cvt_i32_f32_e32 v22, v23
	s_mov_b32 s2, 0xc2ce8ed0
	v_cmp_ngt_f32_e64 s[52:53], s2, v20
	s_mov_b32 s2, 0x42b17218
	v_ldexp_f32 v21, v21, v22
	v_cndmask_b32_e64 v21, 0, v21, s[52:53]
	v_mov_b32_e32 v22, 0x7f800000
	v_cmp_nlt_f32_e64 s[52:53], s2, v20
	v_cndmask_b32_e64 v36, v22, v21, s[52:53]
	v_add_f32_e32 v22, 1.0, v36
	v_add_f32_e32 v20, -1.0, v22
	v_sub_f32_e32 v21, v20, v22
	v_add_f32_e32 v21, 1.0, v21
	v_sub_f32_e32 v20, v36, v20
	v_add_f32_e32 v23, v20, v21
	v_frexp_mant_f32_e32 v24, v22
	s_mov_b32 s2, 0x3f2aaaab
	v_cvt_f64_f32_e32 v[20:21], v22
	v_frexp_exp_i32_f64_e32 v20, v[20:21]
	v_cmp_gt_f32_e64 s[52:53], s2, v24
	v_subbrev_co_u32_e64 v24, s[52:53], 0, v20, s[52:53]
	v_sub_u32_e32 v20, 0, v24
	v_ldexp_f32 v21, v22, v20
	v_add_f32_e32 v22, -1.0, v21
	v_add_f32_e32 v26, 1.0, v21
	v_ldexp_f32 v20, v23, v20
	v_add_f32_e32 v23, 1.0, v22
	v_add_f32_e32 v27, -1.0, v26
	v_sub_f32_e32 v23, v21, v23
	v_sub_f32_e32 v21, v21, v27
	v_add_f32_e32 v23, v20, v23
	v_add_f32_e32 v20, v20, v21
	;; [unrolled: 1-line block ×3, first 2 shown]
	v_rcp_f32_e32 v32, v30
	v_sub_f32_e32 v21, v26, v30
	v_add_f32_e32 v31, v20, v21
	v_add_f32_e32 v21, v22, v23
	v_mul_f32_e32 v34, v21, v32
	v_sub_f32_e32 v20, v22, v21
	v_mul_f32_e32 v22, v30, v34
	v_fma_f32 v26, v34, v30, -v22
	v_fmac_f32_e32 v26, v34, v31
	v_add_f32_e32 v33, v23, v20
	v_add_f32_e32 v20, v22, v26
	v_sub_f32_e32 v23, v21, v20
	v_pk_add_f32 v[28:29], v[20:21], v[22:23] neg_lo:[0,1] neg_hi:[0,1]
	v_mov_b32_e32 v27, v20
	v_pk_add_f32 v[20:21], v[28:29], v[26:27] neg_lo:[0,1] neg_hi:[0,1]
	v_add_f32_e32 v21, v33, v21
	v_add_f32_e32 v20, v20, v21
	;; [unrolled: 1-line block ×3, first 2 shown]
	v_mul_f32_e32 v33, v32, v21
	v_mul_f32_e32 v22, v30, v33
	v_fma_f32 v26, v33, v30, -v22
	v_fmac_f32_e32 v26, v33, v31
	v_sub_f32_e32 v23, v23, v21
	v_add_f32_e32 v30, v20, v23
	v_add_f32_e32 v20, v22, v26
	v_sub_f32_e32 v23, v21, v20
	v_pk_add_f32 v[28:29], v[20:21], v[22:23] neg_lo:[0,1] neg_hi:[0,1]
	v_mov_b32_e32 v27, v20
	v_pk_add_f32 v[20:21], v[28:29], v[26:27] neg_lo:[0,1] neg_hi:[0,1]
	v_add_f32_e32 v21, v30, v21
	v_add_f32_e32 v20, v20, v21
	;; [unrolled: 1-line block ×4, first 2 shown]
	v_sub_f32_e32 v21, v23, v34
	v_mul_f32_e32 v20, v32, v20
	v_sub_f32_e32 v21, v33, v21
	v_add_f32_e32 v20, v21, v20
	v_add_f32_e32 v26, v23, v20
	v_mul_f32_e32 v28, v26, v26
	v_mov_b32_e32 v22, 0x3ecc95a3
	v_fmac_f32_e32 v22, 0x3e9b6dac, v28
	v_mov_b32_e32 v21, 0x3f2aaada
	v_fmac_f32_e32 v21, v28, v22
	v_cvt_f32_i32_e32 v22, v24
	v_sub_f32_e32 v23, v26, v23
	v_sub_f32_e32 v20, v20, v23
	v_ldexp_f32 v24, v20, 1
	v_mul_f32_e32 v23, v26, v28
	v_mov_b32_e32 v20, 0x3f317218
	s_mov_b32 s2, 0x3f317218
	v_pk_mul_f32 v[20:21], v[22:23], v[20:21]
	v_ldexp_f32 v27, v26, 1
	v_fma_f32 v26, v22, s2, -v20
	v_fmac_f32_e32 v26, 0xb102e308, v22
	v_pk_add_f32 v[22:23], v[20:21], v[26:27]
	v_sub_f32_e32 v27, v23, v27
	v_sub_f32_e32 v27, v21, v27
	v_add_f32_e32 v29, v24, v27
	v_mov_b32_e32 v28, v20
	v_pk_add_f32 v[20:21], v[22:23], v[20:21] neg_lo:[0,1] neg_hi:[0,1]
	v_pk_add_f32 v[30:31], v[22:23], v[28:29]
	v_mov_b32_e32 v21, v31
	v_mov_b32_e32 v27, v22
	v_pk_add_f32 v[32:33], v[26:27], v[20:21] neg_lo:[0,1] neg_hi:[0,1]
	v_pk_add_f32 v[20:21], v[26:27], v[20:21]
	v_mov_b32_e32 v24, v21
	v_pk_add_f32 v[26:27], v[24:25], v[22:23] neg_lo:[0,1] neg_hi:[0,1]
	v_mov_b32_e32 v27, v26
	v_pk_add_f32 v[34:35], v[30:31], v[26:27] neg_lo:[0,1] neg_hi:[0,1]
	v_mov_b32_e32 v20, v31
	v_mov_b32_e32 v30, v23
	;; [unrolled: 1-line block ×4, first 2 shown]
	v_pk_add_f32 v[20:21], v[20:21], v[30:31] neg_lo:[0,1] neg_hi:[0,1]
	v_mov_b32_e32 v26, v29
	v_mov_b32_e32 v27, v22
	v_pk_add_f32 v[20:21], v[26:27], v[20:21] neg_lo:[0,1] neg_hi:[0,1]
	v_mov_b32_e32 v34, v32
	v_pk_add_f32 v[22:23], v[34:35], v[20:21]
	v_mov_b32_e32 v26, v23
	v_pk_add_f32 v[26:27], v[22:23], v[26:27]
	v_pk_add_f32 v[28:29], v[24:25], v[26:27]
	v_mov_b32_e32 v23, v28
	v_pk_add_f32 v[30:31], v[22:23], v[32:33] neg_lo:[0,1] neg_hi:[0,1]
	v_mov_b32_e32 v21, v26
	v_sub_f32_e32 v22, v22, v30
	v_pk_add_f32 v[20:21], v[20:21], v[30:31] neg_lo:[0,1] neg_hi:[0,1]
	v_sub_f32_e32 v22, v32, v22
	s_mov_b32 s3, 0x7f800000
	v_add_f32_e32 v20, v20, v22
	s_mov_b32 s2, 0x33800000
	v_add_f32_e32 v20, v20, v21
	v_cmp_eq_f32_e64 s[52:53], s3, v36
	v_cmp_lt_f32_e64 s[56:57], |v36|, s2
	v_add_f32_e32 v20, v28, v20
	s_or_b64 s[52:53], s[52:53], s[56:57]
	v_cndmask_b32_e64 v20, v20, v36, s[52:53]
	v_add_f32_e32 v20, v19, v20
.LBB482_54:
	s_or_b64 exec, exec, s[0:1]
	v_bfe_u32 v19, v20, 16, 1
	v_add3_u32 v19, v20, v19, s54
	v_and_b32_e32 v19, 0xffff0000, v19
	v_cmp_o_f32_e64 s[52:53], v20, v20
	v_cndmask_b32_e64 v21, v17, v19, s[52:53]
	v_and_b32_e32 v3, 0xffff0000, v3
	v_max_f32_e32 v17, v21, v21
	v_max_f32_e32 v19, v3, v3
	v_min_f32_e32 v20, v17, v19
	v_cmp_u_f32_e64 s[54:55], v21, v21
	v_max_f32_e32 v17, v17, v19
	v_cndmask_b32_e64 v20, v20, v21, s[54:55]
	v_cmp_u_f32_e64 s[52:53], v3, v3
	v_cndmask_b32_e64 v17, v17, v21, s[54:55]
	v_cndmask_b32_e64 v20, v20, v3, s[52:53]
	;; [unrolled: 1-line block ×3, first 2 shown]
	v_cmp_neq_f32_e64 s[54:55], v20, v17
	v_cmp_class_f32_e64 s[0:1], v20, s33
	s_or_b64 s[54:55], s[54:55], s[0:1]
	s_and_saveexec_b64 s[0:1], s[54:55]
	s_cbranch_execz .LBB482_56
; %bb.55:
	v_sub_f32_e32 v20, v20, v17
	s_mov_b32 s2, 0x3fb8aa3b
	v_mul_f32_e32 v21, 0x3fb8aa3b, v20
	v_fma_f32 v22, v20, s2, -v21
	v_rndne_f32_e32 v23, v21
	v_fmac_f32_e32 v22, 0x32a5705f, v20
	v_sub_f32_e32 v21, v21, v23
	v_add_f32_e32 v21, v21, v22
	v_exp_f32_e32 v21, v21
	v_cvt_i32_f32_e32 v22, v23
	s_mov_b32 s2, 0xc2ce8ed0
	v_cmp_ngt_f32_e64 s[54:55], s2, v20
	s_mov_b32 s2, 0x42b17218
	v_ldexp_f32 v21, v21, v22
	v_cndmask_b32_e64 v21, 0, v21, s[54:55]
	v_mov_b32_e32 v22, 0x7f800000
	v_cmp_nlt_f32_e64 s[54:55], s2, v20
	v_cndmask_b32_e64 v36, v22, v21, s[54:55]
	v_add_f32_e32 v22, 1.0, v36
	v_add_f32_e32 v20, -1.0, v22
	v_sub_f32_e32 v21, v20, v22
	v_add_f32_e32 v21, 1.0, v21
	v_sub_f32_e32 v20, v36, v20
	v_add_f32_e32 v23, v20, v21
	v_frexp_mant_f32_e32 v24, v22
	s_mov_b32 s2, 0x3f2aaaab
	v_cvt_f64_f32_e32 v[20:21], v22
	v_frexp_exp_i32_f64_e32 v20, v[20:21]
	v_cmp_gt_f32_e64 s[54:55], s2, v24
	v_subbrev_co_u32_e64 v24, s[54:55], 0, v20, s[54:55]
	v_sub_u32_e32 v20, 0, v24
	v_ldexp_f32 v21, v22, v20
	v_add_f32_e32 v22, -1.0, v21
	v_add_f32_e32 v26, 1.0, v21
	v_ldexp_f32 v20, v23, v20
	v_add_f32_e32 v23, 1.0, v22
	v_add_f32_e32 v27, -1.0, v26
	v_sub_f32_e32 v23, v21, v23
	v_sub_f32_e32 v21, v21, v27
	v_add_f32_e32 v23, v20, v23
	v_add_f32_e32 v20, v20, v21
	;; [unrolled: 1-line block ×3, first 2 shown]
	v_rcp_f32_e32 v32, v30
	v_sub_f32_e32 v21, v26, v30
	v_add_f32_e32 v31, v20, v21
	v_add_f32_e32 v21, v22, v23
	v_mul_f32_e32 v34, v21, v32
	v_sub_f32_e32 v20, v22, v21
	v_mul_f32_e32 v22, v30, v34
	v_fma_f32 v26, v34, v30, -v22
	v_fmac_f32_e32 v26, v34, v31
	v_add_f32_e32 v33, v23, v20
	v_add_f32_e32 v20, v22, v26
	v_sub_f32_e32 v23, v21, v20
	v_pk_add_f32 v[28:29], v[20:21], v[22:23] neg_lo:[0,1] neg_hi:[0,1]
	v_mov_b32_e32 v27, v20
	v_pk_add_f32 v[20:21], v[28:29], v[26:27] neg_lo:[0,1] neg_hi:[0,1]
	v_add_f32_e32 v21, v33, v21
	v_add_f32_e32 v20, v20, v21
	;; [unrolled: 1-line block ×3, first 2 shown]
	v_mul_f32_e32 v33, v32, v21
	v_mul_f32_e32 v22, v30, v33
	v_fma_f32 v26, v33, v30, -v22
	v_fmac_f32_e32 v26, v33, v31
	v_sub_f32_e32 v23, v23, v21
	v_add_f32_e32 v30, v20, v23
	v_add_f32_e32 v20, v22, v26
	v_sub_f32_e32 v23, v21, v20
	v_pk_add_f32 v[28:29], v[20:21], v[22:23] neg_lo:[0,1] neg_hi:[0,1]
	v_mov_b32_e32 v27, v20
	v_pk_add_f32 v[20:21], v[28:29], v[26:27] neg_lo:[0,1] neg_hi:[0,1]
	v_add_f32_e32 v21, v30, v21
	v_add_f32_e32 v20, v20, v21
	v_add_f32_e32 v20, v23, v20
	v_add_f32_e32 v23, v34, v33
	v_sub_f32_e32 v21, v23, v34
	v_mul_f32_e32 v20, v32, v20
	v_sub_f32_e32 v21, v33, v21
	v_add_f32_e32 v20, v21, v20
	v_add_f32_e32 v26, v23, v20
	v_mul_f32_e32 v28, v26, v26
	v_mov_b32_e32 v22, 0x3ecc95a3
	v_fmac_f32_e32 v22, 0x3e9b6dac, v28
	v_mov_b32_e32 v21, 0x3f2aaada
	v_fmac_f32_e32 v21, v28, v22
	v_cvt_f32_i32_e32 v22, v24
	v_sub_f32_e32 v23, v26, v23
	v_sub_f32_e32 v20, v20, v23
	v_ldexp_f32 v24, v20, 1
	v_mul_f32_e32 v23, v26, v28
	v_mov_b32_e32 v20, 0x3f317218
	s_mov_b32 s2, 0x3f317218
	v_pk_mul_f32 v[20:21], v[22:23], v[20:21]
	v_ldexp_f32 v27, v26, 1
	v_fma_f32 v26, v22, s2, -v20
	v_fmac_f32_e32 v26, 0xb102e308, v22
	v_pk_add_f32 v[22:23], v[20:21], v[26:27]
	v_sub_f32_e32 v27, v23, v27
	v_sub_f32_e32 v27, v21, v27
	v_add_f32_e32 v29, v24, v27
	v_mov_b32_e32 v28, v20
	v_pk_add_f32 v[20:21], v[22:23], v[20:21] neg_lo:[0,1] neg_hi:[0,1]
	v_pk_add_f32 v[30:31], v[22:23], v[28:29]
	v_mov_b32_e32 v21, v31
	v_mov_b32_e32 v27, v22
	v_pk_add_f32 v[32:33], v[26:27], v[20:21] neg_lo:[0,1] neg_hi:[0,1]
	v_pk_add_f32 v[20:21], v[26:27], v[20:21]
	v_mov_b32_e32 v24, v21
	v_pk_add_f32 v[26:27], v[24:25], v[22:23] neg_lo:[0,1] neg_hi:[0,1]
	v_mov_b32_e32 v27, v26
	v_pk_add_f32 v[34:35], v[30:31], v[26:27] neg_lo:[0,1] neg_hi:[0,1]
	v_mov_b32_e32 v20, v31
	v_mov_b32_e32 v30, v23
	;; [unrolled: 1-line block ×4, first 2 shown]
	v_pk_add_f32 v[20:21], v[20:21], v[30:31] neg_lo:[0,1] neg_hi:[0,1]
	v_mov_b32_e32 v26, v29
	v_mov_b32_e32 v27, v22
	v_pk_add_f32 v[20:21], v[26:27], v[20:21] neg_lo:[0,1] neg_hi:[0,1]
	v_mov_b32_e32 v34, v32
	v_pk_add_f32 v[22:23], v[34:35], v[20:21]
	v_mov_b32_e32 v26, v23
	v_pk_add_f32 v[26:27], v[22:23], v[26:27]
	v_pk_add_f32 v[28:29], v[24:25], v[26:27]
	v_mov_b32_e32 v23, v28
	v_pk_add_f32 v[30:31], v[22:23], v[32:33] neg_lo:[0,1] neg_hi:[0,1]
	v_mov_b32_e32 v21, v26
	v_sub_f32_e32 v22, v22, v30
	v_pk_add_f32 v[20:21], v[20:21], v[30:31] neg_lo:[0,1] neg_hi:[0,1]
	v_sub_f32_e32 v22, v32, v22
	s_mov_b32 s3, 0x7f800000
	v_add_f32_e32 v20, v20, v22
	s_mov_b32 s2, 0x33800000
	v_add_f32_e32 v20, v20, v21
	v_cmp_eq_f32_e64 s[54:55], s3, v36
	v_cmp_lt_f32_e64 s[56:57], |v36|, s2
	v_add_f32_e32 v20, v28, v20
	s_or_b64 s[54:55], s[54:55], s[56:57]
	v_cndmask_b32_e64 v20, v20, v36, s[54:55]
	v_add_f32_e32 v21, v17, v20
.LBB482_56:
	s_or_b64 exec, exec, s[0:1]
	v_bfe_u32 v17, v21, 16, 1
	s_movk_i32 s58, 0x7fff
	v_add3_u32 v17, v21, v17, s58
	v_and_b32_e32 v17, 0xffff0000, v17
	v_mov_b32_e32 v20, 0x7fc00000
	v_cmp_o_f32_e64 s[54:55], v21, v21
	v_cndmask_b32_e64 v23, v20, v17, s[54:55]
	v_lshlrev_b32_e32 v17, 16, v4
	v_max_f32_e32 v22, v23, v23
	v_max_f32_e32 v21, v17, v17
	v_min_f32_e32 v24, v22, v21
	v_cmp_u_f32_e64 s[56:57], v23, v23
	v_max_f32_e32 v22, v22, v21
	v_cndmask_b32_e64 v24, v24, v23, s[56:57]
	v_cmp_u_f32_e64 s[54:55], v17, v17
	v_cndmask_b32_e64 v22, v22, v23, s[56:57]
	v_cndmask_b32_e64 v24, v24, v17, s[54:55]
	;; [unrolled: 1-line block ×3, first 2 shown]
	v_cmp_neq_f32_e64 s[56:57], v24, v22
	v_cmp_class_f32_e64 s[0:1], v24, s33
	s_or_b64 s[56:57], s[56:57], s[0:1]
	s_and_saveexec_b64 s[0:1], s[56:57]
	s_cbranch_execz .LBB482_58
; %bb.57:
	v_sub_f32_e32 v23, v24, v22
	s_mov_b32 s2, 0x3fb8aa3b
	v_mul_f32_e32 v24, 0x3fb8aa3b, v23
	v_fma_f32 v26, v23, s2, -v24
	v_rndne_f32_e32 v27, v24
	v_fmac_f32_e32 v26, 0x32a5705f, v23
	v_sub_f32_e32 v24, v24, v27
	v_add_f32_e32 v24, v24, v26
	v_exp_f32_e32 v24, v24
	v_cvt_i32_f32_e32 v26, v27
	s_mov_b32 s2, 0xc2ce8ed0
	v_cmp_ngt_f32_e64 s[56:57], s2, v23
	s_mov_b32 s2, 0x42b17218
	v_ldexp_f32 v24, v24, v26
	v_cndmask_b32_e64 v24, 0, v24, s[56:57]
	v_mov_b32_e32 v26, 0x7f800000
	v_cmp_nlt_f32_e64 s[56:57], s2, v23
	v_cndmask_b32_e64 v40, v26, v24, s[56:57]
	v_add_f32_e32 v23, 1.0, v40
	v_add_f32_e32 v24, -1.0, v23
	v_sub_f32_e32 v26, v24, v23
	v_add_f32_e32 v26, 1.0, v26
	v_sub_f32_e32 v24, v40, v24
	v_add_f32_e32 v24, v24, v26
	v_frexp_mant_f32_e32 v28, v23
	s_mov_b32 s2, 0x3f2aaaab
	v_cvt_f64_f32_e32 v[26:27], v23
	v_frexp_exp_i32_f64_e32 v26, v[26:27]
	v_cmp_gt_f32_e64 s[56:57], s2, v28
	v_subbrev_co_u32_e64 v34, s[56:57], 0, v26, s[56:57]
	v_sub_u32_e32 v26, 0, v34
	v_ldexp_f32 v23, v23, v26
	v_ldexp_f32 v24, v24, v26
	v_add_f32_e32 v26, -1.0, v23
	v_add_f32_e32 v27, 1.0, v26
	v_sub_f32_e32 v27, v23, v27
	v_add_f32_e32 v28, v24, v27
	v_add_f32_e32 v27, 1.0, v23
	v_add_f32_e32 v29, -1.0, v27
	v_sub_f32_e32 v23, v23, v29
	v_add_f32_e32 v23, v24, v23
	v_add_f32_e32 v24, v27, v23
	v_rcp_f32_e32 v35, v24
	v_sub_f32_e32 v27, v27, v24
	v_add_f32_e32 v23, v23, v27
	v_add_f32_e32 v27, v26, v28
	v_sub_f32_e32 v26, v26, v27
	v_mul_f32_e32 v37, v27, v35
	v_add_f32_e32 v36, v28, v26
	v_mul_f32_e32 v28, v24, v37
	v_fma_f32 v30, v37, v24, -v28
	v_fmac_f32_e32 v30, v37, v23
	v_add_f32_e32 v26, v28, v30
	v_sub_f32_e32 v29, v27, v26
	v_pk_add_f32 v[32:33], v[26:27], v[28:29] neg_lo:[0,1] neg_hi:[0,1]
	v_mov_b32_e32 v31, v26
	v_pk_add_f32 v[26:27], v[32:33], v[30:31] neg_lo:[0,1] neg_hi:[0,1]
	v_add_f32_e32 v27, v36, v27
	v_add_f32_e32 v26, v26, v27
	;; [unrolled: 1-line block ×3, first 2 shown]
	v_mul_f32_e32 v36, v35, v27
	v_mul_f32_e32 v28, v24, v36
	v_fma_f32 v30, v36, v24, -v28
	v_fmac_f32_e32 v30, v36, v23
	v_sub_f32_e32 v23, v29, v27
	v_add_f32_e32 v23, v26, v23
	v_add_f32_e32 v26, v28, v30
	v_sub_f32_e32 v29, v27, v26
	v_pk_add_f32 v[32:33], v[26:27], v[28:29] neg_lo:[0,1] neg_hi:[0,1]
	v_mov_b32_e32 v31, v26
	v_pk_add_f32 v[26:27], v[32:33], v[30:31] neg_lo:[0,1] neg_hi:[0,1]
	v_add_f32_e32 v23, v23, v27
	v_add_f32_e32 v23, v26, v23
	;; [unrolled: 1-line block ×4, first 2 shown]
	v_sub_f32_e32 v26, v24, v37
	v_mul_f32_e32 v23, v35, v23
	v_sub_f32_e32 v26, v36, v26
	v_add_f32_e32 v23, v26, v23
	v_add_f32_e32 v26, v24, v23
	v_mul_f32_e32 v29, v26, v26
	v_mov_b32_e32 v28, 0x3ecc95a3
	v_fmac_f32_e32 v28, 0x3e9b6dac, v29
	v_mov_b32_e32 v27, 0x3f2aaada
	v_fmac_f32_e32 v27, v29, v28
	v_cvt_f32_i32_e32 v28, v34
	v_sub_f32_e32 v24, v26, v24
	v_ldexp_f32 v31, v26, 1
	v_mul_f32_e32 v29, v26, v29
	v_mov_b32_e32 v26, 0x3f317218
	s_mov_b32 s2, 0x3f317218
	v_pk_mul_f32 v[26:27], v[28:29], v[26:27]
	v_fma_f32 v30, v28, s2, -v26
	v_fmac_f32_e32 v30, 0xb102e308, v28
	v_pk_add_f32 v[28:29], v[26:27], v[30:31]
	v_sub_f32_e32 v23, v23, v24
	v_sub_f32_e32 v24, v29, v31
	v_ldexp_f32 v23, v23, 1
	v_sub_f32_e32 v24, v27, v24
	v_add_f32_e32 v33, v23, v24
	v_mov_b32_e32 v32, v26
	v_pk_add_f32 v[26:27], v[28:29], v[26:27] neg_lo:[0,1] neg_hi:[0,1]
	v_pk_add_f32 v[34:35], v[28:29], v[32:33]
	v_mov_b32_e32 v27, v35
	v_mov_b32_e32 v31, v28
	v_pk_add_f32 v[36:37], v[30:31], v[26:27] neg_lo:[0,1] neg_hi:[0,1]
	v_pk_add_f32 v[26:27], v[30:31], v[26:27]
	v_mov_b32_e32 v24, v27
	v_pk_add_f32 v[30:31], v[24:25], v[28:29] neg_lo:[0,1] neg_hi:[0,1]
	v_mov_b32_e32 v23, v30
	v_pk_add_f32 v[38:39], v[34:35], v[22:23] neg_lo:[0,1] neg_hi:[0,1]
	v_mov_b32_e32 v26, v35
	v_mov_b32_e32 v34, v29
	;; [unrolled: 1-line block ×4, first 2 shown]
	v_pk_add_f32 v[26:27], v[26:27], v[34:35] neg_lo:[0,1] neg_hi:[0,1]
	v_mov_b32_e32 v30, v33
	v_mov_b32_e32 v31, v28
	v_pk_add_f32 v[26:27], v[30:31], v[26:27] neg_lo:[0,1] neg_hi:[0,1]
	v_mov_b32_e32 v38, v36
	v_pk_add_f32 v[28:29], v[38:39], v[26:27]
	v_mov_b32_e32 v30, v29
	v_pk_add_f32 v[30:31], v[28:29], v[30:31]
	v_pk_add_f32 v[32:33], v[24:25], v[30:31]
	v_mov_b32_e32 v29, v32
	v_pk_add_f32 v[34:35], v[28:29], v[36:37] neg_lo:[0,1] neg_hi:[0,1]
	v_mov_b32_e32 v27, v30
	v_sub_f32_e32 v23, v28, v34
	v_pk_add_f32 v[26:27], v[26:27], v[34:35] neg_lo:[0,1] neg_hi:[0,1]
	v_sub_f32_e32 v23, v36, v23
	s_mov_b32 s3, 0x7f800000
	v_add_f32_e32 v23, v26, v23
	s_mov_b32 s2, 0x33800000
	v_add_f32_e32 v23, v23, v27
	v_cmp_eq_f32_e64 s[56:57], s3, v40
	v_cmp_lt_f32_e64 s[60:61], |v40|, s2
	v_add_f32_e32 v23, v32, v23
	s_or_b64 s[56:57], s[56:57], s[60:61]
	v_cndmask_b32_e64 v23, v23, v40, s[56:57]
	v_add_f32_e32 v23, v22, v23
.LBB482_58:
	s_or_b64 exec, exec, s[0:1]
	v_bfe_u32 v22, v23, 16, 1
	v_add3_u32 v22, v23, v22, s58
	v_and_b32_e32 v22, 0xffff0000, v22
	v_cmp_o_f32_e64 s[56:57], v23, v23
	v_cndmask_b32_e64 v24, v20, v22, s[56:57]
	v_and_b32_e32 v4, 0xffff0000, v4
	v_max_f32_e32 v20, v24, v24
	v_max_f32_e32 v22, v4, v4
	v_min_f32_e32 v23, v20, v22
	v_cmp_u_f32_e64 s[58:59], v24, v24
	v_max_f32_e32 v20, v20, v22
	v_cndmask_b32_e64 v23, v23, v24, s[58:59]
	v_cmp_u_f32_e64 s[56:57], v4, v4
	v_cndmask_b32_e64 v20, v20, v24, s[58:59]
	v_cndmask_b32_e64 v23, v23, v4, s[56:57]
	;; [unrolled: 1-line block ×3, first 2 shown]
	v_cmp_neq_f32_e64 s[58:59], v23, v20
	v_cmp_class_f32_e64 s[0:1], v23, s33
	s_or_b64 s[58:59], s[58:59], s[0:1]
	s_and_saveexec_b64 s[0:1], s[58:59]
	s_cbranch_execz .LBB482_60
; %bb.59:
	v_sub_f32_e32 v23, v23, v20
	s_mov_b32 s2, 0x3fb8aa3b
	v_mul_f32_e32 v24, 0x3fb8aa3b, v23
	v_fma_f32 v26, v23, s2, -v24
	v_rndne_f32_e32 v27, v24
	v_fmac_f32_e32 v26, 0x32a5705f, v23
	v_sub_f32_e32 v24, v24, v27
	v_add_f32_e32 v24, v24, v26
	v_exp_f32_e32 v24, v24
	v_cvt_i32_f32_e32 v26, v27
	s_mov_b32 s2, 0xc2ce8ed0
	v_cmp_ngt_f32_e64 s[58:59], s2, v23
	s_mov_b32 s2, 0x42b17218
	v_ldexp_f32 v24, v24, v26
	v_cndmask_b32_e64 v24, 0, v24, s[58:59]
	v_mov_b32_e32 v26, 0x7f800000
	v_cmp_nlt_f32_e64 s[58:59], s2, v23
	v_cndmask_b32_e64 v40, v26, v24, s[58:59]
	v_add_f32_e32 v23, 1.0, v40
	v_add_f32_e32 v24, -1.0, v23
	v_sub_f32_e32 v26, v24, v23
	v_add_f32_e32 v26, 1.0, v26
	v_sub_f32_e32 v24, v40, v24
	v_add_f32_e32 v24, v24, v26
	v_frexp_mant_f32_e32 v28, v23
	s_mov_b32 s2, 0x3f2aaaab
	v_cvt_f64_f32_e32 v[26:27], v23
	v_frexp_exp_i32_f64_e32 v26, v[26:27]
	v_cmp_gt_f32_e64 s[58:59], s2, v28
	v_subbrev_co_u32_e64 v34, s[58:59], 0, v26, s[58:59]
	v_sub_u32_e32 v26, 0, v34
	v_ldexp_f32 v23, v23, v26
	v_ldexp_f32 v24, v24, v26
	v_add_f32_e32 v26, -1.0, v23
	v_add_f32_e32 v27, 1.0, v26
	v_sub_f32_e32 v27, v23, v27
	v_add_f32_e32 v28, v24, v27
	v_add_f32_e32 v27, 1.0, v23
	v_add_f32_e32 v29, -1.0, v27
	v_sub_f32_e32 v23, v23, v29
	v_add_f32_e32 v23, v24, v23
	v_add_f32_e32 v24, v27, v23
	v_rcp_f32_e32 v35, v24
	v_sub_f32_e32 v27, v27, v24
	v_add_f32_e32 v23, v23, v27
	v_add_f32_e32 v27, v26, v28
	v_sub_f32_e32 v26, v26, v27
	v_mul_f32_e32 v37, v27, v35
	v_add_f32_e32 v36, v28, v26
	v_mul_f32_e32 v28, v24, v37
	v_fma_f32 v30, v37, v24, -v28
	v_fmac_f32_e32 v30, v37, v23
	v_add_f32_e32 v26, v28, v30
	v_sub_f32_e32 v29, v27, v26
	v_pk_add_f32 v[32:33], v[26:27], v[28:29] neg_lo:[0,1] neg_hi:[0,1]
	v_mov_b32_e32 v31, v26
	v_pk_add_f32 v[26:27], v[32:33], v[30:31] neg_lo:[0,1] neg_hi:[0,1]
	v_add_f32_e32 v27, v36, v27
	v_add_f32_e32 v26, v26, v27
	;; [unrolled: 1-line block ×3, first 2 shown]
	v_mul_f32_e32 v36, v35, v27
	v_mul_f32_e32 v28, v24, v36
	v_fma_f32 v30, v36, v24, -v28
	v_fmac_f32_e32 v30, v36, v23
	v_sub_f32_e32 v23, v29, v27
	v_add_f32_e32 v23, v26, v23
	v_add_f32_e32 v26, v28, v30
	v_sub_f32_e32 v29, v27, v26
	v_pk_add_f32 v[32:33], v[26:27], v[28:29] neg_lo:[0,1] neg_hi:[0,1]
	v_mov_b32_e32 v31, v26
	v_pk_add_f32 v[26:27], v[32:33], v[30:31] neg_lo:[0,1] neg_hi:[0,1]
	v_add_f32_e32 v23, v23, v27
	v_add_f32_e32 v23, v26, v23
	;; [unrolled: 1-line block ×4, first 2 shown]
	v_sub_f32_e32 v26, v24, v37
	v_mul_f32_e32 v23, v35, v23
	v_sub_f32_e32 v26, v36, v26
	v_add_f32_e32 v23, v26, v23
	v_add_f32_e32 v26, v24, v23
	v_mul_f32_e32 v29, v26, v26
	v_mov_b32_e32 v28, 0x3ecc95a3
	v_fmac_f32_e32 v28, 0x3e9b6dac, v29
	v_mov_b32_e32 v27, 0x3f2aaada
	v_fmac_f32_e32 v27, v29, v28
	v_cvt_f32_i32_e32 v28, v34
	v_sub_f32_e32 v24, v26, v24
	v_ldexp_f32 v31, v26, 1
	v_mul_f32_e32 v29, v26, v29
	v_mov_b32_e32 v26, 0x3f317218
	s_mov_b32 s2, 0x3f317218
	v_pk_mul_f32 v[26:27], v[28:29], v[26:27]
	v_fma_f32 v30, v28, s2, -v26
	v_fmac_f32_e32 v30, 0xb102e308, v28
	v_pk_add_f32 v[28:29], v[26:27], v[30:31]
	v_sub_f32_e32 v23, v23, v24
	v_sub_f32_e32 v24, v29, v31
	v_ldexp_f32 v23, v23, 1
	v_sub_f32_e32 v24, v27, v24
	v_add_f32_e32 v33, v23, v24
	v_mov_b32_e32 v32, v26
	v_pk_add_f32 v[26:27], v[28:29], v[26:27] neg_lo:[0,1] neg_hi:[0,1]
	v_pk_add_f32 v[34:35], v[28:29], v[32:33]
	v_mov_b32_e32 v27, v35
	v_mov_b32_e32 v31, v28
	v_pk_add_f32 v[36:37], v[30:31], v[26:27] neg_lo:[0,1] neg_hi:[0,1]
	v_pk_add_f32 v[26:27], v[30:31], v[26:27]
	v_mov_b32_e32 v24, v27
	v_pk_add_f32 v[30:31], v[24:25], v[28:29] neg_lo:[0,1] neg_hi:[0,1]
	v_mov_b32_e32 v23, v30
	v_pk_add_f32 v[38:39], v[34:35], v[22:23] neg_lo:[0,1] neg_hi:[0,1]
	v_mov_b32_e32 v26, v35
	v_mov_b32_e32 v34, v29
	;; [unrolled: 1-line block ×4, first 2 shown]
	v_pk_add_f32 v[26:27], v[26:27], v[34:35] neg_lo:[0,1] neg_hi:[0,1]
	v_mov_b32_e32 v30, v33
	v_mov_b32_e32 v31, v28
	v_pk_add_f32 v[26:27], v[30:31], v[26:27] neg_lo:[0,1] neg_hi:[0,1]
	v_mov_b32_e32 v38, v36
	v_pk_add_f32 v[28:29], v[38:39], v[26:27]
	v_mov_b32_e32 v30, v29
	v_pk_add_f32 v[30:31], v[28:29], v[30:31]
	v_pk_add_f32 v[32:33], v[24:25], v[30:31]
	v_mov_b32_e32 v29, v32
	v_pk_add_f32 v[34:35], v[28:29], v[36:37] neg_lo:[0,1] neg_hi:[0,1]
	v_mov_b32_e32 v27, v30
	v_sub_f32_e32 v23, v28, v34
	v_pk_add_f32 v[26:27], v[26:27], v[34:35] neg_lo:[0,1] neg_hi:[0,1]
	v_sub_f32_e32 v23, v36, v23
	s_mov_b32 s3, 0x7f800000
	v_add_f32_e32 v23, v26, v23
	s_mov_b32 s2, 0x33800000
	v_add_f32_e32 v23, v23, v27
	v_cmp_eq_f32_e64 s[58:59], s3, v40
	v_cmp_lt_f32_e64 s[60:61], |v40|, s2
	v_add_f32_e32 v23, v32, v23
	s_or_b64 s[58:59], s[58:59], s[60:61]
	v_cndmask_b32_e64 v23, v23, v40, s[58:59]
	v_add_f32_e32 v24, v20, v23
.LBB482_60:
	s_or_b64 exec, exec, s[0:1]
	v_bfe_u32 v20, v24, 16, 1
	s_movk_i32 s62, 0x7fff
	v_add3_u32 v20, v24, v20, s62
	v_and_b32_e32 v20, 0xffff0000, v20
	v_mov_b32_e32 v23, 0x7fc00000
	v_cmp_o_f32_e64 s[58:59], v24, v24
	v_cndmask_b32_e64 v27, v23, v20, s[58:59]
	v_lshlrev_b32_e32 v20, 16, v5
	v_max_f32_e32 v26, v27, v27
	v_max_f32_e32 v24, v20, v20
	v_min_f32_e32 v28, v26, v24
	v_cmp_u_f32_e64 s[60:61], v27, v27
	v_max_f32_e32 v26, v26, v24
	v_cndmask_b32_e64 v28, v28, v27, s[60:61]
	v_cmp_u_f32_e64 s[58:59], v20, v20
	v_cndmask_b32_e64 v26, v26, v27, s[60:61]
	v_cndmask_b32_e64 v28, v28, v20, s[58:59]
	;; [unrolled: 1-line block ×3, first 2 shown]
	v_cmp_neq_f32_e64 s[60:61], v28, v26
	v_cmp_class_f32_e64 s[0:1], v28, s33
	s_or_b64 s[60:61], s[60:61], s[0:1]
	s_and_saveexec_b64 s[0:1], s[60:61]
	s_cbranch_execz .LBB482_62
; %bb.61:
	v_sub_f32_e32 v27, v28, v26
	s_mov_b32 s2, 0x3fb8aa3b
	v_mul_f32_e32 v28, 0x3fb8aa3b, v27
	v_fma_f32 v29, v27, s2, -v28
	v_rndne_f32_e32 v30, v28
	v_fmac_f32_e32 v29, 0x32a5705f, v27
	v_sub_f32_e32 v28, v28, v30
	v_add_f32_e32 v28, v28, v29
	v_exp_f32_e32 v28, v28
	v_cvt_i32_f32_e32 v29, v30
	s_mov_b32 s2, 0xc2ce8ed0
	v_cmp_ngt_f32_e64 s[60:61], s2, v27
	s_mov_b32 s2, 0x42b17218
	v_ldexp_f32 v28, v28, v29
	v_cndmask_b32_e64 v28, 0, v28, s[60:61]
	v_mov_b32_e32 v29, 0x7f800000
	v_cmp_nlt_f32_e64 s[60:61], s2, v27
	v_cndmask_b32_e64 v44, v29, v28, s[60:61]
	v_add_f32_e32 v27, 1.0, v44
	v_add_f32_e32 v28, -1.0, v27
	v_sub_f32_e32 v29, v28, v27
	v_add_f32_e32 v29, 1.0, v29
	v_sub_f32_e32 v28, v44, v28
	v_add_f32_e32 v30, v28, v29
	v_frexp_mant_f32_e32 v31, v27
	s_mov_b32 s2, 0x3f2aaaab
	v_cvt_f64_f32_e32 v[28:29], v27
	v_frexp_exp_i32_f64_e32 v28, v[28:29]
	v_cmp_gt_f32_e64 s[60:61], s2, v31
	v_subbrev_co_u32_e64 v36, s[60:61], 0, v28, s[60:61]
	v_sub_u32_e32 v28, 0, v36
	v_ldexp_f32 v27, v27, v28
	v_ldexp_f32 v28, v30, v28
	v_add_f32_e32 v30, -1.0, v27
	v_add_f32_e32 v29, 1.0, v30
	v_sub_f32_e32 v29, v27, v29
	v_add_f32_e32 v31, v28, v29
	v_add_f32_e32 v29, 1.0, v27
	v_add_f32_e32 v32, -1.0, v29
	v_sub_f32_e32 v27, v27, v32
	v_add_f32_e32 v27, v28, v27
	v_add_f32_e32 v37, v29, v27
	v_rcp_f32_e32 v38, v37
	v_sub_f32_e32 v28, v29, v37
	v_add_f32_e32 v29, v30, v31
	v_add_f32_e32 v27, v27, v28
	v_mul_f32_e32 v40, v29, v38
	v_sub_f32_e32 v28, v30, v29
	v_mul_f32_e32 v30, v37, v40
	v_fma_f32 v32, v40, v37, -v30
	v_fmac_f32_e32 v32, v40, v27
	v_add_f32_e32 v39, v31, v28
	v_add_f32_e32 v28, v30, v32
	v_sub_f32_e32 v31, v29, v28
	v_pk_add_f32 v[34:35], v[28:29], v[30:31] neg_lo:[0,1] neg_hi:[0,1]
	v_mov_b32_e32 v33, v28
	v_pk_add_f32 v[28:29], v[34:35], v[32:33] neg_lo:[0,1] neg_hi:[0,1]
	v_add_f32_e32 v29, v39, v29
	v_add_f32_e32 v28, v28, v29
	;; [unrolled: 1-line block ×3, first 2 shown]
	v_mul_f32_e32 v39, v38, v29
	v_mul_f32_e32 v30, v37, v39
	v_fma_f32 v32, v39, v37, -v30
	v_fmac_f32_e32 v32, v39, v27
	v_sub_f32_e32 v27, v31, v29
	v_add_f32_e32 v27, v28, v27
	v_add_f32_e32 v28, v30, v32
	v_sub_f32_e32 v31, v29, v28
	v_pk_add_f32 v[34:35], v[28:29], v[30:31] neg_lo:[0,1] neg_hi:[0,1]
	v_mov_b32_e32 v33, v28
	v_pk_add_f32 v[28:29], v[34:35], v[32:33] neg_lo:[0,1] neg_hi:[0,1]
	v_add_f32_e32 v27, v27, v29
	v_add_f32_e32 v27, v28, v27
	;; [unrolled: 1-line block ×4, first 2 shown]
	v_sub_f32_e32 v29, v28, v40
	v_mul_f32_e32 v27, v38, v27
	v_sub_f32_e32 v29, v39, v29
	v_add_f32_e32 v27, v29, v27
	v_add_f32_e32 v31, v28, v27
	v_mul_f32_e32 v32, v31, v31
	v_mov_b32_e32 v30, 0x3ecc95a3
	v_fmac_f32_e32 v30, 0x3e9b6dac, v32
	v_mov_b32_e32 v29, 0x3f2aaada
	v_fmac_f32_e32 v29, v32, v30
	v_cvt_f32_i32_e32 v30, v36
	v_sub_f32_e32 v28, v31, v28
	v_sub_f32_e32 v27, v27, v28
	v_ldexp_f32 v33, v31, 1
	v_mul_f32_e32 v31, v31, v32
	v_mov_b32_e32 v28, 0x3f317218
	s_mov_b32 s2, 0x3f317218
	v_pk_mul_f32 v[28:29], v[30:31], v[28:29]
	v_fma_f32 v32, v30, s2, -v28
	v_fmac_f32_e32 v32, 0xb102e308, v30
	v_pk_add_f32 v[30:31], v[28:29], v[32:33]
	v_sub_f32_e32 v33, v31, v33
	v_ldexp_f32 v27, v27, 1
	v_sub_f32_e32 v33, v29, v33
	v_add_f32_e32 v35, v27, v33
	v_mov_b32_e32 v34, v28
	v_pk_add_f32 v[28:29], v[30:31], v[28:29] neg_lo:[0,1] neg_hi:[0,1]
	v_pk_add_f32 v[36:37], v[30:31], v[34:35]
	v_mov_b32_e32 v29, v37
	v_mov_b32_e32 v33, v30
	v_pk_add_f32 v[38:39], v[32:33], v[28:29] neg_lo:[0,1] neg_hi:[0,1]
	v_pk_add_f32 v[28:29], v[32:33], v[28:29]
	v_mov_b32_e32 v32, v29
	v_pk_add_f32 v[40:41], v[32:33], v[30:31] neg_lo:[0,1] neg_hi:[0,1]
	v_mov_b32_e32 v27, v40
	v_pk_add_f32 v[42:43], v[36:37], v[26:27] neg_lo:[0,1] neg_hi:[0,1]
	v_mov_b32_e32 v28, v37
	v_mov_b32_e32 v36, v31
	;; [unrolled: 1-line block ×4, first 2 shown]
	v_pk_add_f32 v[28:29], v[28:29], v[36:37] neg_lo:[0,1] neg_hi:[0,1]
	v_mov_b32_e32 v34, v35
	v_mov_b32_e32 v35, v30
	v_pk_add_f32 v[28:29], v[34:35], v[28:29] neg_lo:[0,1] neg_hi:[0,1]
	v_mov_b32_e32 v42, v38
	v_pk_add_f32 v[30:31], v[42:43], v[28:29]
	v_mov_b32_e32 v34, v31
	v_pk_add_f32 v[34:35], v[30:31], v[34:35]
	v_pk_add_f32 v[32:33], v[32:33], v[34:35]
	v_mov_b32_e32 v31, v32
	v_pk_add_f32 v[36:37], v[30:31], v[38:39] neg_lo:[0,1] neg_hi:[0,1]
	v_mov_b32_e32 v29, v34
	v_sub_f32_e32 v27, v30, v36
	v_pk_add_f32 v[28:29], v[28:29], v[36:37] neg_lo:[0,1] neg_hi:[0,1]
	v_sub_f32_e32 v27, v38, v27
	s_mov_b32 s3, 0x7f800000
	v_add_f32_e32 v27, v28, v27
	s_mov_b32 s2, 0x33800000
	v_add_f32_e32 v27, v27, v29
	v_cmp_eq_f32_e64 s[60:61], s3, v44
	v_cmp_lt_f32_e64 s[64:65], |v44|, s2
	v_add_f32_e32 v27, v32, v27
	s_or_b64 s[60:61], s[60:61], s[64:65]
	v_cndmask_b32_e64 v27, v27, v44, s[60:61]
	v_add_f32_e32 v27, v26, v27
.LBB482_62:
	s_or_b64 exec, exec, s[0:1]
	v_bfe_u32 v26, v27, 16, 1
	v_add3_u32 v26, v27, v26, s62
	v_and_b32_e32 v26, 0xffff0000, v26
	v_cmp_o_f32_e64 s[60:61], v27, v27
	v_cndmask_b32_e64 v28, v23, v26, s[60:61]
	v_and_b32_e32 v5, 0xffff0000, v5
	v_max_f32_e32 v23, v28, v28
	v_max_f32_e32 v26, v5, v5
	v_min_f32_e32 v27, v23, v26
	v_cmp_u_f32_e64 s[62:63], v28, v28
	v_max_f32_e32 v23, v23, v26
	v_cndmask_b32_e64 v27, v27, v28, s[62:63]
	v_cmp_u_f32_e64 s[60:61], v5, v5
	v_cndmask_b32_e64 v23, v23, v28, s[62:63]
	v_cndmask_b32_e64 v27, v27, v5, s[60:61]
	;; [unrolled: 1-line block ×3, first 2 shown]
	v_cmp_neq_f32_e64 s[62:63], v27, v23
	v_cmp_class_f32_e64 s[0:1], v27, s33
	s_or_b64 s[62:63], s[62:63], s[0:1]
	s_and_saveexec_b64 s[0:1], s[62:63]
	s_cbranch_execz .LBB482_64
; %bb.63:
	v_sub_f32_e32 v27, v27, v23
	s_mov_b32 s2, 0x3fb8aa3b
	v_mul_f32_e32 v28, 0x3fb8aa3b, v27
	v_fma_f32 v29, v27, s2, -v28
	v_rndne_f32_e32 v30, v28
	v_fmac_f32_e32 v29, 0x32a5705f, v27
	v_sub_f32_e32 v28, v28, v30
	v_add_f32_e32 v28, v28, v29
	v_exp_f32_e32 v28, v28
	v_cvt_i32_f32_e32 v29, v30
	s_mov_b32 s2, 0xc2ce8ed0
	v_cmp_ngt_f32_e64 s[62:63], s2, v27
	s_mov_b32 s2, 0x42b17218
	v_ldexp_f32 v28, v28, v29
	v_cndmask_b32_e64 v28, 0, v28, s[62:63]
	v_mov_b32_e32 v29, 0x7f800000
	v_cmp_nlt_f32_e64 s[62:63], s2, v27
	v_cndmask_b32_e64 v44, v29, v28, s[62:63]
	v_add_f32_e32 v27, 1.0, v44
	v_add_f32_e32 v28, -1.0, v27
	v_sub_f32_e32 v29, v28, v27
	v_add_f32_e32 v29, 1.0, v29
	v_sub_f32_e32 v28, v44, v28
	v_add_f32_e32 v30, v28, v29
	v_frexp_mant_f32_e32 v31, v27
	s_mov_b32 s2, 0x3f2aaaab
	v_cvt_f64_f32_e32 v[28:29], v27
	v_frexp_exp_i32_f64_e32 v28, v[28:29]
	v_cmp_gt_f32_e64 s[62:63], s2, v31
	v_subbrev_co_u32_e64 v36, s[62:63], 0, v28, s[62:63]
	v_sub_u32_e32 v28, 0, v36
	v_ldexp_f32 v27, v27, v28
	v_ldexp_f32 v28, v30, v28
	v_add_f32_e32 v30, -1.0, v27
	v_add_f32_e32 v29, 1.0, v30
	v_sub_f32_e32 v29, v27, v29
	v_add_f32_e32 v31, v28, v29
	v_add_f32_e32 v29, 1.0, v27
	v_add_f32_e32 v32, -1.0, v29
	v_sub_f32_e32 v27, v27, v32
	v_add_f32_e32 v27, v28, v27
	v_add_f32_e32 v37, v29, v27
	v_rcp_f32_e32 v38, v37
	v_sub_f32_e32 v28, v29, v37
	v_add_f32_e32 v29, v30, v31
	v_add_f32_e32 v27, v27, v28
	v_mul_f32_e32 v40, v29, v38
	v_sub_f32_e32 v28, v30, v29
	v_mul_f32_e32 v30, v37, v40
	v_fma_f32 v32, v40, v37, -v30
	v_fmac_f32_e32 v32, v40, v27
	v_add_f32_e32 v39, v31, v28
	v_add_f32_e32 v28, v30, v32
	v_sub_f32_e32 v31, v29, v28
	v_pk_add_f32 v[34:35], v[28:29], v[30:31] neg_lo:[0,1] neg_hi:[0,1]
	v_mov_b32_e32 v33, v28
	v_pk_add_f32 v[28:29], v[34:35], v[32:33] neg_lo:[0,1] neg_hi:[0,1]
	v_add_f32_e32 v29, v39, v29
	v_add_f32_e32 v28, v28, v29
	;; [unrolled: 1-line block ×3, first 2 shown]
	v_mul_f32_e32 v39, v38, v29
	v_mul_f32_e32 v30, v37, v39
	v_fma_f32 v32, v39, v37, -v30
	v_fmac_f32_e32 v32, v39, v27
	v_sub_f32_e32 v27, v31, v29
	v_add_f32_e32 v27, v28, v27
	v_add_f32_e32 v28, v30, v32
	v_sub_f32_e32 v31, v29, v28
	v_pk_add_f32 v[34:35], v[28:29], v[30:31] neg_lo:[0,1] neg_hi:[0,1]
	v_mov_b32_e32 v33, v28
	v_pk_add_f32 v[28:29], v[34:35], v[32:33] neg_lo:[0,1] neg_hi:[0,1]
	v_add_f32_e32 v27, v27, v29
	v_add_f32_e32 v27, v28, v27
	;; [unrolled: 1-line block ×4, first 2 shown]
	v_sub_f32_e32 v29, v28, v40
	v_mul_f32_e32 v27, v38, v27
	v_sub_f32_e32 v29, v39, v29
	v_add_f32_e32 v27, v29, v27
	v_add_f32_e32 v31, v28, v27
	v_mul_f32_e32 v32, v31, v31
	v_mov_b32_e32 v30, 0x3ecc95a3
	v_fmac_f32_e32 v30, 0x3e9b6dac, v32
	v_mov_b32_e32 v29, 0x3f2aaada
	v_fmac_f32_e32 v29, v32, v30
	v_cvt_f32_i32_e32 v30, v36
	v_sub_f32_e32 v28, v31, v28
	v_sub_f32_e32 v27, v27, v28
	v_ldexp_f32 v33, v31, 1
	v_mul_f32_e32 v31, v31, v32
	v_mov_b32_e32 v28, 0x3f317218
	s_mov_b32 s2, 0x3f317218
	v_pk_mul_f32 v[28:29], v[30:31], v[28:29]
	v_fma_f32 v32, v30, s2, -v28
	v_fmac_f32_e32 v32, 0xb102e308, v30
	v_pk_add_f32 v[30:31], v[28:29], v[32:33]
	v_sub_f32_e32 v33, v31, v33
	v_ldexp_f32 v27, v27, 1
	v_sub_f32_e32 v33, v29, v33
	v_add_f32_e32 v35, v27, v33
	v_mov_b32_e32 v34, v28
	v_pk_add_f32 v[28:29], v[30:31], v[28:29] neg_lo:[0,1] neg_hi:[0,1]
	v_pk_add_f32 v[36:37], v[30:31], v[34:35]
	v_mov_b32_e32 v29, v37
	v_mov_b32_e32 v33, v30
	v_pk_add_f32 v[38:39], v[32:33], v[28:29] neg_lo:[0,1] neg_hi:[0,1]
	v_pk_add_f32 v[28:29], v[32:33], v[28:29]
	v_mov_b32_e32 v32, v29
	v_pk_add_f32 v[40:41], v[32:33], v[30:31] neg_lo:[0,1] neg_hi:[0,1]
	v_mov_b32_e32 v27, v40
	v_pk_add_f32 v[42:43], v[36:37], v[26:27] neg_lo:[0,1] neg_hi:[0,1]
	v_mov_b32_e32 v28, v37
	v_mov_b32_e32 v36, v31
	;; [unrolled: 1-line block ×4, first 2 shown]
	v_pk_add_f32 v[28:29], v[28:29], v[36:37] neg_lo:[0,1] neg_hi:[0,1]
	v_mov_b32_e32 v34, v35
	v_mov_b32_e32 v35, v30
	v_pk_add_f32 v[28:29], v[34:35], v[28:29] neg_lo:[0,1] neg_hi:[0,1]
	v_mov_b32_e32 v42, v38
	v_pk_add_f32 v[30:31], v[42:43], v[28:29]
	v_mov_b32_e32 v34, v31
	v_pk_add_f32 v[34:35], v[30:31], v[34:35]
	v_pk_add_f32 v[32:33], v[32:33], v[34:35]
	v_mov_b32_e32 v31, v32
	v_pk_add_f32 v[36:37], v[30:31], v[38:39] neg_lo:[0,1] neg_hi:[0,1]
	v_mov_b32_e32 v29, v34
	v_sub_f32_e32 v27, v30, v36
	v_pk_add_f32 v[28:29], v[28:29], v[36:37] neg_lo:[0,1] neg_hi:[0,1]
	v_sub_f32_e32 v27, v38, v27
	s_mov_b32 s3, 0x7f800000
	v_add_f32_e32 v27, v28, v27
	s_mov_b32 s2, 0x33800000
	v_add_f32_e32 v27, v27, v29
	v_cmp_eq_f32_e64 s[62:63], s3, v44
	v_cmp_lt_f32_e64 s[64:65], |v44|, s2
	v_add_f32_e32 v27, v32, v27
	s_or_b64 s[62:63], s[62:63], s[64:65]
	v_cndmask_b32_e64 v27, v27, v44, s[62:63]
	v_add_f32_e32 v28, v23, v27
.LBB482_64:
	s_or_b64 exec, exec, s[0:1]
	v_bfe_u32 v23, v28, 16, 1
	s_movk_i32 s66, 0x7fff
	v_add3_u32 v23, v28, v23, s66
	v_and_b32_e32 v23, 0xffff0000, v23
	v_mov_b32_e32 v27, 0x7fc00000
	v_cmp_o_f32_e64 s[62:63], v28, v28
	v_cndmask_b32_e64 v30, v27, v23, s[62:63]
	v_lshlrev_b32_e32 v23, 16, v10
	v_max_f32_e32 v29, v30, v30
	v_max_f32_e32 v28, v23, v23
	v_min_f32_e32 v31, v29, v28
	v_cmp_u_f32_e64 s[64:65], v30, v30
	v_max_f32_e32 v29, v29, v28
	v_cndmask_b32_e64 v31, v31, v30, s[64:65]
	v_cmp_u_f32_e64 s[62:63], v23, v23
	v_cndmask_b32_e64 v29, v29, v30, s[64:65]
	v_cndmask_b32_e64 v31, v31, v23, s[62:63]
	;; [unrolled: 1-line block ×3, first 2 shown]
	v_cmp_neq_f32_e64 s[64:65], v31, v29
	v_cmp_class_f32_e64 s[0:1], v31, s33
	s_or_b64 s[64:65], s[64:65], s[0:1]
	s_and_saveexec_b64 s[0:1], s[64:65]
	s_cbranch_execz .LBB482_66
; %bb.65:
	v_sub_f32_e32 v30, v31, v29
	s_mov_b32 s2, 0x3fb8aa3b
	v_mul_f32_e32 v31, 0x3fb8aa3b, v30
	v_fma_f32 v32, v30, s2, -v31
	v_rndne_f32_e32 v33, v31
	v_fmac_f32_e32 v32, 0x32a5705f, v30
	v_sub_f32_e32 v31, v31, v33
	v_add_f32_e32 v31, v31, v32
	v_exp_f32_e32 v31, v31
	v_cvt_i32_f32_e32 v32, v33
	s_mov_b32 s2, 0xc2ce8ed0
	v_cmp_ngt_f32_e64 s[64:65], s2, v30
	s_mov_b32 s2, 0x42b17218
	v_ldexp_f32 v31, v31, v32
	v_cndmask_b32_e64 v31, 0, v31, s[64:65]
	v_mov_b32_e32 v32, 0x7f800000
	v_cmp_nlt_f32_e64 s[64:65], s2, v30
	v_cndmask_b32_e64 v46, v32, v31, s[64:65]
	v_add_f32_e32 v32, 1.0, v46
	v_add_f32_e32 v30, -1.0, v32
	v_sub_f32_e32 v31, v30, v32
	v_add_f32_e32 v31, 1.0, v31
	v_sub_f32_e32 v30, v46, v30
	v_add_f32_e32 v33, v30, v31
	v_frexp_mant_f32_e32 v34, v32
	s_mov_b32 s2, 0x3f2aaaab
	v_cvt_f64_f32_e32 v[30:31], v32
	v_frexp_exp_i32_f64_e32 v30, v[30:31]
	v_cmp_gt_f32_e64 s[64:65], s2, v34
	v_subbrev_co_u32_e64 v38, s[64:65], 0, v30, s[64:65]
	v_sub_u32_e32 v30, 0, v38
	v_ldexp_f32 v31, v32, v30
	v_add_f32_e32 v32, -1.0, v31
	v_add_f32_e32 v34, 1.0, v31
	v_ldexp_f32 v30, v33, v30
	v_add_f32_e32 v33, 1.0, v32
	v_add_f32_e32 v35, -1.0, v34
	v_sub_f32_e32 v33, v31, v33
	v_sub_f32_e32 v31, v31, v35
	v_add_f32_e32 v33, v30, v33
	v_add_f32_e32 v30, v30, v31
	;; [unrolled: 1-line block ×3, first 2 shown]
	v_rcp_f32_e32 v41, v39
	v_sub_f32_e32 v31, v34, v39
	v_add_f32_e32 v40, v30, v31
	v_add_f32_e32 v31, v32, v33
	v_mul_f32_e32 v43, v31, v41
	v_sub_f32_e32 v30, v32, v31
	v_mul_f32_e32 v32, v39, v43
	v_fma_f32 v34, v43, v39, -v32
	v_fmac_f32_e32 v34, v43, v40
	v_add_f32_e32 v42, v33, v30
	v_add_f32_e32 v30, v32, v34
	v_sub_f32_e32 v33, v31, v30
	v_pk_add_f32 v[36:37], v[30:31], v[32:33] neg_lo:[0,1] neg_hi:[0,1]
	v_mov_b32_e32 v35, v30
	v_pk_add_f32 v[30:31], v[36:37], v[34:35] neg_lo:[0,1] neg_hi:[0,1]
	v_add_f32_e32 v31, v42, v31
	v_add_f32_e32 v30, v30, v31
	;; [unrolled: 1-line block ×3, first 2 shown]
	v_mul_f32_e32 v42, v41, v31
	v_mul_f32_e32 v32, v39, v42
	v_fma_f32 v34, v42, v39, -v32
	v_fmac_f32_e32 v34, v42, v40
	v_sub_f32_e32 v33, v33, v31
	v_add_f32_e32 v39, v30, v33
	v_add_f32_e32 v30, v32, v34
	v_sub_f32_e32 v33, v31, v30
	v_pk_add_f32 v[36:37], v[30:31], v[32:33] neg_lo:[0,1] neg_hi:[0,1]
	v_mov_b32_e32 v35, v30
	v_pk_add_f32 v[30:31], v[36:37], v[34:35] neg_lo:[0,1] neg_hi:[0,1]
	v_add_f32_e32 v31, v39, v31
	v_add_f32_e32 v30, v30, v31
	;; [unrolled: 1-line block ×4, first 2 shown]
	v_sub_f32_e32 v31, v33, v43
	v_mul_f32_e32 v30, v41, v30
	v_sub_f32_e32 v31, v42, v31
	v_add_f32_e32 v30, v31, v30
	v_add_f32_e32 v34, v33, v30
	v_mul_f32_e32 v36, v34, v34
	v_mov_b32_e32 v32, 0x3ecc95a3
	v_fmac_f32_e32 v32, 0x3e9b6dac, v36
	v_mov_b32_e32 v31, 0x3f2aaada
	v_fmac_f32_e32 v31, v36, v32
	v_cvt_f32_i32_e32 v32, v38
	v_sub_f32_e32 v33, v34, v33
	v_sub_f32_e32 v30, v30, v33
	v_ldexp_f32 v37, v30, 1
	v_mul_f32_e32 v33, v34, v36
	v_mov_b32_e32 v30, 0x3f317218
	s_mov_b32 s2, 0x3f317218
	v_pk_mul_f32 v[30:31], v[32:33], v[30:31]
	v_ldexp_f32 v35, v34, 1
	v_fma_f32 v34, v32, s2, -v30
	v_fmac_f32_e32 v34, 0xb102e308, v32
	v_pk_add_f32 v[32:33], v[30:31], v[34:35]
	v_sub_f32_e32 v35, v33, v35
	v_sub_f32_e32 v35, v31, v35
	v_add_f32_e32 v37, v37, v35
	v_mov_b32_e32 v36, v30
	v_pk_add_f32 v[30:31], v[32:33], v[30:31] neg_lo:[0,1] neg_hi:[0,1]
	v_pk_add_f32 v[38:39], v[32:33], v[36:37]
	v_mov_b32_e32 v31, v39
	v_mov_b32_e32 v35, v32
	v_pk_add_f32 v[40:41], v[34:35], v[30:31] neg_lo:[0,1] neg_hi:[0,1]
	v_pk_add_f32 v[30:31], v[34:35], v[30:31]
	v_mov_b32_e32 v34, v31
	v_pk_add_f32 v[42:43], v[34:35], v[32:33] neg_lo:[0,1] neg_hi:[0,1]
	v_mov_b32_e32 v35, v42
	v_pk_add_f32 v[44:45], v[38:39], v[34:35] neg_lo:[0,1] neg_hi:[0,1]
	v_mov_b32_e32 v30, v39
	v_mov_b32_e32 v38, v33
	;; [unrolled: 1-line block ×4, first 2 shown]
	v_pk_add_f32 v[30:31], v[30:31], v[38:39] neg_lo:[0,1] neg_hi:[0,1]
	v_mov_b32_e32 v36, v37
	v_mov_b32_e32 v37, v32
	v_pk_add_f32 v[30:31], v[36:37], v[30:31] neg_lo:[0,1] neg_hi:[0,1]
	v_mov_b32_e32 v44, v40
	v_pk_add_f32 v[32:33], v[44:45], v[30:31]
	v_mov_b32_e32 v36, v33
	v_pk_add_f32 v[36:37], v[32:33], v[36:37]
	v_pk_add_f32 v[34:35], v[34:35], v[36:37]
	v_mov_b32_e32 v33, v34
	v_pk_add_f32 v[38:39], v[32:33], v[40:41] neg_lo:[0,1] neg_hi:[0,1]
	v_mov_b32_e32 v31, v36
	v_sub_f32_e32 v32, v32, v38
	v_pk_add_f32 v[30:31], v[30:31], v[38:39] neg_lo:[0,1] neg_hi:[0,1]
	v_sub_f32_e32 v32, v40, v32
	s_mov_b32 s3, 0x7f800000
	v_add_f32_e32 v30, v30, v32
	s_mov_b32 s2, 0x33800000
	v_add_f32_e32 v30, v30, v31
	v_cmp_eq_f32_e64 s[64:65], s3, v46
	v_cmp_lt_f32_e64 s[68:69], |v46|, s2
	v_add_f32_e32 v30, v34, v30
	s_or_b64 s[64:65], s[64:65], s[68:69]
	v_cndmask_b32_e64 v30, v30, v46, s[64:65]
	v_add_f32_e32 v30, v29, v30
.LBB482_66:
	s_or_b64 exec, exec, s[0:1]
	v_bfe_u32 v29, v30, 16, 1
	v_add3_u32 v29, v30, v29, s66
	v_and_b32_e32 v29, 0xffff0000, v29
	v_cmp_o_f32_e64 s[64:65], v30, v30
	v_cndmask_b32_e64 v31, v27, v29, s[64:65]
	v_and_b32_e32 v10, 0xffff0000, v10
	v_max_f32_e32 v27, v31, v31
	v_max_f32_e32 v29, v10, v10
	v_min_f32_e32 v30, v27, v29
	v_cmp_u_f32_e64 s[66:67], v31, v31
	v_max_f32_e32 v27, v27, v29
	v_cndmask_b32_e64 v30, v30, v31, s[66:67]
	v_cmp_u_f32_e64 s[64:65], v10, v10
	v_cndmask_b32_e64 v27, v27, v31, s[66:67]
	v_cndmask_b32_e64 v30, v30, v10, s[64:65]
	;; [unrolled: 1-line block ×3, first 2 shown]
	v_cmp_neq_f32_e64 s[66:67], v30, v27
	v_cmp_class_f32_e64 s[0:1], v30, s33
	s_or_b64 s[66:67], s[66:67], s[0:1]
	s_and_saveexec_b64 s[0:1], s[66:67]
	s_cbranch_execz .LBB482_68
; %bb.67:
	v_sub_f32_e32 v30, v30, v27
	s_mov_b32 s2, 0x3fb8aa3b
	v_mul_f32_e32 v31, 0x3fb8aa3b, v30
	v_fma_f32 v32, v30, s2, -v31
	v_rndne_f32_e32 v33, v31
	v_fmac_f32_e32 v32, 0x32a5705f, v30
	v_sub_f32_e32 v31, v31, v33
	v_add_f32_e32 v31, v31, v32
	v_exp_f32_e32 v31, v31
	v_cvt_i32_f32_e32 v32, v33
	s_mov_b32 s2, 0xc2ce8ed0
	v_cmp_ngt_f32_e64 s[66:67], s2, v30
	s_mov_b32 s2, 0x42b17218
	v_ldexp_f32 v31, v31, v32
	v_cndmask_b32_e64 v31, 0, v31, s[66:67]
	v_mov_b32_e32 v32, 0x7f800000
	v_cmp_nlt_f32_e64 s[66:67], s2, v30
	v_cndmask_b32_e64 v46, v32, v31, s[66:67]
	v_add_f32_e32 v32, 1.0, v46
	v_add_f32_e32 v30, -1.0, v32
	v_sub_f32_e32 v31, v30, v32
	v_add_f32_e32 v31, 1.0, v31
	v_sub_f32_e32 v30, v46, v30
	v_add_f32_e32 v33, v30, v31
	v_frexp_mant_f32_e32 v34, v32
	s_mov_b32 s2, 0x3f2aaaab
	v_cvt_f64_f32_e32 v[30:31], v32
	v_frexp_exp_i32_f64_e32 v30, v[30:31]
	v_cmp_gt_f32_e64 s[66:67], s2, v34
	v_subbrev_co_u32_e64 v38, s[66:67], 0, v30, s[66:67]
	v_sub_u32_e32 v30, 0, v38
	v_ldexp_f32 v31, v32, v30
	v_add_f32_e32 v32, -1.0, v31
	v_add_f32_e32 v34, 1.0, v31
	v_ldexp_f32 v30, v33, v30
	v_add_f32_e32 v33, 1.0, v32
	v_add_f32_e32 v35, -1.0, v34
	v_sub_f32_e32 v33, v31, v33
	v_sub_f32_e32 v31, v31, v35
	v_add_f32_e32 v33, v30, v33
	v_add_f32_e32 v30, v30, v31
	;; [unrolled: 1-line block ×3, first 2 shown]
	v_rcp_f32_e32 v41, v39
	v_sub_f32_e32 v31, v34, v39
	v_add_f32_e32 v40, v30, v31
	v_add_f32_e32 v31, v32, v33
	v_mul_f32_e32 v43, v31, v41
	v_sub_f32_e32 v30, v32, v31
	v_mul_f32_e32 v32, v39, v43
	v_fma_f32 v34, v43, v39, -v32
	v_fmac_f32_e32 v34, v43, v40
	v_add_f32_e32 v42, v33, v30
	v_add_f32_e32 v30, v32, v34
	v_sub_f32_e32 v33, v31, v30
	v_pk_add_f32 v[36:37], v[30:31], v[32:33] neg_lo:[0,1] neg_hi:[0,1]
	v_mov_b32_e32 v35, v30
	v_pk_add_f32 v[30:31], v[36:37], v[34:35] neg_lo:[0,1] neg_hi:[0,1]
	v_add_f32_e32 v31, v42, v31
	v_add_f32_e32 v30, v30, v31
	;; [unrolled: 1-line block ×3, first 2 shown]
	v_mul_f32_e32 v42, v41, v31
	v_mul_f32_e32 v32, v39, v42
	v_fma_f32 v34, v42, v39, -v32
	v_fmac_f32_e32 v34, v42, v40
	v_sub_f32_e32 v33, v33, v31
	v_add_f32_e32 v39, v30, v33
	v_add_f32_e32 v30, v32, v34
	v_sub_f32_e32 v33, v31, v30
	v_pk_add_f32 v[36:37], v[30:31], v[32:33] neg_lo:[0,1] neg_hi:[0,1]
	v_mov_b32_e32 v35, v30
	v_pk_add_f32 v[30:31], v[36:37], v[34:35] neg_lo:[0,1] neg_hi:[0,1]
	v_add_f32_e32 v31, v39, v31
	v_add_f32_e32 v30, v30, v31
	v_add_f32_e32 v30, v33, v30
	v_add_f32_e32 v33, v43, v42
	v_sub_f32_e32 v31, v33, v43
	v_mul_f32_e32 v30, v41, v30
	v_sub_f32_e32 v31, v42, v31
	v_add_f32_e32 v30, v31, v30
	v_add_f32_e32 v34, v33, v30
	v_mul_f32_e32 v36, v34, v34
	v_mov_b32_e32 v32, 0x3ecc95a3
	v_fmac_f32_e32 v32, 0x3e9b6dac, v36
	v_mov_b32_e32 v31, 0x3f2aaada
	v_fmac_f32_e32 v31, v36, v32
	v_cvt_f32_i32_e32 v32, v38
	v_sub_f32_e32 v33, v34, v33
	v_sub_f32_e32 v30, v30, v33
	v_ldexp_f32 v37, v30, 1
	v_mul_f32_e32 v33, v34, v36
	v_mov_b32_e32 v30, 0x3f317218
	s_mov_b32 s2, 0x3f317218
	v_pk_mul_f32 v[30:31], v[32:33], v[30:31]
	v_ldexp_f32 v35, v34, 1
	v_fma_f32 v34, v32, s2, -v30
	v_fmac_f32_e32 v34, 0xb102e308, v32
	v_pk_add_f32 v[32:33], v[30:31], v[34:35]
	v_sub_f32_e32 v35, v33, v35
	v_sub_f32_e32 v35, v31, v35
	v_add_f32_e32 v37, v37, v35
	v_mov_b32_e32 v36, v30
	v_pk_add_f32 v[30:31], v[32:33], v[30:31] neg_lo:[0,1] neg_hi:[0,1]
	v_pk_add_f32 v[38:39], v[32:33], v[36:37]
	v_mov_b32_e32 v31, v39
	v_mov_b32_e32 v35, v32
	v_pk_add_f32 v[40:41], v[34:35], v[30:31] neg_lo:[0,1] neg_hi:[0,1]
	v_pk_add_f32 v[30:31], v[34:35], v[30:31]
	v_mov_b32_e32 v34, v31
	v_pk_add_f32 v[42:43], v[34:35], v[32:33] neg_lo:[0,1] neg_hi:[0,1]
	v_mov_b32_e32 v35, v42
	v_pk_add_f32 v[44:45], v[38:39], v[34:35] neg_lo:[0,1] neg_hi:[0,1]
	v_mov_b32_e32 v30, v39
	v_mov_b32_e32 v38, v33
	;; [unrolled: 1-line block ×4, first 2 shown]
	v_pk_add_f32 v[30:31], v[30:31], v[38:39] neg_lo:[0,1] neg_hi:[0,1]
	v_mov_b32_e32 v36, v37
	v_mov_b32_e32 v37, v32
	v_pk_add_f32 v[30:31], v[36:37], v[30:31] neg_lo:[0,1] neg_hi:[0,1]
	v_mov_b32_e32 v44, v40
	v_pk_add_f32 v[32:33], v[44:45], v[30:31]
	v_mov_b32_e32 v36, v33
	v_pk_add_f32 v[36:37], v[32:33], v[36:37]
	v_pk_add_f32 v[34:35], v[34:35], v[36:37]
	v_mov_b32_e32 v33, v34
	v_pk_add_f32 v[38:39], v[32:33], v[40:41] neg_lo:[0,1] neg_hi:[0,1]
	v_mov_b32_e32 v31, v36
	v_sub_f32_e32 v32, v32, v38
	v_pk_add_f32 v[30:31], v[30:31], v[38:39] neg_lo:[0,1] neg_hi:[0,1]
	v_sub_f32_e32 v32, v40, v32
	s_mov_b32 s3, 0x7f800000
	v_add_f32_e32 v30, v30, v32
	s_mov_b32 s2, 0x33800000
	v_add_f32_e32 v30, v30, v31
	v_cmp_eq_f32_e64 s[66:67], s3, v46
	v_cmp_lt_f32_e64 s[68:69], |v46|, s2
	v_add_f32_e32 v30, v34, v30
	s_or_b64 s[66:67], s[66:67], s[68:69]
	v_cndmask_b32_e64 v30, v30, v46, s[66:67]
	v_add_f32_e32 v31, v27, v30
.LBB482_68:
	s_or_b64 exec, exec, s[0:1]
	v_bfe_u32 v27, v31, 16, 1
	s_movk_i32 s70, 0x7fff
	v_add3_u32 v27, v31, v27, s70
	v_and_b32_e32 v27, 0xffff0000, v27
	v_mov_b32_e32 v30, 0x7fc00000
	v_cmp_o_f32_e64 s[66:67], v31, v31
	v_cndmask_b32_e64 v33, v30, v27, s[66:67]
	v_lshlrev_b32_e32 v27, 16, v11
	v_max_f32_e32 v32, v33, v33
	v_max_f32_e32 v31, v27, v27
	v_min_f32_e32 v34, v32, v31
	v_cmp_u_f32_e64 s[68:69], v33, v33
	v_max_f32_e32 v32, v32, v31
	v_cndmask_b32_e64 v34, v34, v33, s[68:69]
	v_cmp_u_f32_e64 s[66:67], v27, v27
	v_cndmask_b32_e64 v32, v32, v33, s[68:69]
	v_cndmask_b32_e64 v34, v34, v27, s[66:67]
	;; [unrolled: 1-line block ×3, first 2 shown]
	v_cmp_neq_f32_e64 s[68:69], v34, v32
	v_cmp_class_f32_e64 s[0:1], v34, s33
	s_or_b64 s[68:69], s[68:69], s[0:1]
	s_and_saveexec_b64 s[0:1], s[68:69]
	s_cbranch_execz .LBB482_70
; %bb.69:
	v_sub_f32_e32 v33, v34, v32
	s_mov_b32 s2, 0x3fb8aa3b
	v_mul_f32_e32 v34, 0x3fb8aa3b, v33
	v_fma_f32 v35, v33, s2, -v34
	v_rndne_f32_e32 v36, v34
	v_fmac_f32_e32 v35, 0x32a5705f, v33
	v_sub_f32_e32 v34, v34, v36
	v_add_f32_e32 v34, v34, v35
	v_exp_f32_e32 v34, v34
	v_cvt_i32_f32_e32 v35, v36
	s_mov_b32 s2, 0xc2ce8ed0
	v_cmp_ngt_f32_e64 s[68:69], s2, v33
	s_mov_b32 s2, 0x42b17218
	v_ldexp_f32 v34, v34, v35
	v_cndmask_b32_e64 v34, 0, v34, s[68:69]
	v_mov_b32_e32 v35, 0x7f800000
	v_cmp_nlt_f32_e64 s[68:69], s2, v33
	v_cndmask_b32_e64 v54, v35, v34, s[68:69]
	v_add_f32_e32 v33, 1.0, v54
	v_add_f32_e32 v34, -1.0, v33
	v_sub_f32_e32 v35, v34, v33
	v_add_f32_e32 v35, 1.0, v35
	v_sub_f32_e32 v34, v54, v34
	v_add_f32_e32 v36, v34, v35
	v_frexp_mant_f32_e32 v37, v33
	s_mov_b32 s2, 0x3f2aaaab
	v_cvt_f64_f32_e32 v[34:35], v33
	v_frexp_exp_i32_f64_e32 v34, v[34:35]
	v_cmp_gt_f32_e64 s[68:69], s2, v37
	v_subbrev_co_u32_e64 v42, s[68:69], 0, v34, s[68:69]
	v_sub_u32_e32 v34, 0, v42
	v_ldexp_f32 v33, v33, v34
	v_ldexp_f32 v34, v36, v34
	v_add_f32_e32 v36, -1.0, v33
	v_add_f32_e32 v35, 1.0, v36
	v_sub_f32_e32 v35, v33, v35
	v_add_f32_e32 v37, v34, v35
	v_add_f32_e32 v35, 1.0, v33
	v_add_f32_e32 v38, -1.0, v35
	v_sub_f32_e32 v33, v33, v38
	v_add_f32_e32 v33, v34, v33
	v_add_f32_e32 v43, v35, v33
	v_rcp_f32_e32 v44, v43
	v_sub_f32_e32 v34, v35, v43
	v_add_f32_e32 v35, v36, v37
	v_add_f32_e32 v33, v33, v34
	v_mul_f32_e32 v46, v35, v44
	v_sub_f32_e32 v34, v36, v35
	v_mul_f32_e32 v36, v43, v46
	v_fma_f32 v38, v46, v43, -v36
	v_fmac_f32_e32 v38, v46, v33
	v_add_f32_e32 v45, v37, v34
	v_add_f32_e32 v34, v36, v38
	v_sub_f32_e32 v37, v35, v34
	v_pk_add_f32 v[40:41], v[34:35], v[36:37] neg_lo:[0,1] neg_hi:[0,1]
	v_mov_b32_e32 v39, v34
	v_pk_add_f32 v[34:35], v[40:41], v[38:39] neg_lo:[0,1] neg_hi:[0,1]
	v_add_f32_e32 v35, v45, v35
	v_add_f32_e32 v34, v34, v35
	;; [unrolled: 1-line block ×3, first 2 shown]
	v_mul_f32_e32 v45, v44, v35
	v_mul_f32_e32 v36, v43, v45
	v_fma_f32 v38, v45, v43, -v36
	v_fmac_f32_e32 v38, v45, v33
	v_sub_f32_e32 v33, v37, v35
	v_add_f32_e32 v33, v34, v33
	v_add_f32_e32 v34, v36, v38
	v_sub_f32_e32 v37, v35, v34
	v_pk_add_f32 v[40:41], v[34:35], v[36:37] neg_lo:[0,1] neg_hi:[0,1]
	v_mov_b32_e32 v39, v34
	v_pk_add_f32 v[34:35], v[40:41], v[38:39] neg_lo:[0,1] neg_hi:[0,1]
	v_add_f32_e32 v33, v33, v35
	v_add_f32_e32 v33, v34, v33
	;; [unrolled: 1-line block ×4, first 2 shown]
	v_sub_f32_e32 v35, v34, v46
	v_mul_f32_e32 v33, v44, v33
	v_sub_f32_e32 v35, v45, v35
	v_add_f32_e32 v33, v35, v33
	v_add_f32_e32 v37, v34, v33
	v_mul_f32_e32 v38, v37, v37
	v_mov_b32_e32 v36, 0x3ecc95a3
	v_fmac_f32_e32 v36, 0x3e9b6dac, v38
	v_mov_b32_e32 v35, 0x3f2aaada
	v_fmac_f32_e32 v35, v38, v36
	v_cvt_f32_i32_e32 v36, v42
	v_sub_f32_e32 v34, v37, v34
	v_sub_f32_e32 v33, v33, v34
	v_ldexp_f32 v39, v37, 1
	v_mul_f32_e32 v37, v37, v38
	v_mov_b32_e32 v34, 0x3f317218
	s_mov_b32 s2, 0x3f317218
	v_pk_mul_f32 v[34:35], v[36:37], v[34:35]
	v_fma_f32 v38, v36, s2, -v34
	v_fmac_f32_e32 v38, 0xb102e308, v36
	v_pk_add_f32 v[36:37], v[34:35], v[38:39]
	v_sub_f32_e32 v39, v37, v39
	v_ldexp_f32 v33, v33, 1
	v_sub_f32_e32 v39, v35, v39
	v_add_f32_e32 v41, v33, v39
	v_mov_b32_e32 v40, v34
	v_pk_add_f32 v[34:35], v[36:37], v[34:35] neg_lo:[0,1] neg_hi:[0,1]
	v_pk_add_f32 v[42:43], v[36:37], v[40:41]
	v_mov_b32_e32 v35, v43
	v_mov_b32_e32 v39, v36
	v_pk_add_f32 v[44:45], v[38:39], v[34:35] neg_lo:[0,1] neg_hi:[0,1]
	v_pk_add_f32 v[34:35], v[38:39], v[34:35]
	v_mov_b32_e32 v38, v35
	v_pk_add_f32 v[46:47], v[38:39], v[36:37] neg_lo:[0,1] neg_hi:[0,1]
	v_mov_b32_e32 v33, v46
	v_pk_add_f32 v[48:49], v[42:43], v[32:33] neg_lo:[0,1] neg_hi:[0,1]
	v_mov_b32_e32 v34, v43
	v_mov_b32_e32 v42, v37
	;; [unrolled: 1-line block ×4, first 2 shown]
	v_pk_add_f32 v[34:35], v[34:35], v[42:43] neg_lo:[0,1] neg_hi:[0,1]
	v_mov_b32_e32 v40, v41
	v_mov_b32_e32 v41, v36
	v_pk_add_f32 v[34:35], v[40:41], v[34:35] neg_lo:[0,1] neg_hi:[0,1]
	v_mov_b32_e32 v48, v44
	v_pk_add_f32 v[36:37], v[48:49], v[34:35]
	v_mov_b32_e32 v40, v37
	v_pk_add_f32 v[40:41], v[36:37], v[40:41]
	v_pk_add_f32 v[38:39], v[38:39], v[40:41]
	v_mov_b32_e32 v37, v38
	v_pk_add_f32 v[42:43], v[36:37], v[44:45] neg_lo:[0,1] neg_hi:[0,1]
	v_mov_b32_e32 v35, v40
	v_sub_f32_e32 v33, v36, v42
	v_pk_add_f32 v[34:35], v[34:35], v[42:43] neg_lo:[0,1] neg_hi:[0,1]
	v_sub_f32_e32 v33, v44, v33
	s_mov_b32 s3, 0x7f800000
	v_add_f32_e32 v33, v34, v33
	s_mov_b32 s2, 0x33800000
	v_add_f32_e32 v33, v33, v35
	v_cmp_eq_f32_e64 s[68:69], s3, v54
	v_cmp_lt_f32_e64 s[72:73], |v54|, s2
	v_add_f32_e32 v33, v38, v33
	s_or_b64 s[68:69], s[68:69], s[72:73]
	v_cndmask_b32_e64 v33, v33, v54, s[68:69]
	v_add_f32_e32 v33, v32, v33
.LBB482_70:
	s_or_b64 exec, exec, s[0:1]
	v_bfe_u32 v32, v33, 16, 1
	v_add3_u32 v32, v33, v32, s70
	v_and_b32_e32 v32, 0xffff0000, v32
	v_cmp_o_f32_e64 s[68:69], v33, v33
	v_cndmask_b32_e64 v34, v30, v32, s[68:69]
	v_and_b32_e32 v11, 0xffff0000, v11
	v_max_f32_e32 v30, v34, v34
	v_max_f32_e32 v32, v11, v11
	v_min_f32_e32 v33, v30, v32
	v_cmp_u_f32_e64 s[70:71], v34, v34
	v_max_f32_e32 v30, v30, v32
	v_cndmask_b32_e64 v33, v33, v34, s[70:71]
	v_cmp_u_f32_e64 s[68:69], v11, v11
	v_cndmask_b32_e64 v30, v30, v34, s[70:71]
	v_cndmask_b32_e64 v33, v33, v11, s[68:69]
	;; [unrolled: 1-line block ×3, first 2 shown]
	v_cmp_neq_f32_e64 s[70:71], v33, v30
	v_cmp_class_f32_e64 s[0:1], v33, s33
	s_or_b64 s[70:71], s[70:71], s[0:1]
	s_and_saveexec_b64 s[0:1], s[70:71]
	s_cbranch_execz .LBB482_72
; %bb.71:
	v_sub_f32_e32 v33, v33, v30
	s_mov_b32 s2, 0x3fb8aa3b
	v_mul_f32_e32 v34, 0x3fb8aa3b, v33
	v_fma_f32 v35, v33, s2, -v34
	v_rndne_f32_e32 v36, v34
	v_fmac_f32_e32 v35, 0x32a5705f, v33
	v_sub_f32_e32 v34, v34, v36
	v_add_f32_e32 v34, v34, v35
	v_exp_f32_e32 v34, v34
	v_cvt_i32_f32_e32 v35, v36
	s_mov_b32 s2, 0xc2ce8ed0
	v_cmp_ngt_f32_e64 s[70:71], s2, v33
	s_mov_b32 s2, 0x42b17218
	v_ldexp_f32 v34, v34, v35
	v_cndmask_b32_e64 v34, 0, v34, s[70:71]
	v_mov_b32_e32 v35, 0x7f800000
	v_cmp_nlt_f32_e64 s[70:71], s2, v33
	v_cndmask_b32_e64 v54, v35, v34, s[70:71]
	v_add_f32_e32 v33, 1.0, v54
	v_add_f32_e32 v34, -1.0, v33
	v_sub_f32_e32 v35, v34, v33
	v_add_f32_e32 v35, 1.0, v35
	v_sub_f32_e32 v34, v54, v34
	v_add_f32_e32 v36, v34, v35
	v_frexp_mant_f32_e32 v37, v33
	s_mov_b32 s2, 0x3f2aaaab
	v_cvt_f64_f32_e32 v[34:35], v33
	v_frexp_exp_i32_f64_e32 v34, v[34:35]
	v_cmp_gt_f32_e64 s[70:71], s2, v37
	v_subbrev_co_u32_e64 v42, s[70:71], 0, v34, s[70:71]
	v_sub_u32_e32 v34, 0, v42
	v_ldexp_f32 v33, v33, v34
	v_ldexp_f32 v34, v36, v34
	v_add_f32_e32 v36, -1.0, v33
	v_add_f32_e32 v35, 1.0, v36
	v_sub_f32_e32 v35, v33, v35
	v_add_f32_e32 v37, v34, v35
	v_add_f32_e32 v35, 1.0, v33
	v_add_f32_e32 v38, -1.0, v35
	v_sub_f32_e32 v33, v33, v38
	v_add_f32_e32 v33, v34, v33
	v_add_f32_e32 v43, v35, v33
	v_rcp_f32_e32 v44, v43
	v_sub_f32_e32 v34, v35, v43
	v_add_f32_e32 v35, v36, v37
	v_add_f32_e32 v33, v33, v34
	v_mul_f32_e32 v46, v35, v44
	v_sub_f32_e32 v34, v36, v35
	v_mul_f32_e32 v36, v43, v46
	v_fma_f32 v38, v46, v43, -v36
	v_fmac_f32_e32 v38, v46, v33
	v_add_f32_e32 v45, v37, v34
	v_add_f32_e32 v34, v36, v38
	v_sub_f32_e32 v37, v35, v34
	v_pk_add_f32 v[40:41], v[34:35], v[36:37] neg_lo:[0,1] neg_hi:[0,1]
	v_mov_b32_e32 v39, v34
	v_pk_add_f32 v[34:35], v[40:41], v[38:39] neg_lo:[0,1] neg_hi:[0,1]
	v_add_f32_e32 v35, v45, v35
	v_add_f32_e32 v34, v34, v35
	v_add_f32_e32 v35, v37, v34
	v_mul_f32_e32 v45, v44, v35
	v_mul_f32_e32 v36, v43, v45
	v_fma_f32 v38, v45, v43, -v36
	v_fmac_f32_e32 v38, v45, v33
	v_sub_f32_e32 v33, v37, v35
	v_add_f32_e32 v33, v34, v33
	v_add_f32_e32 v34, v36, v38
	v_sub_f32_e32 v37, v35, v34
	v_pk_add_f32 v[40:41], v[34:35], v[36:37] neg_lo:[0,1] neg_hi:[0,1]
	v_mov_b32_e32 v39, v34
	v_pk_add_f32 v[34:35], v[40:41], v[38:39] neg_lo:[0,1] neg_hi:[0,1]
	v_add_f32_e32 v33, v33, v35
	v_add_f32_e32 v33, v34, v33
	;; [unrolled: 1-line block ×4, first 2 shown]
	v_sub_f32_e32 v35, v34, v46
	v_mul_f32_e32 v33, v44, v33
	v_sub_f32_e32 v35, v45, v35
	v_add_f32_e32 v33, v35, v33
	v_add_f32_e32 v37, v34, v33
	v_mul_f32_e32 v38, v37, v37
	v_mov_b32_e32 v36, 0x3ecc95a3
	v_fmac_f32_e32 v36, 0x3e9b6dac, v38
	v_mov_b32_e32 v35, 0x3f2aaada
	v_fmac_f32_e32 v35, v38, v36
	v_cvt_f32_i32_e32 v36, v42
	v_sub_f32_e32 v34, v37, v34
	v_sub_f32_e32 v33, v33, v34
	v_ldexp_f32 v39, v37, 1
	v_mul_f32_e32 v37, v37, v38
	v_mov_b32_e32 v34, 0x3f317218
	s_mov_b32 s2, 0x3f317218
	v_pk_mul_f32 v[34:35], v[36:37], v[34:35]
	v_fma_f32 v38, v36, s2, -v34
	v_fmac_f32_e32 v38, 0xb102e308, v36
	v_pk_add_f32 v[36:37], v[34:35], v[38:39]
	v_sub_f32_e32 v39, v37, v39
	v_ldexp_f32 v33, v33, 1
	v_sub_f32_e32 v39, v35, v39
	v_add_f32_e32 v41, v33, v39
	v_mov_b32_e32 v40, v34
	v_pk_add_f32 v[34:35], v[36:37], v[34:35] neg_lo:[0,1] neg_hi:[0,1]
	v_pk_add_f32 v[42:43], v[36:37], v[40:41]
	v_mov_b32_e32 v35, v43
	v_mov_b32_e32 v39, v36
	v_pk_add_f32 v[44:45], v[38:39], v[34:35] neg_lo:[0,1] neg_hi:[0,1]
	v_pk_add_f32 v[34:35], v[38:39], v[34:35]
	v_mov_b32_e32 v38, v35
	v_pk_add_f32 v[46:47], v[38:39], v[36:37] neg_lo:[0,1] neg_hi:[0,1]
	v_mov_b32_e32 v33, v46
	v_pk_add_f32 v[48:49], v[42:43], v[32:33] neg_lo:[0,1] neg_hi:[0,1]
	v_mov_b32_e32 v34, v43
	v_mov_b32_e32 v42, v37
	;; [unrolled: 1-line block ×4, first 2 shown]
	v_pk_add_f32 v[34:35], v[34:35], v[42:43] neg_lo:[0,1] neg_hi:[0,1]
	v_mov_b32_e32 v40, v41
	v_mov_b32_e32 v41, v36
	v_pk_add_f32 v[34:35], v[40:41], v[34:35] neg_lo:[0,1] neg_hi:[0,1]
	v_mov_b32_e32 v48, v44
	v_pk_add_f32 v[36:37], v[48:49], v[34:35]
	v_mov_b32_e32 v40, v37
	v_pk_add_f32 v[40:41], v[36:37], v[40:41]
	v_pk_add_f32 v[38:39], v[38:39], v[40:41]
	v_mov_b32_e32 v37, v38
	v_pk_add_f32 v[42:43], v[36:37], v[44:45] neg_lo:[0,1] neg_hi:[0,1]
	v_mov_b32_e32 v35, v40
	v_sub_f32_e32 v33, v36, v42
	v_pk_add_f32 v[34:35], v[34:35], v[42:43] neg_lo:[0,1] neg_hi:[0,1]
	v_sub_f32_e32 v33, v44, v33
	s_mov_b32 s3, 0x7f800000
	v_add_f32_e32 v33, v34, v33
	s_mov_b32 s2, 0x33800000
	v_add_f32_e32 v33, v33, v35
	v_cmp_eq_f32_e64 s[70:71], s3, v54
	v_cmp_lt_f32_e64 s[72:73], |v54|, s2
	v_add_f32_e32 v33, v38, v33
	s_or_b64 s[70:71], s[70:71], s[72:73]
	v_cndmask_b32_e64 v33, v33, v54, s[70:71]
	v_add_f32_e32 v34, v30, v33
.LBB482_72:
	s_or_b64 exec, exec, s[0:1]
	v_bfe_u32 v30, v34, 16, 1
	s_movk_i32 s74, 0x7fff
	v_add3_u32 v30, v34, v30, s74
	v_and_b32_e32 v30, 0xffff0000, v30
	v_mov_b32_e32 v33, 0x7fc00000
	v_cmp_o_f32_e64 s[70:71], v34, v34
	v_cndmask_b32_e64 v36, v33, v30, s[70:71]
	v_lshlrev_b32_e32 v30, 16, v12
	v_max_f32_e32 v35, v36, v36
	v_max_f32_e32 v34, v30, v30
	v_min_f32_e32 v37, v35, v34
	v_cmp_u_f32_e64 s[72:73], v36, v36
	v_max_f32_e32 v35, v35, v34
	v_cndmask_b32_e64 v37, v37, v36, s[72:73]
	v_cmp_u_f32_e64 s[70:71], v30, v30
	v_cndmask_b32_e64 v35, v35, v36, s[72:73]
	v_cndmask_b32_e64 v37, v37, v30, s[70:71]
	;; [unrolled: 1-line block ×3, first 2 shown]
	v_cmp_neq_f32_e64 s[72:73], v37, v35
	v_cmp_class_f32_e64 s[0:1], v37, s33
	s_or_b64 s[72:73], s[72:73], s[0:1]
	s_and_saveexec_b64 s[0:1], s[72:73]
	s_cbranch_execz .LBB482_74
; %bb.73:
	v_sub_f32_e32 v36, v37, v35
	s_mov_b32 s2, 0x3fb8aa3b
	v_mul_f32_e32 v37, 0x3fb8aa3b, v36
	v_fma_f32 v38, v36, s2, -v37
	v_rndne_f32_e32 v39, v37
	v_fmac_f32_e32 v38, 0x32a5705f, v36
	v_sub_f32_e32 v37, v37, v39
	v_add_f32_e32 v37, v37, v38
	v_exp_f32_e32 v37, v37
	v_cvt_i32_f32_e32 v38, v39
	s_mov_b32 s2, 0xc2ce8ed0
	v_cmp_ngt_f32_e64 s[72:73], s2, v36
	s_mov_b32 s2, 0x42b17218
	v_ldexp_f32 v37, v37, v38
	v_cndmask_b32_e64 v37, 0, v37, s[72:73]
	v_mov_b32_e32 v38, 0x7f800000
	v_cmp_nlt_f32_e64 s[72:73], s2, v36
	v_cndmask_b32_e64 v56, v38, v37, s[72:73]
	v_add_f32_e32 v38, 1.0, v56
	v_add_f32_e32 v36, -1.0, v38
	v_sub_f32_e32 v37, v36, v38
	v_add_f32_e32 v37, 1.0, v37
	v_sub_f32_e32 v36, v56, v36
	v_add_f32_e32 v39, v36, v37
	v_frexp_mant_f32_e32 v40, v38
	s_mov_b32 s2, 0x3f2aaaab
	v_cvt_f64_f32_e32 v[36:37], v38
	v_frexp_exp_i32_f64_e32 v36, v[36:37]
	v_cmp_gt_f32_e64 s[72:73], s2, v40
	v_subbrev_co_u32_e64 v44, s[72:73], 0, v36, s[72:73]
	v_sub_u32_e32 v36, 0, v44
	v_ldexp_f32 v37, v38, v36
	v_add_f32_e32 v38, -1.0, v37
	v_add_f32_e32 v40, 1.0, v37
	v_ldexp_f32 v36, v39, v36
	v_add_f32_e32 v39, 1.0, v38
	v_add_f32_e32 v41, -1.0, v40
	v_sub_f32_e32 v39, v37, v39
	v_sub_f32_e32 v37, v37, v41
	v_add_f32_e32 v39, v36, v39
	v_add_f32_e32 v36, v36, v37
	;; [unrolled: 1-line block ×3, first 2 shown]
	v_rcp_f32_e32 v47, v45
	v_sub_f32_e32 v37, v40, v45
	v_add_f32_e32 v46, v36, v37
	v_add_f32_e32 v37, v38, v39
	v_mul_f32_e32 v49, v37, v47
	v_sub_f32_e32 v36, v38, v37
	v_mul_f32_e32 v38, v45, v49
	v_fma_f32 v40, v49, v45, -v38
	v_fmac_f32_e32 v40, v49, v46
	v_add_f32_e32 v48, v39, v36
	v_add_f32_e32 v36, v38, v40
	v_sub_f32_e32 v39, v37, v36
	v_pk_add_f32 v[42:43], v[36:37], v[38:39] neg_lo:[0,1] neg_hi:[0,1]
	v_mov_b32_e32 v41, v36
	v_pk_add_f32 v[36:37], v[42:43], v[40:41] neg_lo:[0,1] neg_hi:[0,1]
	v_add_f32_e32 v37, v48, v37
	v_add_f32_e32 v36, v36, v37
	;; [unrolled: 1-line block ×3, first 2 shown]
	v_mul_f32_e32 v48, v47, v37
	v_mul_f32_e32 v38, v45, v48
	v_fma_f32 v40, v48, v45, -v38
	v_fmac_f32_e32 v40, v48, v46
	v_sub_f32_e32 v39, v39, v37
	v_add_f32_e32 v45, v36, v39
	v_add_f32_e32 v36, v38, v40
	v_sub_f32_e32 v39, v37, v36
	v_pk_add_f32 v[42:43], v[36:37], v[38:39] neg_lo:[0,1] neg_hi:[0,1]
	v_mov_b32_e32 v41, v36
	v_pk_add_f32 v[36:37], v[42:43], v[40:41] neg_lo:[0,1] neg_hi:[0,1]
	v_add_f32_e32 v37, v45, v37
	v_add_f32_e32 v36, v36, v37
	;; [unrolled: 1-line block ×4, first 2 shown]
	v_sub_f32_e32 v37, v39, v49
	v_mul_f32_e32 v36, v47, v36
	v_sub_f32_e32 v37, v48, v37
	v_add_f32_e32 v36, v37, v36
	v_add_f32_e32 v40, v39, v36
	v_mul_f32_e32 v42, v40, v40
	v_mov_b32_e32 v38, 0x3ecc95a3
	v_fmac_f32_e32 v38, 0x3e9b6dac, v42
	v_mov_b32_e32 v37, 0x3f2aaada
	v_fmac_f32_e32 v37, v42, v38
	v_cvt_f32_i32_e32 v38, v44
	v_sub_f32_e32 v39, v40, v39
	v_sub_f32_e32 v36, v36, v39
	v_ldexp_f32 v43, v36, 1
	v_mul_f32_e32 v39, v40, v42
	v_mov_b32_e32 v36, 0x3f317218
	s_mov_b32 s2, 0x3f317218
	v_pk_mul_f32 v[36:37], v[38:39], v[36:37]
	v_ldexp_f32 v41, v40, 1
	v_fma_f32 v40, v38, s2, -v36
	v_fmac_f32_e32 v40, 0xb102e308, v38
	v_pk_add_f32 v[38:39], v[36:37], v[40:41]
	v_sub_f32_e32 v41, v39, v41
	v_sub_f32_e32 v41, v37, v41
	v_add_f32_e32 v43, v43, v41
	v_mov_b32_e32 v42, v36
	v_pk_add_f32 v[36:37], v[38:39], v[36:37] neg_lo:[0,1] neg_hi:[0,1]
	v_pk_add_f32 v[44:45], v[38:39], v[42:43]
	v_mov_b32_e32 v37, v45
	v_mov_b32_e32 v41, v38
	v_pk_add_f32 v[46:47], v[40:41], v[36:37] neg_lo:[0,1] neg_hi:[0,1]
	v_pk_add_f32 v[36:37], v[40:41], v[36:37]
	v_mov_b32_e32 v40, v37
	v_pk_add_f32 v[48:49], v[40:41], v[38:39] neg_lo:[0,1] neg_hi:[0,1]
	v_mov_b32_e32 v41, v48
	v_pk_add_f32 v[54:55], v[44:45], v[40:41] neg_lo:[0,1] neg_hi:[0,1]
	v_mov_b32_e32 v36, v45
	v_mov_b32_e32 v44, v39
	;; [unrolled: 1-line block ×4, first 2 shown]
	v_pk_add_f32 v[36:37], v[36:37], v[44:45] neg_lo:[0,1] neg_hi:[0,1]
	v_mov_b32_e32 v42, v43
	v_mov_b32_e32 v43, v38
	v_pk_add_f32 v[36:37], v[42:43], v[36:37] neg_lo:[0,1] neg_hi:[0,1]
	v_mov_b32_e32 v54, v46
	v_pk_add_f32 v[38:39], v[54:55], v[36:37]
	v_mov_b32_e32 v42, v39
	v_pk_add_f32 v[42:43], v[38:39], v[42:43]
	v_pk_add_f32 v[40:41], v[40:41], v[42:43]
	v_mov_b32_e32 v39, v40
	v_pk_add_f32 v[44:45], v[38:39], v[46:47] neg_lo:[0,1] neg_hi:[0,1]
	v_mov_b32_e32 v37, v42
	v_sub_f32_e32 v38, v38, v44
	v_pk_add_f32 v[36:37], v[36:37], v[44:45] neg_lo:[0,1] neg_hi:[0,1]
	v_sub_f32_e32 v38, v46, v38
	s_mov_b32 s3, 0x7f800000
	v_add_f32_e32 v36, v36, v38
	s_mov_b32 s2, 0x33800000
	v_add_f32_e32 v36, v36, v37
	v_cmp_eq_f32_e64 s[72:73], s3, v56
	v_cmp_lt_f32_e64 s[76:77], |v56|, s2
	v_add_f32_e32 v36, v40, v36
	s_or_b64 s[72:73], s[72:73], s[76:77]
	v_cndmask_b32_e64 v36, v36, v56, s[72:73]
	v_add_f32_e32 v36, v35, v36
.LBB482_74:
	s_or_b64 exec, exec, s[0:1]
	v_bfe_u32 v35, v36, 16, 1
	v_add3_u32 v35, v36, v35, s74
	v_and_b32_e32 v35, 0xffff0000, v35
	v_cmp_o_f32_e64 s[72:73], v36, v36
	v_cndmask_b32_e64 v37, v33, v35, s[72:73]
	v_and_b32_e32 v12, 0xffff0000, v12
	v_max_f32_e32 v33, v37, v37
	v_max_f32_e32 v35, v12, v12
	v_min_f32_e32 v36, v33, v35
	v_cmp_u_f32_e64 s[74:75], v37, v37
	v_max_f32_e32 v33, v33, v35
	v_cndmask_b32_e64 v36, v36, v37, s[74:75]
	v_cmp_u_f32_e64 s[72:73], v12, v12
	v_cndmask_b32_e64 v33, v33, v37, s[74:75]
	v_cndmask_b32_e64 v36, v36, v12, s[72:73]
	;; [unrolled: 1-line block ×3, first 2 shown]
	v_cmp_neq_f32_e64 s[74:75], v36, v33
	v_cmp_class_f32_e64 s[0:1], v36, s33
	s_or_b64 s[74:75], s[74:75], s[0:1]
	s_and_saveexec_b64 s[0:1], s[74:75]
	s_cbranch_execz .LBB482_76
; %bb.75:
	v_sub_f32_e32 v36, v36, v33
	s_mov_b32 s2, 0x3fb8aa3b
	v_mul_f32_e32 v37, 0x3fb8aa3b, v36
	v_fma_f32 v38, v36, s2, -v37
	v_rndne_f32_e32 v39, v37
	v_fmac_f32_e32 v38, 0x32a5705f, v36
	v_sub_f32_e32 v37, v37, v39
	v_add_f32_e32 v37, v37, v38
	v_exp_f32_e32 v37, v37
	v_cvt_i32_f32_e32 v38, v39
	s_mov_b32 s2, 0xc2ce8ed0
	v_cmp_ngt_f32_e64 s[74:75], s2, v36
	s_mov_b32 s2, 0x42b17218
	v_ldexp_f32 v37, v37, v38
	v_cndmask_b32_e64 v37, 0, v37, s[74:75]
	v_mov_b32_e32 v38, 0x7f800000
	v_cmp_nlt_f32_e64 s[74:75], s2, v36
	v_cndmask_b32_e64 v56, v38, v37, s[74:75]
	v_add_f32_e32 v38, 1.0, v56
	v_add_f32_e32 v36, -1.0, v38
	v_sub_f32_e32 v37, v36, v38
	v_add_f32_e32 v37, 1.0, v37
	v_sub_f32_e32 v36, v56, v36
	v_add_f32_e32 v39, v36, v37
	v_frexp_mant_f32_e32 v40, v38
	s_mov_b32 s2, 0x3f2aaaab
	v_cvt_f64_f32_e32 v[36:37], v38
	v_frexp_exp_i32_f64_e32 v36, v[36:37]
	v_cmp_gt_f32_e64 s[74:75], s2, v40
	v_subbrev_co_u32_e64 v44, s[74:75], 0, v36, s[74:75]
	v_sub_u32_e32 v36, 0, v44
	v_ldexp_f32 v37, v38, v36
	v_add_f32_e32 v38, -1.0, v37
	v_add_f32_e32 v40, 1.0, v37
	v_ldexp_f32 v36, v39, v36
	v_add_f32_e32 v39, 1.0, v38
	v_add_f32_e32 v41, -1.0, v40
	v_sub_f32_e32 v39, v37, v39
	v_sub_f32_e32 v37, v37, v41
	v_add_f32_e32 v39, v36, v39
	v_add_f32_e32 v36, v36, v37
	;; [unrolled: 1-line block ×3, first 2 shown]
	v_rcp_f32_e32 v47, v45
	v_sub_f32_e32 v37, v40, v45
	v_add_f32_e32 v46, v36, v37
	v_add_f32_e32 v37, v38, v39
	v_mul_f32_e32 v49, v37, v47
	v_sub_f32_e32 v36, v38, v37
	v_mul_f32_e32 v38, v45, v49
	v_fma_f32 v40, v49, v45, -v38
	v_fmac_f32_e32 v40, v49, v46
	v_add_f32_e32 v48, v39, v36
	v_add_f32_e32 v36, v38, v40
	v_sub_f32_e32 v39, v37, v36
	v_pk_add_f32 v[42:43], v[36:37], v[38:39] neg_lo:[0,1] neg_hi:[0,1]
	v_mov_b32_e32 v41, v36
	v_pk_add_f32 v[36:37], v[42:43], v[40:41] neg_lo:[0,1] neg_hi:[0,1]
	v_add_f32_e32 v37, v48, v37
	v_add_f32_e32 v36, v36, v37
	;; [unrolled: 1-line block ×3, first 2 shown]
	v_mul_f32_e32 v48, v47, v37
	v_mul_f32_e32 v38, v45, v48
	v_fma_f32 v40, v48, v45, -v38
	v_fmac_f32_e32 v40, v48, v46
	v_sub_f32_e32 v39, v39, v37
	v_add_f32_e32 v45, v36, v39
	v_add_f32_e32 v36, v38, v40
	v_sub_f32_e32 v39, v37, v36
	v_pk_add_f32 v[42:43], v[36:37], v[38:39] neg_lo:[0,1] neg_hi:[0,1]
	v_mov_b32_e32 v41, v36
	v_pk_add_f32 v[36:37], v[42:43], v[40:41] neg_lo:[0,1] neg_hi:[0,1]
	v_add_f32_e32 v37, v45, v37
	v_add_f32_e32 v36, v36, v37
	;; [unrolled: 1-line block ×4, first 2 shown]
	v_sub_f32_e32 v37, v39, v49
	v_mul_f32_e32 v36, v47, v36
	v_sub_f32_e32 v37, v48, v37
	v_add_f32_e32 v36, v37, v36
	v_add_f32_e32 v40, v39, v36
	v_mul_f32_e32 v42, v40, v40
	v_mov_b32_e32 v38, 0x3ecc95a3
	v_fmac_f32_e32 v38, 0x3e9b6dac, v42
	v_mov_b32_e32 v37, 0x3f2aaada
	v_fmac_f32_e32 v37, v42, v38
	v_cvt_f32_i32_e32 v38, v44
	v_sub_f32_e32 v39, v40, v39
	v_sub_f32_e32 v36, v36, v39
	v_ldexp_f32 v43, v36, 1
	v_mul_f32_e32 v39, v40, v42
	v_mov_b32_e32 v36, 0x3f317218
	s_mov_b32 s2, 0x3f317218
	v_pk_mul_f32 v[36:37], v[38:39], v[36:37]
	v_ldexp_f32 v41, v40, 1
	v_fma_f32 v40, v38, s2, -v36
	v_fmac_f32_e32 v40, 0xb102e308, v38
	v_pk_add_f32 v[38:39], v[36:37], v[40:41]
	v_sub_f32_e32 v41, v39, v41
	v_sub_f32_e32 v41, v37, v41
	v_add_f32_e32 v43, v43, v41
	v_mov_b32_e32 v42, v36
	v_pk_add_f32 v[36:37], v[38:39], v[36:37] neg_lo:[0,1] neg_hi:[0,1]
	v_pk_add_f32 v[44:45], v[38:39], v[42:43]
	v_mov_b32_e32 v37, v45
	v_mov_b32_e32 v41, v38
	v_pk_add_f32 v[46:47], v[40:41], v[36:37] neg_lo:[0,1] neg_hi:[0,1]
	v_pk_add_f32 v[36:37], v[40:41], v[36:37]
	v_mov_b32_e32 v40, v37
	v_pk_add_f32 v[48:49], v[40:41], v[38:39] neg_lo:[0,1] neg_hi:[0,1]
	v_mov_b32_e32 v41, v48
	v_pk_add_f32 v[54:55], v[44:45], v[40:41] neg_lo:[0,1] neg_hi:[0,1]
	v_mov_b32_e32 v36, v45
	v_mov_b32_e32 v44, v39
	;; [unrolled: 1-line block ×4, first 2 shown]
	v_pk_add_f32 v[36:37], v[36:37], v[44:45] neg_lo:[0,1] neg_hi:[0,1]
	v_mov_b32_e32 v42, v43
	v_mov_b32_e32 v43, v38
	v_pk_add_f32 v[36:37], v[42:43], v[36:37] neg_lo:[0,1] neg_hi:[0,1]
	v_mov_b32_e32 v54, v46
	v_pk_add_f32 v[38:39], v[54:55], v[36:37]
	v_mov_b32_e32 v42, v39
	v_pk_add_f32 v[42:43], v[38:39], v[42:43]
	v_pk_add_f32 v[40:41], v[40:41], v[42:43]
	v_mov_b32_e32 v39, v40
	v_pk_add_f32 v[44:45], v[38:39], v[46:47] neg_lo:[0,1] neg_hi:[0,1]
	v_mov_b32_e32 v37, v42
	v_sub_f32_e32 v38, v38, v44
	v_pk_add_f32 v[36:37], v[36:37], v[44:45] neg_lo:[0,1] neg_hi:[0,1]
	v_sub_f32_e32 v38, v46, v38
	s_mov_b32 s3, 0x7f800000
	v_add_f32_e32 v36, v36, v38
	s_mov_b32 s2, 0x33800000
	v_add_f32_e32 v36, v36, v37
	v_cmp_eq_f32_e64 s[74:75], s3, v56
	v_cmp_lt_f32_e64 s[76:77], |v56|, s2
	v_add_f32_e32 v36, v40, v36
	s_or_b64 s[74:75], s[74:75], s[76:77]
	v_cndmask_b32_e64 v36, v36, v56, s[74:75]
	v_add_f32_e32 v37, v33, v36
.LBB482_76:
	s_or_b64 exec, exec, s[0:1]
	v_bfe_u32 v33, v37, 16, 1
	s_movk_i32 s78, 0x7fff
	v_add3_u32 v33, v37, v33, s78
	v_and_b32_e32 v33, 0xffff0000, v33
	v_mov_b32_e32 v36, 0x7fc00000
	v_cmp_o_f32_e64 s[74:75], v37, v37
	v_cndmask_b32_e64 v39, v36, v33, s[74:75]
	v_lshlrev_b32_e32 v33, 16, v13
	v_max_f32_e32 v38, v39, v39
	v_max_f32_e32 v37, v33, v33
	v_min_f32_e32 v40, v38, v37
	v_cmp_u_f32_e64 s[76:77], v39, v39
	v_max_f32_e32 v38, v38, v37
	v_cndmask_b32_e64 v40, v40, v39, s[76:77]
	v_cmp_u_f32_e64 s[74:75], v33, v33
	v_cndmask_b32_e64 v38, v38, v39, s[76:77]
	v_cndmask_b32_e64 v40, v40, v33, s[74:75]
	v_cndmask_b32_e64 v38, v38, v33, s[74:75]
	v_cmp_neq_f32_e64 s[76:77], v40, v38
	v_cmp_class_f32_e64 s[0:1], v40, s33
	s_or_b64 s[76:77], s[76:77], s[0:1]
	s_and_saveexec_b64 s[0:1], s[76:77]
	s_cbranch_execz .LBB482_78
; %bb.77:
	v_sub_f32_e32 v39, v40, v38
	s_mov_b32 s2, 0x3fb8aa3b
	v_mul_f32_e32 v40, 0x3fb8aa3b, v39
	v_fma_f32 v41, v39, s2, -v40
	v_rndne_f32_e32 v42, v40
	v_fmac_f32_e32 v41, 0x32a5705f, v39
	v_sub_f32_e32 v40, v40, v42
	v_add_f32_e32 v40, v40, v41
	v_exp_f32_e32 v40, v40
	v_cvt_i32_f32_e32 v41, v42
	s_mov_b32 s2, 0xc2ce8ed0
	v_cmp_ngt_f32_e64 s[76:77], s2, v39
	s_mov_b32 s2, 0x42b17218
	v_ldexp_f32 v40, v40, v41
	v_cndmask_b32_e64 v40, 0, v40, s[76:77]
	v_mov_b32_e32 v41, 0x7f800000
	v_cmp_nlt_f32_e64 s[76:77], s2, v39
	v_cndmask_b32_e64 v60, v41, v40, s[76:77]
	v_add_f32_e32 v39, 1.0, v60
	v_add_f32_e32 v40, -1.0, v39
	v_sub_f32_e32 v41, v40, v39
	v_add_f32_e32 v41, 1.0, v41
	v_sub_f32_e32 v40, v60, v40
	v_add_f32_e32 v42, v40, v41
	v_frexp_mant_f32_e32 v43, v39
	s_mov_b32 s2, 0x3f2aaaab
	v_cvt_f64_f32_e32 v[40:41], v39
	v_frexp_exp_i32_f64_e32 v40, v[40:41]
	v_cmp_gt_f32_e64 s[76:77], s2, v43
	v_subbrev_co_u32_e64 v48, s[76:77], 0, v40, s[76:77]
	v_sub_u32_e32 v40, 0, v48
	v_ldexp_f32 v39, v39, v40
	v_ldexp_f32 v40, v42, v40
	v_add_f32_e32 v42, -1.0, v39
	v_add_f32_e32 v41, 1.0, v42
	v_sub_f32_e32 v41, v39, v41
	v_add_f32_e32 v43, v40, v41
	v_add_f32_e32 v41, 1.0, v39
	v_add_f32_e32 v44, -1.0, v41
	v_sub_f32_e32 v39, v39, v44
	v_add_f32_e32 v39, v40, v39
	v_add_f32_e32 v49, v41, v39
	v_rcp_f32_e32 v54, v49
	v_sub_f32_e32 v40, v41, v49
	v_add_f32_e32 v41, v42, v43
	v_add_f32_e32 v39, v39, v40
	v_mul_f32_e32 v56, v41, v54
	v_sub_f32_e32 v40, v42, v41
	v_mul_f32_e32 v42, v49, v56
	v_fma_f32 v44, v56, v49, -v42
	v_fmac_f32_e32 v44, v56, v39
	v_add_f32_e32 v55, v43, v40
	v_add_f32_e32 v40, v42, v44
	v_sub_f32_e32 v43, v41, v40
	v_pk_add_f32 v[46:47], v[40:41], v[42:43] neg_lo:[0,1] neg_hi:[0,1]
	v_mov_b32_e32 v45, v40
	v_pk_add_f32 v[40:41], v[46:47], v[44:45] neg_lo:[0,1] neg_hi:[0,1]
	v_add_f32_e32 v41, v55, v41
	v_add_f32_e32 v40, v40, v41
	;; [unrolled: 1-line block ×3, first 2 shown]
	v_mul_f32_e32 v55, v54, v41
	v_mul_f32_e32 v42, v49, v55
	v_fma_f32 v44, v55, v49, -v42
	v_fmac_f32_e32 v44, v55, v39
	v_sub_f32_e32 v39, v43, v41
	v_add_f32_e32 v39, v40, v39
	v_add_f32_e32 v40, v42, v44
	v_sub_f32_e32 v43, v41, v40
	v_pk_add_f32 v[46:47], v[40:41], v[42:43] neg_lo:[0,1] neg_hi:[0,1]
	v_mov_b32_e32 v45, v40
	v_pk_add_f32 v[40:41], v[46:47], v[44:45] neg_lo:[0,1] neg_hi:[0,1]
	v_add_f32_e32 v39, v39, v41
	v_add_f32_e32 v39, v40, v39
	;; [unrolled: 1-line block ×4, first 2 shown]
	v_sub_f32_e32 v41, v40, v56
	v_mul_f32_e32 v39, v54, v39
	v_sub_f32_e32 v41, v55, v41
	v_add_f32_e32 v39, v41, v39
	v_add_f32_e32 v43, v40, v39
	v_mul_f32_e32 v44, v43, v43
	v_mov_b32_e32 v42, 0x3ecc95a3
	v_fmac_f32_e32 v42, 0x3e9b6dac, v44
	v_mov_b32_e32 v41, 0x3f2aaada
	v_fmac_f32_e32 v41, v44, v42
	v_cvt_f32_i32_e32 v42, v48
	v_sub_f32_e32 v40, v43, v40
	v_sub_f32_e32 v39, v39, v40
	v_ldexp_f32 v45, v43, 1
	v_mul_f32_e32 v43, v43, v44
	v_mov_b32_e32 v40, 0x3f317218
	s_mov_b32 s2, 0x3f317218
	v_pk_mul_f32 v[40:41], v[42:43], v[40:41]
	v_fma_f32 v44, v42, s2, -v40
	v_fmac_f32_e32 v44, 0xb102e308, v42
	v_pk_add_f32 v[42:43], v[40:41], v[44:45]
	v_sub_f32_e32 v45, v43, v45
	v_ldexp_f32 v39, v39, 1
	v_sub_f32_e32 v45, v41, v45
	v_add_f32_e32 v47, v39, v45
	v_mov_b32_e32 v46, v40
	v_pk_add_f32 v[40:41], v[42:43], v[40:41] neg_lo:[0,1] neg_hi:[0,1]
	v_pk_add_f32 v[48:49], v[42:43], v[46:47]
	v_mov_b32_e32 v41, v49
	v_mov_b32_e32 v45, v42
	v_pk_add_f32 v[54:55], v[44:45], v[40:41] neg_lo:[0,1] neg_hi:[0,1]
	v_pk_add_f32 v[40:41], v[44:45], v[40:41]
	v_mov_b32_e32 v44, v41
	v_pk_add_f32 v[56:57], v[44:45], v[42:43] neg_lo:[0,1] neg_hi:[0,1]
	v_mov_b32_e32 v39, v56
	v_pk_add_f32 v[58:59], v[48:49], v[38:39] neg_lo:[0,1] neg_hi:[0,1]
	v_mov_b32_e32 v40, v49
	v_mov_b32_e32 v48, v43
	;; [unrolled: 1-line block ×4, first 2 shown]
	v_pk_add_f32 v[40:41], v[40:41], v[48:49] neg_lo:[0,1] neg_hi:[0,1]
	v_mov_b32_e32 v46, v47
	v_mov_b32_e32 v47, v42
	v_pk_add_f32 v[40:41], v[46:47], v[40:41] neg_lo:[0,1] neg_hi:[0,1]
	v_mov_b32_e32 v58, v54
	v_pk_add_f32 v[42:43], v[58:59], v[40:41]
	v_mov_b32_e32 v46, v43
	v_pk_add_f32 v[46:47], v[42:43], v[46:47]
	v_pk_add_f32 v[44:45], v[44:45], v[46:47]
	v_mov_b32_e32 v43, v44
	v_pk_add_f32 v[48:49], v[42:43], v[54:55] neg_lo:[0,1] neg_hi:[0,1]
	v_mov_b32_e32 v41, v46
	v_sub_f32_e32 v39, v42, v48
	v_pk_add_f32 v[40:41], v[40:41], v[48:49] neg_lo:[0,1] neg_hi:[0,1]
	v_sub_f32_e32 v39, v54, v39
	s_mov_b32 s3, 0x7f800000
	v_add_f32_e32 v39, v40, v39
	s_mov_b32 s2, 0x33800000
	v_add_f32_e32 v39, v39, v41
	v_cmp_eq_f32_e64 s[76:77], s3, v60
	v_cmp_lt_f32_e64 s[80:81], |v60|, s2
	v_add_f32_e32 v39, v44, v39
	s_or_b64 s[76:77], s[76:77], s[80:81]
	v_cndmask_b32_e64 v39, v39, v60, s[76:77]
	v_add_f32_e32 v39, v38, v39
.LBB482_78:
	s_or_b64 exec, exec, s[0:1]
	v_bfe_u32 v38, v39, 16, 1
	v_add3_u32 v38, v39, v38, s78
	v_and_b32_e32 v38, 0xffff0000, v38
	v_cmp_o_f32_e64 s[76:77], v39, v39
	v_cndmask_b32_e64 v40, v36, v38, s[76:77]
	v_and_b32_e32 v13, 0xffff0000, v13
	v_max_f32_e32 v36, v40, v40
	v_max_f32_e32 v38, v13, v13
	v_min_f32_e32 v39, v36, v38
	v_cmp_u_f32_e64 s[78:79], v40, v40
	v_max_f32_e32 v36, v36, v38
	v_cndmask_b32_e64 v39, v39, v40, s[78:79]
	v_cmp_u_f32_e64 s[76:77], v13, v13
	v_cndmask_b32_e64 v36, v36, v40, s[78:79]
	v_cndmask_b32_e64 v39, v39, v13, s[76:77]
	;; [unrolled: 1-line block ×3, first 2 shown]
	v_cmp_neq_f32_e64 s[78:79], v39, v36
	v_cmp_class_f32_e64 s[0:1], v39, s33
	s_or_b64 s[78:79], s[78:79], s[0:1]
	s_and_saveexec_b64 s[0:1], s[78:79]
	s_cbranch_execz .LBB482_80
; %bb.79:
	v_sub_f32_e32 v39, v39, v36
	s_mov_b32 s2, 0x3fb8aa3b
	v_mul_f32_e32 v40, 0x3fb8aa3b, v39
	v_fma_f32 v41, v39, s2, -v40
	v_rndne_f32_e32 v42, v40
	v_fmac_f32_e32 v41, 0x32a5705f, v39
	v_sub_f32_e32 v40, v40, v42
	v_add_f32_e32 v40, v40, v41
	v_exp_f32_e32 v40, v40
	v_cvt_i32_f32_e32 v41, v42
	s_mov_b32 s2, 0xc2ce8ed0
	v_cmp_ngt_f32_e64 s[78:79], s2, v39
	s_mov_b32 s2, 0x42b17218
	v_ldexp_f32 v40, v40, v41
	v_cndmask_b32_e64 v40, 0, v40, s[78:79]
	v_mov_b32_e32 v41, 0x7f800000
	v_cmp_nlt_f32_e64 s[78:79], s2, v39
	v_cndmask_b32_e64 v60, v41, v40, s[78:79]
	v_add_f32_e32 v39, 1.0, v60
	v_add_f32_e32 v40, -1.0, v39
	v_sub_f32_e32 v41, v40, v39
	v_add_f32_e32 v41, 1.0, v41
	v_sub_f32_e32 v40, v60, v40
	v_add_f32_e32 v42, v40, v41
	v_frexp_mant_f32_e32 v43, v39
	s_mov_b32 s2, 0x3f2aaaab
	v_cvt_f64_f32_e32 v[40:41], v39
	v_frexp_exp_i32_f64_e32 v40, v[40:41]
	v_cmp_gt_f32_e64 s[78:79], s2, v43
	v_subbrev_co_u32_e64 v48, s[78:79], 0, v40, s[78:79]
	v_sub_u32_e32 v40, 0, v48
	v_ldexp_f32 v39, v39, v40
	v_ldexp_f32 v40, v42, v40
	v_add_f32_e32 v42, -1.0, v39
	v_add_f32_e32 v41, 1.0, v42
	v_sub_f32_e32 v41, v39, v41
	v_add_f32_e32 v43, v40, v41
	v_add_f32_e32 v41, 1.0, v39
	v_add_f32_e32 v44, -1.0, v41
	v_sub_f32_e32 v39, v39, v44
	v_add_f32_e32 v39, v40, v39
	v_add_f32_e32 v49, v41, v39
	v_rcp_f32_e32 v54, v49
	v_sub_f32_e32 v40, v41, v49
	v_add_f32_e32 v41, v42, v43
	v_add_f32_e32 v39, v39, v40
	v_mul_f32_e32 v56, v41, v54
	v_sub_f32_e32 v40, v42, v41
	v_mul_f32_e32 v42, v49, v56
	v_fma_f32 v44, v56, v49, -v42
	v_fmac_f32_e32 v44, v56, v39
	v_add_f32_e32 v55, v43, v40
	v_add_f32_e32 v40, v42, v44
	v_sub_f32_e32 v43, v41, v40
	v_pk_add_f32 v[46:47], v[40:41], v[42:43] neg_lo:[0,1] neg_hi:[0,1]
	v_mov_b32_e32 v45, v40
	v_pk_add_f32 v[40:41], v[46:47], v[44:45] neg_lo:[0,1] neg_hi:[0,1]
	v_add_f32_e32 v41, v55, v41
	v_add_f32_e32 v40, v40, v41
	;; [unrolled: 1-line block ×3, first 2 shown]
	v_mul_f32_e32 v55, v54, v41
	v_mul_f32_e32 v42, v49, v55
	v_fma_f32 v44, v55, v49, -v42
	v_fmac_f32_e32 v44, v55, v39
	v_sub_f32_e32 v39, v43, v41
	v_add_f32_e32 v39, v40, v39
	v_add_f32_e32 v40, v42, v44
	v_sub_f32_e32 v43, v41, v40
	v_pk_add_f32 v[46:47], v[40:41], v[42:43] neg_lo:[0,1] neg_hi:[0,1]
	v_mov_b32_e32 v45, v40
	v_pk_add_f32 v[40:41], v[46:47], v[44:45] neg_lo:[0,1] neg_hi:[0,1]
	v_add_f32_e32 v39, v39, v41
	v_add_f32_e32 v39, v40, v39
	;; [unrolled: 1-line block ×4, first 2 shown]
	v_sub_f32_e32 v41, v40, v56
	v_mul_f32_e32 v39, v54, v39
	v_sub_f32_e32 v41, v55, v41
	v_add_f32_e32 v39, v41, v39
	v_add_f32_e32 v43, v40, v39
	v_mul_f32_e32 v44, v43, v43
	v_mov_b32_e32 v42, 0x3ecc95a3
	v_fmac_f32_e32 v42, 0x3e9b6dac, v44
	v_mov_b32_e32 v41, 0x3f2aaada
	v_fmac_f32_e32 v41, v44, v42
	v_cvt_f32_i32_e32 v42, v48
	v_sub_f32_e32 v40, v43, v40
	v_sub_f32_e32 v39, v39, v40
	v_ldexp_f32 v45, v43, 1
	v_mul_f32_e32 v43, v43, v44
	v_mov_b32_e32 v40, 0x3f317218
	s_mov_b32 s2, 0x3f317218
	v_pk_mul_f32 v[40:41], v[42:43], v[40:41]
	v_fma_f32 v44, v42, s2, -v40
	v_fmac_f32_e32 v44, 0xb102e308, v42
	v_pk_add_f32 v[42:43], v[40:41], v[44:45]
	v_sub_f32_e32 v45, v43, v45
	v_ldexp_f32 v39, v39, 1
	v_sub_f32_e32 v45, v41, v45
	v_add_f32_e32 v47, v39, v45
	v_mov_b32_e32 v46, v40
	v_pk_add_f32 v[40:41], v[42:43], v[40:41] neg_lo:[0,1] neg_hi:[0,1]
	v_pk_add_f32 v[48:49], v[42:43], v[46:47]
	v_mov_b32_e32 v41, v49
	v_mov_b32_e32 v45, v42
	v_pk_add_f32 v[54:55], v[44:45], v[40:41] neg_lo:[0,1] neg_hi:[0,1]
	v_pk_add_f32 v[40:41], v[44:45], v[40:41]
	v_mov_b32_e32 v44, v41
	v_pk_add_f32 v[56:57], v[44:45], v[42:43] neg_lo:[0,1] neg_hi:[0,1]
	v_mov_b32_e32 v39, v56
	v_pk_add_f32 v[58:59], v[48:49], v[38:39] neg_lo:[0,1] neg_hi:[0,1]
	v_mov_b32_e32 v40, v49
	v_mov_b32_e32 v48, v43
	;; [unrolled: 1-line block ×4, first 2 shown]
	v_pk_add_f32 v[40:41], v[40:41], v[48:49] neg_lo:[0,1] neg_hi:[0,1]
	v_mov_b32_e32 v46, v47
	v_mov_b32_e32 v47, v42
	v_pk_add_f32 v[40:41], v[46:47], v[40:41] neg_lo:[0,1] neg_hi:[0,1]
	v_mov_b32_e32 v58, v54
	v_pk_add_f32 v[42:43], v[58:59], v[40:41]
	v_mov_b32_e32 v46, v43
	v_pk_add_f32 v[46:47], v[42:43], v[46:47]
	v_pk_add_f32 v[44:45], v[44:45], v[46:47]
	v_mov_b32_e32 v43, v44
	v_pk_add_f32 v[48:49], v[42:43], v[54:55] neg_lo:[0,1] neg_hi:[0,1]
	v_mov_b32_e32 v41, v46
	v_sub_f32_e32 v39, v42, v48
	v_pk_add_f32 v[40:41], v[40:41], v[48:49] neg_lo:[0,1] neg_hi:[0,1]
	v_sub_f32_e32 v39, v54, v39
	s_mov_b32 s3, 0x7f800000
	v_add_f32_e32 v39, v40, v39
	s_mov_b32 s2, 0x33800000
	v_add_f32_e32 v39, v39, v41
	v_cmp_eq_f32_e64 s[78:79], s3, v60
	v_cmp_lt_f32_e64 s[80:81], |v60|, s2
	v_add_f32_e32 v39, v44, v39
	s_or_b64 s[78:79], s[78:79], s[80:81]
	v_cndmask_b32_e64 v39, v39, v60, s[78:79]
	v_add_f32_e32 v40, v36, v39
.LBB482_80:
	s_or_b64 exec, exec, s[0:1]
	v_bfe_u32 v36, v40, 16, 1
	s_movk_i32 s82, 0x7fff
	v_add3_u32 v36, v40, v36, s82
	v_and_b32_e32 v36, 0xffff0000, v36
	v_mov_b32_e32 v39, 0x7fc00000
	v_cmp_o_f32_e64 s[78:79], v40, v40
	v_cndmask_b32_e64 v42, v39, v36, s[78:79]
	v_lshlrev_b32_e32 v36, 16, v6
	v_max_f32_e32 v41, v42, v42
	v_max_f32_e32 v40, v36, v36
	v_min_f32_e32 v43, v41, v40
	v_cmp_u_f32_e64 s[80:81], v42, v42
	v_max_f32_e32 v41, v41, v40
	v_cndmask_b32_e64 v43, v43, v42, s[80:81]
	v_cmp_u_f32_e64 s[78:79], v36, v36
	v_cndmask_b32_e64 v41, v41, v42, s[80:81]
	v_cndmask_b32_e64 v43, v43, v36, s[78:79]
	;; [unrolled: 1-line block ×3, first 2 shown]
	v_cmp_neq_f32_e64 s[80:81], v43, v41
	v_cmp_class_f32_e64 s[0:1], v43, s33
	s_or_b64 s[80:81], s[80:81], s[0:1]
	s_and_saveexec_b64 s[0:1], s[80:81]
	s_cbranch_execz .LBB482_82
; %bb.81:
	v_sub_f32_e32 v42, v43, v41
	s_mov_b32 s2, 0x3fb8aa3b
	v_mul_f32_e32 v43, 0x3fb8aa3b, v42
	v_fma_f32 v44, v42, s2, -v43
	v_rndne_f32_e32 v45, v43
	v_fmac_f32_e32 v44, 0x32a5705f, v42
	v_sub_f32_e32 v43, v43, v45
	v_add_f32_e32 v43, v43, v44
	v_exp_f32_e32 v43, v43
	v_cvt_i32_f32_e32 v44, v45
	s_mov_b32 s2, 0xc2ce8ed0
	v_cmp_ngt_f32_e64 s[80:81], s2, v42
	s_mov_b32 s2, 0x42b17218
	v_ldexp_f32 v43, v43, v44
	v_cndmask_b32_e64 v43, 0, v43, s[80:81]
	v_mov_b32_e32 v44, 0x7f800000
	v_cmp_nlt_f32_e64 s[80:81], s2, v42
	v_cndmask_b32_e64 v62, v44, v43, s[80:81]
	v_add_f32_e32 v44, 1.0, v62
	v_add_f32_e32 v42, -1.0, v44
	v_sub_f32_e32 v43, v42, v44
	v_add_f32_e32 v43, 1.0, v43
	v_sub_f32_e32 v42, v62, v42
	v_add_f32_e32 v45, v42, v43
	v_frexp_mant_f32_e32 v46, v44
	s_mov_b32 s2, 0x3f2aaaab
	v_cvt_f64_f32_e32 v[42:43], v44
	v_frexp_exp_i32_f64_e32 v42, v[42:43]
	v_cmp_gt_f32_e64 s[80:81], s2, v46
	v_subbrev_co_u32_e64 v54, s[80:81], 0, v42, s[80:81]
	v_sub_u32_e32 v42, 0, v54
	v_ldexp_f32 v43, v44, v42
	v_add_f32_e32 v44, -1.0, v43
	v_add_f32_e32 v46, 1.0, v43
	v_ldexp_f32 v42, v45, v42
	v_add_f32_e32 v45, 1.0, v44
	v_add_f32_e32 v47, -1.0, v46
	v_sub_f32_e32 v45, v43, v45
	v_sub_f32_e32 v43, v43, v47
	v_add_f32_e32 v45, v42, v45
	v_add_f32_e32 v42, v42, v43
	;; [unrolled: 1-line block ×3, first 2 shown]
	v_rcp_f32_e32 v57, v55
	v_sub_f32_e32 v43, v46, v55
	v_add_f32_e32 v56, v42, v43
	v_add_f32_e32 v43, v44, v45
	v_mul_f32_e32 v59, v43, v57
	v_sub_f32_e32 v42, v44, v43
	v_mul_f32_e32 v44, v55, v59
	v_fma_f32 v46, v59, v55, -v44
	v_fmac_f32_e32 v46, v59, v56
	v_add_f32_e32 v58, v45, v42
	v_add_f32_e32 v42, v44, v46
	v_sub_f32_e32 v45, v43, v42
	v_pk_add_f32 v[48:49], v[42:43], v[44:45] neg_lo:[0,1] neg_hi:[0,1]
	v_mov_b32_e32 v47, v42
	v_pk_add_f32 v[42:43], v[48:49], v[46:47] neg_lo:[0,1] neg_hi:[0,1]
	v_add_f32_e32 v43, v58, v43
	v_add_f32_e32 v42, v42, v43
	;; [unrolled: 1-line block ×3, first 2 shown]
	v_mul_f32_e32 v58, v57, v43
	v_mul_f32_e32 v44, v55, v58
	v_fma_f32 v46, v58, v55, -v44
	v_fmac_f32_e32 v46, v58, v56
	v_sub_f32_e32 v45, v45, v43
	v_add_f32_e32 v55, v42, v45
	v_add_f32_e32 v42, v44, v46
	v_sub_f32_e32 v45, v43, v42
	v_pk_add_f32 v[48:49], v[42:43], v[44:45] neg_lo:[0,1] neg_hi:[0,1]
	v_mov_b32_e32 v47, v42
	v_pk_add_f32 v[42:43], v[48:49], v[46:47] neg_lo:[0,1] neg_hi:[0,1]
	v_add_f32_e32 v43, v55, v43
	v_add_f32_e32 v42, v42, v43
	;; [unrolled: 1-line block ×4, first 2 shown]
	v_sub_f32_e32 v43, v45, v59
	v_mul_f32_e32 v42, v57, v42
	v_sub_f32_e32 v43, v58, v43
	v_add_f32_e32 v42, v43, v42
	v_add_f32_e32 v46, v45, v42
	v_mul_f32_e32 v48, v46, v46
	v_mov_b32_e32 v44, 0x3ecc95a3
	v_fmac_f32_e32 v44, 0x3e9b6dac, v48
	v_mov_b32_e32 v43, 0x3f2aaada
	v_fmac_f32_e32 v43, v48, v44
	v_cvt_f32_i32_e32 v44, v54
	v_sub_f32_e32 v45, v46, v45
	v_sub_f32_e32 v42, v42, v45
	v_ldexp_f32 v49, v42, 1
	v_mul_f32_e32 v45, v46, v48
	v_mov_b32_e32 v42, 0x3f317218
	s_mov_b32 s2, 0x3f317218
	v_pk_mul_f32 v[42:43], v[44:45], v[42:43]
	v_ldexp_f32 v47, v46, 1
	v_fma_f32 v46, v44, s2, -v42
	v_fmac_f32_e32 v46, 0xb102e308, v44
	v_pk_add_f32 v[44:45], v[42:43], v[46:47]
	v_sub_f32_e32 v47, v45, v47
	v_sub_f32_e32 v47, v43, v47
	v_add_f32_e32 v49, v49, v47
	v_mov_b32_e32 v48, v42
	v_pk_add_f32 v[42:43], v[44:45], v[42:43] neg_lo:[0,1] neg_hi:[0,1]
	v_pk_add_f32 v[54:55], v[44:45], v[48:49]
	v_mov_b32_e32 v43, v55
	v_mov_b32_e32 v47, v44
	v_pk_add_f32 v[56:57], v[46:47], v[42:43] neg_lo:[0,1] neg_hi:[0,1]
	v_pk_add_f32 v[42:43], v[46:47], v[42:43]
	v_mov_b32_e32 v46, v43
	v_pk_add_f32 v[58:59], v[46:47], v[44:45] neg_lo:[0,1] neg_hi:[0,1]
	v_mov_b32_e32 v47, v58
	v_pk_add_f32 v[60:61], v[54:55], v[46:47] neg_lo:[0,1] neg_hi:[0,1]
	v_mov_b32_e32 v42, v55
	v_mov_b32_e32 v54, v45
	;; [unrolled: 1-line block ×4, first 2 shown]
	v_pk_add_f32 v[42:43], v[42:43], v[54:55] neg_lo:[0,1] neg_hi:[0,1]
	v_mov_b32_e32 v48, v49
	v_mov_b32_e32 v49, v44
	v_pk_add_f32 v[42:43], v[48:49], v[42:43] neg_lo:[0,1] neg_hi:[0,1]
	v_mov_b32_e32 v60, v56
	v_pk_add_f32 v[44:45], v[60:61], v[42:43]
	v_mov_b32_e32 v48, v45
	v_pk_add_f32 v[48:49], v[44:45], v[48:49]
	v_pk_add_f32 v[46:47], v[46:47], v[48:49]
	v_mov_b32_e32 v45, v46
	v_pk_add_f32 v[54:55], v[44:45], v[56:57] neg_lo:[0,1] neg_hi:[0,1]
	v_mov_b32_e32 v43, v48
	v_sub_f32_e32 v44, v44, v54
	v_pk_add_f32 v[42:43], v[42:43], v[54:55] neg_lo:[0,1] neg_hi:[0,1]
	v_sub_f32_e32 v44, v56, v44
	s_mov_b32 s3, 0x7f800000
	v_add_f32_e32 v42, v42, v44
	s_mov_b32 s2, 0x33800000
	v_add_f32_e32 v42, v42, v43
	v_cmp_eq_f32_e64 s[80:81], s3, v62
	v_cmp_lt_f32_e64 s[84:85], |v62|, s2
	v_add_f32_e32 v42, v46, v42
	s_or_b64 s[80:81], s[80:81], s[84:85]
	v_cndmask_b32_e64 v42, v42, v62, s[80:81]
	v_add_f32_e32 v42, v41, v42
.LBB482_82:
	s_or_b64 exec, exec, s[0:1]
	v_bfe_u32 v41, v42, 16, 1
	v_add3_u32 v41, v42, v41, s82
	v_and_b32_e32 v41, 0xffff0000, v41
	v_cmp_o_f32_e64 s[80:81], v42, v42
	v_cndmask_b32_e64 v43, v39, v41, s[80:81]
	v_and_b32_e32 v6, 0xffff0000, v6
	v_max_f32_e32 v39, v43, v43
	v_max_f32_e32 v41, v6, v6
	v_min_f32_e32 v42, v39, v41
	v_cmp_u_f32_e64 s[82:83], v43, v43
	v_max_f32_e32 v39, v39, v41
	v_cndmask_b32_e64 v42, v42, v43, s[82:83]
	v_cmp_u_f32_e64 s[80:81], v6, v6
	v_cndmask_b32_e64 v39, v39, v43, s[82:83]
	v_cndmask_b32_e64 v42, v42, v6, s[80:81]
	;; [unrolled: 1-line block ×3, first 2 shown]
	v_cmp_neq_f32_e64 s[82:83], v42, v39
	v_cmp_class_f32_e64 s[0:1], v42, s33
	s_or_b64 s[82:83], s[82:83], s[0:1]
	s_and_saveexec_b64 s[0:1], s[82:83]
	s_cbranch_execz .LBB482_84
; %bb.83:
	v_sub_f32_e32 v42, v42, v39
	s_mov_b32 s2, 0x3fb8aa3b
	v_mul_f32_e32 v43, 0x3fb8aa3b, v42
	v_fma_f32 v44, v42, s2, -v43
	v_rndne_f32_e32 v45, v43
	v_fmac_f32_e32 v44, 0x32a5705f, v42
	v_sub_f32_e32 v43, v43, v45
	v_add_f32_e32 v43, v43, v44
	v_exp_f32_e32 v43, v43
	v_cvt_i32_f32_e32 v44, v45
	s_mov_b32 s2, 0xc2ce8ed0
	v_cmp_ngt_f32_e64 s[82:83], s2, v42
	s_mov_b32 s2, 0x42b17218
	v_ldexp_f32 v43, v43, v44
	v_cndmask_b32_e64 v43, 0, v43, s[82:83]
	v_mov_b32_e32 v44, 0x7f800000
	v_cmp_nlt_f32_e64 s[82:83], s2, v42
	v_cndmask_b32_e64 v62, v44, v43, s[82:83]
	v_add_f32_e32 v44, 1.0, v62
	v_add_f32_e32 v42, -1.0, v44
	v_sub_f32_e32 v43, v42, v44
	v_add_f32_e32 v43, 1.0, v43
	v_sub_f32_e32 v42, v62, v42
	v_add_f32_e32 v45, v42, v43
	v_frexp_mant_f32_e32 v46, v44
	s_mov_b32 s2, 0x3f2aaaab
	v_cvt_f64_f32_e32 v[42:43], v44
	v_frexp_exp_i32_f64_e32 v42, v[42:43]
	v_cmp_gt_f32_e64 s[82:83], s2, v46
	v_subbrev_co_u32_e64 v54, s[82:83], 0, v42, s[82:83]
	v_sub_u32_e32 v42, 0, v54
	v_ldexp_f32 v43, v44, v42
	v_add_f32_e32 v44, -1.0, v43
	v_add_f32_e32 v46, 1.0, v43
	v_ldexp_f32 v42, v45, v42
	v_add_f32_e32 v45, 1.0, v44
	v_add_f32_e32 v47, -1.0, v46
	v_sub_f32_e32 v45, v43, v45
	v_sub_f32_e32 v43, v43, v47
	v_add_f32_e32 v45, v42, v45
	v_add_f32_e32 v42, v42, v43
	;; [unrolled: 1-line block ×3, first 2 shown]
	v_rcp_f32_e32 v57, v55
	v_sub_f32_e32 v43, v46, v55
	v_add_f32_e32 v56, v42, v43
	v_add_f32_e32 v43, v44, v45
	v_mul_f32_e32 v59, v43, v57
	v_sub_f32_e32 v42, v44, v43
	v_mul_f32_e32 v44, v55, v59
	v_fma_f32 v46, v59, v55, -v44
	v_fmac_f32_e32 v46, v59, v56
	v_add_f32_e32 v58, v45, v42
	v_add_f32_e32 v42, v44, v46
	v_sub_f32_e32 v45, v43, v42
	v_pk_add_f32 v[48:49], v[42:43], v[44:45] neg_lo:[0,1] neg_hi:[0,1]
	v_mov_b32_e32 v47, v42
	v_pk_add_f32 v[42:43], v[48:49], v[46:47] neg_lo:[0,1] neg_hi:[0,1]
	v_add_f32_e32 v43, v58, v43
	v_add_f32_e32 v42, v42, v43
	;; [unrolled: 1-line block ×3, first 2 shown]
	v_mul_f32_e32 v58, v57, v43
	v_mul_f32_e32 v44, v55, v58
	v_fma_f32 v46, v58, v55, -v44
	v_fmac_f32_e32 v46, v58, v56
	v_sub_f32_e32 v45, v45, v43
	v_add_f32_e32 v55, v42, v45
	v_add_f32_e32 v42, v44, v46
	v_sub_f32_e32 v45, v43, v42
	v_pk_add_f32 v[48:49], v[42:43], v[44:45] neg_lo:[0,1] neg_hi:[0,1]
	v_mov_b32_e32 v47, v42
	v_pk_add_f32 v[42:43], v[48:49], v[46:47] neg_lo:[0,1] neg_hi:[0,1]
	v_add_f32_e32 v43, v55, v43
	v_add_f32_e32 v42, v42, v43
	;; [unrolled: 1-line block ×4, first 2 shown]
	v_sub_f32_e32 v43, v45, v59
	v_mul_f32_e32 v42, v57, v42
	v_sub_f32_e32 v43, v58, v43
	v_add_f32_e32 v42, v43, v42
	v_add_f32_e32 v46, v45, v42
	v_mul_f32_e32 v48, v46, v46
	v_mov_b32_e32 v44, 0x3ecc95a3
	v_fmac_f32_e32 v44, 0x3e9b6dac, v48
	v_mov_b32_e32 v43, 0x3f2aaada
	v_fmac_f32_e32 v43, v48, v44
	v_cvt_f32_i32_e32 v44, v54
	v_sub_f32_e32 v45, v46, v45
	v_sub_f32_e32 v42, v42, v45
	v_ldexp_f32 v49, v42, 1
	v_mul_f32_e32 v45, v46, v48
	v_mov_b32_e32 v42, 0x3f317218
	s_mov_b32 s2, 0x3f317218
	v_pk_mul_f32 v[42:43], v[44:45], v[42:43]
	v_ldexp_f32 v47, v46, 1
	v_fma_f32 v46, v44, s2, -v42
	v_fmac_f32_e32 v46, 0xb102e308, v44
	v_pk_add_f32 v[44:45], v[42:43], v[46:47]
	v_sub_f32_e32 v47, v45, v47
	v_sub_f32_e32 v47, v43, v47
	v_add_f32_e32 v49, v49, v47
	v_mov_b32_e32 v48, v42
	v_pk_add_f32 v[42:43], v[44:45], v[42:43] neg_lo:[0,1] neg_hi:[0,1]
	v_pk_add_f32 v[54:55], v[44:45], v[48:49]
	v_mov_b32_e32 v43, v55
	v_mov_b32_e32 v47, v44
	v_pk_add_f32 v[56:57], v[46:47], v[42:43] neg_lo:[0,1] neg_hi:[0,1]
	v_pk_add_f32 v[42:43], v[46:47], v[42:43]
	v_mov_b32_e32 v46, v43
	v_pk_add_f32 v[58:59], v[46:47], v[44:45] neg_lo:[0,1] neg_hi:[0,1]
	v_mov_b32_e32 v47, v58
	v_pk_add_f32 v[60:61], v[54:55], v[46:47] neg_lo:[0,1] neg_hi:[0,1]
	v_mov_b32_e32 v42, v55
	v_mov_b32_e32 v54, v45
	;; [unrolled: 1-line block ×4, first 2 shown]
	v_pk_add_f32 v[42:43], v[42:43], v[54:55] neg_lo:[0,1] neg_hi:[0,1]
	v_mov_b32_e32 v48, v49
	v_mov_b32_e32 v49, v44
	v_pk_add_f32 v[42:43], v[48:49], v[42:43] neg_lo:[0,1] neg_hi:[0,1]
	v_mov_b32_e32 v60, v56
	v_pk_add_f32 v[44:45], v[60:61], v[42:43]
	v_mov_b32_e32 v48, v45
	v_pk_add_f32 v[48:49], v[44:45], v[48:49]
	v_pk_add_f32 v[46:47], v[46:47], v[48:49]
	v_mov_b32_e32 v45, v46
	v_pk_add_f32 v[54:55], v[44:45], v[56:57] neg_lo:[0,1] neg_hi:[0,1]
	v_mov_b32_e32 v43, v48
	v_sub_f32_e32 v44, v44, v54
	v_pk_add_f32 v[42:43], v[42:43], v[54:55] neg_lo:[0,1] neg_hi:[0,1]
	v_sub_f32_e32 v44, v56, v44
	s_mov_b32 s3, 0x7f800000
	v_add_f32_e32 v42, v42, v44
	s_mov_b32 s2, 0x33800000
	v_add_f32_e32 v42, v42, v43
	v_cmp_eq_f32_e64 s[82:83], s3, v62
	v_cmp_lt_f32_e64 s[84:85], |v62|, s2
	v_add_f32_e32 v42, v46, v42
	s_or_b64 s[82:83], s[82:83], s[84:85]
	v_cndmask_b32_e64 v42, v42, v62, s[82:83]
	v_add_f32_e32 v43, v39, v42
.LBB482_84:
	s_or_b64 exec, exec, s[0:1]
	v_bfe_u32 v39, v43, 16, 1
	s_movk_i32 s86, 0x7fff
	v_add3_u32 v39, v43, v39, s86
	v_and_b32_e32 v39, 0xffff0000, v39
	v_mov_b32_e32 v42, 0x7fc00000
	v_cmp_o_f32_e64 s[82:83], v43, v43
	v_cndmask_b32_e64 v45, v42, v39, s[82:83]
	v_lshlrev_b32_e32 v39, 16, v7
	v_max_f32_e32 v44, v45, v45
	v_max_f32_e32 v43, v39, v39
	v_min_f32_e32 v46, v44, v43
	v_cmp_u_f32_e64 s[84:85], v45, v45
	v_max_f32_e32 v44, v44, v43
	v_cndmask_b32_e64 v46, v46, v45, s[84:85]
	v_cmp_u_f32_e64 s[82:83], v39, v39
	v_cndmask_b32_e64 v44, v44, v45, s[84:85]
	v_cndmask_b32_e64 v46, v46, v39, s[82:83]
	;; [unrolled: 1-line block ×3, first 2 shown]
	v_cmp_neq_f32_e64 s[84:85], v46, v44
	v_cmp_class_f32_e64 s[0:1], v46, s33
	s_or_b64 s[84:85], s[84:85], s[0:1]
	s_and_saveexec_b64 s[0:1], s[84:85]
	s_cbranch_execz .LBB482_86
; %bb.85:
	v_sub_f32_e32 v45, v46, v44
	s_mov_b32 s2, 0x3fb8aa3b
	v_mul_f32_e32 v46, 0x3fb8aa3b, v45
	v_fma_f32 v47, v45, s2, -v46
	v_rndne_f32_e32 v48, v46
	v_fmac_f32_e32 v47, 0x32a5705f, v45
	v_sub_f32_e32 v46, v46, v48
	v_add_f32_e32 v46, v46, v47
	v_exp_f32_e32 v46, v46
	v_cvt_i32_f32_e32 v47, v48
	s_mov_b32 s2, 0xc2ce8ed0
	v_cmp_ngt_f32_e64 s[84:85], s2, v45
	s_mov_b32 s2, 0x42b17218
	v_ldexp_f32 v46, v46, v47
	v_cndmask_b32_e64 v46, 0, v46, s[84:85]
	v_mov_b32_e32 v47, 0x7f800000
	v_cmp_nlt_f32_e64 s[84:85], s2, v45
	v_cndmask_b32_e64 v66, v47, v46, s[84:85]
	v_add_f32_e32 v45, 1.0, v66
	v_add_f32_e32 v46, -1.0, v45
	v_sub_f32_e32 v47, v46, v45
	v_add_f32_e32 v47, 1.0, v47
	v_sub_f32_e32 v46, v66, v46
	v_add_f32_e32 v48, v46, v47
	v_frexp_mant_f32_e32 v49, v45
	s_mov_b32 s2, 0x3f2aaaab
	v_cvt_f64_f32_e32 v[46:47], v45
	v_frexp_exp_i32_f64_e32 v46, v[46:47]
	v_cmp_gt_f32_e64 s[84:85], s2, v49
	v_subbrev_co_u32_e64 v58, s[84:85], 0, v46, s[84:85]
	v_sub_u32_e32 v46, 0, v58
	v_ldexp_f32 v45, v45, v46
	v_ldexp_f32 v46, v48, v46
	v_add_f32_e32 v48, -1.0, v45
	v_add_f32_e32 v47, 1.0, v48
	v_sub_f32_e32 v47, v45, v47
	v_add_f32_e32 v49, v46, v47
	v_add_f32_e32 v47, 1.0, v45
	v_add_f32_e32 v54, -1.0, v47
	v_sub_f32_e32 v45, v45, v54
	v_add_f32_e32 v45, v46, v45
	v_add_f32_e32 v59, v47, v45
	v_rcp_f32_e32 v60, v59
	v_sub_f32_e32 v46, v47, v59
	v_add_f32_e32 v47, v48, v49
	v_add_f32_e32 v45, v45, v46
	v_mul_f32_e32 v62, v47, v60
	v_sub_f32_e32 v46, v48, v47
	v_mul_f32_e32 v48, v59, v62
	v_fma_f32 v54, v62, v59, -v48
	v_fmac_f32_e32 v54, v62, v45
	v_add_f32_e32 v61, v49, v46
	v_add_f32_e32 v46, v48, v54
	v_sub_f32_e32 v49, v47, v46
	v_pk_add_f32 v[56:57], v[46:47], v[48:49] neg_lo:[0,1] neg_hi:[0,1]
	v_mov_b32_e32 v55, v46
	v_pk_add_f32 v[46:47], v[56:57], v[54:55] neg_lo:[0,1] neg_hi:[0,1]
	v_add_f32_e32 v47, v61, v47
	v_add_f32_e32 v46, v46, v47
	;; [unrolled: 1-line block ×3, first 2 shown]
	v_mul_f32_e32 v61, v60, v47
	v_mul_f32_e32 v48, v59, v61
	v_fma_f32 v54, v61, v59, -v48
	v_fmac_f32_e32 v54, v61, v45
	v_sub_f32_e32 v45, v49, v47
	v_add_f32_e32 v45, v46, v45
	v_add_f32_e32 v46, v48, v54
	v_sub_f32_e32 v49, v47, v46
	v_pk_add_f32 v[56:57], v[46:47], v[48:49] neg_lo:[0,1] neg_hi:[0,1]
	v_mov_b32_e32 v55, v46
	v_pk_add_f32 v[46:47], v[56:57], v[54:55] neg_lo:[0,1] neg_hi:[0,1]
	v_add_f32_e32 v45, v45, v47
	v_add_f32_e32 v45, v46, v45
	;; [unrolled: 1-line block ×4, first 2 shown]
	v_sub_f32_e32 v47, v46, v62
	v_mul_f32_e32 v45, v60, v45
	v_sub_f32_e32 v47, v61, v47
	v_add_f32_e32 v45, v47, v45
	v_add_f32_e32 v49, v46, v45
	v_mul_f32_e32 v54, v49, v49
	v_mov_b32_e32 v48, 0x3ecc95a3
	v_fmac_f32_e32 v48, 0x3e9b6dac, v54
	v_mov_b32_e32 v47, 0x3f2aaada
	v_fmac_f32_e32 v47, v54, v48
	v_cvt_f32_i32_e32 v48, v58
	v_sub_f32_e32 v46, v49, v46
	v_sub_f32_e32 v45, v45, v46
	v_ldexp_f32 v55, v49, 1
	v_mul_f32_e32 v49, v49, v54
	v_mov_b32_e32 v46, 0x3f317218
	s_mov_b32 s2, 0x3f317218
	v_pk_mul_f32 v[46:47], v[48:49], v[46:47]
	v_fma_f32 v54, v48, s2, -v46
	v_fmac_f32_e32 v54, 0xb102e308, v48
	v_pk_add_f32 v[48:49], v[46:47], v[54:55]
	v_sub_f32_e32 v55, v49, v55
	v_ldexp_f32 v45, v45, 1
	v_sub_f32_e32 v55, v47, v55
	v_add_f32_e32 v57, v45, v55
	v_mov_b32_e32 v56, v46
	v_pk_add_f32 v[46:47], v[48:49], v[46:47] neg_lo:[0,1] neg_hi:[0,1]
	v_pk_add_f32 v[58:59], v[48:49], v[56:57]
	v_mov_b32_e32 v47, v59
	v_mov_b32_e32 v55, v48
	v_pk_add_f32 v[60:61], v[54:55], v[46:47] neg_lo:[0,1] neg_hi:[0,1]
	v_pk_add_f32 v[46:47], v[54:55], v[46:47]
	v_mov_b32_e32 v54, v47
	v_pk_add_f32 v[62:63], v[54:55], v[48:49] neg_lo:[0,1] neg_hi:[0,1]
	v_mov_b32_e32 v45, v62
	v_pk_add_f32 v[64:65], v[58:59], v[44:45] neg_lo:[0,1] neg_hi:[0,1]
	v_mov_b32_e32 v46, v59
	v_mov_b32_e32 v58, v49
	;; [unrolled: 1-line block ×4, first 2 shown]
	v_pk_add_f32 v[46:47], v[46:47], v[58:59] neg_lo:[0,1] neg_hi:[0,1]
	v_mov_b32_e32 v56, v57
	v_mov_b32_e32 v57, v48
	v_pk_add_f32 v[46:47], v[56:57], v[46:47] neg_lo:[0,1] neg_hi:[0,1]
	v_mov_b32_e32 v64, v60
	v_pk_add_f32 v[48:49], v[64:65], v[46:47]
	v_mov_b32_e32 v56, v49
	v_pk_add_f32 v[56:57], v[48:49], v[56:57]
	v_pk_add_f32 v[54:55], v[54:55], v[56:57]
	v_mov_b32_e32 v49, v54
	v_pk_add_f32 v[58:59], v[48:49], v[60:61] neg_lo:[0,1] neg_hi:[0,1]
	v_mov_b32_e32 v47, v56
	v_sub_f32_e32 v45, v48, v58
	v_pk_add_f32 v[46:47], v[46:47], v[58:59] neg_lo:[0,1] neg_hi:[0,1]
	v_sub_f32_e32 v45, v60, v45
	s_mov_b32 s3, 0x7f800000
	v_add_f32_e32 v45, v46, v45
	s_mov_b32 s2, 0x33800000
	v_add_f32_e32 v45, v45, v47
	v_cmp_eq_f32_e64 s[84:85], s3, v66
	v_cmp_lt_f32_e64 s[88:89], |v66|, s2
	v_add_f32_e32 v45, v54, v45
	s_or_b64 s[84:85], s[84:85], s[88:89]
	v_cndmask_b32_e64 v45, v45, v66, s[84:85]
	v_add_f32_e32 v45, v44, v45
.LBB482_86:
	s_or_b64 exec, exec, s[0:1]
	v_bfe_u32 v44, v45, 16, 1
	v_add3_u32 v44, v45, v44, s86
	v_and_b32_e32 v44, 0xffff0000, v44
	v_cmp_o_f32_e64 s[84:85], v45, v45
	v_cndmask_b32_e64 v46, v42, v44, s[84:85]
	v_and_b32_e32 v7, 0xffff0000, v7
	v_max_f32_e32 v42, v46, v46
	v_max_f32_e32 v44, v7, v7
	v_min_f32_e32 v45, v42, v44
	v_cmp_u_f32_e64 s[86:87], v46, v46
	v_max_f32_e32 v42, v42, v44
	v_cndmask_b32_e64 v45, v45, v46, s[86:87]
	v_cmp_u_f32_e64 s[84:85], v7, v7
	v_cndmask_b32_e64 v42, v42, v46, s[86:87]
	v_cndmask_b32_e64 v45, v45, v7, s[84:85]
	;; [unrolled: 1-line block ×3, first 2 shown]
	v_cmp_neq_f32_e64 s[86:87], v45, v42
	v_cmp_class_f32_e64 s[0:1], v45, s33
	s_or_b64 s[86:87], s[86:87], s[0:1]
	s_and_saveexec_b64 s[0:1], s[86:87]
	s_cbranch_execz .LBB482_88
; %bb.87:
	v_sub_f32_e32 v45, v45, v42
	s_mov_b32 s2, 0x3fb8aa3b
	v_mul_f32_e32 v46, 0x3fb8aa3b, v45
	v_fma_f32 v47, v45, s2, -v46
	v_rndne_f32_e32 v48, v46
	v_fmac_f32_e32 v47, 0x32a5705f, v45
	v_sub_f32_e32 v46, v46, v48
	v_add_f32_e32 v46, v46, v47
	v_exp_f32_e32 v46, v46
	v_cvt_i32_f32_e32 v47, v48
	s_mov_b32 s2, 0xc2ce8ed0
	v_cmp_ngt_f32_e64 s[86:87], s2, v45
	s_mov_b32 s2, 0x42b17218
	v_ldexp_f32 v46, v46, v47
	v_cndmask_b32_e64 v46, 0, v46, s[86:87]
	v_mov_b32_e32 v47, 0x7f800000
	v_cmp_nlt_f32_e64 s[86:87], s2, v45
	v_cndmask_b32_e64 v66, v47, v46, s[86:87]
	v_add_f32_e32 v45, 1.0, v66
	v_add_f32_e32 v46, -1.0, v45
	v_sub_f32_e32 v47, v46, v45
	v_add_f32_e32 v47, 1.0, v47
	v_sub_f32_e32 v46, v66, v46
	v_add_f32_e32 v48, v46, v47
	v_frexp_mant_f32_e32 v49, v45
	s_mov_b32 s2, 0x3f2aaaab
	v_cvt_f64_f32_e32 v[46:47], v45
	v_frexp_exp_i32_f64_e32 v46, v[46:47]
	v_cmp_gt_f32_e64 s[86:87], s2, v49
	v_subbrev_co_u32_e64 v58, s[86:87], 0, v46, s[86:87]
	v_sub_u32_e32 v46, 0, v58
	v_ldexp_f32 v45, v45, v46
	v_ldexp_f32 v46, v48, v46
	v_add_f32_e32 v48, -1.0, v45
	v_add_f32_e32 v47, 1.0, v48
	v_sub_f32_e32 v47, v45, v47
	v_add_f32_e32 v49, v46, v47
	v_add_f32_e32 v47, 1.0, v45
	v_add_f32_e32 v54, -1.0, v47
	v_sub_f32_e32 v45, v45, v54
	v_add_f32_e32 v45, v46, v45
	v_add_f32_e32 v59, v47, v45
	v_rcp_f32_e32 v60, v59
	v_sub_f32_e32 v46, v47, v59
	v_add_f32_e32 v47, v48, v49
	v_add_f32_e32 v45, v45, v46
	v_mul_f32_e32 v62, v47, v60
	v_sub_f32_e32 v46, v48, v47
	v_mul_f32_e32 v48, v59, v62
	v_fma_f32 v54, v62, v59, -v48
	v_fmac_f32_e32 v54, v62, v45
	v_add_f32_e32 v61, v49, v46
	v_add_f32_e32 v46, v48, v54
	v_sub_f32_e32 v49, v47, v46
	v_pk_add_f32 v[56:57], v[46:47], v[48:49] neg_lo:[0,1] neg_hi:[0,1]
	v_mov_b32_e32 v55, v46
	v_pk_add_f32 v[46:47], v[56:57], v[54:55] neg_lo:[0,1] neg_hi:[0,1]
	v_add_f32_e32 v47, v61, v47
	v_add_f32_e32 v46, v46, v47
	;; [unrolled: 1-line block ×3, first 2 shown]
	v_mul_f32_e32 v61, v60, v47
	v_mul_f32_e32 v48, v59, v61
	v_fma_f32 v54, v61, v59, -v48
	v_fmac_f32_e32 v54, v61, v45
	v_sub_f32_e32 v45, v49, v47
	v_add_f32_e32 v45, v46, v45
	v_add_f32_e32 v46, v48, v54
	v_sub_f32_e32 v49, v47, v46
	v_pk_add_f32 v[56:57], v[46:47], v[48:49] neg_lo:[0,1] neg_hi:[0,1]
	v_mov_b32_e32 v55, v46
	v_pk_add_f32 v[46:47], v[56:57], v[54:55] neg_lo:[0,1] neg_hi:[0,1]
	v_add_f32_e32 v45, v45, v47
	v_add_f32_e32 v45, v46, v45
	;; [unrolled: 1-line block ×4, first 2 shown]
	v_sub_f32_e32 v47, v46, v62
	v_mul_f32_e32 v45, v60, v45
	v_sub_f32_e32 v47, v61, v47
	v_add_f32_e32 v45, v47, v45
	v_add_f32_e32 v49, v46, v45
	v_mul_f32_e32 v54, v49, v49
	v_mov_b32_e32 v48, 0x3ecc95a3
	v_fmac_f32_e32 v48, 0x3e9b6dac, v54
	v_mov_b32_e32 v47, 0x3f2aaada
	v_fmac_f32_e32 v47, v54, v48
	v_cvt_f32_i32_e32 v48, v58
	v_sub_f32_e32 v46, v49, v46
	v_sub_f32_e32 v45, v45, v46
	v_ldexp_f32 v55, v49, 1
	v_mul_f32_e32 v49, v49, v54
	v_mov_b32_e32 v46, 0x3f317218
	s_mov_b32 s2, 0x3f317218
	v_pk_mul_f32 v[46:47], v[48:49], v[46:47]
	v_fma_f32 v54, v48, s2, -v46
	v_fmac_f32_e32 v54, 0xb102e308, v48
	v_pk_add_f32 v[48:49], v[46:47], v[54:55]
	v_sub_f32_e32 v55, v49, v55
	v_ldexp_f32 v45, v45, 1
	v_sub_f32_e32 v55, v47, v55
	v_add_f32_e32 v57, v45, v55
	v_mov_b32_e32 v56, v46
	v_pk_add_f32 v[46:47], v[48:49], v[46:47] neg_lo:[0,1] neg_hi:[0,1]
	v_pk_add_f32 v[58:59], v[48:49], v[56:57]
	v_mov_b32_e32 v47, v59
	v_mov_b32_e32 v55, v48
	v_pk_add_f32 v[60:61], v[54:55], v[46:47] neg_lo:[0,1] neg_hi:[0,1]
	v_pk_add_f32 v[46:47], v[54:55], v[46:47]
	v_mov_b32_e32 v54, v47
	v_pk_add_f32 v[62:63], v[54:55], v[48:49] neg_lo:[0,1] neg_hi:[0,1]
	v_mov_b32_e32 v45, v62
	v_pk_add_f32 v[64:65], v[58:59], v[44:45] neg_lo:[0,1] neg_hi:[0,1]
	v_mov_b32_e32 v46, v59
	v_mov_b32_e32 v58, v49
	;; [unrolled: 1-line block ×4, first 2 shown]
	v_pk_add_f32 v[46:47], v[46:47], v[58:59] neg_lo:[0,1] neg_hi:[0,1]
	v_mov_b32_e32 v56, v57
	v_mov_b32_e32 v57, v48
	v_pk_add_f32 v[46:47], v[56:57], v[46:47] neg_lo:[0,1] neg_hi:[0,1]
	v_mov_b32_e32 v64, v60
	v_pk_add_f32 v[48:49], v[64:65], v[46:47]
	v_mov_b32_e32 v56, v49
	v_pk_add_f32 v[56:57], v[48:49], v[56:57]
	v_pk_add_f32 v[54:55], v[54:55], v[56:57]
	v_mov_b32_e32 v49, v54
	v_pk_add_f32 v[58:59], v[48:49], v[60:61] neg_lo:[0,1] neg_hi:[0,1]
	v_mov_b32_e32 v47, v56
	v_sub_f32_e32 v45, v48, v58
	v_pk_add_f32 v[46:47], v[46:47], v[58:59] neg_lo:[0,1] neg_hi:[0,1]
	v_sub_f32_e32 v45, v60, v45
	s_mov_b32 s3, 0x7f800000
	v_add_f32_e32 v45, v46, v45
	s_mov_b32 s2, 0x33800000
	v_add_f32_e32 v45, v45, v47
	v_cmp_eq_f32_e64 s[86:87], s3, v66
	v_cmp_lt_f32_e64 s[88:89], |v66|, s2
	v_add_f32_e32 v45, v54, v45
	s_or_b64 s[86:87], s[86:87], s[88:89]
	v_cndmask_b32_e64 v45, v45, v66, s[86:87]
	v_add_f32_e32 v46, v42, v45
.LBB482_88:
	s_or_b64 exec, exec, s[0:1]
	v_bfe_u32 v42, v46, 16, 1
	s_movk_i32 s90, 0x7fff
	v_add3_u32 v42, v46, v42, s90
	v_and_b32_e32 v42, 0xffff0000, v42
	v_mov_b32_e32 v45, 0x7fc00000
	v_cmp_o_f32_e64 s[86:87], v46, v46
	v_cndmask_b32_e64 v48, v45, v42, s[86:87]
	v_lshlrev_b32_e32 v42, 16, v8
	v_max_f32_e32 v47, v48, v48
	v_max_f32_e32 v46, v42, v42
	v_min_f32_e32 v49, v47, v46
	v_cmp_u_f32_e64 s[88:89], v48, v48
	v_max_f32_e32 v47, v47, v46
	v_cndmask_b32_e64 v49, v49, v48, s[88:89]
	v_cmp_u_f32_e64 s[86:87], v42, v42
	v_cndmask_b32_e64 v47, v47, v48, s[88:89]
	v_cndmask_b32_e64 v49, v49, v42, s[86:87]
	;; [unrolled: 1-line block ×3, first 2 shown]
	v_cmp_neq_f32_e64 s[88:89], v49, v47
	v_cmp_class_f32_e64 s[0:1], v49, s33
	s_or_b64 s[88:89], s[88:89], s[0:1]
	s_and_saveexec_b64 s[0:1], s[88:89]
	s_cbranch_execz .LBB482_90
; %bb.89:
	v_sub_f32_e32 v48, v49, v47
	s_mov_b32 s2, 0x3fb8aa3b
	v_mul_f32_e32 v49, 0x3fb8aa3b, v48
	v_fma_f32 v54, v48, s2, -v49
	v_rndne_f32_e32 v55, v49
	v_fmac_f32_e32 v54, 0x32a5705f, v48
	v_sub_f32_e32 v49, v49, v55
	v_add_f32_e32 v49, v49, v54
	v_exp_f32_e32 v49, v49
	v_cvt_i32_f32_e32 v54, v55
	s_mov_b32 s2, 0xc2ce8ed0
	v_cmp_ngt_f32_e64 s[88:89], s2, v48
	s_mov_b32 s2, 0x42b17218
	v_ldexp_f32 v49, v49, v54
	v_cndmask_b32_e64 v49, 0, v49, s[88:89]
	v_mov_b32_e32 v54, 0x7f800000
	v_cmp_nlt_f32_e64 s[88:89], s2, v48
	v_cndmask_b32_e64 v68, v54, v49, s[88:89]
	v_add_f32_e32 v54, 1.0, v68
	v_add_f32_e32 v48, -1.0, v54
	v_sub_f32_e32 v49, v48, v54
	v_add_f32_e32 v49, 1.0, v49
	v_sub_f32_e32 v48, v68, v48
	v_add_f32_e32 v55, v48, v49
	v_frexp_mant_f32_e32 v56, v54
	s_mov_b32 s2, 0x3f2aaaab
	v_cvt_f64_f32_e32 v[48:49], v54
	v_frexp_exp_i32_f64_e32 v48, v[48:49]
	v_cmp_gt_f32_e64 s[88:89], s2, v56
	v_subbrev_co_u32_e64 v60, s[88:89], 0, v48, s[88:89]
	v_sub_u32_e32 v48, 0, v60
	v_ldexp_f32 v49, v54, v48
	v_add_f32_e32 v54, -1.0, v49
	v_add_f32_e32 v56, 1.0, v49
	v_ldexp_f32 v48, v55, v48
	v_add_f32_e32 v55, 1.0, v54
	v_add_f32_e32 v57, -1.0, v56
	v_sub_f32_e32 v55, v49, v55
	v_sub_f32_e32 v49, v49, v57
	v_add_f32_e32 v55, v48, v55
	v_add_f32_e32 v48, v48, v49
	;; [unrolled: 1-line block ×3, first 2 shown]
	v_rcp_f32_e32 v63, v61
	v_sub_f32_e32 v49, v56, v61
	v_add_f32_e32 v62, v48, v49
	v_add_f32_e32 v49, v54, v55
	v_mul_f32_e32 v65, v49, v63
	v_sub_f32_e32 v48, v54, v49
	v_mul_f32_e32 v54, v61, v65
	v_fma_f32 v56, v65, v61, -v54
	v_fmac_f32_e32 v56, v65, v62
	v_add_f32_e32 v64, v55, v48
	v_add_f32_e32 v48, v54, v56
	v_sub_f32_e32 v55, v49, v48
	v_pk_add_f32 v[58:59], v[48:49], v[54:55] neg_lo:[0,1] neg_hi:[0,1]
	v_mov_b32_e32 v57, v48
	v_pk_add_f32 v[48:49], v[58:59], v[56:57] neg_lo:[0,1] neg_hi:[0,1]
	v_add_f32_e32 v49, v64, v49
	v_add_f32_e32 v48, v48, v49
	v_add_f32_e32 v49, v55, v48
	v_mul_f32_e32 v64, v63, v49
	v_mul_f32_e32 v54, v61, v64
	v_fma_f32 v56, v64, v61, -v54
	v_fmac_f32_e32 v56, v64, v62
	v_sub_f32_e32 v55, v55, v49
	v_add_f32_e32 v61, v48, v55
	v_add_f32_e32 v48, v54, v56
	v_sub_f32_e32 v55, v49, v48
	v_pk_add_f32 v[58:59], v[48:49], v[54:55] neg_lo:[0,1] neg_hi:[0,1]
	v_mov_b32_e32 v57, v48
	v_pk_add_f32 v[48:49], v[58:59], v[56:57] neg_lo:[0,1] neg_hi:[0,1]
	v_add_f32_e32 v49, v61, v49
	v_add_f32_e32 v48, v48, v49
	;; [unrolled: 1-line block ×4, first 2 shown]
	v_sub_f32_e32 v49, v55, v65
	v_mul_f32_e32 v48, v63, v48
	v_sub_f32_e32 v49, v64, v49
	v_add_f32_e32 v48, v49, v48
	v_add_f32_e32 v56, v55, v48
	v_mul_f32_e32 v58, v56, v56
	v_mov_b32_e32 v54, 0x3ecc95a3
	v_fmac_f32_e32 v54, 0x3e9b6dac, v58
	v_mov_b32_e32 v49, 0x3f2aaada
	v_fmac_f32_e32 v49, v58, v54
	v_cvt_f32_i32_e32 v54, v60
	v_sub_f32_e32 v55, v56, v55
	v_sub_f32_e32 v48, v48, v55
	v_ldexp_f32 v59, v48, 1
	v_mul_f32_e32 v55, v56, v58
	v_mov_b32_e32 v48, 0x3f317218
	s_mov_b32 s2, 0x3f317218
	v_pk_mul_f32 v[48:49], v[54:55], v[48:49]
	v_ldexp_f32 v57, v56, 1
	v_fma_f32 v56, v54, s2, -v48
	v_fmac_f32_e32 v56, 0xb102e308, v54
	v_pk_add_f32 v[54:55], v[48:49], v[56:57]
	v_sub_f32_e32 v57, v55, v57
	v_sub_f32_e32 v57, v49, v57
	v_add_f32_e32 v59, v59, v57
	v_mov_b32_e32 v58, v48
	v_pk_add_f32 v[48:49], v[54:55], v[48:49] neg_lo:[0,1] neg_hi:[0,1]
	v_pk_add_f32 v[60:61], v[54:55], v[58:59]
	v_mov_b32_e32 v49, v61
	v_mov_b32_e32 v57, v54
	v_pk_add_f32 v[62:63], v[56:57], v[48:49] neg_lo:[0,1] neg_hi:[0,1]
	v_pk_add_f32 v[48:49], v[56:57], v[48:49]
	v_mov_b32_e32 v56, v49
	v_pk_add_f32 v[64:65], v[56:57], v[54:55] neg_lo:[0,1] neg_hi:[0,1]
	v_mov_b32_e32 v57, v64
	v_pk_add_f32 v[66:67], v[60:61], v[56:57] neg_lo:[0,1] neg_hi:[0,1]
	v_mov_b32_e32 v48, v61
	v_mov_b32_e32 v60, v55
	;; [unrolled: 1-line block ×4, first 2 shown]
	v_pk_add_f32 v[48:49], v[48:49], v[60:61] neg_lo:[0,1] neg_hi:[0,1]
	v_mov_b32_e32 v58, v59
	v_mov_b32_e32 v59, v54
	v_pk_add_f32 v[48:49], v[58:59], v[48:49] neg_lo:[0,1] neg_hi:[0,1]
	v_mov_b32_e32 v66, v62
	v_pk_add_f32 v[54:55], v[66:67], v[48:49]
	v_mov_b32_e32 v58, v55
	v_pk_add_f32 v[58:59], v[54:55], v[58:59]
	v_pk_add_f32 v[56:57], v[56:57], v[58:59]
	v_mov_b32_e32 v55, v56
	v_pk_add_f32 v[60:61], v[54:55], v[62:63] neg_lo:[0,1] neg_hi:[0,1]
	v_mov_b32_e32 v49, v58
	v_sub_f32_e32 v54, v54, v60
	v_pk_add_f32 v[48:49], v[48:49], v[60:61] neg_lo:[0,1] neg_hi:[0,1]
	v_sub_f32_e32 v54, v62, v54
	s_mov_b32 s3, 0x7f800000
	v_add_f32_e32 v48, v48, v54
	s_mov_b32 s2, 0x33800000
	v_add_f32_e32 v48, v48, v49
	v_cmp_eq_f32_e64 s[88:89], s3, v68
	v_cmp_lt_f32_e64 s[92:93], |v68|, s2
	v_add_f32_e32 v48, v56, v48
	s_or_b64 s[88:89], s[88:89], s[92:93]
	v_cndmask_b32_e64 v48, v48, v68, s[88:89]
	v_add_f32_e32 v48, v47, v48
.LBB482_90:
	s_or_b64 exec, exec, s[0:1]
	v_bfe_u32 v47, v48, 16, 1
	v_add3_u32 v47, v48, v47, s90
	v_and_b32_e32 v47, 0xffff0000, v47
	v_cmp_o_f32_e64 s[88:89], v48, v48
	v_cndmask_b32_e64 v48, v45, v47, s[88:89]
	v_and_b32_e32 v8, 0xffff0000, v8
	v_max_f32_e32 v45, v48, v48
	v_max_f32_e32 v47, v8, v8
	v_min_f32_e32 v49, v45, v47
	v_cmp_u_f32_e64 s[90:91], v48, v48
	v_max_f32_e32 v45, v45, v47
	v_cndmask_b32_e64 v49, v49, v48, s[90:91]
	v_cmp_u_f32_e64 s[88:89], v8, v8
	v_cndmask_b32_e64 v45, v45, v48, s[90:91]
	v_cndmask_b32_e64 v49, v49, v8, s[88:89]
	;; [unrolled: 1-line block ×3, first 2 shown]
	v_cmp_neq_f32_e64 s[90:91], v49, v45
	v_cmp_class_f32_e64 s[0:1], v49, s33
	s_or_b64 s[90:91], s[90:91], s[0:1]
	s_and_saveexec_b64 s[0:1], s[90:91]
	s_cbranch_execz .LBB482_92
; %bb.91:
	v_sub_f32_e32 v48, v49, v45
	s_mov_b32 s2, 0x3fb8aa3b
	v_mul_f32_e32 v49, 0x3fb8aa3b, v48
	v_fma_f32 v54, v48, s2, -v49
	v_rndne_f32_e32 v55, v49
	v_fmac_f32_e32 v54, 0x32a5705f, v48
	v_sub_f32_e32 v49, v49, v55
	v_add_f32_e32 v49, v49, v54
	v_exp_f32_e32 v49, v49
	v_cvt_i32_f32_e32 v54, v55
	s_mov_b32 s2, 0xc2ce8ed0
	v_cmp_ngt_f32_e64 s[90:91], s2, v48
	s_mov_b32 s2, 0x42b17218
	v_ldexp_f32 v49, v49, v54
	v_cndmask_b32_e64 v49, 0, v49, s[90:91]
	v_mov_b32_e32 v54, 0x7f800000
	v_cmp_nlt_f32_e64 s[90:91], s2, v48
	v_cndmask_b32_e64 v68, v54, v49, s[90:91]
	v_add_f32_e32 v54, 1.0, v68
	v_add_f32_e32 v48, -1.0, v54
	v_sub_f32_e32 v49, v48, v54
	v_add_f32_e32 v49, 1.0, v49
	v_sub_f32_e32 v48, v68, v48
	v_add_f32_e32 v55, v48, v49
	v_frexp_mant_f32_e32 v56, v54
	s_mov_b32 s2, 0x3f2aaaab
	v_cvt_f64_f32_e32 v[48:49], v54
	v_frexp_exp_i32_f64_e32 v48, v[48:49]
	v_cmp_gt_f32_e64 s[90:91], s2, v56
	v_subbrev_co_u32_e64 v60, s[90:91], 0, v48, s[90:91]
	v_sub_u32_e32 v48, 0, v60
	v_ldexp_f32 v49, v54, v48
	v_add_f32_e32 v54, -1.0, v49
	v_add_f32_e32 v56, 1.0, v49
	v_ldexp_f32 v48, v55, v48
	v_add_f32_e32 v55, 1.0, v54
	v_add_f32_e32 v57, -1.0, v56
	v_sub_f32_e32 v55, v49, v55
	v_sub_f32_e32 v49, v49, v57
	v_add_f32_e32 v55, v48, v55
	v_add_f32_e32 v48, v48, v49
	;; [unrolled: 1-line block ×3, first 2 shown]
	v_rcp_f32_e32 v63, v61
	v_sub_f32_e32 v49, v56, v61
	v_add_f32_e32 v62, v48, v49
	v_add_f32_e32 v49, v54, v55
	v_mul_f32_e32 v65, v49, v63
	v_sub_f32_e32 v48, v54, v49
	v_mul_f32_e32 v54, v61, v65
	v_fma_f32 v56, v65, v61, -v54
	v_fmac_f32_e32 v56, v65, v62
	v_add_f32_e32 v64, v55, v48
	v_add_f32_e32 v48, v54, v56
	v_sub_f32_e32 v55, v49, v48
	v_pk_add_f32 v[58:59], v[48:49], v[54:55] neg_lo:[0,1] neg_hi:[0,1]
	v_mov_b32_e32 v57, v48
	v_pk_add_f32 v[48:49], v[58:59], v[56:57] neg_lo:[0,1] neg_hi:[0,1]
	v_add_f32_e32 v49, v64, v49
	v_add_f32_e32 v48, v48, v49
	;; [unrolled: 1-line block ×3, first 2 shown]
	v_mul_f32_e32 v64, v63, v49
	v_mul_f32_e32 v54, v61, v64
	v_fma_f32 v56, v64, v61, -v54
	v_fmac_f32_e32 v56, v64, v62
	v_sub_f32_e32 v55, v55, v49
	v_add_f32_e32 v61, v48, v55
	v_add_f32_e32 v48, v54, v56
	v_sub_f32_e32 v55, v49, v48
	v_pk_add_f32 v[58:59], v[48:49], v[54:55] neg_lo:[0,1] neg_hi:[0,1]
	v_mov_b32_e32 v57, v48
	v_pk_add_f32 v[48:49], v[58:59], v[56:57] neg_lo:[0,1] neg_hi:[0,1]
	v_add_f32_e32 v49, v61, v49
	v_add_f32_e32 v48, v48, v49
	;; [unrolled: 1-line block ×4, first 2 shown]
	v_sub_f32_e32 v49, v55, v65
	v_mul_f32_e32 v48, v63, v48
	v_sub_f32_e32 v49, v64, v49
	v_add_f32_e32 v48, v49, v48
	v_add_f32_e32 v56, v55, v48
	v_mul_f32_e32 v58, v56, v56
	v_mov_b32_e32 v54, 0x3ecc95a3
	v_fmac_f32_e32 v54, 0x3e9b6dac, v58
	v_mov_b32_e32 v49, 0x3f2aaada
	v_fmac_f32_e32 v49, v58, v54
	v_cvt_f32_i32_e32 v54, v60
	v_sub_f32_e32 v55, v56, v55
	v_sub_f32_e32 v48, v48, v55
	v_ldexp_f32 v59, v48, 1
	v_mul_f32_e32 v55, v56, v58
	v_mov_b32_e32 v48, 0x3f317218
	s_mov_b32 s2, 0x3f317218
	v_pk_mul_f32 v[48:49], v[54:55], v[48:49]
	v_ldexp_f32 v57, v56, 1
	v_fma_f32 v56, v54, s2, -v48
	v_fmac_f32_e32 v56, 0xb102e308, v54
	v_pk_add_f32 v[54:55], v[48:49], v[56:57]
	v_sub_f32_e32 v57, v55, v57
	v_sub_f32_e32 v57, v49, v57
	v_add_f32_e32 v59, v59, v57
	v_mov_b32_e32 v58, v48
	v_pk_add_f32 v[48:49], v[54:55], v[48:49] neg_lo:[0,1] neg_hi:[0,1]
	v_pk_add_f32 v[60:61], v[54:55], v[58:59]
	v_mov_b32_e32 v49, v61
	v_mov_b32_e32 v57, v54
	v_pk_add_f32 v[62:63], v[56:57], v[48:49] neg_lo:[0,1] neg_hi:[0,1]
	v_pk_add_f32 v[48:49], v[56:57], v[48:49]
	v_mov_b32_e32 v56, v49
	v_pk_add_f32 v[64:65], v[56:57], v[54:55] neg_lo:[0,1] neg_hi:[0,1]
	v_mov_b32_e32 v57, v64
	v_pk_add_f32 v[66:67], v[60:61], v[56:57] neg_lo:[0,1] neg_hi:[0,1]
	v_mov_b32_e32 v48, v61
	v_mov_b32_e32 v60, v55
	;; [unrolled: 1-line block ×4, first 2 shown]
	v_pk_add_f32 v[48:49], v[48:49], v[60:61] neg_lo:[0,1] neg_hi:[0,1]
	v_mov_b32_e32 v58, v59
	v_mov_b32_e32 v59, v54
	v_pk_add_f32 v[48:49], v[58:59], v[48:49] neg_lo:[0,1] neg_hi:[0,1]
	v_mov_b32_e32 v66, v62
	v_pk_add_f32 v[54:55], v[66:67], v[48:49]
	v_mov_b32_e32 v58, v55
	v_pk_add_f32 v[58:59], v[54:55], v[58:59]
	v_pk_add_f32 v[56:57], v[56:57], v[58:59]
	v_mov_b32_e32 v55, v56
	v_pk_add_f32 v[60:61], v[54:55], v[62:63] neg_lo:[0,1] neg_hi:[0,1]
	v_mov_b32_e32 v49, v58
	v_sub_f32_e32 v54, v54, v60
	v_pk_add_f32 v[48:49], v[48:49], v[60:61] neg_lo:[0,1] neg_hi:[0,1]
	v_sub_f32_e32 v54, v62, v54
	s_mov_b32 s3, 0x7f800000
	v_add_f32_e32 v48, v48, v54
	s_mov_b32 s2, 0x33800000
	v_add_f32_e32 v48, v48, v49
	v_cmp_eq_f32_e64 s[90:91], s3, v68
	v_cmp_lt_f32_e64 s[92:93], |v68|, s2
	v_add_f32_e32 v48, v56, v48
	s_or_b64 s[90:91], s[90:91], s[92:93]
	v_cndmask_b32_e64 v48, v48, v68, s[90:91]
	v_add_f32_e32 v48, v45, v48
.LBB482_92:
	s_or_b64 exec, exec, s[0:1]
	v_bfe_u32 v45, v48, 16, 1
	s_movk_i32 vcc_lo, 0x7fff
	v_add3_u32 v45, v48, v45, vcc_lo
	v_and_b32_e32 v45, 0xffff0000, v45
	v_mov_b32_e32 v49, 0x7fc00000
	v_cmp_o_f32_e64 s[90:91], v48, v48
	v_cndmask_b32_e64 v55, v49, v45, s[90:91]
	v_lshlrev_b32_e32 v45, 16, v9
	v_max_f32_e32 v54, v55, v55
	v_max_f32_e32 v48, v45, v45
	v_min_f32_e32 v56, v54, v48
	v_cmp_u_f32_e64 s[92:93], v55, v55
	v_max_f32_e32 v54, v54, v48
	v_cndmask_b32_e64 v56, v56, v55, s[92:93]
	v_cmp_u_f32_e64 s[90:91], v45, v45
	v_cndmask_b32_e64 v54, v54, v55, s[92:93]
	v_cndmask_b32_e64 v56, v56, v45, s[90:91]
	;; [unrolled: 1-line block ×3, first 2 shown]
	v_cmp_neq_f32_e64 s[92:93], v56, v54
	v_cmp_class_f32_e64 s[0:1], v56, s33
	s_or_b64 s[92:93], s[92:93], s[0:1]
	s_and_saveexec_b64 s[0:1], s[92:93]
	s_cbranch_execz .LBB482_94
; %bb.93:
	v_sub_f32_e32 v55, v56, v54
	s_mov_b32 s2, 0x3fb8aa3b
	v_mul_f32_e32 v56, 0x3fb8aa3b, v55
	v_fma_f32 v57, v55, s2, -v56
	v_rndne_f32_e32 v58, v56
	v_fmac_f32_e32 v57, 0x32a5705f, v55
	v_sub_f32_e32 v56, v56, v58
	v_add_f32_e32 v56, v56, v57
	v_exp_f32_e32 v56, v56
	v_cvt_i32_f32_e32 v57, v58
	s_mov_b32 s2, 0xc2ce8ed0
	v_cmp_ngt_f32_e64 s[92:93], s2, v55
	s_mov_b32 s2, 0x42b17218
	v_ldexp_f32 v56, v56, v57
	v_cndmask_b32_e64 v56, 0, v56, s[92:93]
	v_mov_b32_e32 v57, 0x7f800000
	v_cmp_nlt_f32_e64 s[92:93], s2, v55
	v_cndmask_b32_e64 v72, v57, v56, s[92:93]
	v_add_f32_e32 v55, 1.0, v72
	v_add_f32_e32 v56, -1.0, v55
	v_sub_f32_e32 v57, v56, v55
	v_add_f32_e32 v57, 1.0, v57
	v_sub_f32_e32 v56, v72, v56
	v_add_f32_e32 v58, v56, v57
	v_frexp_mant_f32_e32 v59, v55
	s_mov_b32 s2, 0x3f2aaaab
	v_cvt_f64_f32_e32 v[56:57], v55
	v_frexp_exp_i32_f64_e32 v56, v[56:57]
	v_cmp_gt_f32_e64 s[92:93], s2, v59
	v_subbrev_co_u32_e64 v64, s[92:93], 0, v56, s[92:93]
	v_sub_u32_e32 v56, 0, v64
	v_ldexp_f32 v55, v55, v56
	v_ldexp_f32 v56, v58, v56
	v_add_f32_e32 v58, -1.0, v55
	v_add_f32_e32 v57, 1.0, v58
	v_sub_f32_e32 v57, v55, v57
	v_add_f32_e32 v59, v56, v57
	v_add_f32_e32 v57, 1.0, v55
	v_add_f32_e32 v60, -1.0, v57
	v_sub_f32_e32 v55, v55, v60
	v_add_f32_e32 v55, v56, v55
	v_add_f32_e32 v65, v57, v55
	v_rcp_f32_e32 v66, v65
	v_sub_f32_e32 v56, v57, v65
	v_add_f32_e32 v57, v58, v59
	v_add_f32_e32 v55, v55, v56
	v_mul_f32_e32 v68, v57, v66
	v_sub_f32_e32 v56, v58, v57
	v_mul_f32_e32 v58, v65, v68
	v_fma_f32 v60, v68, v65, -v58
	v_fmac_f32_e32 v60, v68, v55
	v_add_f32_e32 v67, v59, v56
	v_add_f32_e32 v56, v58, v60
	v_sub_f32_e32 v59, v57, v56
	v_pk_add_f32 v[62:63], v[56:57], v[58:59] neg_lo:[0,1] neg_hi:[0,1]
	v_mov_b32_e32 v61, v56
	v_pk_add_f32 v[56:57], v[62:63], v[60:61] neg_lo:[0,1] neg_hi:[0,1]
	v_add_f32_e32 v57, v67, v57
	v_add_f32_e32 v56, v56, v57
	v_add_f32_e32 v57, v59, v56
	v_mul_f32_e32 v67, v66, v57
	v_mul_f32_e32 v58, v65, v67
	v_fma_f32 v60, v67, v65, -v58
	v_fmac_f32_e32 v60, v67, v55
	v_sub_f32_e32 v55, v59, v57
	v_add_f32_e32 v55, v56, v55
	v_add_f32_e32 v56, v58, v60
	v_sub_f32_e32 v59, v57, v56
	v_pk_add_f32 v[62:63], v[56:57], v[58:59] neg_lo:[0,1] neg_hi:[0,1]
	v_mov_b32_e32 v61, v56
	v_pk_add_f32 v[56:57], v[62:63], v[60:61] neg_lo:[0,1] neg_hi:[0,1]
	v_add_f32_e32 v55, v55, v57
	v_add_f32_e32 v55, v56, v55
	;; [unrolled: 1-line block ×4, first 2 shown]
	v_sub_f32_e32 v57, v56, v68
	v_mul_f32_e32 v55, v66, v55
	v_sub_f32_e32 v57, v67, v57
	v_add_f32_e32 v55, v57, v55
	v_add_f32_e32 v59, v56, v55
	v_mul_f32_e32 v60, v59, v59
	v_mov_b32_e32 v58, 0x3ecc95a3
	v_fmac_f32_e32 v58, 0x3e9b6dac, v60
	v_mov_b32_e32 v57, 0x3f2aaada
	v_fmac_f32_e32 v57, v60, v58
	v_cvt_f32_i32_e32 v58, v64
	v_sub_f32_e32 v56, v59, v56
	v_sub_f32_e32 v55, v55, v56
	v_ldexp_f32 v61, v59, 1
	v_mul_f32_e32 v59, v59, v60
	v_mov_b32_e32 v56, 0x3f317218
	s_mov_b32 s2, 0x3f317218
	v_pk_mul_f32 v[56:57], v[58:59], v[56:57]
	v_fma_f32 v60, v58, s2, -v56
	v_fmac_f32_e32 v60, 0xb102e308, v58
	v_pk_add_f32 v[58:59], v[56:57], v[60:61]
	v_sub_f32_e32 v61, v59, v61
	v_ldexp_f32 v55, v55, 1
	v_sub_f32_e32 v61, v57, v61
	v_add_f32_e32 v63, v55, v61
	v_mov_b32_e32 v62, v56
	v_pk_add_f32 v[56:57], v[58:59], v[56:57] neg_lo:[0,1] neg_hi:[0,1]
	v_pk_add_f32 v[64:65], v[58:59], v[62:63]
	v_mov_b32_e32 v57, v65
	v_mov_b32_e32 v61, v58
	v_pk_add_f32 v[66:67], v[60:61], v[56:57] neg_lo:[0,1] neg_hi:[0,1]
	v_pk_add_f32 v[56:57], v[60:61], v[56:57]
	v_mov_b32_e32 v60, v57
	v_pk_add_f32 v[68:69], v[60:61], v[58:59] neg_lo:[0,1] neg_hi:[0,1]
	v_mov_b32_e32 v55, v68
	v_pk_add_f32 v[70:71], v[64:65], v[54:55] neg_lo:[0,1] neg_hi:[0,1]
	v_mov_b32_e32 v56, v65
	v_mov_b32_e32 v64, v59
	;; [unrolled: 1-line block ×4, first 2 shown]
	v_pk_add_f32 v[56:57], v[56:57], v[64:65] neg_lo:[0,1] neg_hi:[0,1]
	v_mov_b32_e32 v62, v63
	v_mov_b32_e32 v63, v58
	v_pk_add_f32 v[56:57], v[62:63], v[56:57] neg_lo:[0,1] neg_hi:[0,1]
	v_mov_b32_e32 v70, v66
	v_pk_add_f32 v[58:59], v[70:71], v[56:57]
	v_mov_b32_e32 v62, v59
	v_pk_add_f32 v[62:63], v[58:59], v[62:63]
	v_pk_add_f32 v[60:61], v[60:61], v[62:63]
	v_mov_b32_e32 v59, v60
	v_pk_add_f32 v[64:65], v[58:59], v[66:67] neg_lo:[0,1] neg_hi:[0,1]
	v_mov_b32_e32 v57, v62
	v_sub_f32_e32 v55, v58, v64
	v_pk_add_f32 v[56:57], v[56:57], v[64:65] neg_lo:[0,1] neg_hi:[0,1]
	v_sub_f32_e32 v55, v66, v55
	s_mov_b32 s3, 0x7f800000
	v_add_f32_e32 v55, v56, v55
	s_mov_b32 s2, 0x33800000
	v_add_f32_e32 v55, v55, v57
	v_cmp_eq_f32_e64 s[92:93], s3, v72
	v_cmp_lt_f32_e64 s[2:3], |v72|, s2
	v_add_f32_e32 v55, v60, v55
	s_or_b64 s[92:93], s[92:93], s[2:3]
	v_cndmask_b32_e64 v55, v55, v72, s[92:93]
	v_add_f32_e32 v55, v54, v55
.LBB482_94:
	s_or_b64 exec, exec, s[0:1]
	v_bfe_u32 v54, v55, 16, 1
	v_add3_u32 v54, v55, v54, vcc_lo
	v_and_b32_e32 v54, 0xffff0000, v54
	v_cmp_o_f32_e64 s[92:93], v55, v55
	v_cndmask_b32_e64 v55, v49, v54, s[92:93]
	v_and_b32_e32 v9, 0xffff0000, v9
	v_max_f32_e32 v54, v55, v55
	v_max_f32_e32 v49, v9, v9
	v_min_f32_e32 v56, v54, v49
	v_cmp_u_f32_e32 vcc, v55, v55
	v_max_f32_e32 v54, v54, v49
	v_cndmask_b32_e32 v56, v56, v55, vcc
	v_cmp_u_f32_e64 s[92:93], v9, v9
	v_cndmask_b32_e32 v54, v54, v55, vcc
	v_cndmask_b32_e64 v56, v56, v9, s[92:93]
	v_cndmask_b32_e64 v54, v54, v9, s[92:93]
	s_movk_i32 s0, 0x1f8
	v_cmp_neq_f32_e32 vcc, v56, v54
	v_cmp_class_f32_e64 s[0:1], v56, s0
	s_or_b64 s[2:3], vcc, s[0:1]
	s_and_saveexec_b64 s[0:1], s[2:3]
	s_cbranch_execz .LBB482_96
; %bb.95:
	v_sub_f32_e32 v55, v56, v54
	s_mov_b32 s2, 0x3fb8aa3b
	v_mul_f32_e32 v56, 0x3fb8aa3b, v55
	v_fma_f32 v57, v55, s2, -v56
	v_rndne_f32_e32 v58, v56
	v_fmac_f32_e32 v57, 0x32a5705f, v55
	v_sub_f32_e32 v56, v56, v58
	v_add_f32_e32 v56, v56, v57
	v_exp_f32_e32 v56, v56
	v_cvt_i32_f32_e32 v57, v58
	s_mov_b32 s2, 0xc2ce8ed0
	v_cmp_ngt_f32_e32 vcc, s2, v55
	s_mov_b32 s2, 0x42b17218
	v_ldexp_f32 v56, v56, v57
	v_cndmask_b32_e32 v56, 0, v56, vcc
	v_mov_b32_e32 v57, 0x7f800000
	v_cmp_nlt_f32_e32 vcc, s2, v55
	v_cndmask_b32_e32 v72, v57, v56, vcc
	v_add_f32_e32 v55, 1.0, v72
	v_add_f32_e32 v56, -1.0, v55
	v_sub_f32_e32 v57, v56, v55
	v_add_f32_e32 v57, 1.0, v57
	v_sub_f32_e32 v56, v72, v56
	v_add_f32_e32 v58, v56, v57
	v_frexp_mant_f32_e32 v59, v55
	s_mov_b32 s2, 0x3f2aaaab
	v_cvt_f64_f32_e32 v[56:57], v55
	v_frexp_exp_i32_f64_e32 v56, v[56:57]
	v_cmp_gt_f32_e32 vcc, s2, v59
	v_subbrev_co_u32_e32 v64, vcc, 0, v56, vcc
	v_sub_u32_e32 v56, 0, v64
	v_ldexp_f32 v55, v55, v56
	v_ldexp_f32 v56, v58, v56
	v_add_f32_e32 v58, -1.0, v55
	v_add_f32_e32 v57, 1.0, v58
	v_sub_f32_e32 v57, v55, v57
	v_add_f32_e32 v59, v56, v57
	v_add_f32_e32 v57, 1.0, v55
	v_add_f32_e32 v60, -1.0, v57
	v_sub_f32_e32 v55, v55, v60
	v_add_f32_e32 v55, v56, v55
	v_add_f32_e32 v65, v57, v55
	v_rcp_f32_e32 v66, v65
	v_sub_f32_e32 v56, v57, v65
	v_add_f32_e32 v57, v58, v59
	v_add_f32_e32 v55, v55, v56
	v_mul_f32_e32 v68, v57, v66
	v_sub_f32_e32 v56, v58, v57
	v_mul_f32_e32 v58, v65, v68
	v_fma_f32 v60, v68, v65, -v58
	v_fmac_f32_e32 v60, v68, v55
	v_add_f32_e32 v67, v59, v56
	v_add_f32_e32 v56, v58, v60
	v_sub_f32_e32 v59, v57, v56
	v_pk_add_f32 v[62:63], v[56:57], v[58:59] neg_lo:[0,1] neg_hi:[0,1]
	v_mov_b32_e32 v61, v56
	v_pk_add_f32 v[56:57], v[62:63], v[60:61] neg_lo:[0,1] neg_hi:[0,1]
	v_add_f32_e32 v57, v67, v57
	v_add_f32_e32 v56, v56, v57
	;; [unrolled: 1-line block ×3, first 2 shown]
	v_mul_f32_e32 v67, v66, v57
	v_mul_f32_e32 v58, v65, v67
	v_fma_f32 v60, v67, v65, -v58
	v_fmac_f32_e32 v60, v67, v55
	v_sub_f32_e32 v55, v59, v57
	v_add_f32_e32 v55, v56, v55
	v_add_f32_e32 v56, v58, v60
	v_sub_f32_e32 v59, v57, v56
	v_pk_add_f32 v[62:63], v[56:57], v[58:59] neg_lo:[0,1] neg_hi:[0,1]
	v_mov_b32_e32 v61, v56
	v_pk_add_f32 v[56:57], v[62:63], v[60:61] neg_lo:[0,1] neg_hi:[0,1]
	v_add_f32_e32 v55, v55, v57
	v_add_f32_e32 v55, v56, v55
	;; [unrolled: 1-line block ×4, first 2 shown]
	v_sub_f32_e32 v57, v56, v68
	v_mul_f32_e32 v55, v66, v55
	v_sub_f32_e32 v57, v67, v57
	v_add_f32_e32 v55, v57, v55
	v_add_f32_e32 v59, v56, v55
	v_mul_f32_e32 v60, v59, v59
	v_mov_b32_e32 v58, 0x3ecc95a3
	v_fmac_f32_e32 v58, 0x3e9b6dac, v60
	v_mov_b32_e32 v57, 0x3f2aaada
	v_fmac_f32_e32 v57, v60, v58
	v_cvt_f32_i32_e32 v58, v64
	v_sub_f32_e32 v56, v59, v56
	v_sub_f32_e32 v55, v55, v56
	v_ldexp_f32 v61, v59, 1
	v_mul_f32_e32 v59, v59, v60
	v_mov_b32_e32 v56, 0x3f317218
	s_mov_b32 s2, 0x3f317218
	v_pk_mul_f32 v[56:57], v[58:59], v[56:57]
	v_fma_f32 v60, v58, s2, -v56
	v_fmac_f32_e32 v60, 0xb102e308, v58
	v_pk_add_f32 v[58:59], v[56:57], v[60:61]
	v_sub_f32_e32 v61, v59, v61
	v_ldexp_f32 v55, v55, 1
	v_sub_f32_e32 v61, v57, v61
	v_add_f32_e32 v63, v55, v61
	v_mov_b32_e32 v62, v56
	v_pk_add_f32 v[56:57], v[58:59], v[56:57] neg_lo:[0,1] neg_hi:[0,1]
	v_pk_add_f32 v[64:65], v[58:59], v[62:63]
	v_mov_b32_e32 v57, v65
	v_mov_b32_e32 v61, v58
	v_pk_add_f32 v[66:67], v[60:61], v[56:57] neg_lo:[0,1] neg_hi:[0,1]
	v_pk_add_f32 v[56:57], v[60:61], v[56:57]
	v_mov_b32_e32 v60, v57
	v_pk_add_f32 v[68:69], v[60:61], v[58:59] neg_lo:[0,1] neg_hi:[0,1]
	v_mov_b32_e32 v55, v68
	v_pk_add_f32 v[70:71], v[64:65], v[54:55] neg_lo:[0,1] neg_hi:[0,1]
	v_mov_b32_e32 v56, v65
	v_mov_b32_e32 v64, v59
	;; [unrolled: 1-line block ×4, first 2 shown]
	v_pk_add_f32 v[56:57], v[56:57], v[64:65] neg_lo:[0,1] neg_hi:[0,1]
	v_mov_b32_e32 v62, v63
	v_mov_b32_e32 v63, v58
	v_pk_add_f32 v[56:57], v[62:63], v[56:57] neg_lo:[0,1] neg_hi:[0,1]
	v_mov_b32_e32 v70, v66
	v_pk_add_f32 v[58:59], v[70:71], v[56:57]
	v_mov_b32_e32 v62, v59
	v_pk_add_f32 v[62:63], v[58:59], v[62:63]
	v_pk_add_f32 v[60:61], v[60:61], v[62:63]
	v_mov_b32_e32 v59, v60
	v_pk_add_f32 v[64:65], v[58:59], v[66:67] neg_lo:[0,1] neg_hi:[0,1]
	v_mov_b32_e32 v57, v62
	v_sub_f32_e32 v55, v58, v64
	v_pk_add_f32 v[56:57], v[56:57], v[64:65] neg_lo:[0,1] neg_hi:[0,1]
	v_sub_f32_e32 v55, v66, v55
	s_mov_b32 s3, 0x7f800000
	v_add_f32_e32 v55, v56, v55
	s_mov_b32 s2, 0x33800000
	v_add_f32_e32 v55, v55, v57
	v_cmp_eq_f32_e32 vcc, s3, v72
	v_cmp_lt_f32_e64 s[2:3], |v72|, s2
	v_add_f32_e32 v55, v60, v55
	s_or_b64 vcc, vcc, s[2:3]
	v_cndmask_b32_e32 v55, v55, v72, vcc
	v_add_f32_e32 v55, v54, v55
.LBB482_96:
	s_or_b64 exec, exec, s[0:1]
	s_load_dwordx2 s[0:1], s[4:5], 0x18
	v_bfe_u32 v54, v55, 16, 1
	v_mov_b32_e32 v56, 0x7fc0
	v_cmp_o_f32_e32 vcc, v55, v55
	s_waitcnt lgkmcnt(0)
	v_writelane_b32 v75, s0, 8
	v_writelane_b32 v75, s1, 9
	s_movk_i32 s0, 0x7fff
	v_add3_u32 v54, v55, v54, s0
	v_lshrrev_b32_e32 v54, 16, v54
	v_cndmask_b32_e32 v57, v56, v54, vcc
	v_mbcnt_lo_u32_b32 v54, -1, 0
	v_mbcnt_hi_u32_b32 v55, -1, v54
	v_and_b32_e32 v56, 15, v55
	v_and_b32_e32 v58, 0xffff, v57
	v_cmp_ne_u32_e32 vcc, 0, v56
	s_nop 0
	v_mov_b32_dpp v54, v58 row_shr:1 row_mask:0xf bank_mask:0xf
	s_and_saveexec_b64 s[0:1], vcc
	s_cbranch_execz .LBB482_100
; %bb.97:
	v_lshlrev_b32_e32 v57, 16, v54
	v_lshlrev_b32_e32 v54, 16, v58
	v_max_f32_e32 v59, v54, v54
	v_max_f32_e32 v60, v57, v57
	v_min_f32_e32 v58, v60, v59
	v_cmp_u_f32_e32 vcc, v57, v57
	v_max_f32_e32 v59, v60, v59
	v_cndmask_b32_e32 v58, v58, v57, vcc
	v_cmp_u_f32_e64 s[4:5], v54, v54
	v_cndmask_b32_e32 v59, v59, v57, vcc
	v_cndmask_b32_e64 v58, v58, v54, s[4:5]
	v_cndmask_b32_e64 v54, v59, v54, s[4:5]
	s_movk_i32 s2, 0x1f8
	v_cmp_neq_f32_e32 vcc, v58, v54
	v_cmp_class_f32_e64 s[2:3], v58, s2
	s_or_b64 s[2:3], vcc, s[2:3]
	s_and_saveexec_b64 s[4:5], s[2:3]
	s_cbranch_execz .LBB482_99
; %bb.98:
	v_sub_f32_e32 v57, v58, v54
	s_mov_b32 s2, 0x3fb8aa3b
	v_mul_f32_e32 v58, 0x3fb8aa3b, v57
	v_fma_f32 v59, v57, s2, -v58
	v_rndne_f32_e32 v60, v58
	v_fmac_f32_e32 v59, 0x32a5705f, v57
	v_sub_f32_e32 v58, v58, v60
	v_add_f32_e32 v58, v58, v59
	v_exp_f32_e32 v58, v58
	v_cvt_i32_f32_e32 v59, v60
	s_mov_b32 s2, 0xc2ce8ed0
	v_cmp_ngt_f32_e32 vcc, s2, v57
	s_mov_b32 s2, 0x42b17218
	v_ldexp_f32 v58, v58, v59
	v_cndmask_b32_e32 v58, 0, v58, vcc
	v_mov_b32_e32 v59, 0x7f800000
	v_cmp_nlt_f32_e32 vcc, s2, v57
	v_cndmask_b32_e32 v74, v59, v58, vcc
	v_add_f32_e32 v57, 1.0, v74
	v_add_f32_e32 v58, -1.0, v57
	v_sub_f32_e32 v59, v58, v57
	v_add_f32_e32 v59, 1.0, v59
	v_sub_f32_e32 v58, v74, v58
	v_add_f32_e32 v60, v58, v59
	v_frexp_mant_f32_e32 v61, v57
	s_mov_b32 s2, 0x3f2aaaab
	v_cvt_f64_f32_e32 v[58:59], v57
	v_frexp_exp_i32_f64_e32 v58, v[58:59]
	v_cmp_gt_f32_e32 vcc, s2, v61
	v_subbrev_co_u32_e32 v66, vcc, 0, v58, vcc
	v_sub_u32_e32 v58, 0, v66
	v_ldexp_f32 v57, v57, v58
	v_ldexp_f32 v58, v60, v58
	v_add_f32_e32 v60, -1.0, v57
	v_add_f32_e32 v59, 1.0, v60
	v_sub_f32_e32 v59, v57, v59
	v_add_f32_e32 v61, v58, v59
	v_add_f32_e32 v59, 1.0, v57
	v_add_f32_e32 v62, -1.0, v59
	v_sub_f32_e32 v57, v57, v62
	v_add_f32_e32 v57, v58, v57
	v_add_f32_e32 v67, v59, v57
	v_rcp_f32_e32 v68, v67
	v_sub_f32_e32 v58, v59, v67
	v_add_f32_e32 v59, v60, v61
	v_add_f32_e32 v57, v57, v58
	v_mul_f32_e32 v70, v59, v68
	v_sub_f32_e32 v58, v60, v59
	v_mul_f32_e32 v60, v67, v70
	v_fma_f32 v62, v70, v67, -v60
	v_fmac_f32_e32 v62, v70, v57
	v_add_f32_e32 v69, v61, v58
	v_add_f32_e32 v58, v60, v62
	v_sub_f32_e32 v61, v59, v58
	v_pk_add_f32 v[64:65], v[58:59], v[60:61] neg_lo:[0,1] neg_hi:[0,1]
	v_mov_b32_e32 v63, v58
	v_pk_add_f32 v[58:59], v[64:65], v[62:63] neg_lo:[0,1] neg_hi:[0,1]
	v_add_f32_e32 v59, v69, v59
	v_add_f32_e32 v58, v58, v59
	;; [unrolled: 1-line block ×3, first 2 shown]
	v_mul_f32_e32 v69, v68, v59
	v_mul_f32_e32 v60, v67, v69
	v_fma_f32 v62, v69, v67, -v60
	v_fmac_f32_e32 v62, v69, v57
	v_sub_f32_e32 v57, v61, v59
	v_add_f32_e32 v57, v58, v57
	v_add_f32_e32 v58, v60, v62
	v_sub_f32_e32 v61, v59, v58
	v_pk_add_f32 v[64:65], v[58:59], v[60:61] neg_lo:[0,1] neg_hi:[0,1]
	v_mov_b32_e32 v63, v58
	v_pk_add_f32 v[58:59], v[64:65], v[62:63] neg_lo:[0,1] neg_hi:[0,1]
	v_add_f32_e32 v57, v57, v59
	v_add_f32_e32 v57, v58, v57
	;; [unrolled: 1-line block ×4, first 2 shown]
	v_sub_f32_e32 v59, v58, v70
	v_mul_f32_e32 v57, v68, v57
	v_sub_f32_e32 v59, v69, v59
	v_add_f32_e32 v57, v59, v57
	v_add_f32_e32 v61, v58, v57
	v_mul_f32_e32 v62, v61, v61
	v_mov_b32_e32 v60, 0x3ecc95a3
	v_fmac_f32_e32 v60, 0x3e9b6dac, v62
	v_mov_b32_e32 v59, 0x3f2aaada
	v_fmac_f32_e32 v59, v62, v60
	v_cvt_f32_i32_e32 v60, v66
	v_sub_f32_e32 v58, v61, v58
	v_sub_f32_e32 v57, v57, v58
	v_ldexp_f32 v63, v61, 1
	v_mul_f32_e32 v61, v61, v62
	v_mov_b32_e32 v58, 0x3f317218
	s_mov_b32 s2, 0x3f317218
	v_pk_mul_f32 v[58:59], v[60:61], v[58:59]
	v_fma_f32 v62, v60, s2, -v58
	v_fmac_f32_e32 v62, 0xb102e308, v60
	v_pk_add_f32 v[60:61], v[58:59], v[62:63]
	v_sub_f32_e32 v63, v61, v63
	v_ldexp_f32 v57, v57, 1
	v_sub_f32_e32 v63, v59, v63
	v_add_f32_e32 v65, v57, v63
	v_mov_b32_e32 v64, v58
	v_pk_add_f32 v[58:59], v[60:61], v[58:59] neg_lo:[0,1] neg_hi:[0,1]
	v_pk_add_f32 v[66:67], v[60:61], v[64:65]
	v_mov_b32_e32 v59, v67
	v_mov_b32_e32 v63, v60
	v_pk_add_f32 v[68:69], v[62:63], v[58:59] neg_lo:[0,1] neg_hi:[0,1]
	v_pk_add_f32 v[58:59], v[62:63], v[58:59]
	v_mov_b32_e32 v62, v59
	v_pk_add_f32 v[70:71], v[62:63], v[60:61] neg_lo:[0,1] neg_hi:[0,1]
	v_mov_b32_e32 v57, v70
	v_pk_add_f32 v[72:73], v[66:67], v[56:57] neg_lo:[0,1] neg_hi:[0,1]
	v_mov_b32_e32 v58, v67
	v_mov_b32_e32 v66, v61
	;; [unrolled: 1-line block ×4, first 2 shown]
	v_pk_add_f32 v[58:59], v[58:59], v[66:67] neg_lo:[0,1] neg_hi:[0,1]
	v_mov_b32_e32 v64, v65
	v_mov_b32_e32 v65, v60
	v_pk_add_f32 v[58:59], v[64:65], v[58:59] neg_lo:[0,1] neg_hi:[0,1]
	v_mov_b32_e32 v72, v68
	v_pk_add_f32 v[60:61], v[72:73], v[58:59]
	v_mov_b32_e32 v64, v61
	v_pk_add_f32 v[64:65], v[60:61], v[64:65]
	v_pk_add_f32 v[62:63], v[62:63], v[64:65]
	v_mov_b32_e32 v61, v62
	v_pk_add_f32 v[66:67], v[60:61], v[68:69] neg_lo:[0,1] neg_hi:[0,1]
	v_mov_b32_e32 v59, v64
	v_sub_f32_e32 v57, v60, v66
	v_pk_add_f32 v[58:59], v[58:59], v[66:67] neg_lo:[0,1] neg_hi:[0,1]
	v_sub_f32_e32 v57, v68, v57
	s_mov_b32 s3, 0x7f800000
	v_add_f32_e32 v57, v58, v57
	s_mov_b32 s2, 0x33800000
	v_add_f32_e32 v57, v57, v59
	v_cmp_eq_f32_e32 vcc, s3, v74
	v_cmp_lt_f32_e64 s[2:3], |v74|, s2
	v_add_f32_e32 v57, v62, v57
	s_or_b64 vcc, vcc, s[2:3]
	v_cndmask_b32_e32 v57, v57, v74, vcc
	v_add_f32_e32 v57, v54, v57
.LBB482_99:
	s_or_b64 exec, exec, s[4:5]
	v_bfe_u32 v54, v57, 16, 1
	s_movk_i32 s2, 0x7fff
	v_add3_u32 v54, v57, v54, s2
	v_lshrrev_b32_e32 v54, 16, v54
	v_mov_b32_e32 v58, 0x7fc0
	v_cmp_o_f32_e32 vcc, v57, v57
	v_cndmask_b32_e32 v57, v58, v54, vcc
	v_and_b32_e32 v58, 0xffff, v57
.LBB482_100:
	s_or_b64 exec, exec, s[0:1]
	v_mul_u32_u24_e32 v54, 46, v0
	v_mov_b32_dpp v59, v58 row_shr:2 row_mask:0xf bank_mask:0xf
	v_cmp_lt_u32_e32 vcc, 1, v56
	s_and_saveexec_b64 s[0:1], vcc
	s_cbranch_execz .LBB482_104
; %bb.101:
	v_lshlrev_b32_e32 v59, 16, v59
	v_lshlrev_b32_e32 v57, 16, v58
	v_max_f32_e32 v60, v57, v57
	v_max_f32_e32 v61, v59, v59
	v_min_f32_e32 v58, v61, v60
	v_cmp_u_f32_e32 vcc, v59, v59
	v_max_f32_e32 v60, v61, v60
	v_cndmask_b32_e32 v58, v58, v59, vcc
	v_cmp_u_f32_e64 s[4:5], v57, v57
	v_cndmask_b32_e32 v60, v60, v59, vcc
	v_cndmask_b32_e64 v58, v58, v57, s[4:5]
	v_cndmask_b32_e64 v57, v60, v57, s[4:5]
	s_movk_i32 s2, 0x1f8
	v_cmp_neq_f32_e32 vcc, v58, v57
	v_cmp_class_f32_e64 s[2:3], v58, s2
	s_or_b64 s[2:3], vcc, s[2:3]
	s_and_saveexec_b64 s[4:5], s[2:3]
	s_cbranch_execz .LBB482_103
; %bb.102:
	v_sub_f32_e32 v58, v58, v57
	s_mov_b32 s2, 0x3fb8aa3b
	v_mul_f32_e32 v59, 0x3fb8aa3b, v58
	v_fma_f32 v60, v58, s2, -v59
	v_rndne_f32_e32 v61, v59
	v_fmac_f32_e32 v60, 0x32a5705f, v58
	v_sub_f32_e32 v59, v59, v61
	v_add_f32_e32 v59, v59, v60
	v_exp_f32_e32 v59, v59
	v_cvt_i32_f32_e32 v60, v61
	s_mov_b32 s2, 0xc2ce8ed0
	v_cmp_ngt_f32_e32 vcc, s2, v58
	s_mov_b32 s2, 0x42b17218
	v_ldexp_f32 v59, v59, v60
	v_cndmask_b32_e32 v59, 0, v59, vcc
	v_mov_b32_e32 v60, 0x7f800000
	v_cmp_nlt_f32_e32 vcc, s2, v58
	v_cndmask_b32_e32 v74, v60, v59, vcc
	v_add_f32_e32 v60, 1.0, v74
	v_add_f32_e32 v58, -1.0, v60
	v_sub_f32_e32 v59, v58, v60
	v_add_f32_e32 v59, 1.0, v59
	v_sub_f32_e32 v58, v74, v58
	v_add_f32_e32 v61, v58, v59
	v_frexp_mant_f32_e32 v62, v60
	s_mov_b32 s2, 0x3f2aaaab
	v_cvt_f64_f32_e32 v[58:59], v60
	v_frexp_exp_i32_f64_e32 v58, v[58:59]
	v_cmp_gt_f32_e32 vcc, s2, v62
	v_subbrev_co_u32_e32 v66, vcc, 0, v58, vcc
	v_sub_u32_e32 v58, 0, v66
	v_ldexp_f32 v59, v60, v58
	v_add_f32_e32 v60, -1.0, v59
	v_add_f32_e32 v62, 1.0, v59
	v_ldexp_f32 v58, v61, v58
	v_add_f32_e32 v61, 1.0, v60
	v_add_f32_e32 v63, -1.0, v62
	v_sub_f32_e32 v61, v59, v61
	v_sub_f32_e32 v59, v59, v63
	v_add_f32_e32 v61, v58, v61
	v_add_f32_e32 v58, v58, v59
	v_add_f32_e32 v67, v62, v58
	v_rcp_f32_e32 v69, v67
	v_sub_f32_e32 v59, v62, v67
	v_add_f32_e32 v68, v58, v59
	v_add_f32_e32 v59, v60, v61
	v_mul_f32_e32 v71, v59, v69
	v_sub_f32_e32 v58, v60, v59
	v_mul_f32_e32 v60, v67, v71
	v_fma_f32 v62, v71, v67, -v60
	v_fmac_f32_e32 v62, v71, v68
	v_add_f32_e32 v70, v61, v58
	v_add_f32_e32 v58, v60, v62
	v_sub_f32_e32 v61, v59, v58
	v_pk_add_f32 v[64:65], v[58:59], v[60:61] neg_lo:[0,1] neg_hi:[0,1]
	v_mov_b32_e32 v63, v58
	v_pk_add_f32 v[58:59], v[64:65], v[62:63] neg_lo:[0,1] neg_hi:[0,1]
	v_add_f32_e32 v59, v70, v59
	v_add_f32_e32 v58, v58, v59
	;; [unrolled: 1-line block ×3, first 2 shown]
	v_mul_f32_e32 v70, v69, v59
	v_mul_f32_e32 v60, v67, v70
	v_fma_f32 v62, v70, v67, -v60
	v_fmac_f32_e32 v62, v70, v68
	v_sub_f32_e32 v61, v61, v59
	v_add_f32_e32 v67, v58, v61
	v_add_f32_e32 v58, v60, v62
	v_sub_f32_e32 v61, v59, v58
	v_pk_add_f32 v[64:65], v[58:59], v[60:61] neg_lo:[0,1] neg_hi:[0,1]
	v_mov_b32_e32 v63, v58
	v_pk_add_f32 v[58:59], v[64:65], v[62:63] neg_lo:[0,1] neg_hi:[0,1]
	v_add_f32_e32 v59, v67, v59
	v_add_f32_e32 v58, v58, v59
	;; [unrolled: 1-line block ×4, first 2 shown]
	v_sub_f32_e32 v59, v61, v71
	v_mul_f32_e32 v58, v69, v58
	v_sub_f32_e32 v59, v70, v59
	v_add_f32_e32 v58, v59, v58
	v_add_f32_e32 v62, v61, v58
	v_mul_f32_e32 v64, v62, v62
	v_mov_b32_e32 v60, 0x3ecc95a3
	v_fmac_f32_e32 v60, 0x3e9b6dac, v64
	v_mov_b32_e32 v59, 0x3f2aaada
	v_fmac_f32_e32 v59, v64, v60
	v_cvt_f32_i32_e32 v60, v66
	v_sub_f32_e32 v61, v62, v61
	v_sub_f32_e32 v58, v58, v61
	v_ldexp_f32 v65, v58, 1
	v_mul_f32_e32 v61, v62, v64
	v_mov_b32_e32 v58, 0x3f317218
	s_mov_b32 s2, 0x3f317218
	v_pk_mul_f32 v[58:59], v[60:61], v[58:59]
	v_ldexp_f32 v63, v62, 1
	v_fma_f32 v62, v60, s2, -v58
	v_fmac_f32_e32 v62, 0xb102e308, v60
	v_pk_add_f32 v[60:61], v[58:59], v[62:63]
	v_sub_f32_e32 v63, v61, v63
	v_sub_f32_e32 v63, v59, v63
	v_add_f32_e32 v65, v65, v63
	v_mov_b32_e32 v64, v58
	v_pk_add_f32 v[58:59], v[60:61], v[58:59] neg_lo:[0,1] neg_hi:[0,1]
	v_pk_add_f32 v[66:67], v[60:61], v[64:65]
	v_mov_b32_e32 v59, v67
	v_mov_b32_e32 v63, v60
	v_pk_add_f32 v[68:69], v[62:63], v[58:59] neg_lo:[0,1] neg_hi:[0,1]
	v_pk_add_f32 v[58:59], v[62:63], v[58:59]
	v_mov_b32_e32 v62, v59
	v_pk_add_f32 v[70:71], v[62:63], v[60:61] neg_lo:[0,1] neg_hi:[0,1]
	v_mov_b32_e32 v63, v70
	v_pk_add_f32 v[72:73], v[66:67], v[62:63] neg_lo:[0,1] neg_hi:[0,1]
	v_mov_b32_e32 v58, v67
	v_mov_b32_e32 v66, v61
	;; [unrolled: 1-line block ×4, first 2 shown]
	v_pk_add_f32 v[58:59], v[58:59], v[66:67] neg_lo:[0,1] neg_hi:[0,1]
	v_mov_b32_e32 v64, v65
	v_mov_b32_e32 v65, v60
	v_pk_add_f32 v[58:59], v[64:65], v[58:59] neg_lo:[0,1] neg_hi:[0,1]
	v_mov_b32_e32 v72, v68
	v_pk_add_f32 v[60:61], v[72:73], v[58:59]
	v_mov_b32_e32 v64, v61
	v_pk_add_f32 v[64:65], v[60:61], v[64:65]
	v_pk_add_f32 v[62:63], v[62:63], v[64:65]
	v_mov_b32_e32 v61, v62
	v_pk_add_f32 v[66:67], v[60:61], v[68:69] neg_lo:[0,1] neg_hi:[0,1]
	v_mov_b32_e32 v59, v64
	v_sub_f32_e32 v60, v60, v66
	v_pk_add_f32 v[58:59], v[58:59], v[66:67] neg_lo:[0,1] neg_hi:[0,1]
	v_sub_f32_e32 v60, v68, v60
	s_mov_b32 s3, 0x7f800000
	v_add_f32_e32 v58, v58, v60
	s_mov_b32 s2, 0x33800000
	v_add_f32_e32 v58, v58, v59
	v_cmp_eq_f32_e32 vcc, s3, v74
	v_cmp_lt_f32_e64 s[2:3], |v74|, s2
	v_add_f32_e32 v58, v62, v58
	s_or_b64 vcc, vcc, s[2:3]
	v_cndmask_b32_e32 v58, v58, v74, vcc
	v_add_f32_e32 v59, v57, v58
.LBB482_103:
	s_or_b64 exec, exec, s[4:5]
	v_bfe_u32 v57, v59, 16, 1
	s_movk_i32 s2, 0x7fff
	v_add3_u32 v57, v59, v57, s2
	v_lshrrev_b32_e32 v57, 16, v57
	v_mov_b32_e32 v58, 0x7fc0
	v_cmp_o_f32_e32 vcc, v59, v59
	v_cndmask_b32_e32 v57, v58, v57, vcc
	v_and_b32_e32 v58, 0xffff, v57
.LBB482_104:
	s_or_b64 exec, exec, s[0:1]
	s_nop 0
	v_mov_b32_dpp v59, v58 row_shr:4 row_mask:0xf bank_mask:0xf
	v_cmp_lt_u32_e32 vcc, 3, v56
	s_and_saveexec_b64 s[0:1], vcc
	s_cbranch_execz .LBB482_108
; %bb.105:
	v_lshlrev_b32_e32 v59, 16, v59
	v_lshlrev_b32_e32 v57, 16, v58
	v_max_f32_e32 v60, v57, v57
	v_max_f32_e32 v61, v59, v59
	v_min_f32_e32 v58, v61, v60
	v_cmp_u_f32_e32 vcc, v59, v59
	v_max_f32_e32 v60, v61, v60
	v_cndmask_b32_e32 v58, v58, v59, vcc
	v_cmp_u_f32_e64 s[4:5], v57, v57
	v_cndmask_b32_e32 v60, v60, v59, vcc
	v_cndmask_b32_e64 v58, v58, v57, s[4:5]
	v_cndmask_b32_e64 v57, v60, v57, s[4:5]
	s_movk_i32 s2, 0x1f8
	v_cmp_neq_f32_e32 vcc, v58, v57
	v_cmp_class_f32_e64 s[2:3], v58, s2
	s_or_b64 s[2:3], vcc, s[2:3]
	s_and_saveexec_b64 s[4:5], s[2:3]
	s_cbranch_execz .LBB482_107
; %bb.106:
	v_sub_f32_e32 v58, v58, v57
	s_mov_b32 s2, 0x3fb8aa3b
	v_mul_f32_e32 v59, 0x3fb8aa3b, v58
	v_fma_f32 v60, v58, s2, -v59
	v_rndne_f32_e32 v61, v59
	v_fmac_f32_e32 v60, 0x32a5705f, v58
	v_sub_f32_e32 v59, v59, v61
	v_add_f32_e32 v59, v59, v60
	v_exp_f32_e32 v59, v59
	v_cvt_i32_f32_e32 v60, v61
	s_mov_b32 s2, 0xc2ce8ed0
	v_cmp_ngt_f32_e32 vcc, s2, v58
	s_mov_b32 s2, 0x42b17218
	v_ldexp_f32 v59, v59, v60
	v_cndmask_b32_e32 v59, 0, v59, vcc
	v_mov_b32_e32 v60, 0x7f800000
	v_cmp_nlt_f32_e32 vcc, s2, v58
	v_cndmask_b32_e32 v74, v60, v59, vcc
	v_add_f32_e32 v60, 1.0, v74
	v_add_f32_e32 v58, -1.0, v60
	v_sub_f32_e32 v59, v58, v60
	v_add_f32_e32 v59, 1.0, v59
	v_sub_f32_e32 v58, v74, v58
	v_add_f32_e32 v61, v58, v59
	v_frexp_mant_f32_e32 v62, v60
	s_mov_b32 s2, 0x3f2aaaab
	v_cvt_f64_f32_e32 v[58:59], v60
	v_frexp_exp_i32_f64_e32 v58, v[58:59]
	v_cmp_gt_f32_e32 vcc, s2, v62
	v_subbrev_co_u32_e32 v66, vcc, 0, v58, vcc
	v_sub_u32_e32 v58, 0, v66
	v_ldexp_f32 v59, v60, v58
	v_add_f32_e32 v60, -1.0, v59
	v_add_f32_e32 v62, 1.0, v59
	v_ldexp_f32 v58, v61, v58
	v_add_f32_e32 v61, 1.0, v60
	v_add_f32_e32 v63, -1.0, v62
	v_sub_f32_e32 v61, v59, v61
	v_sub_f32_e32 v59, v59, v63
	v_add_f32_e32 v61, v58, v61
	v_add_f32_e32 v58, v58, v59
	;; [unrolled: 1-line block ×3, first 2 shown]
	v_rcp_f32_e32 v69, v67
	v_sub_f32_e32 v59, v62, v67
	v_add_f32_e32 v68, v58, v59
	v_add_f32_e32 v59, v60, v61
	v_mul_f32_e32 v71, v59, v69
	v_sub_f32_e32 v58, v60, v59
	v_mul_f32_e32 v60, v67, v71
	v_fma_f32 v62, v71, v67, -v60
	v_fmac_f32_e32 v62, v71, v68
	v_add_f32_e32 v70, v61, v58
	v_add_f32_e32 v58, v60, v62
	v_sub_f32_e32 v61, v59, v58
	v_pk_add_f32 v[64:65], v[58:59], v[60:61] neg_lo:[0,1] neg_hi:[0,1]
	v_mov_b32_e32 v63, v58
	v_pk_add_f32 v[58:59], v[64:65], v[62:63] neg_lo:[0,1] neg_hi:[0,1]
	v_add_f32_e32 v59, v70, v59
	v_add_f32_e32 v58, v58, v59
	;; [unrolled: 1-line block ×3, first 2 shown]
	v_mul_f32_e32 v70, v69, v59
	v_mul_f32_e32 v60, v67, v70
	v_fma_f32 v62, v70, v67, -v60
	v_fmac_f32_e32 v62, v70, v68
	v_sub_f32_e32 v61, v61, v59
	v_add_f32_e32 v67, v58, v61
	v_add_f32_e32 v58, v60, v62
	v_sub_f32_e32 v61, v59, v58
	v_pk_add_f32 v[64:65], v[58:59], v[60:61] neg_lo:[0,1] neg_hi:[0,1]
	v_mov_b32_e32 v63, v58
	v_pk_add_f32 v[58:59], v[64:65], v[62:63] neg_lo:[0,1] neg_hi:[0,1]
	v_add_f32_e32 v59, v67, v59
	v_add_f32_e32 v58, v58, v59
	;; [unrolled: 1-line block ×4, first 2 shown]
	v_sub_f32_e32 v59, v61, v71
	v_mul_f32_e32 v58, v69, v58
	v_sub_f32_e32 v59, v70, v59
	v_add_f32_e32 v58, v59, v58
	v_add_f32_e32 v62, v61, v58
	v_mul_f32_e32 v64, v62, v62
	v_mov_b32_e32 v60, 0x3ecc95a3
	v_fmac_f32_e32 v60, 0x3e9b6dac, v64
	v_mov_b32_e32 v59, 0x3f2aaada
	v_fmac_f32_e32 v59, v64, v60
	v_cvt_f32_i32_e32 v60, v66
	v_sub_f32_e32 v61, v62, v61
	v_sub_f32_e32 v58, v58, v61
	v_ldexp_f32 v65, v58, 1
	v_mul_f32_e32 v61, v62, v64
	v_mov_b32_e32 v58, 0x3f317218
	s_mov_b32 s2, 0x3f317218
	v_pk_mul_f32 v[58:59], v[60:61], v[58:59]
	v_ldexp_f32 v63, v62, 1
	v_fma_f32 v62, v60, s2, -v58
	v_fmac_f32_e32 v62, 0xb102e308, v60
	v_pk_add_f32 v[60:61], v[58:59], v[62:63]
	v_sub_f32_e32 v63, v61, v63
	v_sub_f32_e32 v63, v59, v63
	v_add_f32_e32 v65, v65, v63
	v_mov_b32_e32 v64, v58
	v_pk_add_f32 v[58:59], v[60:61], v[58:59] neg_lo:[0,1] neg_hi:[0,1]
	v_pk_add_f32 v[66:67], v[60:61], v[64:65]
	v_mov_b32_e32 v59, v67
	v_mov_b32_e32 v63, v60
	v_pk_add_f32 v[68:69], v[62:63], v[58:59] neg_lo:[0,1] neg_hi:[0,1]
	v_pk_add_f32 v[58:59], v[62:63], v[58:59]
	v_mov_b32_e32 v62, v59
	v_pk_add_f32 v[70:71], v[62:63], v[60:61] neg_lo:[0,1] neg_hi:[0,1]
	v_mov_b32_e32 v63, v70
	v_pk_add_f32 v[72:73], v[66:67], v[62:63] neg_lo:[0,1] neg_hi:[0,1]
	v_mov_b32_e32 v58, v67
	v_mov_b32_e32 v66, v61
	;; [unrolled: 1-line block ×4, first 2 shown]
	v_pk_add_f32 v[58:59], v[58:59], v[66:67] neg_lo:[0,1] neg_hi:[0,1]
	v_mov_b32_e32 v64, v65
	v_mov_b32_e32 v65, v60
	v_pk_add_f32 v[58:59], v[64:65], v[58:59] neg_lo:[0,1] neg_hi:[0,1]
	v_mov_b32_e32 v72, v68
	v_pk_add_f32 v[60:61], v[72:73], v[58:59]
	v_mov_b32_e32 v64, v61
	v_pk_add_f32 v[64:65], v[60:61], v[64:65]
	v_pk_add_f32 v[62:63], v[62:63], v[64:65]
	v_mov_b32_e32 v61, v62
	v_pk_add_f32 v[66:67], v[60:61], v[68:69] neg_lo:[0,1] neg_hi:[0,1]
	v_mov_b32_e32 v59, v64
	v_sub_f32_e32 v60, v60, v66
	v_pk_add_f32 v[58:59], v[58:59], v[66:67] neg_lo:[0,1] neg_hi:[0,1]
	v_sub_f32_e32 v60, v68, v60
	s_mov_b32 s3, 0x7f800000
	v_add_f32_e32 v58, v58, v60
	s_mov_b32 s2, 0x33800000
	v_add_f32_e32 v58, v58, v59
	v_cmp_eq_f32_e32 vcc, s3, v74
	v_cmp_lt_f32_e64 s[2:3], |v74|, s2
	v_add_f32_e32 v58, v62, v58
	s_or_b64 vcc, vcc, s[2:3]
	v_cndmask_b32_e32 v58, v58, v74, vcc
	v_add_f32_e32 v59, v57, v58
.LBB482_107:
	s_or_b64 exec, exec, s[4:5]
	v_bfe_u32 v57, v59, 16, 1
	s_movk_i32 s2, 0x7fff
	v_add3_u32 v57, v59, v57, s2
	v_lshrrev_b32_e32 v57, 16, v57
	v_mov_b32_e32 v58, 0x7fc0
	v_cmp_o_f32_e32 vcc, v59, v59
	v_cndmask_b32_e32 v57, v58, v57, vcc
	v_and_b32_e32 v58, 0xffff, v57
.LBB482_108:
	s_or_b64 exec, exec, s[0:1]
	s_nop 0
	v_mov_b32_dpp v59, v58 row_shr:8 row_mask:0xf bank_mask:0xf
	v_cmp_lt_u32_e32 vcc, 7, v56
	s_and_saveexec_b64 s[0:1], vcc
	s_cbranch_execz .LBB482_112
; %bb.109:
	v_lshlrev_b32_e32 v57, 16, v59
	v_lshlrev_b32_e32 v56, 16, v58
	v_max_f32_e32 v59, v56, v56
	v_max_f32_e32 v60, v57, v57
	v_min_f32_e32 v58, v60, v59
	v_cmp_u_f32_e32 vcc, v57, v57
	v_max_f32_e32 v59, v60, v59
	v_cndmask_b32_e32 v58, v58, v57, vcc
	v_cmp_u_f32_e64 s[4:5], v56, v56
	v_cndmask_b32_e32 v59, v59, v57, vcc
	v_cndmask_b32_e64 v58, v58, v56, s[4:5]
	v_cndmask_b32_e64 v56, v59, v56, s[4:5]
	s_movk_i32 s2, 0x1f8
	v_cmp_neq_f32_e32 vcc, v58, v56
	v_cmp_class_f32_e64 s[2:3], v58, s2
	s_or_b64 s[2:3], vcc, s[2:3]
	s_and_saveexec_b64 s[4:5], s[2:3]
	s_cbranch_execz .LBB482_111
; %bb.110:
	v_sub_f32_e32 v57, v58, v56
	s_mov_b32 s2, 0x3fb8aa3b
	v_mul_f32_e32 v58, 0x3fb8aa3b, v57
	v_fma_f32 v59, v57, s2, -v58
	v_rndne_f32_e32 v60, v58
	v_fmac_f32_e32 v59, 0x32a5705f, v57
	v_sub_f32_e32 v58, v58, v60
	v_add_f32_e32 v58, v58, v59
	v_exp_f32_e32 v58, v58
	v_cvt_i32_f32_e32 v59, v60
	s_mov_b32 s2, 0xc2ce8ed0
	v_cmp_ngt_f32_e32 vcc, s2, v57
	s_mov_b32 s2, 0x42b17218
	v_ldexp_f32 v58, v58, v59
	v_cndmask_b32_e32 v58, 0, v58, vcc
	v_mov_b32_e32 v59, 0x7f800000
	v_cmp_nlt_f32_e32 vcc, s2, v57
	v_cndmask_b32_e32 v74, v59, v58, vcc
	v_add_f32_e32 v57, 1.0, v74
	v_add_f32_e32 v58, -1.0, v57
	v_sub_f32_e32 v59, v58, v57
	v_add_f32_e32 v59, 1.0, v59
	v_sub_f32_e32 v58, v74, v58
	v_add_f32_e32 v60, v58, v59
	v_frexp_mant_f32_e32 v61, v57
	s_mov_b32 s2, 0x3f2aaaab
	v_cvt_f64_f32_e32 v[58:59], v57
	v_frexp_exp_i32_f64_e32 v58, v[58:59]
	v_cmp_gt_f32_e32 vcc, s2, v61
	v_subbrev_co_u32_e32 v66, vcc, 0, v58, vcc
	v_sub_u32_e32 v58, 0, v66
	v_ldexp_f32 v57, v57, v58
	v_ldexp_f32 v58, v60, v58
	v_add_f32_e32 v60, -1.0, v57
	v_add_f32_e32 v59, 1.0, v60
	v_sub_f32_e32 v59, v57, v59
	v_add_f32_e32 v61, v58, v59
	v_add_f32_e32 v59, 1.0, v57
	v_add_f32_e32 v62, -1.0, v59
	v_sub_f32_e32 v57, v57, v62
	v_add_f32_e32 v57, v58, v57
	v_add_f32_e32 v67, v59, v57
	v_rcp_f32_e32 v68, v67
	v_sub_f32_e32 v58, v59, v67
	v_add_f32_e32 v59, v60, v61
	v_add_f32_e32 v57, v57, v58
	v_mul_f32_e32 v70, v59, v68
	v_sub_f32_e32 v58, v60, v59
	v_mul_f32_e32 v60, v67, v70
	v_fma_f32 v62, v70, v67, -v60
	v_fmac_f32_e32 v62, v70, v57
	v_add_f32_e32 v69, v61, v58
	v_add_f32_e32 v58, v60, v62
	v_sub_f32_e32 v61, v59, v58
	v_pk_add_f32 v[64:65], v[58:59], v[60:61] neg_lo:[0,1] neg_hi:[0,1]
	v_mov_b32_e32 v63, v58
	v_pk_add_f32 v[58:59], v[64:65], v[62:63] neg_lo:[0,1] neg_hi:[0,1]
	v_add_f32_e32 v59, v69, v59
	v_add_f32_e32 v58, v58, v59
	;; [unrolled: 1-line block ×3, first 2 shown]
	v_mul_f32_e32 v69, v68, v59
	v_mul_f32_e32 v60, v67, v69
	v_fma_f32 v62, v69, v67, -v60
	v_fmac_f32_e32 v62, v69, v57
	v_sub_f32_e32 v57, v61, v59
	v_add_f32_e32 v57, v58, v57
	v_add_f32_e32 v58, v60, v62
	v_sub_f32_e32 v61, v59, v58
	v_pk_add_f32 v[64:65], v[58:59], v[60:61] neg_lo:[0,1] neg_hi:[0,1]
	v_mov_b32_e32 v63, v58
	v_pk_add_f32 v[58:59], v[64:65], v[62:63] neg_lo:[0,1] neg_hi:[0,1]
	v_add_f32_e32 v57, v57, v59
	v_add_f32_e32 v57, v58, v57
	;; [unrolled: 1-line block ×4, first 2 shown]
	v_sub_f32_e32 v59, v58, v70
	v_mul_f32_e32 v57, v68, v57
	v_sub_f32_e32 v59, v69, v59
	v_add_f32_e32 v57, v59, v57
	v_add_f32_e32 v61, v58, v57
	v_mul_f32_e32 v62, v61, v61
	v_mov_b32_e32 v60, 0x3ecc95a3
	v_fmac_f32_e32 v60, 0x3e9b6dac, v62
	v_mov_b32_e32 v59, 0x3f2aaada
	v_fmac_f32_e32 v59, v62, v60
	v_cvt_f32_i32_e32 v60, v66
	v_sub_f32_e32 v58, v61, v58
	v_sub_f32_e32 v57, v57, v58
	v_ldexp_f32 v63, v61, 1
	v_mul_f32_e32 v61, v61, v62
	v_mov_b32_e32 v58, 0x3f317218
	s_mov_b32 s2, 0x3f317218
	v_pk_mul_f32 v[58:59], v[60:61], v[58:59]
	v_fma_f32 v62, v60, s2, -v58
	v_fmac_f32_e32 v62, 0xb102e308, v60
	v_pk_add_f32 v[60:61], v[58:59], v[62:63]
	v_sub_f32_e32 v63, v61, v63
	v_ldexp_f32 v57, v57, 1
	v_sub_f32_e32 v63, v59, v63
	v_add_f32_e32 v65, v57, v63
	v_mov_b32_e32 v64, v58
	v_pk_add_f32 v[58:59], v[60:61], v[58:59] neg_lo:[0,1] neg_hi:[0,1]
	v_pk_add_f32 v[66:67], v[60:61], v[64:65]
	v_mov_b32_e32 v59, v67
	v_mov_b32_e32 v63, v60
	v_pk_add_f32 v[68:69], v[62:63], v[58:59] neg_lo:[0,1] neg_hi:[0,1]
	v_pk_add_f32 v[58:59], v[62:63], v[58:59]
	v_mov_b32_e32 v62, v59
	v_pk_add_f32 v[70:71], v[62:63], v[60:61] neg_lo:[0,1] neg_hi:[0,1]
	v_mov_b32_e32 v57, v70
	v_pk_add_f32 v[72:73], v[66:67], v[56:57] neg_lo:[0,1] neg_hi:[0,1]
	v_mov_b32_e32 v58, v67
	v_mov_b32_e32 v66, v61
	;; [unrolled: 1-line block ×4, first 2 shown]
	v_pk_add_f32 v[58:59], v[58:59], v[66:67] neg_lo:[0,1] neg_hi:[0,1]
	v_mov_b32_e32 v64, v65
	v_mov_b32_e32 v65, v60
	v_pk_add_f32 v[58:59], v[64:65], v[58:59] neg_lo:[0,1] neg_hi:[0,1]
	v_mov_b32_e32 v72, v68
	v_pk_add_f32 v[60:61], v[72:73], v[58:59]
	v_mov_b32_e32 v64, v61
	v_pk_add_f32 v[64:65], v[60:61], v[64:65]
	v_pk_add_f32 v[62:63], v[62:63], v[64:65]
	v_mov_b32_e32 v61, v62
	v_pk_add_f32 v[66:67], v[60:61], v[68:69] neg_lo:[0,1] neg_hi:[0,1]
	v_mov_b32_e32 v59, v64
	v_sub_f32_e32 v57, v60, v66
	v_pk_add_f32 v[58:59], v[58:59], v[66:67] neg_lo:[0,1] neg_hi:[0,1]
	v_sub_f32_e32 v57, v68, v57
	s_mov_b32 s3, 0x7f800000
	v_add_f32_e32 v57, v58, v57
	s_mov_b32 s2, 0x33800000
	v_add_f32_e32 v57, v57, v59
	v_cmp_eq_f32_e32 vcc, s3, v74
	v_cmp_lt_f32_e64 s[2:3], |v74|, s2
	v_add_f32_e32 v57, v62, v57
	s_or_b64 vcc, vcc, s[2:3]
	v_cndmask_b32_e32 v57, v57, v74, vcc
	v_add_f32_e32 v57, v56, v57
.LBB482_111:
	s_or_b64 exec, exec, s[4:5]
	v_bfe_u32 v56, v57, 16, 1
	s_movk_i32 s2, 0x7fff
	v_add3_u32 v56, v57, v56, s2
	v_lshrrev_b32_e32 v56, 16, v56
	v_mov_b32_e32 v58, 0x7fc0
	v_cmp_o_f32_e32 vcc, v57, v57
	v_cndmask_b32_e32 v57, v58, v56, vcc
	v_and_b32_e32 v58, 0xffff, v57
.LBB482_112:
	s_or_b64 exec, exec, s[0:1]
	v_and_b32_e32 v59, 16, v55
	v_mov_b32_dpp v56, v58 row_bcast:15 row_mask:0xf bank_mask:0xf
	v_cmp_ne_u32_e32 vcc, 0, v59
	s_and_saveexec_b64 s[0:1], vcc
	s_cbranch_execz .LBB482_116
; %bb.113:
	v_lshlrev_b32_e32 v57, 16, v56
	v_lshlrev_b32_e32 v56, 16, v58
	v_max_f32_e32 v59, v56, v56
	v_max_f32_e32 v60, v57, v57
	v_min_f32_e32 v58, v60, v59
	v_cmp_u_f32_e32 vcc, v57, v57
	v_max_f32_e32 v59, v60, v59
	v_cndmask_b32_e32 v58, v58, v57, vcc
	v_cmp_u_f32_e64 s[4:5], v56, v56
	v_cndmask_b32_e32 v59, v59, v57, vcc
	v_cndmask_b32_e64 v58, v58, v56, s[4:5]
	v_cndmask_b32_e64 v56, v59, v56, s[4:5]
	s_movk_i32 s2, 0x1f8
	v_cmp_neq_f32_e32 vcc, v58, v56
	v_cmp_class_f32_e64 s[2:3], v58, s2
	s_or_b64 s[2:3], vcc, s[2:3]
	s_and_saveexec_b64 s[4:5], s[2:3]
	s_cbranch_execz .LBB482_115
; %bb.114:
	v_sub_f32_e32 v57, v58, v56
	s_mov_b32 s2, 0x3fb8aa3b
	v_mul_f32_e32 v58, 0x3fb8aa3b, v57
	v_fma_f32 v59, v57, s2, -v58
	v_rndne_f32_e32 v60, v58
	v_fmac_f32_e32 v59, 0x32a5705f, v57
	v_sub_f32_e32 v58, v58, v60
	v_add_f32_e32 v58, v58, v59
	v_exp_f32_e32 v58, v58
	v_cvt_i32_f32_e32 v59, v60
	s_mov_b32 s2, 0xc2ce8ed0
	v_cmp_ngt_f32_e32 vcc, s2, v57
	s_mov_b32 s2, 0x42b17218
	v_ldexp_f32 v58, v58, v59
	v_cndmask_b32_e32 v58, 0, v58, vcc
	v_mov_b32_e32 v59, 0x7f800000
	v_cmp_nlt_f32_e32 vcc, s2, v57
	v_cndmask_b32_e32 v74, v59, v58, vcc
	v_add_f32_e32 v57, 1.0, v74
	v_add_f32_e32 v58, -1.0, v57
	v_sub_f32_e32 v59, v58, v57
	v_add_f32_e32 v59, 1.0, v59
	v_sub_f32_e32 v58, v74, v58
	v_add_f32_e32 v60, v58, v59
	v_frexp_mant_f32_e32 v61, v57
	s_mov_b32 s2, 0x3f2aaaab
	v_cvt_f64_f32_e32 v[58:59], v57
	v_frexp_exp_i32_f64_e32 v58, v[58:59]
	v_cmp_gt_f32_e32 vcc, s2, v61
	v_subbrev_co_u32_e32 v66, vcc, 0, v58, vcc
	v_sub_u32_e32 v58, 0, v66
	v_ldexp_f32 v57, v57, v58
	v_ldexp_f32 v58, v60, v58
	v_add_f32_e32 v60, -1.0, v57
	v_add_f32_e32 v59, 1.0, v60
	v_sub_f32_e32 v59, v57, v59
	v_add_f32_e32 v61, v58, v59
	v_add_f32_e32 v59, 1.0, v57
	v_add_f32_e32 v62, -1.0, v59
	v_sub_f32_e32 v57, v57, v62
	v_add_f32_e32 v57, v58, v57
	v_add_f32_e32 v67, v59, v57
	v_rcp_f32_e32 v68, v67
	v_sub_f32_e32 v58, v59, v67
	v_add_f32_e32 v59, v60, v61
	v_add_f32_e32 v57, v57, v58
	v_mul_f32_e32 v70, v59, v68
	v_sub_f32_e32 v58, v60, v59
	v_mul_f32_e32 v60, v67, v70
	v_fma_f32 v62, v70, v67, -v60
	v_fmac_f32_e32 v62, v70, v57
	v_add_f32_e32 v69, v61, v58
	v_add_f32_e32 v58, v60, v62
	v_sub_f32_e32 v61, v59, v58
	v_pk_add_f32 v[64:65], v[58:59], v[60:61] neg_lo:[0,1] neg_hi:[0,1]
	v_mov_b32_e32 v63, v58
	v_pk_add_f32 v[58:59], v[64:65], v[62:63] neg_lo:[0,1] neg_hi:[0,1]
	v_add_f32_e32 v59, v69, v59
	v_add_f32_e32 v58, v58, v59
	;; [unrolled: 1-line block ×3, first 2 shown]
	v_mul_f32_e32 v69, v68, v59
	v_mul_f32_e32 v60, v67, v69
	v_fma_f32 v62, v69, v67, -v60
	v_fmac_f32_e32 v62, v69, v57
	v_sub_f32_e32 v57, v61, v59
	v_add_f32_e32 v57, v58, v57
	v_add_f32_e32 v58, v60, v62
	v_sub_f32_e32 v61, v59, v58
	v_pk_add_f32 v[64:65], v[58:59], v[60:61] neg_lo:[0,1] neg_hi:[0,1]
	v_mov_b32_e32 v63, v58
	v_pk_add_f32 v[58:59], v[64:65], v[62:63] neg_lo:[0,1] neg_hi:[0,1]
	v_add_f32_e32 v57, v57, v59
	v_add_f32_e32 v57, v58, v57
	;; [unrolled: 1-line block ×4, first 2 shown]
	v_sub_f32_e32 v59, v58, v70
	v_mul_f32_e32 v57, v68, v57
	v_sub_f32_e32 v59, v69, v59
	v_add_f32_e32 v57, v59, v57
	v_add_f32_e32 v61, v58, v57
	v_mul_f32_e32 v62, v61, v61
	v_mov_b32_e32 v60, 0x3ecc95a3
	v_fmac_f32_e32 v60, 0x3e9b6dac, v62
	v_mov_b32_e32 v59, 0x3f2aaada
	v_fmac_f32_e32 v59, v62, v60
	v_cvt_f32_i32_e32 v60, v66
	v_sub_f32_e32 v58, v61, v58
	v_sub_f32_e32 v57, v57, v58
	v_ldexp_f32 v63, v61, 1
	v_mul_f32_e32 v61, v61, v62
	v_mov_b32_e32 v58, 0x3f317218
	s_mov_b32 s2, 0x3f317218
	v_pk_mul_f32 v[58:59], v[60:61], v[58:59]
	v_fma_f32 v62, v60, s2, -v58
	v_fmac_f32_e32 v62, 0xb102e308, v60
	v_pk_add_f32 v[60:61], v[58:59], v[62:63]
	v_sub_f32_e32 v63, v61, v63
	v_ldexp_f32 v57, v57, 1
	v_sub_f32_e32 v63, v59, v63
	v_add_f32_e32 v65, v57, v63
	v_mov_b32_e32 v64, v58
	v_pk_add_f32 v[58:59], v[60:61], v[58:59] neg_lo:[0,1] neg_hi:[0,1]
	v_pk_add_f32 v[66:67], v[60:61], v[64:65]
	v_mov_b32_e32 v59, v67
	v_mov_b32_e32 v63, v60
	v_pk_add_f32 v[68:69], v[62:63], v[58:59] neg_lo:[0,1] neg_hi:[0,1]
	v_pk_add_f32 v[58:59], v[62:63], v[58:59]
	v_mov_b32_e32 v62, v59
	v_pk_add_f32 v[70:71], v[62:63], v[60:61] neg_lo:[0,1] neg_hi:[0,1]
	v_mov_b32_e32 v57, v70
	v_pk_add_f32 v[72:73], v[66:67], v[56:57] neg_lo:[0,1] neg_hi:[0,1]
	v_mov_b32_e32 v58, v67
	v_mov_b32_e32 v66, v61
	;; [unrolled: 1-line block ×4, first 2 shown]
	v_pk_add_f32 v[58:59], v[58:59], v[66:67] neg_lo:[0,1] neg_hi:[0,1]
	v_mov_b32_e32 v64, v65
	v_mov_b32_e32 v65, v60
	v_pk_add_f32 v[58:59], v[64:65], v[58:59] neg_lo:[0,1] neg_hi:[0,1]
	v_mov_b32_e32 v72, v68
	v_pk_add_f32 v[60:61], v[72:73], v[58:59]
	v_mov_b32_e32 v64, v61
	v_pk_add_f32 v[64:65], v[60:61], v[64:65]
	v_pk_add_f32 v[62:63], v[62:63], v[64:65]
	v_mov_b32_e32 v61, v62
	v_pk_add_f32 v[66:67], v[60:61], v[68:69] neg_lo:[0,1] neg_hi:[0,1]
	v_mov_b32_e32 v59, v64
	v_sub_f32_e32 v57, v60, v66
	v_pk_add_f32 v[58:59], v[58:59], v[66:67] neg_lo:[0,1] neg_hi:[0,1]
	v_sub_f32_e32 v57, v68, v57
	s_mov_b32 s3, 0x7f800000
	v_add_f32_e32 v57, v58, v57
	s_mov_b32 s2, 0x33800000
	v_add_f32_e32 v57, v57, v59
	v_cmp_eq_f32_e32 vcc, s3, v74
	v_cmp_lt_f32_e64 s[2:3], |v74|, s2
	v_add_f32_e32 v57, v62, v57
	s_or_b64 vcc, vcc, s[2:3]
	v_cndmask_b32_e32 v57, v57, v74, vcc
	v_add_f32_e32 v57, v56, v57
.LBB482_115:
	s_or_b64 exec, exec, s[4:5]
	v_bfe_u32 v56, v57, 16, 1
	s_movk_i32 s2, 0x7fff
	v_add3_u32 v56, v57, v56, s2
	v_lshrrev_b32_e32 v56, 16, v56
	v_mov_b32_e32 v58, 0x7fc0
	v_cmp_o_f32_e32 vcc, v57, v57
	v_cndmask_b32_e32 v57, v58, v56, vcc
	v_and_b32_e32 v58, 0xffff, v57
.LBB482_116:
	s_or_b64 exec, exec, s[0:1]
	s_nop 0
	v_mov_b32_dpp v56, v58 row_bcast:31 row_mask:0xf bank_mask:0xf
	v_cmp_lt_u32_e32 vcc, 31, v55
	s_and_saveexec_b64 s[0:1], vcc
	s_cbranch_execz .LBB482_120
; %bb.117:
	v_lshlrev_b32_e32 v57, 16, v56
	v_lshlrev_b32_e32 v56, 16, v58
	v_max_f32_e32 v59, v56, v56
	v_max_f32_e32 v60, v57, v57
	v_min_f32_e32 v58, v60, v59
	v_cmp_u_f32_e32 vcc, v57, v57
	v_max_f32_e32 v59, v60, v59
	v_cndmask_b32_e32 v58, v58, v57, vcc
	v_cmp_u_f32_e64 s[4:5], v56, v56
	v_cndmask_b32_e32 v59, v59, v57, vcc
	v_cndmask_b32_e64 v58, v58, v56, s[4:5]
	v_cndmask_b32_e64 v56, v59, v56, s[4:5]
	s_movk_i32 s2, 0x1f8
	v_cmp_neq_f32_e32 vcc, v58, v56
	v_cmp_class_f32_e64 s[2:3], v58, s2
	s_or_b64 s[2:3], vcc, s[2:3]
	s_and_saveexec_b64 s[4:5], s[2:3]
	s_cbranch_execz .LBB482_119
; %bb.118:
	v_sub_f32_e32 v57, v58, v56
	s_mov_b32 s2, 0x3fb8aa3b
	v_mul_f32_e32 v58, 0x3fb8aa3b, v57
	v_fma_f32 v59, v57, s2, -v58
	v_rndne_f32_e32 v60, v58
	v_fmac_f32_e32 v59, 0x32a5705f, v57
	v_sub_f32_e32 v58, v58, v60
	v_add_f32_e32 v58, v58, v59
	v_exp_f32_e32 v58, v58
	v_cvt_i32_f32_e32 v59, v60
	s_mov_b32 s2, 0xc2ce8ed0
	v_cmp_ngt_f32_e32 vcc, s2, v57
	s_mov_b32 s2, 0x42b17218
	v_ldexp_f32 v58, v58, v59
	v_cndmask_b32_e32 v58, 0, v58, vcc
	v_mov_b32_e32 v59, 0x7f800000
	v_cmp_nlt_f32_e32 vcc, s2, v57
	v_cndmask_b32_e32 v74, v59, v58, vcc
	v_add_f32_e32 v57, 1.0, v74
	v_add_f32_e32 v58, -1.0, v57
	v_sub_f32_e32 v59, v58, v57
	v_add_f32_e32 v59, 1.0, v59
	v_sub_f32_e32 v58, v74, v58
	v_add_f32_e32 v60, v58, v59
	v_frexp_mant_f32_e32 v61, v57
	s_mov_b32 s2, 0x3f2aaaab
	v_cvt_f64_f32_e32 v[58:59], v57
	v_frexp_exp_i32_f64_e32 v58, v[58:59]
	v_cmp_gt_f32_e32 vcc, s2, v61
	v_subbrev_co_u32_e32 v66, vcc, 0, v58, vcc
	v_sub_u32_e32 v58, 0, v66
	v_ldexp_f32 v57, v57, v58
	v_ldexp_f32 v58, v60, v58
	v_add_f32_e32 v60, -1.0, v57
	v_add_f32_e32 v59, 1.0, v60
	v_sub_f32_e32 v59, v57, v59
	v_add_f32_e32 v61, v58, v59
	v_add_f32_e32 v59, 1.0, v57
	v_add_f32_e32 v62, -1.0, v59
	v_sub_f32_e32 v57, v57, v62
	v_add_f32_e32 v57, v58, v57
	v_add_f32_e32 v67, v59, v57
	v_rcp_f32_e32 v68, v67
	v_sub_f32_e32 v58, v59, v67
	v_add_f32_e32 v59, v60, v61
	v_add_f32_e32 v57, v57, v58
	v_mul_f32_e32 v70, v59, v68
	v_sub_f32_e32 v58, v60, v59
	v_mul_f32_e32 v60, v67, v70
	v_fma_f32 v62, v70, v67, -v60
	v_fmac_f32_e32 v62, v70, v57
	v_add_f32_e32 v69, v61, v58
	v_add_f32_e32 v58, v60, v62
	v_sub_f32_e32 v61, v59, v58
	v_pk_add_f32 v[64:65], v[58:59], v[60:61] neg_lo:[0,1] neg_hi:[0,1]
	v_mov_b32_e32 v63, v58
	v_pk_add_f32 v[58:59], v[64:65], v[62:63] neg_lo:[0,1] neg_hi:[0,1]
	v_add_f32_e32 v59, v69, v59
	v_add_f32_e32 v58, v58, v59
	;; [unrolled: 1-line block ×3, first 2 shown]
	v_mul_f32_e32 v69, v68, v59
	v_mul_f32_e32 v60, v67, v69
	v_fma_f32 v62, v69, v67, -v60
	v_fmac_f32_e32 v62, v69, v57
	v_sub_f32_e32 v57, v61, v59
	v_add_f32_e32 v57, v58, v57
	v_add_f32_e32 v58, v60, v62
	v_sub_f32_e32 v61, v59, v58
	v_pk_add_f32 v[64:65], v[58:59], v[60:61] neg_lo:[0,1] neg_hi:[0,1]
	v_mov_b32_e32 v63, v58
	v_pk_add_f32 v[58:59], v[64:65], v[62:63] neg_lo:[0,1] neg_hi:[0,1]
	v_add_f32_e32 v57, v57, v59
	v_add_f32_e32 v57, v58, v57
	;; [unrolled: 1-line block ×4, first 2 shown]
	v_sub_f32_e32 v59, v58, v70
	v_mul_f32_e32 v57, v68, v57
	v_sub_f32_e32 v59, v69, v59
	v_add_f32_e32 v57, v59, v57
	v_add_f32_e32 v61, v58, v57
	v_mul_f32_e32 v62, v61, v61
	v_mov_b32_e32 v60, 0x3ecc95a3
	v_fmac_f32_e32 v60, 0x3e9b6dac, v62
	v_mov_b32_e32 v59, 0x3f2aaada
	v_fmac_f32_e32 v59, v62, v60
	v_cvt_f32_i32_e32 v60, v66
	v_sub_f32_e32 v58, v61, v58
	v_sub_f32_e32 v57, v57, v58
	v_ldexp_f32 v63, v61, 1
	v_mul_f32_e32 v61, v61, v62
	v_mov_b32_e32 v58, 0x3f317218
	s_mov_b32 s2, 0x3f317218
	v_pk_mul_f32 v[58:59], v[60:61], v[58:59]
	v_fma_f32 v62, v60, s2, -v58
	v_fmac_f32_e32 v62, 0xb102e308, v60
	v_pk_add_f32 v[60:61], v[58:59], v[62:63]
	v_sub_f32_e32 v63, v61, v63
	v_ldexp_f32 v57, v57, 1
	v_sub_f32_e32 v63, v59, v63
	v_add_f32_e32 v65, v57, v63
	v_mov_b32_e32 v64, v58
	v_pk_add_f32 v[58:59], v[60:61], v[58:59] neg_lo:[0,1] neg_hi:[0,1]
	v_pk_add_f32 v[66:67], v[60:61], v[64:65]
	v_mov_b32_e32 v59, v67
	v_mov_b32_e32 v63, v60
	v_pk_add_f32 v[68:69], v[62:63], v[58:59] neg_lo:[0,1] neg_hi:[0,1]
	v_pk_add_f32 v[58:59], v[62:63], v[58:59]
	v_mov_b32_e32 v62, v59
	v_pk_add_f32 v[70:71], v[62:63], v[60:61] neg_lo:[0,1] neg_hi:[0,1]
	v_mov_b32_e32 v57, v70
	v_pk_add_f32 v[72:73], v[66:67], v[56:57] neg_lo:[0,1] neg_hi:[0,1]
	v_mov_b32_e32 v58, v67
	v_mov_b32_e32 v66, v61
	;; [unrolled: 1-line block ×4, first 2 shown]
	v_pk_add_f32 v[58:59], v[58:59], v[66:67] neg_lo:[0,1] neg_hi:[0,1]
	v_mov_b32_e32 v64, v65
	v_mov_b32_e32 v65, v60
	v_pk_add_f32 v[58:59], v[64:65], v[58:59] neg_lo:[0,1] neg_hi:[0,1]
	v_mov_b32_e32 v72, v68
	v_pk_add_f32 v[60:61], v[72:73], v[58:59]
	v_mov_b32_e32 v64, v61
	v_pk_add_f32 v[64:65], v[60:61], v[64:65]
	v_pk_add_f32 v[62:63], v[62:63], v[64:65]
	v_mov_b32_e32 v61, v62
	v_pk_add_f32 v[66:67], v[60:61], v[68:69] neg_lo:[0,1] neg_hi:[0,1]
	v_mov_b32_e32 v59, v64
	v_sub_f32_e32 v57, v60, v66
	v_pk_add_f32 v[58:59], v[58:59], v[66:67] neg_lo:[0,1] neg_hi:[0,1]
	v_sub_f32_e32 v57, v68, v57
	s_mov_b32 s3, 0x7f800000
	v_add_f32_e32 v57, v58, v57
	s_mov_b32 s2, 0x33800000
	v_add_f32_e32 v57, v57, v59
	v_cmp_eq_f32_e32 vcc, s3, v74
	v_cmp_lt_f32_e64 s[2:3], |v74|, s2
	v_add_f32_e32 v57, v62, v57
	s_or_b64 vcc, vcc, s[2:3]
	v_cndmask_b32_e32 v57, v57, v74, vcc
	v_add_f32_e32 v57, v56, v57
.LBB482_119:
	s_or_b64 exec, exec, s[4:5]
	v_bfe_u32 v56, v57, 16, 1
	s_movk_i32 s2, 0x7fff
	v_add3_u32 v56, v57, v56, s2
	v_lshrrev_b32_e32 v56, 16, v56
	v_mov_b32_e32 v58, 0x7fc0
	v_cmp_o_f32_e32 vcc, v57, v57
	v_cndmask_b32_e32 v57, v58, v56, vcc
.LBB482_120:
	s_or_b64 exec, exec, s[0:1]
	v_cmp_eq_u32_e32 vcc, 63, v0
	s_and_saveexec_b64 s[0:1], vcc
	s_cbranch_execz .LBB482_122
; %bb.121:
	v_mov_b32_e32 v56, 0
	ds_write_b16 v56, v57
.LBB482_122:
	s_or_b64 exec, exec, s[0:1]
	v_and_b32_e32 v56, 0xffff, v57
	v_add_u32_e32 v57, -1, v55
	v_and_b32_e32 v58, 64, v55
	v_cmp_lt_i32_e32 vcc, v57, v58
	v_cndmask_b32_e32 v55, v57, v55, vcc
	v_lshlrev_b32_e32 v55, 2, v55
	ds_bpermute_b32 v55, v55, v56
	v_cmp_ne_u32_e32 vcc, 0, v0
	s_waitcnt lgkmcnt(0)
	; wave barrier
	s_waitcnt lgkmcnt(0)
	s_and_saveexec_b64 s[4:5], vcc
	s_cbranch_execz .LBB482_126
; %bb.123:
	v_lshlrev_b32_e32 v51, 16, v55
	v_max_f32_e32 v2, v51, v51
	v_min_f32_e32 v52, v2, v53
	v_cmp_u_f32_e32 vcc, v51, v51
	v_max_f32_e32 v2, v2, v53
	v_cndmask_b32_e32 v52, v52, v51, vcc
	v_cndmask_b32_e32 v2, v2, v51, vcc
	v_cndmask_b32_e64 v52, v52, v50, s[94:95]
	v_cndmask_b32_e64 v2, v2, v50, s[94:95]
	s_movk_i32 s0, 0x1f8
	v_cmp_neq_f32_e32 vcc, v52, v2
	v_cmp_class_f32_e64 s[0:1], v52, s0
	s_or_b64 s[2:3], vcc, s[0:1]
	s_and_saveexec_b64 s[0:1], s[2:3]
	s_cbranch_execz .LBB482_125
; %bb.124:
	v_sub_f32_e32 v50, v52, v2
	s_mov_b32 s2, 0x3fb8aa3b
	v_mul_f32_e32 v51, 0x3fb8aa3b, v50
	v_fma_f32 v52, v50, s2, -v51
	v_rndne_f32_e32 v53, v51
	v_fmac_f32_e32 v52, 0x32a5705f, v50
	v_sub_f32_e32 v51, v51, v53
	v_add_f32_e32 v51, v51, v52
	v_exp_f32_e32 v51, v51
	v_cvt_i32_f32_e32 v52, v53
	s_mov_b32 s2, 0xc2ce8ed0
	v_cmp_ngt_f32_e32 vcc, s2, v50
	s_mov_b32 s2, 0x42b17218
	v_ldexp_f32 v51, v51, v52
	v_cndmask_b32_e32 v51, 0, v51, vcc
	v_mov_b32_e32 v52, 0x7f800000
	v_cmp_nlt_f32_e32 vcc, s2, v50
	v_cndmask_b32_e32 v68, v52, v51, vcc
	v_add_f32_e32 v52, 1.0, v68
	v_add_f32_e32 v50, -1.0, v52
	v_sub_f32_e32 v51, v50, v52
	v_add_f32_e32 v51, 1.0, v51
	v_sub_f32_e32 v50, v68, v50
	v_add_f32_e32 v53, v50, v51
	v_frexp_mant_f32_e32 v55, v52
	s_mov_b32 s2, 0x3f2aaaab
	v_cvt_f64_f32_e32 v[50:51], v52
	v_frexp_exp_i32_f64_e32 v50, v[50:51]
	v_cmp_gt_f32_e32 vcc, s2, v55
	v_subbrev_co_u32_e32 v55, vcc, 0, v50, vcc
	v_sub_u32_e32 v50, 0, v55
	v_ldexp_f32 v51, v52, v50
	v_add_f32_e32 v52, -1.0, v51
	v_add_f32_e32 v56, 1.0, v51
	v_ldexp_f32 v50, v53, v50
	v_add_f32_e32 v53, 1.0, v52
	v_add_f32_e32 v57, -1.0, v56
	v_sub_f32_e32 v53, v51, v53
	v_sub_f32_e32 v51, v51, v57
	v_add_f32_e32 v53, v50, v53
	v_add_f32_e32 v50, v50, v51
	v_add_f32_e32 v60, v56, v50
	v_rcp_f32_e32 v62, v60
	v_sub_f32_e32 v51, v56, v60
	v_add_f32_e32 v61, v50, v51
	v_add_f32_e32 v51, v52, v53
	v_mul_f32_e32 v64, v51, v62
	v_sub_f32_e32 v50, v52, v51
	v_mul_f32_e32 v52, v60, v64
	v_fma_f32 v56, v64, v60, -v52
	v_fmac_f32_e32 v56, v64, v61
	v_add_f32_e32 v63, v53, v50
	v_add_f32_e32 v50, v52, v56
	v_sub_f32_e32 v53, v51, v50
	v_pk_add_f32 v[58:59], v[50:51], v[52:53] neg_lo:[0,1] neg_hi:[0,1]
	v_mov_b32_e32 v57, v50
	v_pk_add_f32 v[50:51], v[58:59], v[56:57] neg_lo:[0,1] neg_hi:[0,1]
	v_add_f32_e32 v51, v63, v51
	v_add_f32_e32 v50, v50, v51
	v_add_f32_e32 v51, v53, v50
	v_mul_f32_e32 v63, v62, v51
	v_mul_f32_e32 v52, v60, v63
	v_fma_f32 v56, v63, v60, -v52
	v_fmac_f32_e32 v56, v63, v61
	v_sub_f32_e32 v53, v53, v51
	v_add_f32_e32 v60, v50, v53
	v_add_f32_e32 v50, v52, v56
	v_sub_f32_e32 v53, v51, v50
	v_pk_add_f32 v[58:59], v[50:51], v[52:53] neg_lo:[0,1] neg_hi:[0,1]
	v_mov_b32_e32 v57, v50
	v_pk_add_f32 v[50:51], v[58:59], v[56:57] neg_lo:[0,1] neg_hi:[0,1]
	v_add_f32_e32 v51, v60, v51
	v_add_f32_e32 v50, v50, v51
	;; [unrolled: 1-line block ×4, first 2 shown]
	v_sub_f32_e32 v51, v53, v64
	v_mul_f32_e32 v50, v62, v50
	v_sub_f32_e32 v51, v63, v51
	v_add_f32_e32 v50, v51, v50
	v_add_f32_e32 v56, v53, v50
	v_mul_f32_e32 v58, v56, v56
	v_mov_b32_e32 v52, 0x3ecc95a3
	v_fmac_f32_e32 v52, 0x3e9b6dac, v58
	v_mov_b32_e32 v51, 0x3f2aaada
	v_fmac_f32_e32 v51, v58, v52
	v_cvt_f32_i32_e32 v52, v55
	v_sub_f32_e32 v53, v56, v53
	v_sub_f32_e32 v50, v50, v53
	v_ldexp_f32 v55, v50, 1
	v_mul_f32_e32 v53, v56, v58
	v_mov_b32_e32 v50, 0x3f317218
	s_mov_b32 s2, 0x3f317218
	v_pk_mul_f32 v[50:51], v[52:53], v[50:51]
	v_ldexp_f32 v57, v56, 1
	v_fma_f32 v56, v52, s2, -v50
	v_fmac_f32_e32 v56, 0xb102e308, v52
	v_pk_add_f32 v[52:53], v[50:51], v[56:57]
	v_sub_f32_e32 v57, v53, v57
	v_sub_f32_e32 v57, v51, v57
	v_add_f32_e32 v59, v55, v57
	v_mov_b32_e32 v58, v50
	v_pk_add_f32 v[50:51], v[52:53], v[50:51] neg_lo:[0,1] neg_hi:[0,1]
	v_pk_add_f32 v[60:61], v[52:53], v[58:59]
	v_mov_b32_e32 v51, v61
	v_mov_b32_e32 v57, v52
	v_pk_add_f32 v[62:63], v[56:57], v[50:51] neg_lo:[0,1] neg_hi:[0,1]
	v_pk_add_f32 v[50:51], v[56:57], v[50:51]
	v_mov_b32_e32 v56, v51
	v_pk_add_f32 v[64:65], v[56:57], v[52:53] neg_lo:[0,1] neg_hi:[0,1]
	v_mov_b32_e32 v55, v64
	v_pk_add_f32 v[66:67], v[60:61], v[54:55] neg_lo:[0,1] neg_hi:[0,1]
	v_mov_b32_e32 v50, v61
	v_mov_b32_e32 v60, v53
	;; [unrolled: 1-line block ×4, first 2 shown]
	v_pk_add_f32 v[50:51], v[50:51], v[60:61] neg_lo:[0,1] neg_hi:[0,1]
	v_mov_b32_e32 v58, v59
	v_mov_b32_e32 v59, v52
	v_pk_add_f32 v[50:51], v[58:59], v[50:51] neg_lo:[0,1] neg_hi:[0,1]
	v_mov_b32_e32 v66, v62
	v_pk_add_f32 v[52:53], v[66:67], v[50:51]
	v_mov_b32_e32 v58, v53
	v_pk_add_f32 v[58:59], v[52:53], v[58:59]
	v_pk_add_f32 v[56:57], v[56:57], v[58:59]
	v_mov_b32_e32 v53, v56
	v_pk_add_f32 v[60:61], v[52:53], v[62:63] neg_lo:[0,1] neg_hi:[0,1]
	v_mov_b32_e32 v51, v58
	v_sub_f32_e32 v52, v52, v60
	v_pk_add_f32 v[50:51], v[50:51], v[60:61] neg_lo:[0,1] neg_hi:[0,1]
	v_sub_f32_e32 v52, v62, v52
	s_mov_b32 s3, 0x7f800000
	v_add_f32_e32 v50, v50, v52
	s_mov_b32 s2, 0x33800000
	v_add_f32_e32 v50, v50, v51
	v_cmp_eq_f32_e32 vcc, s3, v68
	v_cmp_lt_f32_e64 s[2:3], |v68|, s2
	v_add_f32_e32 v50, v56, v50
	s_or_b64 vcc, vcc, s[2:3]
	v_cndmask_b32_e32 v50, v50, v68, vcc
	v_add_f32_e32 v51, v2, v50
.LBB482_125:
	s_or_b64 exec, exec, s[0:1]
	v_bfe_u32 v2, v51, 16, 1
	s_movk_i32 s0, 0x7fff
	v_add3_u32 v2, v51, v2, s0
	v_lshrrev_b32_e32 v2, 16, v2
	v_mov_b32_e32 v50, 0x7fc0
	v_cmp_o_f32_e32 vcc, v51, v51
	v_cndmask_b32_e32 v2, v50, v2, vcc
	v_lshlrev_b32_e32 v50, 16, v2
	v_max_f32_e32 v52, v50, v50
	v_min_f32_e32 v51, v52, v25
	v_max_f32_e32 v52, v52, v25
	;;#ASMSTART
	;;#ASMEND
.LBB482_126:
	s_or_b64 exec, exec, s[4:5]
	v_cmp_u_f32_e32 vcc, v50, v50
	v_cndmask_b32_e32 v25, v51, v50, vcc
	v_cndmask_b32_e32 v51, v52, v50, vcc
	v_cndmask_b32_e64 v25, v25, v15, s[48:49]
	v_cndmask_b32_e64 v15, v51, v15, s[48:49]
	s_movk_i32 s4, 0x1f8
	v_cmp_neq_f32_e32 vcc, v25, v15
	v_cmp_class_f32_e64 s[0:1], v25, s4
	s_or_b64 s[2:3], vcc, s[0:1]
	s_and_saveexec_b64 s[0:1], s[2:3]
	s_cbranch_execz .LBB482_128
; %bb.127:
	v_sub_f32_e32 v25, v25, v15
	s_mov_b32 s2, 0x3fb8aa3b
	v_mul_f32_e32 v50, 0x3fb8aa3b, v25
	v_fma_f32 v51, v25, s2, -v50
	v_rndne_f32_e32 v52, v50
	v_fmac_f32_e32 v51, 0x32a5705f, v25
	v_sub_f32_e32 v50, v50, v52
	v_add_f32_e32 v50, v50, v51
	v_exp_f32_e32 v50, v50
	v_cvt_i32_f32_e32 v51, v52
	s_mov_b32 s2, 0xc2ce8ed0
	v_cmp_ngt_f32_e32 vcc, s2, v25
	s_mov_b32 s2, 0x42b17218
	v_ldexp_f32 v50, v50, v51
	v_cndmask_b32_e32 v50, 0, v50, vcc
	v_mov_b32_e32 v51, 0x7f800000
	v_cmp_nlt_f32_e32 vcc, s2, v25
	v_cndmask_b32_e32 v55, v51, v50, vcc
	v_add_f32_e32 v25, 1.0, v55
	v_add_f32_e32 v50, -1.0, v25
	v_sub_f32_e32 v51, v50, v25
	v_add_f32_e32 v51, 1.0, v51
	v_sub_f32_e32 v50, v55, v50
	v_add_f32_e32 v52, v50, v51
	v_frexp_mant_f32_e32 v53, v25
	s_mov_b32 s2, 0x3f2aaaab
	v_cvt_f64_f32_e32 v[50:51], v25
	v_frexp_exp_i32_f64_e32 v50, v[50:51]
	v_cmp_gt_f32_e32 vcc, s2, v53
	v_subbrev_co_u32_e32 v60, vcc, 0, v50, vcc
	v_sub_u32_e32 v50, 0, v60
	v_ldexp_f32 v25, v25, v50
	v_ldexp_f32 v50, v52, v50
	v_add_f32_e32 v52, -1.0, v25
	v_add_f32_e32 v51, 1.0, v52
	v_sub_f32_e32 v51, v25, v51
	v_add_f32_e32 v53, v50, v51
	v_add_f32_e32 v51, 1.0, v25
	v_add_f32_e32 v56, -1.0, v51
	v_sub_f32_e32 v25, v25, v56
	v_add_f32_e32 v25, v50, v25
	v_add_f32_e32 v61, v51, v25
	v_rcp_f32_e32 v62, v61
	v_sub_f32_e32 v50, v51, v61
	v_add_f32_e32 v51, v52, v53
	v_add_f32_e32 v25, v25, v50
	v_mul_f32_e32 v64, v51, v62
	v_sub_f32_e32 v50, v52, v51
	v_mul_f32_e32 v52, v61, v64
	v_fma_f32 v56, v64, v61, -v52
	v_fmac_f32_e32 v56, v64, v25
	v_add_f32_e32 v63, v53, v50
	v_add_f32_e32 v50, v52, v56
	v_sub_f32_e32 v53, v51, v50
	v_pk_add_f32 v[58:59], v[50:51], v[52:53] neg_lo:[0,1] neg_hi:[0,1]
	v_mov_b32_e32 v57, v50
	v_pk_add_f32 v[50:51], v[58:59], v[56:57] neg_lo:[0,1] neg_hi:[0,1]
	v_add_f32_e32 v51, v63, v51
	v_add_f32_e32 v50, v50, v51
	;; [unrolled: 1-line block ×3, first 2 shown]
	v_mul_f32_e32 v63, v62, v51
	v_mul_f32_e32 v52, v61, v63
	v_fma_f32 v56, v63, v61, -v52
	v_fmac_f32_e32 v56, v63, v25
	v_sub_f32_e32 v25, v53, v51
	v_add_f32_e32 v25, v50, v25
	v_add_f32_e32 v50, v52, v56
	v_sub_f32_e32 v53, v51, v50
	v_pk_add_f32 v[58:59], v[50:51], v[52:53] neg_lo:[0,1] neg_hi:[0,1]
	v_mov_b32_e32 v57, v50
	v_pk_add_f32 v[50:51], v[58:59], v[56:57] neg_lo:[0,1] neg_hi:[0,1]
	v_add_f32_e32 v25, v25, v51
	v_add_f32_e32 v25, v50, v25
	;; [unrolled: 1-line block ×4, first 2 shown]
	v_sub_f32_e32 v51, v50, v64
	v_mul_f32_e32 v25, v62, v25
	v_sub_f32_e32 v51, v63, v51
	v_add_f32_e32 v25, v51, v25
	v_add_f32_e32 v53, v50, v25
	v_mul_f32_e32 v56, v53, v53
	v_mov_b32_e32 v52, 0x3ecc95a3
	v_fmac_f32_e32 v52, 0x3e9b6dac, v56
	v_mov_b32_e32 v51, 0x3f2aaada
	v_fmac_f32_e32 v51, v56, v52
	v_cvt_f32_i32_e32 v52, v60
	v_sub_f32_e32 v50, v53, v50
	v_sub_f32_e32 v25, v25, v50
	v_ldexp_f32 v57, v53, 1
	v_mul_f32_e32 v53, v53, v56
	v_mov_b32_e32 v50, 0x3f317218
	s_mov_b32 s2, 0x3f317218
	v_pk_mul_f32 v[50:51], v[52:53], v[50:51]
	v_fma_f32 v56, v52, s2, -v50
	v_fmac_f32_e32 v56, 0xb102e308, v52
	v_pk_add_f32 v[52:53], v[50:51], v[56:57]
	v_sub_f32_e32 v57, v53, v57
	v_ldexp_f32 v25, v25, 1
	v_sub_f32_e32 v57, v51, v57
	v_add_f32_e32 v59, v25, v57
	v_mov_b32_e32 v58, v50
	v_pk_add_f32 v[50:51], v[52:53], v[50:51] neg_lo:[0,1] neg_hi:[0,1]
	v_pk_add_f32 v[60:61], v[52:53], v[58:59]
	v_mov_b32_e32 v51, v61
	v_mov_b32_e32 v57, v52
	v_pk_add_f32 v[62:63], v[56:57], v[50:51] neg_lo:[0,1] neg_hi:[0,1]
	v_pk_add_f32 v[50:51], v[56:57], v[50:51]
	v_mov_b32_e32 v56, v51
	v_pk_add_f32 v[64:65], v[56:57], v[52:53] neg_lo:[0,1] neg_hi:[0,1]
	v_mov_b32_e32 v25, v64
	v_pk_add_f32 v[66:67], v[60:61], v[24:25] neg_lo:[0,1] neg_hi:[0,1]
	v_mov_b32_e32 v50, v61
	v_mov_b32_e32 v60, v53
	;; [unrolled: 1-line block ×4, first 2 shown]
	v_pk_add_f32 v[50:51], v[50:51], v[60:61] neg_lo:[0,1] neg_hi:[0,1]
	v_mov_b32_e32 v58, v59
	v_mov_b32_e32 v59, v52
	v_pk_add_f32 v[50:51], v[58:59], v[50:51] neg_lo:[0,1] neg_hi:[0,1]
	v_mov_b32_e32 v66, v62
	v_pk_add_f32 v[52:53], v[66:67], v[50:51]
	v_mov_b32_e32 v58, v53
	v_pk_add_f32 v[58:59], v[52:53], v[58:59]
	v_pk_add_f32 v[56:57], v[56:57], v[58:59]
	v_mov_b32_e32 v53, v56
	v_pk_add_f32 v[60:61], v[52:53], v[62:63] neg_lo:[0,1] neg_hi:[0,1]
	v_mov_b32_e32 v51, v58
	v_sub_f32_e32 v25, v52, v60
	v_pk_add_f32 v[50:51], v[50:51], v[60:61] neg_lo:[0,1] neg_hi:[0,1]
	v_sub_f32_e32 v25, v62, v25
	s_mov_b32 s3, 0x7f800000
	v_add_f32_e32 v25, v50, v25
	s_mov_b32 s2, 0x33800000
	v_add_f32_e32 v25, v25, v51
	v_cmp_eq_f32_e32 vcc, s3, v55
	v_cmp_lt_f32_e64 s[2:3], |v55|, s2
	v_add_f32_e32 v25, v56, v25
	s_or_b64 vcc, vcc, s[2:3]
	v_cndmask_b32_e32 v25, v25, v55, vcc
	v_add_f32_e32 v50, v15, v25
.LBB482_128:
	s_or_b64 exec, exec, s[0:1]
	v_bfe_u32 v15, v50, 16, 1
	s_movk_i32 s5, 0x7fff
	v_add3_u32 v15, v50, v15, s5
	v_lshrrev_b32_e32 v15, 16, v15
	v_mov_b32_e32 v25, 0x7fc0
	v_cmp_o_f32_e32 vcc, v50, v50
	v_cndmask_b32_e32 v15, v25, v15, vcc
	v_lshlrev_b32_e32 v50, 16, v15
	v_max_f32_e32 v52, v50, v50
	v_min_f32_e32 v51, v52, v18
	v_cmp_u_f32_e32 vcc, v50, v50
	v_max_f32_e32 v18, v52, v18
	v_cndmask_b32_e32 v51, v51, v50, vcc
	v_cndmask_b32_e32 v18, v18, v50, vcc
	v_cndmask_b32_e64 v51, v51, v16, s[50:51]
	v_cndmask_b32_e64 v16, v18, v16, s[50:51]
	v_cmp_neq_f32_e32 vcc, v51, v16
	v_cmp_class_f32_e64 s[0:1], v51, s4
	s_or_b64 s[2:3], vcc, s[0:1]
	s_and_saveexec_b64 s[0:1], s[2:3]
	s_cbranch_execz .LBB482_130
; %bb.129:
	v_sub_f32_e32 v18, v51, v16
	s_mov_b32 s2, 0x3fb8aa3b
	v_mul_f32_e32 v50, 0x3fb8aa3b, v18
	v_fma_f32 v51, v18, s2, -v50
	v_rndne_f32_e32 v52, v50
	v_fmac_f32_e32 v51, 0x32a5705f, v18
	v_sub_f32_e32 v50, v50, v52
	v_add_f32_e32 v50, v50, v51
	v_exp_f32_e32 v50, v50
	v_cvt_i32_f32_e32 v51, v52
	s_mov_b32 s2, 0xc2ce8ed0
	v_cmp_ngt_f32_e32 vcc, s2, v18
	s_mov_b32 s2, 0x42b17218
	v_ldexp_f32 v50, v50, v51
	v_cndmask_b32_e32 v50, 0, v50, vcc
	v_mov_b32_e32 v51, 0x7f800000
	v_cmp_nlt_f32_e32 vcc, s2, v18
	v_cndmask_b32_e32 v66, v51, v50, vcc
	v_add_f32_e32 v18, 1.0, v66
	v_add_f32_e32 v50, -1.0, v18
	v_sub_f32_e32 v51, v50, v18
	v_add_f32_e32 v51, 1.0, v51
	v_sub_f32_e32 v50, v66, v50
	v_add_f32_e32 v52, v50, v51
	v_frexp_mant_f32_e32 v53, v18
	s_mov_b32 s2, 0x3f2aaaab
	v_cvt_f64_f32_e32 v[50:51], v18
	v_frexp_exp_i32_f64_e32 v50, v[50:51]
	v_cmp_gt_f32_e32 vcc, s2, v53
	v_subbrev_co_u32_e32 v55, vcc, 0, v50, vcc
	v_sub_u32_e32 v50, 0, v55
	v_ldexp_f32 v18, v18, v50
	v_ldexp_f32 v50, v52, v50
	v_add_f32_e32 v52, -1.0, v18
	v_add_f32_e32 v51, 1.0, v52
	v_sub_f32_e32 v51, v18, v51
	v_add_f32_e32 v53, v50, v51
	v_add_f32_e32 v51, 1.0, v18
	v_add_f32_e32 v56, -1.0, v51
	v_sub_f32_e32 v18, v18, v56
	v_add_f32_e32 v18, v50, v18
	v_add_f32_e32 v60, v51, v18
	v_rcp_f32_e32 v61, v60
	v_sub_f32_e32 v50, v51, v60
	v_add_f32_e32 v51, v52, v53
	v_add_f32_e32 v18, v18, v50
	v_mul_f32_e32 v63, v51, v61
	v_sub_f32_e32 v50, v52, v51
	v_mul_f32_e32 v52, v60, v63
	v_fma_f32 v56, v63, v60, -v52
	v_fmac_f32_e32 v56, v63, v18
	v_add_f32_e32 v62, v53, v50
	v_add_f32_e32 v50, v52, v56
	v_sub_f32_e32 v53, v51, v50
	v_pk_add_f32 v[58:59], v[50:51], v[52:53] neg_lo:[0,1] neg_hi:[0,1]
	v_mov_b32_e32 v57, v50
	v_pk_add_f32 v[50:51], v[58:59], v[56:57] neg_lo:[0,1] neg_hi:[0,1]
	v_add_f32_e32 v51, v62, v51
	v_add_f32_e32 v50, v50, v51
	;; [unrolled: 1-line block ×3, first 2 shown]
	v_mul_f32_e32 v62, v61, v51
	v_mul_f32_e32 v52, v60, v62
	v_fma_f32 v56, v62, v60, -v52
	v_fmac_f32_e32 v56, v62, v18
	v_sub_f32_e32 v18, v53, v51
	v_add_f32_e32 v18, v50, v18
	v_add_f32_e32 v50, v52, v56
	v_sub_f32_e32 v53, v51, v50
	v_pk_add_f32 v[58:59], v[50:51], v[52:53] neg_lo:[0,1] neg_hi:[0,1]
	v_mov_b32_e32 v57, v50
	v_pk_add_f32 v[50:51], v[58:59], v[56:57] neg_lo:[0,1] neg_hi:[0,1]
	v_add_f32_e32 v18, v18, v51
	v_add_f32_e32 v18, v50, v18
	;; [unrolled: 1-line block ×4, first 2 shown]
	v_sub_f32_e32 v51, v50, v63
	v_mul_f32_e32 v18, v61, v18
	v_sub_f32_e32 v51, v62, v51
	v_add_f32_e32 v18, v51, v18
	v_add_f32_e32 v53, v50, v18
	v_mul_f32_e32 v56, v53, v53
	v_mov_b32_e32 v52, 0x3ecc95a3
	v_fmac_f32_e32 v52, 0x3e9b6dac, v56
	v_mov_b32_e32 v51, 0x3f2aaada
	v_fmac_f32_e32 v51, v56, v52
	v_cvt_f32_i32_e32 v52, v55
	v_sub_f32_e32 v50, v53, v50
	v_sub_f32_e32 v18, v18, v50
	v_ldexp_f32 v57, v53, 1
	v_mul_f32_e32 v53, v53, v56
	v_mov_b32_e32 v50, 0x3f317218
	s_mov_b32 s2, 0x3f317218
	v_pk_mul_f32 v[50:51], v[52:53], v[50:51]
	v_fma_f32 v56, v52, s2, -v50
	v_fmac_f32_e32 v56, 0xb102e308, v52
	v_pk_add_f32 v[52:53], v[50:51], v[56:57]
	v_sub_f32_e32 v55, v53, v57
	v_ldexp_f32 v18, v18, 1
	v_sub_f32_e32 v55, v51, v55
	v_add_f32_e32 v59, v18, v55
	v_mov_b32_e32 v58, v50
	v_pk_add_f32 v[50:51], v[52:53], v[50:51] neg_lo:[0,1] neg_hi:[0,1]
	v_pk_add_f32 v[60:61], v[52:53], v[58:59]
	v_mov_b32_e32 v51, v61
	v_mov_b32_e32 v57, v52
	v_pk_add_f32 v[62:63], v[56:57], v[50:51] neg_lo:[0,1] neg_hi:[0,1]
	v_pk_add_f32 v[50:51], v[56:57], v[50:51]
	v_mov_b32_e32 v18, v51
	v_pk_add_f32 v[56:57], v[18:19], v[52:53] neg_lo:[0,1] neg_hi:[0,1]
	v_mov_b32_e32 v55, v56
	v_pk_add_f32 v[64:65], v[60:61], v[54:55] neg_lo:[0,1] neg_hi:[0,1]
	v_mov_b32_e32 v50, v61
	v_mov_b32_e32 v60, v53
	;; [unrolled: 1-line block ×4, first 2 shown]
	v_pk_add_f32 v[50:51], v[50:51], v[60:61] neg_lo:[0,1] neg_hi:[0,1]
	v_mov_b32_e32 v56, v59
	v_mov_b32_e32 v57, v52
	v_pk_add_f32 v[50:51], v[56:57], v[50:51] neg_lo:[0,1] neg_hi:[0,1]
	v_mov_b32_e32 v64, v62
	v_pk_add_f32 v[52:53], v[64:65], v[50:51]
	v_mov_b32_e32 v56, v53
	v_pk_add_f32 v[56:57], v[52:53], v[56:57]
	v_pk_add_f32 v[58:59], v[18:19], v[56:57]
	v_mov_b32_e32 v53, v58
	v_pk_add_f32 v[60:61], v[52:53], v[62:63] neg_lo:[0,1] neg_hi:[0,1]
	v_mov_b32_e32 v51, v56
	v_sub_f32_e32 v18, v52, v60
	v_pk_add_f32 v[50:51], v[50:51], v[60:61] neg_lo:[0,1] neg_hi:[0,1]
	v_sub_f32_e32 v18, v62, v18
	s_mov_b32 s3, 0x7f800000
	v_add_f32_e32 v18, v50, v18
	s_mov_b32 s2, 0x33800000
	v_add_f32_e32 v18, v18, v51
	v_cmp_eq_f32_e32 vcc, s3, v66
	v_cmp_lt_f32_e64 s[2:3], |v66|, s2
	v_add_f32_e32 v18, v58, v18
	s_or_b64 vcc, vcc, s[2:3]
	v_cndmask_b32_e32 v18, v18, v66, vcc
	v_add_f32_e32 v50, v16, v18
.LBB482_130:
	s_or_b64 exec, exec, s[0:1]
	v_bfe_u32 v16, v50, 16, 1
	v_add3_u32 v16, v50, v16, s5
	v_lshrrev_b32_e32 v16, 16, v16
	v_cmp_o_f32_e32 vcc, v50, v50
	v_cndmask_b32_e32 v16, v25, v16, vcc
	v_lshlrev_b32_e32 v25, 16, v16
	v_max_f32_e32 v50, v25, v25
	v_min_f32_e32 v18, v50, v19
	v_cmp_u_f32_e32 vcc, v25, v25
	v_max_f32_e32 v19, v50, v19
	v_cndmask_b32_e32 v18, v18, v25, vcc
	v_cndmask_b32_e32 v19, v19, v25, vcc
	v_cndmask_b32_e64 v18, v18, v3, s[52:53]
	v_cndmask_b32_e64 v3, v19, v3, s[52:53]
	v_cmp_neq_f32_e32 vcc, v18, v3
	v_cmp_class_f32_e64 s[0:1], v18, s4
	s_or_b64 s[2:3], vcc, s[0:1]
	s_and_saveexec_b64 s[0:1], s[2:3]
	s_cbranch_execz .LBB482_132
; %bb.131:
	v_sub_f32_e32 v18, v18, v3
	s_mov_b32 s2, 0x3fb8aa3b
	v_mul_f32_e32 v19, 0x3fb8aa3b, v18
	v_fma_f32 v25, v18, s2, -v19
	v_rndne_f32_e32 v50, v19
	v_fmac_f32_e32 v25, 0x32a5705f, v18
	v_sub_f32_e32 v19, v19, v50
	v_add_f32_e32 v19, v19, v25
	v_exp_f32_e32 v19, v19
	v_cvt_i32_f32_e32 v25, v50
	s_mov_b32 s2, 0xc2ce8ed0
	v_cmp_ngt_f32_e32 vcc, s2, v18
	s_mov_b32 s2, 0x42b17218
	v_ldexp_f32 v19, v19, v25
	v_cndmask_b32_e32 v19, 0, v19, vcc
	v_mov_b32_e32 v25, 0x7f800000
	v_cmp_nlt_f32_e32 vcc, s2, v18
	v_cndmask_b32_e32 v55, v25, v19, vcc
	v_add_f32_e32 v25, 1.0, v55
	v_add_f32_e32 v18, -1.0, v25
	v_sub_f32_e32 v19, v18, v25
	v_add_f32_e32 v19, 1.0, v19
	v_sub_f32_e32 v18, v55, v18
	v_add_f32_e32 v50, v18, v19
	v_frexp_mant_f32_e32 v51, v25
	s_mov_b32 s2, 0x3f2aaaab
	v_cvt_f64_f32_e32 v[18:19], v25
	v_frexp_exp_i32_f64_e32 v18, v[18:19]
	v_cmp_gt_f32_e32 vcc, s2, v51
	v_subbrev_co_u32_e32 v58, vcc, 0, v18, vcc
	v_sub_u32_e32 v18, 0, v58
	v_ldexp_f32 v19, v25, v18
	v_add_f32_e32 v25, -1.0, v19
	v_add_f32_e32 v51, 1.0, v19
	v_ldexp_f32 v18, v50, v18
	v_add_f32_e32 v50, 1.0, v25
	v_add_f32_e32 v52, -1.0, v51
	v_sub_f32_e32 v50, v19, v50
	v_sub_f32_e32 v19, v19, v52
	v_add_f32_e32 v50, v18, v50
	v_add_f32_e32 v18, v18, v19
	;; [unrolled: 1-line block ×3, first 2 shown]
	v_rcp_f32_e32 v61, v59
	v_sub_f32_e32 v19, v51, v59
	v_add_f32_e32 v60, v18, v19
	v_add_f32_e32 v19, v25, v50
	v_sub_f32_e32 v18, v25, v19
	v_mul_f32_e32 v62, v19, v61
	v_add_f32_e32 v25, v50, v18
	v_mul_f32_e32 v50, v59, v62
	v_fma_f32 v52, v62, v59, -v50
	v_fmac_f32_e32 v52, v62, v60
	v_add_f32_e32 v18, v50, v52
	v_sub_f32_e32 v51, v19, v18
	v_pk_add_f32 v[56:57], v[18:19], v[50:51] neg_lo:[0,1] neg_hi:[0,1]
	v_mov_b32_e32 v53, v18
	v_pk_add_f32 v[18:19], v[56:57], v[52:53] neg_lo:[0,1] neg_hi:[0,1]
	v_add_f32_e32 v19, v25, v19
	v_add_f32_e32 v18, v18, v19
	;; [unrolled: 1-line block ×3, first 2 shown]
	v_mul_f32_e32 v25, v61, v19
	v_mul_f32_e32 v50, v59, v25
	v_fma_f32 v52, v25, v59, -v50
	v_fmac_f32_e32 v52, v25, v60
	v_sub_f32_e32 v51, v51, v19
	v_add_f32_e32 v59, v18, v51
	v_add_f32_e32 v18, v50, v52
	v_sub_f32_e32 v51, v19, v18
	v_pk_add_f32 v[56:57], v[18:19], v[50:51] neg_lo:[0,1] neg_hi:[0,1]
	v_mov_b32_e32 v53, v18
	v_pk_add_f32 v[18:19], v[56:57], v[52:53] neg_lo:[0,1] neg_hi:[0,1]
	v_add_f32_e32 v19, v59, v19
	v_add_f32_e32 v18, v18, v19
	;; [unrolled: 1-line block ×4, first 2 shown]
	v_sub_f32_e32 v19, v51, v62
	v_mul_f32_e32 v18, v61, v18
	v_sub_f32_e32 v19, v25, v19
	v_add_f32_e32 v18, v19, v18
	v_add_f32_e32 v25, v51, v18
	v_mul_f32_e32 v52, v25, v25
	v_mov_b32_e32 v50, 0x3ecc95a3
	v_fmac_f32_e32 v50, 0x3e9b6dac, v52
	v_mov_b32_e32 v19, 0x3f2aaada
	v_fmac_f32_e32 v19, v52, v50
	v_cvt_f32_i32_e32 v50, v58
	v_sub_f32_e32 v51, v25, v51
	v_sub_f32_e32 v18, v18, v51
	v_ldexp_f32 v56, v18, 1
	v_mul_f32_e32 v51, v25, v52
	v_mov_b32_e32 v18, 0x3f317218
	s_mov_b32 s2, 0x3f317218
	v_pk_mul_f32 v[18:19], v[50:51], v[18:19]
	v_fma_f32 v52, v50, s2, -v18
	v_ldexp_f32 v53, v25, 1
	v_fmac_f32_e32 v52, 0xb102e308, v50
	v_pk_add_f32 v[50:51], v[18:19], v[52:53]
	v_sub_f32_e32 v25, v51, v53
	v_sub_f32_e32 v25, v19, v25
	v_add_f32_e32 v57, v56, v25
	v_mov_b32_e32 v56, v18
	v_pk_add_f32 v[18:19], v[50:51], v[18:19] neg_lo:[0,1] neg_hi:[0,1]
	v_pk_add_f32 v[58:59], v[50:51], v[56:57]
	v_mov_b32_e32 v19, v59
	v_mov_b32_e32 v53, v50
	v_pk_add_f32 v[60:61], v[52:53], v[18:19] neg_lo:[0,1] neg_hi:[0,1]
	v_pk_add_f32 v[18:19], v[52:53], v[18:19]
	v_mov_b32_e32 v52, v19
	v_pk_add_f32 v[62:63], v[52:53], v[50:51] neg_lo:[0,1] neg_hi:[0,1]
	v_mov_b32_e32 v25, v62
	v_pk_add_f32 v[64:65], v[58:59], v[24:25] neg_lo:[0,1] neg_hi:[0,1]
	v_mov_b32_e32 v18, v59
	v_mov_b32_e32 v58, v51
	;; [unrolled: 1-line block ×4, first 2 shown]
	v_pk_add_f32 v[18:19], v[18:19], v[58:59] neg_lo:[0,1] neg_hi:[0,1]
	v_mov_b32_e32 v56, v57
	v_mov_b32_e32 v57, v50
	v_pk_add_f32 v[18:19], v[56:57], v[18:19] neg_lo:[0,1] neg_hi:[0,1]
	v_mov_b32_e32 v64, v60
	v_pk_add_f32 v[50:51], v[64:65], v[18:19]
	v_mov_b32_e32 v56, v51
	v_pk_add_f32 v[56:57], v[50:51], v[56:57]
	v_pk_add_f32 v[52:53], v[52:53], v[56:57]
	v_mov_b32_e32 v51, v52
	v_pk_add_f32 v[58:59], v[50:51], v[60:61] neg_lo:[0,1] neg_hi:[0,1]
	v_mov_b32_e32 v19, v56
	v_sub_f32_e32 v25, v50, v58
	v_pk_add_f32 v[18:19], v[18:19], v[58:59] neg_lo:[0,1] neg_hi:[0,1]
	v_sub_f32_e32 v25, v60, v25
	s_mov_b32 s3, 0x7f800000
	v_add_f32_e32 v18, v18, v25
	s_mov_b32 s2, 0x33800000
	v_add_f32_e32 v18, v18, v19
	v_cmp_eq_f32_e32 vcc, s3, v55
	v_cmp_lt_f32_e64 s[2:3], |v55|, s2
	v_add_f32_e32 v18, v52, v18
	s_or_b64 vcc, vcc, s[2:3]
	v_cndmask_b32_e32 v18, v18, v55, vcc
	v_add_f32_e32 v25, v3, v18
.LBB482_132:
	s_or_b64 exec, exec, s[0:1]
	v_bfe_u32 v3, v25, 16, 1
	v_add3_u32 v3, v25, v3, s5
	v_lshrrev_b32_e32 v3, 16, v3
	v_mov_b32_e32 v18, 0x7fc0
	v_cmp_o_f32_e32 vcc, v25, v25
	v_cndmask_b32_e32 v3, v18, v3, vcc
	v_lshlrev_b32_e32 v19, 16, v3
	v_max_f32_e32 v50, v19, v19
	v_min_f32_e32 v25, v50, v21
	v_cmp_u_f32_e32 vcc, v19, v19
	v_max_f32_e32 v21, v50, v21
	v_cndmask_b32_e32 v25, v25, v19, vcc
	v_cndmask_b32_e32 v21, v21, v19, vcc
	v_cndmask_b32_e64 v25, v25, v17, s[54:55]
	v_cndmask_b32_e64 v17, v21, v17, s[54:55]
	v_cmp_neq_f32_e32 vcc, v25, v17
	v_cmp_class_f32_e64 s[0:1], v25, s4
	s_or_b64 s[2:3], vcc, s[0:1]
	s_and_saveexec_b64 s[0:1], s[2:3]
	s_cbranch_execz .LBB482_134
; %bb.133:
	v_sub_f32_e32 v19, v25, v17
	s_mov_b32 s2, 0x3fb8aa3b
	v_mul_f32_e32 v21, 0x3fb8aa3b, v19
	v_fma_f32 v25, v19, s2, -v21
	v_rndne_f32_e32 v50, v21
	v_fmac_f32_e32 v25, 0x32a5705f, v19
	v_sub_f32_e32 v21, v21, v50
	v_add_f32_e32 v21, v21, v25
	v_exp_f32_e32 v21, v21
	v_cvt_i32_f32_e32 v25, v50
	s_mov_b32 s2, 0xc2ce8ed0
	v_cmp_ngt_f32_e32 vcc, s2, v19
	s_mov_b32 s2, 0x42b17218
	v_ldexp_f32 v21, v21, v25
	v_cndmask_b32_e32 v21, 0, v21, vcc
	v_mov_b32_e32 v25, 0x7f800000
	v_cmp_nlt_f32_e32 vcc, s2, v19
	v_cndmask_b32_e32 v21, v25, v21, vcc
	v_add_f32_e32 v19, 1.0, v21
	v_add_f32_e32 v25, -1.0, v19
	v_sub_f32_e32 v50, v25, v19
	v_add_f32_e32 v50, 1.0, v50
	v_sub_f32_e32 v25, v21, v25
	v_add_f32_e32 v25, v25, v50
	v_frexp_mant_f32_e32 v52, v19
	s_mov_b32 s2, 0x3f2aaaab
	v_cvt_f64_f32_e32 v[50:51], v19
	v_frexp_exp_i32_f64_e32 v50, v[50:51]
	v_cmp_gt_f32_e32 vcc, s2, v52
	v_subbrev_co_u32_e32 v55, vcc, 0, v50, vcc
	v_sub_u32_e32 v50, 0, v55
	v_ldexp_f32 v19, v19, v50
	v_ldexp_f32 v25, v25, v50
	v_add_f32_e32 v50, -1.0, v19
	v_add_f32_e32 v51, 1.0, v50
	v_sub_f32_e32 v51, v19, v51
	v_add_f32_e32 v52, v25, v51
	v_add_f32_e32 v51, 1.0, v19
	v_add_f32_e32 v53, -1.0, v51
	v_sub_f32_e32 v19, v19, v53
	v_add_f32_e32 v19, v25, v19
	v_add_f32_e32 v25, v51, v19
	v_rcp_f32_e32 v60, v25
	v_sub_f32_e32 v51, v51, v25
	v_add_f32_e32 v19, v19, v51
	v_add_f32_e32 v51, v50, v52
	v_sub_f32_e32 v50, v50, v51
	v_mul_f32_e32 v62, v51, v60
	v_add_f32_e32 v61, v52, v50
	v_mul_f32_e32 v52, v25, v62
	v_fma_f32 v56, v62, v25, -v52
	v_fmac_f32_e32 v56, v62, v19
	v_add_f32_e32 v50, v52, v56
	v_sub_f32_e32 v53, v51, v50
	v_pk_add_f32 v[58:59], v[50:51], v[52:53] neg_lo:[0,1] neg_hi:[0,1]
	v_mov_b32_e32 v57, v50
	v_pk_add_f32 v[50:51], v[58:59], v[56:57] neg_lo:[0,1] neg_hi:[0,1]
	v_add_f32_e32 v51, v61, v51
	v_add_f32_e32 v50, v50, v51
	;; [unrolled: 1-line block ×3, first 2 shown]
	v_mul_f32_e32 v61, v60, v51
	v_mul_f32_e32 v52, v25, v61
	v_fma_f32 v56, v61, v25, -v52
	v_fmac_f32_e32 v56, v61, v19
	v_sub_f32_e32 v19, v53, v51
	v_add_f32_e32 v19, v50, v19
	v_add_f32_e32 v50, v52, v56
	v_sub_f32_e32 v53, v51, v50
	v_pk_add_f32 v[58:59], v[50:51], v[52:53] neg_lo:[0,1] neg_hi:[0,1]
	v_mov_b32_e32 v57, v50
	v_pk_add_f32 v[50:51], v[58:59], v[56:57] neg_lo:[0,1] neg_hi:[0,1]
	v_add_f32_e32 v19, v19, v51
	v_add_f32_e32 v19, v50, v19
	;; [unrolled: 1-line block ×4, first 2 shown]
	v_sub_f32_e32 v50, v25, v62
	v_mul_f32_e32 v19, v60, v19
	v_sub_f32_e32 v50, v61, v50
	v_add_f32_e32 v19, v50, v19
	v_add_f32_e32 v50, v25, v19
	v_mul_f32_e32 v53, v50, v50
	v_mov_b32_e32 v52, 0x3ecc95a3
	v_fmac_f32_e32 v52, 0x3e9b6dac, v53
	v_mov_b32_e32 v51, 0x3f2aaada
	v_fmac_f32_e32 v51, v53, v52
	v_cvt_f32_i32_e32 v52, v55
	v_sub_f32_e32 v25, v50, v25
	v_ldexp_f32 v57, v50, 1
	v_mul_f32_e32 v53, v50, v53
	v_mov_b32_e32 v50, 0x3f317218
	s_mov_b32 s2, 0x3f317218
	v_pk_mul_f32 v[50:51], v[52:53], v[50:51]
	v_fma_f32 v56, v52, s2, -v50
	v_fmac_f32_e32 v56, 0xb102e308, v52
	v_pk_add_f32 v[52:53], v[50:51], v[56:57]
	v_sub_f32_e32 v19, v19, v25
	v_sub_f32_e32 v25, v53, v57
	v_ldexp_f32 v19, v19, 1
	v_sub_f32_e32 v25, v51, v25
	v_add_f32_e32 v59, v19, v25
	v_mov_b32_e32 v58, v50
	v_pk_add_f32 v[50:51], v[52:53], v[50:51] neg_lo:[0,1] neg_hi:[0,1]
	v_pk_add_f32 v[60:61], v[52:53], v[58:59]
	v_mov_b32_e32 v51, v61
	v_mov_b32_e32 v57, v52
	v_pk_add_f32 v[62:63], v[56:57], v[50:51] neg_lo:[0,1] neg_hi:[0,1]
	v_pk_add_f32 v[50:51], v[56:57], v[50:51]
	v_mov_b32_e32 v56, v51
	v_pk_add_f32 v[64:65], v[56:57], v[52:53] neg_lo:[0,1] neg_hi:[0,1]
	v_mov_b32_e32 v19, v64
	v_pk_add_f32 v[66:67], v[60:61], v[18:19] neg_lo:[0,1] neg_hi:[0,1]
	v_mov_b32_e32 v50, v61
	v_mov_b32_e32 v60, v53
	;; [unrolled: 1-line block ×4, first 2 shown]
	v_pk_add_f32 v[50:51], v[50:51], v[60:61] neg_lo:[0,1] neg_hi:[0,1]
	v_mov_b32_e32 v58, v59
	v_mov_b32_e32 v59, v52
	v_pk_add_f32 v[50:51], v[58:59], v[50:51] neg_lo:[0,1] neg_hi:[0,1]
	v_mov_b32_e32 v66, v62
	v_pk_add_f32 v[52:53], v[66:67], v[50:51]
	v_mov_b32_e32 v58, v53
	v_pk_add_f32 v[58:59], v[52:53], v[58:59]
	v_pk_add_f32 v[56:57], v[56:57], v[58:59]
	v_mov_b32_e32 v53, v56
	v_pk_add_f32 v[60:61], v[52:53], v[62:63] neg_lo:[0,1] neg_hi:[0,1]
	v_mov_b32_e32 v51, v58
	v_sub_f32_e32 v19, v52, v60
	v_pk_add_f32 v[50:51], v[50:51], v[60:61] neg_lo:[0,1] neg_hi:[0,1]
	v_sub_f32_e32 v19, v62, v19
	s_mov_b32 s3, 0x7f800000
	v_add_f32_e32 v19, v50, v19
	s_mov_b32 s2, 0x33800000
	v_add_f32_e32 v19, v19, v51
	v_cmp_eq_f32_e32 vcc, s3, v21
	v_cmp_lt_f32_e64 s[2:3], |v21|, s2
	v_add_f32_e32 v19, v56, v19
	s_or_b64 vcc, vcc, s[2:3]
	v_cndmask_b32_e32 v19, v19, v21, vcc
	v_add_f32_e32 v19, v17, v19
.LBB482_134:
	s_or_b64 exec, exec, s[0:1]
	v_bfe_u32 v17, v19, 16, 1
	v_add3_u32 v17, v19, v17, s5
	v_lshrrev_b32_e32 v17, 16, v17
	v_cmp_o_f32_e32 vcc, v19, v19
	v_cndmask_b32_e32 v17, v18, v17, vcc
	v_lshlrev_b32_e32 v19, 16, v17
	v_max_f32_e32 v21, v19, v19
	v_min_f32_e32 v18, v21, v22
	v_cmp_u_f32_e32 vcc, v19, v19
	v_max_f32_e32 v21, v21, v22
	v_cndmask_b32_e32 v18, v18, v19, vcc
	v_cndmask_b32_e32 v21, v21, v19, vcc
	v_cndmask_b32_e64 v18, v18, v4, s[56:57]
	v_cndmask_b32_e64 v4, v21, v4, s[56:57]
	v_cmp_neq_f32_e32 vcc, v18, v4
	v_cmp_class_f32_e64 s[0:1], v18, s4
	s_or_b64 s[2:3], vcc, s[0:1]
	s_and_saveexec_b64 s[0:1], s[2:3]
	s_cbranch_execz .LBB482_136
; %bb.135:
	v_sub_f32_e32 v18, v18, v4
	s_mov_b32 s2, 0x3fb8aa3b
	v_mul_f32_e32 v19, 0x3fb8aa3b, v18
	v_fma_f32 v21, v18, s2, -v19
	v_rndne_f32_e32 v22, v19
	v_fmac_f32_e32 v21, 0x32a5705f, v18
	v_sub_f32_e32 v19, v19, v22
	v_add_f32_e32 v19, v19, v21
	v_exp_f32_e32 v19, v19
	v_cvt_i32_f32_e32 v21, v22
	s_mov_b32 s2, 0xc2ce8ed0
	v_cmp_ngt_f32_e32 vcc, s2, v18
	s_mov_b32 s2, 0x42b17218
	v_ldexp_f32 v19, v19, v21
	v_cndmask_b32_e32 v19, 0, v19, vcc
	v_mov_b32_e32 v21, 0x7f800000
	v_cmp_nlt_f32_e32 vcc, s2, v18
	v_cndmask_b32_e32 v25, v21, v19, vcc
	v_add_f32_e32 v21, 1.0, v25
	v_add_f32_e32 v18, -1.0, v21
	v_sub_f32_e32 v19, v18, v21
	v_add_f32_e32 v19, 1.0, v19
	v_sub_f32_e32 v18, v25, v18
	v_add_f32_e32 v22, v18, v19
	v_frexp_mant_f32_e32 v50, v21
	s_mov_b32 s2, 0x3f2aaaab
	v_cvt_f64_f32_e32 v[18:19], v21
	v_frexp_exp_i32_f64_e32 v18, v[18:19]
	v_cmp_gt_f32_e32 vcc, s2, v50
	v_subbrev_co_u32_e32 v55, vcc, 0, v18, vcc
	v_sub_u32_e32 v18, 0, v55
	v_ldexp_f32 v19, v21, v18
	v_add_f32_e32 v21, -1.0, v19
	v_add_f32_e32 v50, 1.0, v19
	v_ldexp_f32 v18, v22, v18
	v_add_f32_e32 v22, 1.0, v21
	v_add_f32_e32 v51, -1.0, v50
	v_sub_f32_e32 v22, v19, v22
	v_sub_f32_e32 v19, v19, v51
	v_add_f32_e32 v22, v18, v22
	v_add_f32_e32 v18, v18, v19
	;; [unrolled: 1-line block ×3, first 2 shown]
	v_rcp_f32_e32 v60, v58
	v_sub_f32_e32 v19, v50, v58
	v_add_f32_e32 v59, v18, v19
	v_add_f32_e32 v19, v21, v22
	v_sub_f32_e32 v18, v21, v19
	v_add_f32_e32 v21, v22, v18
	v_mul_f32_e32 v22, v19, v60
	v_mul_f32_e32 v50, v58, v22
	v_fma_f32 v52, v22, v58, -v50
	v_fmac_f32_e32 v52, v22, v59
	v_add_f32_e32 v18, v50, v52
	v_sub_f32_e32 v51, v19, v18
	v_pk_add_f32 v[56:57], v[18:19], v[50:51] neg_lo:[0,1] neg_hi:[0,1]
	v_mov_b32_e32 v53, v18
	v_pk_add_f32 v[18:19], v[56:57], v[52:53] neg_lo:[0,1] neg_hi:[0,1]
	v_add_f32_e32 v19, v21, v19
	v_add_f32_e32 v18, v18, v19
	v_add_f32_e32 v19, v51, v18
	v_mul_f32_e32 v21, v60, v19
	v_mul_f32_e32 v50, v58, v21
	v_fma_f32 v52, v21, v58, -v50
	v_fmac_f32_e32 v52, v21, v59
	v_sub_f32_e32 v51, v51, v19
	v_add_f32_e32 v58, v18, v51
	v_add_f32_e32 v18, v50, v52
	v_sub_f32_e32 v51, v19, v18
	v_pk_add_f32 v[56:57], v[18:19], v[50:51] neg_lo:[0,1] neg_hi:[0,1]
	v_mov_b32_e32 v53, v18
	v_pk_add_f32 v[18:19], v[56:57], v[52:53] neg_lo:[0,1] neg_hi:[0,1]
	v_add_f32_e32 v19, v58, v19
	v_add_f32_e32 v18, v18, v19
	;; [unrolled: 1-line block ×4, first 2 shown]
	v_sub_f32_e32 v19, v51, v22
	v_mul_f32_e32 v18, v60, v18
	v_sub_f32_e32 v19, v21, v19
	v_add_f32_e32 v18, v19, v18
	v_add_f32_e32 v21, v51, v18
	v_mul_f32_e32 v22, v21, v21
	v_mov_b32_e32 v50, 0x3ecc95a3
	v_fmac_f32_e32 v50, 0x3e9b6dac, v22
	v_mov_b32_e32 v19, 0x3f2aaada
	v_fmac_f32_e32 v19, v22, v50
	v_cvt_f32_i32_e32 v50, v55
	v_sub_f32_e32 v51, v21, v51
	v_sub_f32_e32 v18, v18, v51
	v_ldexp_f32 v55, v18, 1
	v_mul_f32_e32 v51, v21, v22
	v_mov_b32_e32 v18, 0x3f317218
	s_mov_b32 s2, 0x3f317218
	v_pk_mul_f32 v[18:19], v[50:51], v[18:19]
	v_fma_f32 v52, v50, s2, -v18
	v_ldexp_f32 v53, v21, 1
	v_fmac_f32_e32 v52, 0xb102e308, v50
	v_pk_add_f32 v[50:51], v[18:19], v[52:53]
	v_sub_f32_e32 v21, v51, v53
	v_sub_f32_e32 v21, v19, v21
	v_add_f32_e32 v57, v55, v21
	v_mov_b32_e32 v56, v18
	v_pk_add_f32 v[18:19], v[50:51], v[18:19] neg_lo:[0,1] neg_hi:[0,1]
	v_pk_add_f32 v[58:59], v[50:51], v[56:57]
	v_mov_b32_e32 v19, v59
	v_mov_b32_e32 v53, v50
	v_pk_add_f32 v[60:61], v[52:53], v[18:19] neg_lo:[0,1] neg_hi:[0,1]
	v_pk_add_f32 v[18:19], v[52:53], v[18:19]
	v_mov_b32_e32 v22, v19
	v_pk_add_f32 v[52:53], v[22:23], v[50:51] neg_lo:[0,1] neg_hi:[0,1]
	v_mov_b32_e32 v21, v52
	v_pk_add_f32 v[62:63], v[58:59], v[20:21] neg_lo:[0,1] neg_hi:[0,1]
	v_mov_b32_e32 v18, v59
	v_mov_b32_e32 v58, v51
	;; [unrolled: 1-line block ×4, first 2 shown]
	v_pk_add_f32 v[18:19], v[18:19], v[58:59] neg_lo:[0,1] neg_hi:[0,1]
	v_mov_b32_e32 v52, v57
	v_mov_b32_e32 v53, v50
	v_pk_add_f32 v[18:19], v[52:53], v[18:19] neg_lo:[0,1] neg_hi:[0,1]
	v_mov_b32_e32 v62, v60
	v_pk_add_f32 v[50:51], v[62:63], v[18:19]
	v_mov_b32_e32 v52, v51
	v_pk_add_f32 v[52:53], v[50:51], v[52:53]
	v_pk_add_f32 v[56:57], v[22:23], v[52:53]
	v_mov_b32_e32 v51, v56
	v_pk_add_f32 v[58:59], v[50:51], v[60:61] neg_lo:[0,1] neg_hi:[0,1]
	v_mov_b32_e32 v19, v52
	v_sub_f32_e32 v21, v50, v58
	v_pk_add_f32 v[18:19], v[18:19], v[58:59] neg_lo:[0,1] neg_hi:[0,1]
	v_sub_f32_e32 v21, v60, v21
	s_mov_b32 s3, 0x7f800000
	v_add_f32_e32 v18, v18, v21
	s_mov_b32 s2, 0x33800000
	v_add_f32_e32 v18, v18, v19
	v_cmp_eq_f32_e32 vcc, s3, v25
	v_cmp_lt_f32_e64 s[2:3], |v25|, s2
	v_add_f32_e32 v18, v56, v18
	s_or_b64 vcc, vcc, s[2:3]
	v_cndmask_b32_e32 v18, v18, v25, vcc
	v_add_f32_e32 v19, v4, v18
.LBB482_136:
	s_or_b64 exec, exec, s[0:1]
	v_bfe_u32 v4, v19, 16, 1
	v_add3_u32 v4, v19, v4, s5
	v_lshrrev_b32_e32 v4, 16, v4
	v_mov_b32_e32 v18, 0x7fc0
	v_cmp_o_f32_e32 vcc, v19, v19
	v_cndmask_b32_e32 v4, v18, v4, vcc
	v_lshlrev_b32_e32 v21, 16, v4
	v_max_f32_e32 v19, v21, v21
	v_min_f32_e32 v22, v19, v24
	v_cmp_u_f32_e32 vcc, v21, v21
	v_max_f32_e32 v19, v19, v24
	v_cndmask_b32_e32 v22, v22, v21, vcc
	v_cndmask_b32_e32 v19, v19, v21, vcc
	v_cndmask_b32_e64 v22, v22, v20, s[58:59]
	v_cndmask_b32_e64 v19, v19, v20, s[58:59]
	v_cmp_neq_f32_e32 vcc, v22, v19
	v_cmp_class_f32_e64 s[0:1], v22, s4
	s_or_b64 s[2:3], vcc, s[0:1]
	s_and_saveexec_b64 s[0:1], s[2:3]
	s_cbranch_execz .LBB482_138
; %bb.137:
	v_sub_f32_e32 v20, v22, v19
	s_mov_b32 s2, 0x3fb8aa3b
	v_mul_f32_e32 v21, 0x3fb8aa3b, v20
	v_fma_f32 v22, v20, s2, -v21
	v_rndne_f32_e32 v24, v21
	v_fmac_f32_e32 v22, 0x32a5705f, v20
	v_sub_f32_e32 v21, v21, v24
	v_add_f32_e32 v21, v21, v22
	v_exp_f32_e32 v21, v21
	v_cvt_i32_f32_e32 v22, v24
	s_mov_b32 s2, 0xc2ce8ed0
	v_cmp_ngt_f32_e32 vcc, s2, v20
	s_mov_b32 s2, 0x42b17218
	v_ldexp_f32 v21, v21, v22
	v_cndmask_b32_e32 v21, 0, v21, vcc
	v_mov_b32_e32 v22, 0x7f800000
	v_cmp_nlt_f32_e32 vcc, s2, v20
	v_cndmask_b32_e32 v55, v22, v21, vcc
	v_add_f32_e32 v22, 1.0, v55
	v_add_f32_e32 v20, -1.0, v22
	v_sub_f32_e32 v21, v20, v22
	v_add_f32_e32 v21, 1.0, v21
	v_sub_f32_e32 v20, v55, v20
	v_add_f32_e32 v24, v20, v21
	v_frexp_mant_f32_e32 v25, v22
	s_mov_b32 s2, 0x3f2aaaab
	v_cvt_f64_f32_e32 v[20:21], v22
	v_frexp_exp_i32_f64_e32 v20, v[20:21]
	v_cmp_gt_f32_e32 vcc, s2, v25
	v_subbrev_co_u32_e32 v56, vcc, 0, v20, vcc
	v_sub_u32_e32 v20, 0, v56
	v_ldexp_f32 v21, v22, v20
	v_add_f32_e32 v22, -1.0, v21
	v_add_f32_e32 v25, 1.0, v21
	v_ldexp_f32 v20, v24, v20
	v_add_f32_e32 v24, 1.0, v22
	v_add_f32_e32 v50, -1.0, v25
	v_sub_f32_e32 v24, v21, v24
	v_sub_f32_e32 v21, v21, v50
	v_add_f32_e32 v24, v20, v24
	v_add_f32_e32 v20, v20, v21
	;; [unrolled: 1-line block ×3, first 2 shown]
	v_rcp_f32_e32 v59, v57
	v_sub_f32_e32 v21, v25, v57
	v_add_f32_e32 v58, v20, v21
	v_add_f32_e32 v21, v22, v24
	v_sub_f32_e32 v20, v22, v21
	v_mul_f32_e32 v60, v21, v59
	v_add_f32_e32 v22, v24, v20
	v_mul_f32_e32 v24, v57, v60
	v_fma_f32 v50, v60, v57, -v24
	v_fmac_f32_e32 v50, v60, v58
	v_add_f32_e32 v20, v24, v50
	v_sub_f32_e32 v25, v21, v20
	v_pk_add_f32 v[52:53], v[20:21], v[24:25] neg_lo:[0,1] neg_hi:[0,1]
	v_mov_b32_e32 v51, v20
	v_pk_add_f32 v[20:21], v[52:53], v[50:51] neg_lo:[0,1] neg_hi:[0,1]
	v_add_f32_e32 v21, v22, v21
	v_add_f32_e32 v20, v20, v21
	v_add_f32_e32 v21, v25, v20
	v_mul_f32_e32 v22, v59, v21
	v_mul_f32_e32 v24, v57, v22
	v_fma_f32 v50, v22, v57, -v24
	v_fmac_f32_e32 v50, v22, v58
	v_sub_f32_e32 v25, v25, v21
	v_add_f32_e32 v57, v20, v25
	v_add_f32_e32 v20, v24, v50
	v_sub_f32_e32 v25, v21, v20
	v_pk_add_f32 v[52:53], v[20:21], v[24:25] neg_lo:[0,1] neg_hi:[0,1]
	v_mov_b32_e32 v51, v20
	v_pk_add_f32 v[20:21], v[52:53], v[50:51] neg_lo:[0,1] neg_hi:[0,1]
	v_add_f32_e32 v21, v57, v21
	v_add_f32_e32 v20, v20, v21
	;; [unrolled: 1-line block ×4, first 2 shown]
	v_sub_f32_e32 v21, v25, v60
	v_mul_f32_e32 v20, v59, v20
	v_sub_f32_e32 v21, v22, v21
	v_add_f32_e32 v20, v21, v20
	v_add_f32_e32 v22, v25, v20
	v_mul_f32_e32 v50, v22, v22
	v_mov_b32_e32 v24, 0x3ecc95a3
	v_fmac_f32_e32 v24, 0x3e9b6dac, v50
	v_mov_b32_e32 v21, 0x3f2aaada
	v_fmac_f32_e32 v21, v50, v24
	v_cvt_f32_i32_e32 v24, v56
	v_sub_f32_e32 v25, v22, v25
	v_sub_f32_e32 v20, v20, v25
	v_ldexp_f32 v52, v20, 1
	v_mul_f32_e32 v25, v22, v50
	v_mov_b32_e32 v20, 0x3f317218
	s_mov_b32 s2, 0x3f317218
	v_pk_mul_f32 v[20:21], v[24:25], v[20:21]
	v_fma_f32 v50, v24, s2, -v20
	v_ldexp_f32 v51, v22, 1
	v_fmac_f32_e32 v50, 0xb102e308, v24
	v_pk_add_f32 v[24:25], v[20:21], v[50:51]
	v_sub_f32_e32 v22, v25, v51
	v_sub_f32_e32 v22, v21, v22
	v_add_f32_e32 v53, v52, v22
	v_mov_b32_e32 v52, v20
	v_pk_add_f32 v[20:21], v[24:25], v[20:21] neg_lo:[0,1] neg_hi:[0,1]
	v_pk_add_f32 v[56:57], v[24:25], v[52:53]
	v_mov_b32_e32 v21, v57
	v_mov_b32_e32 v51, v24
	v_pk_add_f32 v[58:59], v[50:51], v[20:21] neg_lo:[0,1] neg_hi:[0,1]
	v_pk_add_f32 v[20:21], v[50:51], v[20:21]
	v_mov_b32_e32 v22, v21
	v_pk_add_f32 v[50:51], v[22:23], v[24:25] neg_lo:[0,1] neg_hi:[0,1]
	v_mov_b32_e32 v51, v50
	v_pk_add_f32 v[60:61], v[56:57], v[50:51] neg_lo:[0,1] neg_hi:[0,1]
	v_mov_b32_e32 v20, v57
	v_mov_b32_e32 v56, v25
	v_mov_b32_e32 v57, v50
	v_mov_b32_e32 v59, v21
	v_pk_add_f32 v[20:21], v[20:21], v[56:57] neg_lo:[0,1] neg_hi:[0,1]
	v_mov_b32_e32 v50, v53
	v_mov_b32_e32 v51, v24
	v_pk_add_f32 v[20:21], v[50:51], v[20:21] neg_lo:[0,1] neg_hi:[0,1]
	v_mov_b32_e32 v60, v58
	v_pk_add_f32 v[24:25], v[60:61], v[20:21]
	v_mov_b32_e32 v50, v25
	v_pk_add_f32 v[50:51], v[24:25], v[50:51]
	v_pk_add_f32 v[52:53], v[22:23], v[50:51]
	v_mov_b32_e32 v25, v52
	v_pk_add_f32 v[56:57], v[24:25], v[58:59] neg_lo:[0,1] neg_hi:[0,1]
	v_mov_b32_e32 v21, v50
	v_sub_f32_e32 v22, v24, v56
	v_pk_add_f32 v[20:21], v[20:21], v[56:57] neg_lo:[0,1] neg_hi:[0,1]
	v_sub_f32_e32 v22, v58, v22
	s_mov_b32 s3, 0x7f800000
	v_add_f32_e32 v20, v20, v22
	s_mov_b32 s2, 0x33800000
	v_add_f32_e32 v20, v20, v21
	v_cmp_eq_f32_e32 vcc, s3, v55
	v_cmp_lt_f32_e64 s[2:3], |v55|, s2
	v_add_f32_e32 v20, v52, v20
	s_or_b64 vcc, vcc, s[2:3]
	v_cndmask_b32_e32 v20, v20, v55, vcc
	v_add_f32_e32 v21, v19, v20
.LBB482_138:
	s_or_b64 exec, exec, s[0:1]
	v_bfe_u32 v19, v21, 16, 1
	v_add3_u32 v19, v21, v19, s5
	v_lshrrev_b32_e32 v19, 16, v19
	v_cmp_o_f32_e32 vcc, v21, v21
	v_cndmask_b32_e32 v18, v18, v19, vcc
	v_lshlrev_b32_e32 v20, 16, v18
	v_max_f32_e32 v21, v20, v20
	v_min_f32_e32 v19, v21, v26
	v_cmp_u_f32_e32 vcc, v20, v20
	v_max_f32_e32 v21, v21, v26
	v_cndmask_b32_e32 v19, v19, v20, vcc
	v_cndmask_b32_e32 v21, v21, v20, vcc
	v_cndmask_b32_e64 v19, v19, v5, s[60:61]
	v_cndmask_b32_e64 v5, v21, v5, s[60:61]
	v_cmp_neq_f32_e32 vcc, v19, v5
	v_cmp_class_f32_e64 s[0:1], v19, s4
	s_or_b64 s[2:3], vcc, s[0:1]
	s_and_saveexec_b64 s[0:1], s[2:3]
	s_cbranch_execz .LBB482_140
; %bb.139:
	v_sub_f32_e32 v19, v19, v5
	s_mov_b32 s2, 0x3fb8aa3b
	v_mul_f32_e32 v20, 0x3fb8aa3b, v19
	v_fma_f32 v21, v19, s2, -v20
	v_rndne_f32_e32 v22, v20
	v_fmac_f32_e32 v21, 0x32a5705f, v19
	v_sub_f32_e32 v20, v20, v22
	v_add_f32_e32 v20, v20, v21
	v_exp_f32_e32 v20, v20
	v_cvt_i32_f32_e32 v21, v22
	s_mov_b32 s2, 0xc2ce8ed0
	v_cmp_ngt_f32_e32 vcc, s2, v19
	s_mov_b32 s2, 0x42b17218
	v_ldexp_f32 v20, v20, v21
	v_cndmask_b32_e32 v20, 0, v20, vcc
	v_mov_b32_e32 v21, 0x7f800000
	v_cmp_nlt_f32_e32 vcc, s2, v19
	v_cndmask_b32_e32 v55, v21, v20, vcc
	v_add_f32_e32 v19, 1.0, v55
	v_add_f32_e32 v20, -1.0, v19
	v_sub_f32_e32 v21, v20, v19
	v_add_f32_e32 v21, 1.0, v21
	v_sub_f32_e32 v20, v55, v20
	v_add_f32_e32 v22, v20, v21
	v_frexp_mant_f32_e32 v24, v19
	s_mov_b32 s2, 0x3f2aaaab
	v_cvt_f64_f32_e32 v[20:21], v19
	v_frexp_exp_i32_f64_e32 v20, v[20:21]
	v_cmp_gt_f32_e32 vcc, s2, v24
	v_subbrev_co_u32_e32 v26, vcc, 0, v20, vcc
	v_sub_u32_e32 v20, 0, v26
	v_ldexp_f32 v19, v19, v20
	v_ldexp_f32 v20, v22, v20
	v_add_f32_e32 v22, -1.0, v19
	v_add_f32_e32 v21, 1.0, v22
	v_sub_f32_e32 v21, v19, v21
	v_add_f32_e32 v24, v20, v21
	v_add_f32_e32 v21, 1.0, v19
	v_add_f32_e32 v25, -1.0, v21
	v_sub_f32_e32 v19, v19, v25
	v_add_f32_e32 v19, v20, v19
	v_add_f32_e32 v56, v21, v19
	v_rcp_f32_e32 v57, v56
	v_sub_f32_e32 v20, v21, v56
	v_add_f32_e32 v21, v22, v24
	v_add_f32_e32 v19, v19, v20
	v_sub_f32_e32 v20, v22, v21
	v_mul_f32_e32 v58, v21, v57
	v_add_f32_e32 v22, v24, v20
	v_mul_f32_e32 v24, v56, v58
	v_fma_f32 v50, v58, v56, -v24
	v_fmac_f32_e32 v50, v58, v19
	v_add_f32_e32 v20, v24, v50
	v_sub_f32_e32 v25, v21, v20
	v_pk_add_f32 v[52:53], v[20:21], v[24:25] neg_lo:[0,1] neg_hi:[0,1]
	v_mov_b32_e32 v51, v20
	v_pk_add_f32 v[20:21], v[52:53], v[50:51] neg_lo:[0,1] neg_hi:[0,1]
	v_add_f32_e32 v21, v22, v21
	v_add_f32_e32 v20, v20, v21
	;; [unrolled: 1-line block ×3, first 2 shown]
	v_mul_f32_e32 v22, v57, v21
	v_mul_f32_e32 v24, v56, v22
	v_fma_f32 v50, v22, v56, -v24
	v_fmac_f32_e32 v50, v22, v19
	v_sub_f32_e32 v19, v25, v21
	v_add_f32_e32 v19, v20, v19
	v_add_f32_e32 v20, v24, v50
	v_sub_f32_e32 v25, v21, v20
	v_pk_add_f32 v[52:53], v[20:21], v[24:25] neg_lo:[0,1] neg_hi:[0,1]
	v_mov_b32_e32 v51, v20
	v_pk_add_f32 v[20:21], v[52:53], v[50:51] neg_lo:[0,1] neg_hi:[0,1]
	v_add_f32_e32 v19, v19, v21
	v_add_f32_e32 v19, v20, v19
	;; [unrolled: 1-line block ×4, first 2 shown]
	v_sub_f32_e32 v21, v20, v58
	v_mul_f32_e32 v19, v57, v19
	v_sub_f32_e32 v21, v22, v21
	v_add_f32_e32 v19, v21, v19
	v_add_f32_e32 v22, v20, v19
	v_mul_f32_e32 v25, v22, v22
	v_mov_b32_e32 v24, 0x3ecc95a3
	v_fmac_f32_e32 v24, 0x3e9b6dac, v25
	v_mov_b32_e32 v21, 0x3f2aaada
	v_fmac_f32_e32 v21, v25, v24
	v_cvt_f32_i32_e32 v24, v26
	v_sub_f32_e32 v20, v22, v20
	v_sub_f32_e32 v19, v19, v20
	v_mul_f32_e32 v25, v22, v25
	v_mov_b32_e32 v20, 0x3f317218
	s_mov_b32 s2, 0x3f317218
	v_pk_mul_f32 v[20:21], v[24:25], v[20:21]
	v_fma_f32 v50, v24, s2, -v20
	v_ldexp_f32 v51, v22, 1
	v_fmac_f32_e32 v50, 0xb102e308, v24
	v_pk_add_f32 v[24:25], v[20:21], v[50:51]
	v_sub_f32_e32 v22, v25, v51
	v_ldexp_f32 v19, v19, 1
	v_sub_f32_e32 v22, v21, v22
	v_add_f32_e32 v53, v19, v22
	v_mov_b32_e32 v52, v20
	v_pk_add_f32 v[20:21], v[24:25], v[20:21] neg_lo:[0,1] neg_hi:[0,1]
	v_pk_add_f32 v[56:57], v[24:25], v[52:53]
	v_mov_b32_e32 v21, v57
	v_mov_b32_e32 v51, v24
	v_pk_add_f32 v[58:59], v[50:51], v[20:21] neg_lo:[0,1] neg_hi:[0,1]
	v_pk_add_f32 v[20:21], v[50:51], v[20:21]
	v_mov_b32_e32 v22, v21
	v_pk_add_f32 v[50:51], v[22:23], v[24:25] neg_lo:[0,1] neg_hi:[0,1]
	v_mov_b32_e32 v19, v50
	v_pk_add_f32 v[60:61], v[56:57], v[18:19] neg_lo:[0,1] neg_hi:[0,1]
	v_mov_b32_e32 v20, v57
	v_mov_b32_e32 v56, v25
	;; [unrolled: 1-line block ×4, first 2 shown]
	v_pk_add_f32 v[20:21], v[20:21], v[56:57] neg_lo:[0,1] neg_hi:[0,1]
	v_mov_b32_e32 v50, v53
	v_mov_b32_e32 v51, v24
	v_pk_add_f32 v[20:21], v[50:51], v[20:21] neg_lo:[0,1] neg_hi:[0,1]
	v_mov_b32_e32 v60, v58
	v_pk_add_f32 v[24:25], v[60:61], v[20:21]
	v_mov_b32_e32 v26, v25
	v_pk_add_f32 v[50:51], v[24:25], v[26:27]
	v_pk_add_f32 v[52:53], v[22:23], v[50:51]
	v_mov_b32_e32 v25, v52
	v_pk_add_f32 v[56:57], v[24:25], v[58:59] neg_lo:[0,1] neg_hi:[0,1]
	v_mov_b32_e32 v21, v50
	v_sub_f32_e32 v19, v24, v56
	v_pk_add_f32 v[20:21], v[20:21], v[56:57] neg_lo:[0,1] neg_hi:[0,1]
	v_sub_f32_e32 v19, v58, v19
	s_mov_b32 s3, 0x7f800000
	v_add_f32_e32 v19, v20, v19
	s_mov_b32 s2, 0x33800000
	v_add_f32_e32 v19, v19, v21
	v_cmp_eq_f32_e32 vcc, s3, v55
	v_cmp_lt_f32_e64 s[2:3], |v55|, s2
	v_add_f32_e32 v19, v52, v19
	s_or_b64 vcc, vcc, s[2:3]
	v_cndmask_b32_e32 v19, v19, v55, vcc
	v_add_f32_e32 v20, v5, v19
.LBB482_140:
	s_or_b64 exec, exec, s[0:1]
	v_bfe_u32 v5, v20, 16, 1
	v_add3_u32 v5, v20, v5, s5
	v_lshrrev_b32_e32 v5, 16, v5
	v_mov_b32_e32 v19, 0x7fc0
	v_cmp_o_f32_e32 vcc, v20, v20
	v_cndmask_b32_e32 v5, v19, v5, vcc
	v_lshlrev_b32_e32 v21, 16, v5
	v_max_f32_e32 v20, v21, v21
	v_min_f32_e32 v22, v20, v28
	v_cmp_u_f32_e32 vcc, v21, v21
	v_max_f32_e32 v20, v20, v28
	v_cndmask_b32_e32 v22, v22, v21, vcc
	v_cndmask_b32_e32 v20, v20, v21, vcc
	v_cndmask_b32_e64 v22, v22, v23, s[62:63]
	v_cndmask_b32_e64 v20, v20, v23, s[62:63]
	v_cmp_neq_f32_e32 vcc, v22, v20
	v_cmp_class_f32_e64 s[0:1], v22, s4
	s_or_b64 s[2:3], vcc, s[0:1]
	s_and_saveexec_b64 s[0:1], s[2:3]
	s_cbranch_execz .LBB482_142
; %bb.141:
	v_sub_f32_e32 v21, v22, v20
	s_mov_b32 s2, 0x3fb8aa3b
	v_mul_f32_e32 v22, 0x3fb8aa3b, v21
	v_fma_f32 v23, v21, s2, -v22
	v_rndne_f32_e32 v24, v22
	v_fmac_f32_e32 v23, 0x32a5705f, v21
	v_sub_f32_e32 v22, v22, v24
	v_add_f32_e32 v22, v22, v23
	v_exp_f32_e32 v22, v22
	v_cvt_i32_f32_e32 v23, v24
	s_mov_b32 s2, 0xc2ce8ed0
	v_cmp_ngt_f32_e32 vcc, s2, v21
	s_mov_b32 s2, 0x42b17218
	v_ldexp_f32 v22, v22, v23
	v_cndmask_b32_e32 v22, 0, v22, vcc
	v_mov_b32_e32 v23, 0x7f800000
	v_cmp_nlt_f32_e32 vcc, s2, v21
	v_cndmask_b32_e32 v55, v23, v22, vcc
	v_add_f32_e32 v21, 1.0, v55
	v_add_f32_e32 v22, -1.0, v21
	v_sub_f32_e32 v23, v22, v21
	v_add_f32_e32 v23, 1.0, v23
	v_sub_f32_e32 v22, v55, v22
	v_add_f32_e32 v24, v22, v23
	v_frexp_mant_f32_e32 v25, v21
	s_mov_b32 s2, 0x3f2aaaab
	v_cvt_f64_f32_e32 v[22:23], v21
	v_frexp_exp_i32_f64_e32 v22, v[22:23]
	v_cmp_gt_f32_e32 vcc, s2, v25
	v_subbrev_co_u32_e32 v26, vcc, 0, v22, vcc
	v_sub_u32_e32 v22, 0, v26
	v_ldexp_f32 v21, v21, v22
	v_ldexp_f32 v22, v24, v22
	v_add_f32_e32 v24, -1.0, v21
	v_add_f32_e32 v23, 1.0, v24
	v_sub_f32_e32 v23, v21, v23
	v_add_f32_e32 v25, v22, v23
	v_add_f32_e32 v23, 1.0, v21
	v_add_f32_e32 v28, -1.0, v23
	v_sub_f32_e32 v21, v21, v28
	v_add_f32_e32 v21, v22, v21
	v_add_f32_e32 v28, v23, v21
	v_rcp_f32_e32 v56, v28
	v_sub_f32_e32 v22, v23, v28
	v_add_f32_e32 v23, v24, v25
	v_add_f32_e32 v21, v21, v22
	v_mul_f32_e32 v58, v23, v56
	v_sub_f32_e32 v22, v24, v23
	v_mul_f32_e32 v24, v28, v58
	v_fma_f32 v50, v58, v28, -v24
	v_fmac_f32_e32 v50, v58, v21
	v_add_f32_e32 v57, v25, v22
	v_add_f32_e32 v22, v24, v50
	v_sub_f32_e32 v25, v23, v22
	v_pk_add_f32 v[52:53], v[22:23], v[24:25] neg_lo:[0,1] neg_hi:[0,1]
	v_mov_b32_e32 v51, v22
	v_pk_add_f32 v[22:23], v[52:53], v[50:51] neg_lo:[0,1] neg_hi:[0,1]
	v_add_f32_e32 v23, v57, v23
	v_add_f32_e32 v22, v22, v23
	;; [unrolled: 1-line block ×3, first 2 shown]
	v_mul_f32_e32 v57, v56, v23
	v_mul_f32_e32 v24, v28, v57
	v_fma_f32 v50, v57, v28, -v24
	v_fmac_f32_e32 v50, v57, v21
	v_sub_f32_e32 v21, v25, v23
	v_add_f32_e32 v21, v22, v21
	v_add_f32_e32 v22, v24, v50
	v_sub_f32_e32 v25, v23, v22
	v_pk_add_f32 v[52:53], v[22:23], v[24:25] neg_lo:[0,1] neg_hi:[0,1]
	v_mov_b32_e32 v51, v22
	v_pk_add_f32 v[22:23], v[52:53], v[50:51] neg_lo:[0,1] neg_hi:[0,1]
	v_add_f32_e32 v21, v21, v23
	v_add_f32_e32 v21, v22, v21
	;; [unrolled: 1-line block ×4, first 2 shown]
	v_sub_f32_e32 v23, v22, v58
	v_mul_f32_e32 v21, v56, v21
	v_sub_f32_e32 v23, v57, v23
	v_add_f32_e32 v21, v23, v21
	v_add_f32_e32 v25, v22, v21
	v_mul_f32_e32 v28, v25, v25
	v_mov_b32_e32 v24, 0x3ecc95a3
	v_fmac_f32_e32 v24, 0x3e9b6dac, v28
	v_mov_b32_e32 v23, 0x3f2aaada
	v_fmac_f32_e32 v23, v28, v24
	v_cvt_f32_i32_e32 v24, v26
	v_sub_f32_e32 v22, v25, v22
	v_sub_f32_e32 v21, v21, v22
	v_ldexp_f32 v51, v25, 1
	v_mul_f32_e32 v25, v25, v28
	v_mov_b32_e32 v22, 0x3f317218
	s_mov_b32 s2, 0x3f317218
	v_pk_mul_f32 v[22:23], v[24:25], v[22:23]
	v_fma_f32 v50, v24, s2, -v22
	v_fmac_f32_e32 v50, 0xb102e308, v24
	v_pk_add_f32 v[24:25], v[22:23], v[50:51]
	v_sub_f32_e32 v26, v25, v51
	v_ldexp_f32 v21, v21, 1
	v_sub_f32_e32 v26, v23, v26
	v_add_f32_e32 v53, v21, v26
	v_mov_b32_e32 v52, v22
	v_pk_add_f32 v[22:23], v[24:25], v[22:23] neg_lo:[0,1] neg_hi:[0,1]
	v_pk_add_f32 v[56:57], v[24:25], v[52:53]
	v_mov_b32_e32 v23, v57
	v_mov_b32_e32 v51, v24
	v_pk_add_f32 v[58:59], v[50:51], v[22:23] neg_lo:[0,1] neg_hi:[0,1]
	v_pk_add_f32 v[22:23], v[50:51], v[22:23]
	v_mov_b32_e32 v26, v23
	v_pk_add_f32 v[50:51], v[26:27], v[24:25] neg_lo:[0,1] neg_hi:[0,1]
	v_mov_b32_e32 v21, v50
	v_pk_add_f32 v[60:61], v[56:57], v[20:21] neg_lo:[0,1] neg_hi:[0,1]
	v_mov_b32_e32 v22, v57
	v_mov_b32_e32 v56, v25
	;; [unrolled: 1-line block ×4, first 2 shown]
	v_pk_add_f32 v[22:23], v[22:23], v[56:57] neg_lo:[0,1] neg_hi:[0,1]
	v_mov_b32_e32 v50, v53
	v_mov_b32_e32 v51, v24
	v_pk_add_f32 v[22:23], v[50:51], v[22:23] neg_lo:[0,1] neg_hi:[0,1]
	v_mov_b32_e32 v60, v58
	v_pk_add_f32 v[24:25], v[60:61], v[22:23]
	v_mov_b32_e32 v28, v25
	v_pk_add_f32 v[50:51], v[24:25], v[28:29]
	v_pk_add_f32 v[52:53], v[26:27], v[50:51]
	v_mov_b32_e32 v25, v52
	v_pk_add_f32 v[56:57], v[24:25], v[58:59] neg_lo:[0,1] neg_hi:[0,1]
	v_mov_b32_e32 v23, v50
	v_sub_f32_e32 v21, v24, v56
	v_pk_add_f32 v[22:23], v[22:23], v[56:57] neg_lo:[0,1] neg_hi:[0,1]
	v_sub_f32_e32 v21, v58, v21
	s_mov_b32 s3, 0x7f800000
	v_add_f32_e32 v21, v22, v21
	s_mov_b32 s2, 0x33800000
	v_add_f32_e32 v21, v21, v23
	v_cmp_eq_f32_e32 vcc, s3, v55
	v_cmp_lt_f32_e64 s[2:3], |v55|, s2
	v_add_f32_e32 v21, v52, v21
	s_or_b64 vcc, vcc, s[2:3]
	v_cndmask_b32_e32 v21, v21, v55, vcc
	v_add_f32_e32 v21, v20, v21
.LBB482_142:
	s_or_b64 exec, exec, s[0:1]
	v_bfe_u32 v20, v21, 16, 1
	v_add3_u32 v20, v21, v20, s5
	v_lshrrev_b32_e32 v20, 16, v20
	v_cmp_o_f32_e32 vcc, v21, v21
	v_cndmask_b32_e32 v19, v19, v20, vcc
	v_lshlrev_b32_e32 v21, 16, v19
	v_max_f32_e32 v22, v21, v21
	v_min_f32_e32 v20, v22, v29
	v_cmp_u_f32_e32 vcc, v21, v21
	v_max_f32_e32 v22, v22, v29
	v_cndmask_b32_e32 v20, v20, v21, vcc
	v_cndmask_b32_e32 v22, v22, v21, vcc
	v_cndmask_b32_e64 v20, v20, v10, s[64:65]
	v_cndmask_b32_e64 v10, v22, v10, s[64:65]
	v_cmp_neq_f32_e32 vcc, v20, v10
	v_cmp_class_f32_e64 s[0:1], v20, s4
	s_or_b64 s[2:3], vcc, s[0:1]
	s_and_saveexec_b64 s[0:1], s[2:3]
	s_cbranch_execz .LBB482_144
; %bb.143:
	v_sub_f32_e32 v20, v20, v10
	s_mov_b32 s2, 0x3fb8aa3b
	v_mul_f32_e32 v21, 0x3fb8aa3b, v20
	v_fma_f32 v22, v20, s2, -v21
	v_rndne_f32_e32 v23, v21
	v_fmac_f32_e32 v22, 0x32a5705f, v20
	v_sub_f32_e32 v21, v21, v23
	v_add_f32_e32 v21, v21, v22
	v_exp_f32_e32 v21, v21
	v_cvt_i32_f32_e32 v22, v23
	s_mov_b32 s2, 0xc2ce8ed0
	v_cmp_ngt_f32_e32 vcc, s2, v20
	s_mov_b32 s2, 0x42b17218
	v_ldexp_f32 v21, v21, v22
	v_cndmask_b32_e32 v21, 0, v21, vcc
	v_mov_b32_e32 v22, 0x7f800000
	v_cmp_nlt_f32_e32 vcc, s2, v20
	v_cndmask_b32_e32 v55, v22, v21, vcc
	v_add_f32_e32 v22, 1.0, v55
	v_add_f32_e32 v20, -1.0, v22
	v_sub_f32_e32 v21, v20, v22
	v_add_f32_e32 v21, 1.0, v21
	v_sub_f32_e32 v20, v55, v20
	v_add_f32_e32 v23, v20, v21
	v_frexp_mant_f32_e32 v24, v22
	s_mov_b32 s2, 0x3f2aaaab
	v_cvt_f64_f32_e32 v[20:21], v22
	v_frexp_exp_i32_f64_e32 v20, v[20:21]
	v_cmp_gt_f32_e32 vcc, s2, v24
	v_subbrev_co_u32_e32 v26, vcc, 0, v20, vcc
	v_sub_u32_e32 v20, 0, v26
	v_ldexp_f32 v21, v22, v20
	v_add_f32_e32 v22, -1.0, v21
	v_add_f32_e32 v24, 1.0, v21
	v_ldexp_f32 v20, v23, v20
	v_add_f32_e32 v23, 1.0, v22
	v_add_f32_e32 v25, -1.0, v24
	v_sub_f32_e32 v23, v21, v23
	v_sub_f32_e32 v21, v21, v25
	v_add_f32_e32 v23, v20, v23
	v_add_f32_e32 v20, v20, v21
	;; [unrolled: 1-line block ×3, first 2 shown]
	v_rcp_f32_e32 v52, v50
	v_sub_f32_e32 v21, v24, v50
	v_add_f32_e32 v51, v20, v21
	v_add_f32_e32 v21, v22, v23
	v_mul_f32_e32 v56, v21, v52
	v_sub_f32_e32 v20, v22, v21
	v_mul_f32_e32 v22, v50, v56
	v_fma_f32 v24, v56, v50, -v22
	v_fmac_f32_e32 v24, v56, v51
	v_add_f32_e32 v53, v23, v20
	v_add_f32_e32 v20, v22, v24
	v_sub_f32_e32 v23, v21, v20
	v_pk_add_f32 v[28:29], v[20:21], v[22:23] neg_lo:[0,1] neg_hi:[0,1]
	v_mov_b32_e32 v25, v20
	v_pk_add_f32 v[20:21], v[28:29], v[24:25] neg_lo:[0,1] neg_hi:[0,1]
	v_add_f32_e32 v21, v53, v21
	v_add_f32_e32 v20, v20, v21
	;; [unrolled: 1-line block ×3, first 2 shown]
	v_mul_f32_e32 v53, v52, v21
	v_mul_f32_e32 v22, v50, v53
	v_fma_f32 v24, v53, v50, -v22
	v_fmac_f32_e32 v24, v53, v51
	v_sub_f32_e32 v23, v23, v21
	v_add_f32_e32 v50, v20, v23
	v_add_f32_e32 v20, v22, v24
	v_sub_f32_e32 v23, v21, v20
	v_pk_add_f32 v[28:29], v[20:21], v[22:23] neg_lo:[0,1] neg_hi:[0,1]
	v_mov_b32_e32 v25, v20
	v_pk_add_f32 v[20:21], v[28:29], v[24:25] neg_lo:[0,1] neg_hi:[0,1]
	v_add_f32_e32 v21, v50, v21
	v_add_f32_e32 v20, v20, v21
	;; [unrolled: 1-line block ×4, first 2 shown]
	v_sub_f32_e32 v21, v23, v56
	v_mul_f32_e32 v20, v52, v20
	v_sub_f32_e32 v21, v53, v21
	v_add_f32_e32 v20, v21, v20
	v_add_f32_e32 v24, v23, v20
	v_mul_f32_e32 v28, v24, v24
	v_mov_b32_e32 v22, 0x3ecc95a3
	v_fmac_f32_e32 v22, 0x3e9b6dac, v28
	v_mov_b32_e32 v21, 0x3f2aaada
	v_fmac_f32_e32 v21, v28, v22
	v_cvt_f32_i32_e32 v22, v26
	v_sub_f32_e32 v23, v24, v23
	v_sub_f32_e32 v20, v20, v23
	v_ldexp_f32 v26, v20, 1
	v_mul_f32_e32 v23, v24, v28
	v_mov_b32_e32 v20, 0x3f317218
	s_mov_b32 s2, 0x3f317218
	v_pk_mul_f32 v[20:21], v[22:23], v[20:21]
	v_ldexp_f32 v25, v24, 1
	v_fma_f32 v24, v22, s2, -v20
	v_fmac_f32_e32 v24, 0xb102e308, v22
	v_pk_add_f32 v[22:23], v[20:21], v[24:25]
	v_sub_f32_e32 v25, v23, v25
	v_sub_f32_e32 v25, v21, v25
	v_add_f32_e32 v29, v26, v25
	v_mov_b32_e32 v28, v20
	v_pk_add_f32 v[20:21], v[22:23], v[20:21] neg_lo:[0,1] neg_hi:[0,1]
	v_pk_add_f32 v[50:51], v[22:23], v[28:29]
	v_mov_b32_e32 v21, v51
	v_mov_b32_e32 v25, v22
	v_pk_add_f32 v[52:53], v[24:25], v[20:21] neg_lo:[0,1] neg_hi:[0,1]
	v_pk_add_f32 v[20:21], v[24:25], v[20:21]
	v_mov_b32_e32 v24, v21
	v_pk_add_f32 v[56:57], v[24:25], v[22:23] neg_lo:[0,1] neg_hi:[0,1]
	v_mov_b32_e32 v25, v56
	v_pk_add_f32 v[58:59], v[50:51], v[24:25] neg_lo:[0,1] neg_hi:[0,1]
	v_mov_b32_e32 v20, v51
	v_mov_b32_e32 v50, v23
	;; [unrolled: 1-line block ×4, first 2 shown]
	v_pk_add_f32 v[20:21], v[20:21], v[50:51] neg_lo:[0,1] neg_hi:[0,1]
	v_mov_b32_e32 v28, v29
	v_mov_b32_e32 v29, v22
	v_pk_add_f32 v[20:21], v[28:29], v[20:21] neg_lo:[0,1] neg_hi:[0,1]
	v_mov_b32_e32 v58, v52
	v_pk_add_f32 v[22:23], v[58:59], v[20:21]
	v_mov_b32_e32 v26, v23
	v_pk_add_f32 v[28:29], v[22:23], v[26:27]
	v_pk_add_f32 v[24:25], v[24:25], v[28:29]
	v_mov_b32_e32 v23, v24
	v_pk_add_f32 v[50:51], v[22:23], v[52:53] neg_lo:[0,1] neg_hi:[0,1]
	v_mov_b32_e32 v21, v28
	v_sub_f32_e32 v22, v22, v50
	v_pk_add_f32 v[20:21], v[20:21], v[50:51] neg_lo:[0,1] neg_hi:[0,1]
	v_sub_f32_e32 v22, v52, v22
	s_mov_b32 s3, 0x7f800000
	v_add_f32_e32 v20, v20, v22
	s_mov_b32 s2, 0x33800000
	v_add_f32_e32 v20, v20, v21
	v_cmp_eq_f32_e32 vcc, s3, v55
	v_cmp_lt_f32_e64 s[2:3], |v55|, s2
	v_add_f32_e32 v20, v24, v20
	s_or_b64 vcc, vcc, s[2:3]
	v_cndmask_b32_e32 v20, v20, v55, vcc
	v_add_f32_e32 v21, v10, v20
.LBB482_144:
	s_or_b64 exec, exec, s[0:1]
	v_bfe_u32 v10, v21, 16, 1
	v_add3_u32 v10, v21, v10, s5
	v_lshrrev_b32_e32 v10, 16, v10
	v_mov_b32_e32 v20, 0x7fc0
	v_cmp_o_f32_e32 vcc, v21, v21
	v_cndmask_b32_e32 v10, v20, v10, vcc
	v_lshlrev_b32_e32 v22, 16, v10
	v_max_f32_e32 v21, v22, v22
	v_min_f32_e32 v23, v21, v31
	v_cmp_u_f32_e32 vcc, v22, v22
	v_max_f32_e32 v21, v21, v31
	v_cndmask_b32_e32 v23, v23, v22, vcc
	v_cndmask_b32_e32 v21, v21, v22, vcc
	v_cndmask_b32_e64 v23, v23, v27, s[66:67]
	v_cndmask_b32_e64 v21, v21, v27, s[66:67]
	v_cmp_neq_f32_e32 vcc, v23, v21
	v_cmp_class_f32_e64 s[0:1], v23, s4
	s_or_b64 s[2:3], vcc, s[0:1]
	s_and_saveexec_b64 s[0:1], s[2:3]
	s_cbranch_execz .LBB482_146
; %bb.145:
	v_sub_f32_e32 v22, v23, v21
	s_mov_b32 s2, 0x3fb8aa3b
	v_mul_f32_e32 v23, 0x3fb8aa3b, v22
	v_fma_f32 v24, v22, s2, -v23
	v_rndne_f32_e32 v25, v23
	v_fmac_f32_e32 v24, 0x32a5705f, v22
	v_sub_f32_e32 v23, v23, v25
	v_add_f32_e32 v23, v23, v24
	v_exp_f32_e32 v23, v23
	v_cvt_i32_f32_e32 v24, v25
	s_mov_b32 s2, 0xc2ce8ed0
	v_cmp_ngt_f32_e32 vcc, s2, v22
	s_mov_b32 s2, 0x42b17218
	v_ldexp_f32 v23, v23, v24
	v_cndmask_b32_e32 v23, 0, v23, vcc
	v_mov_b32_e32 v24, 0x7f800000
	v_cmp_nlt_f32_e32 vcc, s2, v22
	v_cndmask_b32_e32 v31, v24, v23, vcc
	v_add_f32_e32 v24, 1.0, v31
	v_add_f32_e32 v22, -1.0, v24
	v_sub_f32_e32 v23, v22, v24
	v_add_f32_e32 v23, 1.0, v23
	v_sub_f32_e32 v22, v31, v22
	v_add_f32_e32 v25, v22, v23
	v_frexp_mant_f32_e32 v26, v24
	s_mov_b32 s2, 0x3f2aaaab
	v_cvt_f64_f32_e32 v[22:23], v24
	v_frexp_exp_i32_f64_e32 v22, v[22:23]
	v_cmp_gt_f32_e32 vcc, s2, v26
	v_subbrev_co_u32_e32 v50, vcc, 0, v22, vcc
	v_sub_u32_e32 v22, 0, v50
	v_ldexp_f32 v23, v24, v22
	v_add_f32_e32 v24, -1.0, v23
	v_add_f32_e32 v26, 1.0, v23
	v_ldexp_f32 v22, v25, v22
	v_add_f32_e32 v25, 1.0, v24
	v_add_f32_e32 v27, -1.0, v26
	v_sub_f32_e32 v25, v23, v25
	v_sub_f32_e32 v23, v23, v27
	v_add_f32_e32 v25, v22, v25
	v_add_f32_e32 v22, v22, v23
	;; [unrolled: 1-line block ×3, first 2 shown]
	v_rcp_f32_e32 v53, v51
	v_sub_f32_e32 v23, v26, v51
	v_add_f32_e32 v52, v22, v23
	v_add_f32_e32 v23, v24, v25
	v_mul_f32_e32 v56, v23, v53
	v_sub_f32_e32 v22, v24, v23
	v_mul_f32_e32 v24, v51, v56
	v_fma_f32 v26, v56, v51, -v24
	v_fmac_f32_e32 v26, v56, v52
	v_add_f32_e32 v55, v25, v22
	v_add_f32_e32 v22, v24, v26
	v_sub_f32_e32 v25, v23, v22
	v_pk_add_f32 v[28:29], v[22:23], v[24:25] neg_lo:[0,1] neg_hi:[0,1]
	v_mov_b32_e32 v27, v22
	v_pk_add_f32 v[22:23], v[28:29], v[26:27] neg_lo:[0,1] neg_hi:[0,1]
	v_add_f32_e32 v23, v55, v23
	v_add_f32_e32 v22, v22, v23
	;; [unrolled: 1-line block ×3, first 2 shown]
	v_mul_f32_e32 v55, v53, v23
	v_mul_f32_e32 v24, v51, v55
	v_fma_f32 v26, v55, v51, -v24
	v_fmac_f32_e32 v26, v55, v52
	v_sub_f32_e32 v25, v25, v23
	v_add_f32_e32 v51, v22, v25
	v_add_f32_e32 v22, v24, v26
	v_sub_f32_e32 v25, v23, v22
	v_pk_add_f32 v[28:29], v[22:23], v[24:25] neg_lo:[0,1] neg_hi:[0,1]
	v_mov_b32_e32 v27, v22
	v_pk_add_f32 v[22:23], v[28:29], v[26:27] neg_lo:[0,1] neg_hi:[0,1]
	v_add_f32_e32 v23, v51, v23
	v_add_f32_e32 v22, v22, v23
	;; [unrolled: 1-line block ×4, first 2 shown]
	v_sub_f32_e32 v23, v25, v56
	v_mul_f32_e32 v22, v53, v22
	v_sub_f32_e32 v23, v55, v23
	v_add_f32_e32 v22, v23, v22
	v_add_f32_e32 v26, v25, v22
	v_mul_f32_e32 v28, v26, v26
	v_mov_b32_e32 v24, 0x3ecc95a3
	v_fmac_f32_e32 v24, 0x3e9b6dac, v28
	v_mov_b32_e32 v23, 0x3f2aaada
	v_fmac_f32_e32 v23, v28, v24
	v_cvt_f32_i32_e32 v24, v50
	v_sub_f32_e32 v25, v26, v25
	v_sub_f32_e32 v22, v22, v25
	v_ldexp_f32 v29, v22, 1
	v_mul_f32_e32 v25, v26, v28
	v_mov_b32_e32 v22, 0x3f317218
	s_mov_b32 s2, 0x3f317218
	v_pk_mul_f32 v[22:23], v[24:25], v[22:23]
	v_ldexp_f32 v27, v26, 1
	v_fma_f32 v26, v24, s2, -v22
	v_fmac_f32_e32 v26, 0xb102e308, v24
	v_pk_add_f32 v[24:25], v[22:23], v[26:27]
	v_sub_f32_e32 v27, v25, v27
	v_sub_f32_e32 v27, v23, v27
	v_add_f32_e32 v29, v29, v27
	v_mov_b32_e32 v28, v22
	v_pk_add_f32 v[22:23], v[24:25], v[22:23] neg_lo:[0,1] neg_hi:[0,1]
	v_pk_add_f32 v[50:51], v[24:25], v[28:29]
	v_mov_b32_e32 v23, v51
	v_mov_b32_e32 v27, v24
	v_pk_add_f32 v[52:53], v[26:27], v[22:23] neg_lo:[0,1] neg_hi:[0,1]
	v_pk_add_f32 v[22:23], v[26:27], v[22:23]
	v_mov_b32_e32 v26, v23
	v_pk_add_f32 v[56:57], v[26:27], v[24:25] neg_lo:[0,1] neg_hi:[0,1]
	v_mov_b32_e32 v27, v56
	v_pk_add_f32 v[58:59], v[50:51], v[26:27] neg_lo:[0,1] neg_hi:[0,1]
	v_mov_b32_e32 v22, v51
	v_mov_b32_e32 v50, v25
	;; [unrolled: 1-line block ×4, first 2 shown]
	v_pk_add_f32 v[22:23], v[22:23], v[50:51] neg_lo:[0,1] neg_hi:[0,1]
	v_mov_b32_e32 v28, v29
	v_mov_b32_e32 v29, v24
	v_pk_add_f32 v[22:23], v[28:29], v[22:23] neg_lo:[0,1] neg_hi:[0,1]
	v_mov_b32_e32 v58, v52
	v_pk_add_f32 v[24:25], v[58:59], v[22:23]
	v_mov_b32_e32 v28, v25
	v_pk_add_f32 v[28:29], v[24:25], v[28:29]
	v_pk_add_f32 v[26:27], v[26:27], v[28:29]
	v_mov_b32_e32 v25, v26
	v_pk_add_f32 v[50:51], v[24:25], v[52:53] neg_lo:[0,1] neg_hi:[0,1]
	v_mov_b32_e32 v23, v28
	v_sub_f32_e32 v24, v24, v50
	v_pk_add_f32 v[22:23], v[22:23], v[50:51] neg_lo:[0,1] neg_hi:[0,1]
	v_sub_f32_e32 v24, v52, v24
	s_mov_b32 s3, 0x7f800000
	v_add_f32_e32 v22, v22, v24
	s_mov_b32 s2, 0x33800000
	v_add_f32_e32 v22, v22, v23
	v_cmp_eq_f32_e32 vcc, s3, v31
	v_cmp_lt_f32_e64 s[2:3], |v31|, s2
	v_add_f32_e32 v22, v26, v22
	s_or_b64 vcc, vcc, s[2:3]
	v_cndmask_b32_e32 v22, v22, v31, vcc
	v_add_f32_e32 v22, v21, v22
.LBB482_146:
	s_or_b64 exec, exec, s[0:1]
	v_bfe_u32 v21, v22, 16, 1
	v_add3_u32 v21, v22, v21, s5
	v_lshrrev_b32_e32 v21, 16, v21
	v_cmp_o_f32_e32 vcc, v22, v22
	v_cndmask_b32_e32 v20, v20, v21, vcc
	v_lshlrev_b32_e32 v22, 16, v20
	v_max_f32_e32 v23, v22, v22
	v_min_f32_e32 v21, v23, v32
	v_cmp_u_f32_e32 vcc, v22, v22
	v_max_f32_e32 v23, v23, v32
	v_cndmask_b32_e32 v21, v21, v22, vcc
	v_cndmask_b32_e32 v23, v23, v22, vcc
	v_cndmask_b32_e64 v21, v21, v11, s[68:69]
	v_cndmask_b32_e64 v11, v23, v11, s[68:69]
	v_cmp_neq_f32_e32 vcc, v21, v11
	v_cmp_class_f32_e64 s[0:1], v21, s4
	s_or_b64 s[2:3], vcc, s[0:1]
	s_and_saveexec_b64 s[0:1], s[2:3]
	s_cbranch_execz .LBB482_148
; %bb.147:
	v_sub_f32_e32 v21, v21, v11
	s_mov_b32 s2, 0x3fb8aa3b
	v_mul_f32_e32 v22, 0x3fb8aa3b, v21
	v_fma_f32 v23, v21, s2, -v22
	v_rndne_f32_e32 v24, v22
	v_fmac_f32_e32 v23, 0x32a5705f, v21
	v_sub_f32_e32 v22, v22, v24
	v_add_f32_e32 v22, v22, v23
	v_exp_f32_e32 v22, v22
	v_cvt_i32_f32_e32 v23, v24
	s_mov_b32 s2, 0xc2ce8ed0
	v_cmp_ngt_f32_e32 vcc, s2, v21
	s_mov_b32 s2, 0x42b17218
	v_ldexp_f32 v22, v22, v23
	v_cndmask_b32_e32 v22, 0, v22, vcc
	v_mov_b32_e32 v23, 0x7f800000
	v_cmp_nlt_f32_e32 vcc, s2, v21
	v_cndmask_b32_e32 v31, v23, v22, vcc
	v_add_f32_e32 v21, 1.0, v31
	v_add_f32_e32 v22, -1.0, v21
	v_sub_f32_e32 v23, v22, v21
	v_add_f32_e32 v23, 1.0, v23
	v_sub_f32_e32 v22, v31, v22
	v_add_f32_e32 v24, v22, v23
	v_frexp_mant_f32_e32 v25, v21
	s_mov_b32 s2, 0x3f2aaaab
	v_cvt_f64_f32_e32 v[22:23], v21
	v_frexp_exp_i32_f64_e32 v22, v[22:23]
	v_cmp_gt_f32_e32 vcc, s2, v25
	v_subbrev_co_u32_e32 v32, vcc, 0, v22, vcc
	v_sub_u32_e32 v22, 0, v32
	v_ldexp_f32 v21, v21, v22
	v_ldexp_f32 v22, v24, v22
	v_add_f32_e32 v24, -1.0, v21
	v_add_f32_e32 v23, 1.0, v24
	v_sub_f32_e32 v23, v21, v23
	v_add_f32_e32 v25, v22, v23
	v_add_f32_e32 v23, 1.0, v21
	v_add_f32_e32 v26, -1.0, v23
	v_sub_f32_e32 v21, v21, v26
	v_add_f32_e32 v21, v22, v21
	v_add_f32_e32 v50, v23, v21
	v_rcp_f32_e32 v51, v50
	v_sub_f32_e32 v22, v23, v50
	v_add_f32_e32 v23, v24, v25
	v_add_f32_e32 v21, v21, v22
	v_mul_f32_e32 v53, v23, v51
	v_sub_f32_e32 v22, v24, v23
	v_mul_f32_e32 v24, v50, v53
	v_fma_f32 v26, v53, v50, -v24
	v_fmac_f32_e32 v26, v53, v21
	v_add_f32_e32 v52, v25, v22
	v_add_f32_e32 v22, v24, v26
	v_sub_f32_e32 v25, v23, v22
	v_pk_add_f32 v[28:29], v[22:23], v[24:25] neg_lo:[0,1] neg_hi:[0,1]
	v_mov_b32_e32 v27, v22
	v_pk_add_f32 v[22:23], v[28:29], v[26:27] neg_lo:[0,1] neg_hi:[0,1]
	v_add_f32_e32 v23, v52, v23
	v_add_f32_e32 v22, v22, v23
	;; [unrolled: 1-line block ×3, first 2 shown]
	v_mul_f32_e32 v52, v51, v23
	v_mul_f32_e32 v24, v50, v52
	v_fma_f32 v26, v52, v50, -v24
	v_fmac_f32_e32 v26, v52, v21
	v_sub_f32_e32 v21, v25, v23
	v_add_f32_e32 v21, v22, v21
	v_add_f32_e32 v22, v24, v26
	v_sub_f32_e32 v25, v23, v22
	v_pk_add_f32 v[28:29], v[22:23], v[24:25] neg_lo:[0,1] neg_hi:[0,1]
	v_mov_b32_e32 v27, v22
	v_pk_add_f32 v[22:23], v[28:29], v[26:27] neg_lo:[0,1] neg_hi:[0,1]
	v_add_f32_e32 v21, v21, v23
	v_add_f32_e32 v21, v22, v21
	;; [unrolled: 1-line block ×4, first 2 shown]
	v_sub_f32_e32 v23, v22, v53
	v_mul_f32_e32 v21, v51, v21
	v_sub_f32_e32 v23, v52, v23
	v_add_f32_e32 v21, v23, v21
	v_add_f32_e32 v25, v22, v21
	v_mul_f32_e32 v26, v25, v25
	v_mov_b32_e32 v24, 0x3ecc95a3
	v_fmac_f32_e32 v24, 0x3e9b6dac, v26
	v_mov_b32_e32 v23, 0x3f2aaada
	v_fmac_f32_e32 v23, v26, v24
	v_cvt_f32_i32_e32 v24, v32
	v_sub_f32_e32 v22, v25, v22
	v_sub_f32_e32 v21, v21, v22
	v_ldexp_f32 v27, v25, 1
	v_mul_f32_e32 v25, v25, v26
	v_mov_b32_e32 v22, 0x3f317218
	s_mov_b32 s2, 0x3f317218
	v_pk_mul_f32 v[22:23], v[24:25], v[22:23]
	v_fma_f32 v26, v24, s2, -v22
	v_fmac_f32_e32 v26, 0xb102e308, v24
	v_pk_add_f32 v[24:25], v[22:23], v[26:27]
	v_sub_f32_e32 v27, v25, v27
	v_ldexp_f32 v21, v21, 1
	v_sub_f32_e32 v27, v23, v27
	v_add_f32_e32 v29, v21, v27
	v_mov_b32_e32 v28, v22
	v_pk_add_f32 v[22:23], v[24:25], v[22:23] neg_lo:[0,1] neg_hi:[0,1]
	v_pk_add_f32 v[50:51], v[24:25], v[28:29]
	v_mov_b32_e32 v23, v51
	v_mov_b32_e32 v27, v24
	v_pk_add_f32 v[52:53], v[26:27], v[22:23] neg_lo:[0,1] neg_hi:[0,1]
	v_pk_add_f32 v[22:23], v[26:27], v[22:23]
	v_mov_b32_e32 v26, v23
	v_pk_add_f32 v[56:57], v[26:27], v[24:25] neg_lo:[0,1] neg_hi:[0,1]
	v_mov_b32_e32 v21, v56
	v_pk_add_f32 v[58:59], v[50:51], v[20:21] neg_lo:[0,1] neg_hi:[0,1]
	v_mov_b32_e32 v22, v51
	v_mov_b32_e32 v50, v25
	;; [unrolled: 1-line block ×4, first 2 shown]
	v_pk_add_f32 v[22:23], v[22:23], v[50:51] neg_lo:[0,1] neg_hi:[0,1]
	v_mov_b32_e32 v28, v29
	v_mov_b32_e32 v29, v24
	v_pk_add_f32 v[22:23], v[28:29], v[22:23] neg_lo:[0,1] neg_hi:[0,1]
	v_mov_b32_e32 v58, v52
	v_pk_add_f32 v[24:25], v[58:59], v[22:23]
	v_mov_b32_e32 v28, v25
	v_pk_add_f32 v[28:29], v[24:25], v[28:29]
	v_pk_add_f32 v[26:27], v[26:27], v[28:29]
	v_mov_b32_e32 v25, v26
	v_pk_add_f32 v[50:51], v[24:25], v[52:53] neg_lo:[0,1] neg_hi:[0,1]
	v_mov_b32_e32 v23, v28
	v_sub_f32_e32 v21, v24, v50
	v_pk_add_f32 v[22:23], v[22:23], v[50:51] neg_lo:[0,1] neg_hi:[0,1]
	v_sub_f32_e32 v21, v52, v21
	s_mov_b32 s3, 0x7f800000
	v_add_f32_e32 v21, v22, v21
	s_mov_b32 s2, 0x33800000
	v_add_f32_e32 v21, v21, v23
	v_cmp_eq_f32_e32 vcc, s3, v31
	v_cmp_lt_f32_e64 s[2:3], |v31|, s2
	v_add_f32_e32 v21, v26, v21
	s_or_b64 vcc, vcc, s[2:3]
	v_cndmask_b32_e32 v21, v21, v31, vcc
	v_add_f32_e32 v22, v11, v21
.LBB482_148:
	s_or_b64 exec, exec, s[0:1]
	v_bfe_u32 v11, v22, 16, 1
	v_add3_u32 v11, v22, v11, s5
	v_lshrrev_b32_e32 v11, 16, v11
	v_mov_b32_e32 v21, 0x7fc0
	v_cmp_o_f32_e32 vcc, v22, v22
	v_cndmask_b32_e32 v11, v21, v11, vcc
	v_lshlrev_b32_e32 v23, 16, v11
	v_max_f32_e32 v22, v23, v23
	v_min_f32_e32 v24, v22, v34
	v_cmp_u_f32_e32 vcc, v23, v23
	v_max_f32_e32 v22, v22, v34
	v_cndmask_b32_e32 v24, v24, v23, vcc
	v_cndmask_b32_e32 v22, v22, v23, vcc
	v_cndmask_b32_e64 v24, v24, v30, s[70:71]
	v_cndmask_b32_e64 v22, v22, v30, s[70:71]
	v_cmp_neq_f32_e32 vcc, v24, v22
	v_cmp_class_f32_e64 s[0:1], v24, s4
	s_or_b64 s[2:3], vcc, s[0:1]
	s_and_saveexec_b64 s[0:1], s[2:3]
	s_cbranch_execz .LBB482_150
; %bb.149:
	v_sub_f32_e32 v23, v24, v22
	s_mov_b32 s2, 0x3fb8aa3b
	v_mul_f32_e32 v24, 0x3fb8aa3b, v23
	v_fma_f32 v25, v23, s2, -v24
	v_rndne_f32_e32 v26, v24
	v_fmac_f32_e32 v25, 0x32a5705f, v23
	v_sub_f32_e32 v24, v24, v26
	v_add_f32_e32 v24, v24, v25
	v_exp_f32_e32 v24, v24
	v_cvt_i32_f32_e32 v25, v26
	s_mov_b32 s2, 0xc2ce8ed0
	v_cmp_ngt_f32_e32 vcc, s2, v23
	s_mov_b32 s2, 0x42b17218
	v_ldexp_f32 v24, v24, v25
	v_cndmask_b32_e32 v24, 0, v24, vcc
	v_mov_b32_e32 v25, 0x7f800000
	v_cmp_nlt_f32_e32 vcc, s2, v23
	v_cndmask_b32_e32 v32, v25, v24, vcc
	v_add_f32_e32 v23, 1.0, v32
	v_add_f32_e32 v24, -1.0, v23
	v_sub_f32_e32 v25, v24, v23
	v_add_f32_e32 v25, 1.0, v25
	v_sub_f32_e32 v24, v32, v24
	v_add_f32_e32 v26, v24, v25
	v_frexp_mant_f32_e32 v27, v23
	s_mov_b32 s2, 0x3f2aaaab
	v_cvt_f64_f32_e32 v[24:25], v23
	v_frexp_exp_i32_f64_e32 v24, v[24:25]
	v_cmp_gt_f32_e32 vcc, s2, v27
	v_subbrev_co_u32_e32 v34, vcc, 0, v24, vcc
	v_sub_u32_e32 v24, 0, v34
	v_ldexp_f32 v23, v23, v24
	v_ldexp_f32 v24, v26, v24
	v_add_f32_e32 v26, -1.0, v23
	v_add_f32_e32 v25, 1.0, v26
	v_sub_f32_e32 v25, v23, v25
	v_add_f32_e32 v27, v24, v25
	v_add_f32_e32 v25, 1.0, v23
	v_add_f32_e32 v28, -1.0, v25
	v_sub_f32_e32 v23, v23, v28
	v_add_f32_e32 v23, v24, v23
	v_add_f32_e32 v50, v25, v23
	v_rcp_f32_e32 v51, v50
	v_sub_f32_e32 v24, v25, v50
	v_add_f32_e32 v25, v26, v27
	v_add_f32_e32 v23, v23, v24
	v_mul_f32_e32 v53, v25, v51
	v_sub_f32_e32 v24, v26, v25
	v_mul_f32_e32 v26, v50, v53
	v_fma_f32 v28, v53, v50, -v26
	v_fmac_f32_e32 v28, v53, v23
	v_add_f32_e32 v52, v27, v24
	v_add_f32_e32 v24, v26, v28
	v_sub_f32_e32 v27, v25, v24
	v_pk_add_f32 v[30:31], v[24:25], v[26:27] neg_lo:[0,1] neg_hi:[0,1]
	v_mov_b32_e32 v29, v24
	v_pk_add_f32 v[24:25], v[30:31], v[28:29] neg_lo:[0,1] neg_hi:[0,1]
	v_add_f32_e32 v25, v52, v25
	v_add_f32_e32 v24, v24, v25
	;; [unrolled: 1-line block ×3, first 2 shown]
	v_mul_f32_e32 v52, v51, v25
	v_mul_f32_e32 v26, v50, v52
	v_fma_f32 v28, v52, v50, -v26
	v_fmac_f32_e32 v28, v52, v23
	v_sub_f32_e32 v23, v27, v25
	v_add_f32_e32 v23, v24, v23
	v_add_f32_e32 v24, v26, v28
	v_sub_f32_e32 v27, v25, v24
	v_pk_add_f32 v[30:31], v[24:25], v[26:27] neg_lo:[0,1] neg_hi:[0,1]
	v_mov_b32_e32 v29, v24
	v_pk_add_f32 v[24:25], v[30:31], v[28:29] neg_lo:[0,1] neg_hi:[0,1]
	v_add_f32_e32 v23, v23, v25
	v_add_f32_e32 v23, v24, v23
	;; [unrolled: 1-line block ×4, first 2 shown]
	v_sub_f32_e32 v25, v24, v53
	v_mul_f32_e32 v23, v51, v23
	v_sub_f32_e32 v25, v52, v25
	v_add_f32_e32 v23, v25, v23
	v_add_f32_e32 v27, v24, v23
	v_mul_f32_e32 v28, v27, v27
	v_mov_b32_e32 v26, 0x3ecc95a3
	v_fmac_f32_e32 v26, 0x3e9b6dac, v28
	v_mov_b32_e32 v25, 0x3f2aaada
	v_fmac_f32_e32 v25, v28, v26
	v_cvt_f32_i32_e32 v26, v34
	v_sub_f32_e32 v24, v27, v24
	v_sub_f32_e32 v23, v23, v24
	v_ldexp_f32 v29, v27, 1
	v_mul_f32_e32 v27, v27, v28
	v_mov_b32_e32 v24, 0x3f317218
	s_mov_b32 s2, 0x3f317218
	v_pk_mul_f32 v[24:25], v[26:27], v[24:25]
	v_fma_f32 v28, v26, s2, -v24
	v_fmac_f32_e32 v28, 0xb102e308, v26
	v_pk_add_f32 v[26:27], v[24:25], v[28:29]
	v_sub_f32_e32 v29, v27, v29
	v_ldexp_f32 v23, v23, 1
	v_sub_f32_e32 v29, v25, v29
	v_add_f32_e32 v31, v23, v29
	v_mov_b32_e32 v30, v24
	v_pk_add_f32 v[24:25], v[26:27], v[24:25] neg_lo:[0,1] neg_hi:[0,1]
	v_pk_add_f32 v[50:51], v[26:27], v[30:31]
	v_mov_b32_e32 v25, v51
	v_mov_b32_e32 v29, v26
	v_pk_add_f32 v[52:53], v[28:29], v[24:25] neg_lo:[0,1] neg_hi:[0,1]
	v_pk_add_f32 v[24:25], v[28:29], v[24:25]
	v_mov_b32_e32 v28, v25
	v_pk_add_f32 v[56:57], v[28:29], v[26:27] neg_lo:[0,1] neg_hi:[0,1]
	v_mov_b32_e32 v23, v56
	v_pk_add_f32 v[58:59], v[50:51], v[22:23] neg_lo:[0,1] neg_hi:[0,1]
	v_mov_b32_e32 v24, v51
	v_mov_b32_e32 v50, v27
	;; [unrolled: 1-line block ×4, first 2 shown]
	v_pk_add_f32 v[24:25], v[24:25], v[50:51] neg_lo:[0,1] neg_hi:[0,1]
	v_mov_b32_e32 v30, v31
	v_mov_b32_e32 v31, v26
	v_pk_add_f32 v[24:25], v[30:31], v[24:25] neg_lo:[0,1] neg_hi:[0,1]
	v_mov_b32_e32 v58, v52
	v_pk_add_f32 v[26:27], v[58:59], v[24:25]
	v_mov_b32_e32 v30, v27
	v_pk_add_f32 v[30:31], v[26:27], v[30:31]
	v_pk_add_f32 v[28:29], v[28:29], v[30:31]
	v_mov_b32_e32 v27, v28
	v_pk_add_f32 v[50:51], v[26:27], v[52:53] neg_lo:[0,1] neg_hi:[0,1]
	v_mov_b32_e32 v25, v30
	v_sub_f32_e32 v23, v26, v50
	v_pk_add_f32 v[24:25], v[24:25], v[50:51] neg_lo:[0,1] neg_hi:[0,1]
	v_sub_f32_e32 v23, v52, v23
	s_mov_b32 s3, 0x7f800000
	v_add_f32_e32 v23, v24, v23
	s_mov_b32 s2, 0x33800000
	v_add_f32_e32 v23, v23, v25
	v_cmp_eq_f32_e32 vcc, s3, v32
	v_cmp_lt_f32_e64 s[2:3], |v32|, s2
	v_add_f32_e32 v23, v28, v23
	s_or_b64 vcc, vcc, s[2:3]
	v_cndmask_b32_e32 v23, v23, v32, vcc
	v_add_f32_e32 v23, v22, v23
.LBB482_150:
	s_or_b64 exec, exec, s[0:1]
	v_bfe_u32 v22, v23, 16, 1
	v_add3_u32 v22, v23, v22, s5
	v_lshrrev_b32_e32 v22, 16, v22
	v_cmp_o_f32_e32 vcc, v23, v23
	v_cndmask_b32_e32 v21, v21, v22, vcc
	v_lshlrev_b32_e32 v23, 16, v21
	v_max_f32_e32 v24, v23, v23
	v_min_f32_e32 v22, v24, v35
	v_cmp_u_f32_e32 vcc, v23, v23
	v_max_f32_e32 v24, v24, v35
	v_cndmask_b32_e32 v22, v22, v23, vcc
	v_cndmask_b32_e32 v24, v24, v23, vcc
	v_cndmask_b32_e64 v22, v22, v12, s[72:73]
	v_cndmask_b32_e64 v12, v24, v12, s[72:73]
	v_cmp_neq_f32_e32 vcc, v22, v12
	v_cmp_class_f32_e64 s[0:1], v22, s4
	s_or_b64 s[2:3], vcc, s[0:1]
	s_and_saveexec_b64 s[0:1], s[2:3]
	s_cbranch_execz .LBB482_152
; %bb.151:
	v_sub_f32_e32 v22, v22, v12
	s_mov_b32 s2, 0x3fb8aa3b
	v_mul_f32_e32 v23, 0x3fb8aa3b, v22
	v_fma_f32 v24, v22, s2, -v23
	v_rndne_f32_e32 v25, v23
	v_fmac_f32_e32 v24, 0x32a5705f, v22
	v_sub_f32_e32 v23, v23, v25
	v_add_f32_e32 v23, v23, v24
	v_exp_f32_e32 v23, v23
	v_cvt_i32_f32_e32 v24, v25
	s_mov_b32 s2, 0xc2ce8ed0
	v_cmp_ngt_f32_e32 vcc, s2, v22
	s_mov_b32 s2, 0x42b17218
	v_ldexp_f32 v23, v23, v24
	v_cndmask_b32_e32 v23, 0, v23, vcc
	v_mov_b32_e32 v24, 0x7f800000
	v_cmp_nlt_f32_e32 vcc, s2, v22
	v_cndmask_b32_e32 v32, v24, v23, vcc
	v_add_f32_e32 v24, 1.0, v32
	v_add_f32_e32 v22, -1.0, v24
	v_sub_f32_e32 v23, v22, v24
	v_add_f32_e32 v23, 1.0, v23
	v_sub_f32_e32 v22, v32, v22
	v_add_f32_e32 v25, v22, v23
	v_frexp_mant_f32_e32 v26, v24
	s_mov_b32 s2, 0x3f2aaaab
	v_cvt_f64_f32_e32 v[22:23], v24
	v_frexp_exp_i32_f64_e32 v22, v[22:23]
	v_cmp_gt_f32_e32 vcc, s2, v26
	v_subbrev_co_u32_e32 v30, vcc, 0, v22, vcc
	v_sub_u32_e32 v22, 0, v30
	v_ldexp_f32 v23, v24, v22
	v_add_f32_e32 v24, -1.0, v23
	v_add_f32_e32 v26, 1.0, v23
	v_ldexp_f32 v22, v25, v22
	v_add_f32_e32 v25, 1.0, v24
	v_add_f32_e32 v27, -1.0, v26
	v_sub_f32_e32 v25, v23, v25
	v_sub_f32_e32 v23, v23, v27
	v_add_f32_e32 v25, v22, v25
	v_add_f32_e32 v22, v22, v23
	v_add_f32_e32 v31, v26, v22
	v_rcp_f32_e32 v35, v31
	v_sub_f32_e32 v23, v26, v31
	v_add_f32_e32 v34, v22, v23
	v_add_f32_e32 v23, v24, v25
	v_mul_f32_e32 v51, v23, v35
	v_sub_f32_e32 v22, v24, v23
	v_mul_f32_e32 v24, v31, v51
	v_fma_f32 v26, v51, v31, -v24
	v_fmac_f32_e32 v26, v51, v34
	v_add_f32_e32 v50, v25, v22
	v_add_f32_e32 v22, v24, v26
	v_sub_f32_e32 v25, v23, v22
	v_pk_add_f32 v[28:29], v[22:23], v[24:25] neg_lo:[0,1] neg_hi:[0,1]
	v_mov_b32_e32 v27, v22
	v_pk_add_f32 v[22:23], v[28:29], v[26:27] neg_lo:[0,1] neg_hi:[0,1]
	v_add_f32_e32 v23, v50, v23
	v_add_f32_e32 v22, v22, v23
	v_add_f32_e32 v23, v25, v22
	v_mul_f32_e32 v50, v35, v23
	v_mul_f32_e32 v24, v31, v50
	v_fma_f32 v26, v50, v31, -v24
	v_fmac_f32_e32 v26, v50, v34
	v_sub_f32_e32 v25, v25, v23
	v_add_f32_e32 v31, v22, v25
	v_add_f32_e32 v22, v24, v26
	v_sub_f32_e32 v25, v23, v22
	v_pk_add_f32 v[28:29], v[22:23], v[24:25] neg_lo:[0,1] neg_hi:[0,1]
	v_mov_b32_e32 v27, v22
	v_pk_add_f32 v[22:23], v[28:29], v[26:27] neg_lo:[0,1] neg_hi:[0,1]
	v_add_f32_e32 v23, v31, v23
	v_add_f32_e32 v22, v22, v23
	;; [unrolled: 1-line block ×4, first 2 shown]
	v_sub_f32_e32 v23, v25, v51
	v_mul_f32_e32 v22, v35, v22
	v_sub_f32_e32 v23, v50, v23
	v_add_f32_e32 v22, v23, v22
	v_add_f32_e32 v26, v25, v22
	v_mul_f32_e32 v28, v26, v26
	v_mov_b32_e32 v24, 0x3ecc95a3
	v_fmac_f32_e32 v24, 0x3e9b6dac, v28
	v_mov_b32_e32 v23, 0x3f2aaada
	v_fmac_f32_e32 v23, v28, v24
	v_cvt_f32_i32_e32 v24, v30
	v_sub_f32_e32 v25, v26, v25
	v_sub_f32_e32 v22, v22, v25
	v_ldexp_f32 v29, v22, 1
	v_mul_f32_e32 v25, v26, v28
	v_mov_b32_e32 v22, 0x3f317218
	s_mov_b32 s2, 0x3f317218
	v_pk_mul_f32 v[22:23], v[24:25], v[22:23]
	v_ldexp_f32 v27, v26, 1
	v_fma_f32 v26, v24, s2, -v22
	v_fmac_f32_e32 v26, 0xb102e308, v24
	v_pk_add_f32 v[24:25], v[22:23], v[26:27]
	v_sub_f32_e32 v27, v25, v27
	v_sub_f32_e32 v27, v23, v27
	v_add_f32_e32 v29, v29, v27
	v_mov_b32_e32 v28, v22
	v_pk_add_f32 v[22:23], v[24:25], v[22:23] neg_lo:[0,1] neg_hi:[0,1]
	v_pk_add_f32 v[30:31], v[24:25], v[28:29]
	v_mov_b32_e32 v23, v31
	v_mov_b32_e32 v27, v24
	v_pk_add_f32 v[34:35], v[26:27], v[22:23] neg_lo:[0,1] neg_hi:[0,1]
	v_pk_add_f32 v[22:23], v[26:27], v[22:23]
	v_mov_b32_e32 v26, v23
	v_pk_add_f32 v[50:51], v[26:27], v[24:25] neg_lo:[0,1] neg_hi:[0,1]
	v_mov_b32_e32 v27, v50
	v_pk_add_f32 v[52:53], v[30:31], v[26:27] neg_lo:[0,1] neg_hi:[0,1]
	v_mov_b32_e32 v22, v31
	v_mov_b32_e32 v30, v25
	;; [unrolled: 1-line block ×4, first 2 shown]
	v_pk_add_f32 v[22:23], v[22:23], v[30:31] neg_lo:[0,1] neg_hi:[0,1]
	v_mov_b32_e32 v28, v29
	v_mov_b32_e32 v29, v24
	v_pk_add_f32 v[22:23], v[28:29], v[22:23] neg_lo:[0,1] neg_hi:[0,1]
	v_mov_b32_e32 v52, v34
	v_pk_add_f32 v[24:25], v[52:53], v[22:23]
	v_mov_b32_e32 v28, v25
	v_pk_add_f32 v[28:29], v[24:25], v[28:29]
	v_pk_add_f32 v[26:27], v[26:27], v[28:29]
	v_mov_b32_e32 v25, v26
	v_pk_add_f32 v[30:31], v[24:25], v[34:35] neg_lo:[0,1] neg_hi:[0,1]
	v_mov_b32_e32 v23, v28
	v_sub_f32_e32 v24, v24, v30
	v_pk_add_f32 v[22:23], v[22:23], v[30:31] neg_lo:[0,1] neg_hi:[0,1]
	v_sub_f32_e32 v24, v34, v24
	s_mov_b32 s3, 0x7f800000
	v_add_f32_e32 v22, v22, v24
	s_mov_b32 s2, 0x33800000
	v_add_f32_e32 v22, v22, v23
	v_cmp_eq_f32_e32 vcc, s3, v32
	v_cmp_lt_f32_e64 s[2:3], |v32|, s2
	v_add_f32_e32 v22, v26, v22
	s_or_b64 vcc, vcc, s[2:3]
	v_cndmask_b32_e32 v22, v22, v32, vcc
	v_add_f32_e32 v23, v12, v22
.LBB482_152:
	s_or_b64 exec, exec, s[0:1]
	v_bfe_u32 v12, v23, 16, 1
	v_add3_u32 v12, v23, v12, s5
	v_lshrrev_b32_e32 v12, 16, v12
	v_mov_b32_e32 v22, 0x7fc0
	v_cmp_o_f32_e32 vcc, v23, v23
	v_cndmask_b32_e32 v12, v22, v12, vcc
	v_lshlrev_b32_e32 v24, 16, v12
	v_max_f32_e32 v23, v24, v24
	v_min_f32_e32 v25, v23, v37
	v_cmp_u_f32_e32 vcc, v24, v24
	v_max_f32_e32 v23, v23, v37
	v_cndmask_b32_e32 v25, v25, v24, vcc
	v_cndmask_b32_e32 v23, v23, v24, vcc
	v_cndmask_b32_e64 v25, v25, v33, s[74:75]
	v_cndmask_b32_e64 v23, v23, v33, s[74:75]
	v_cmp_neq_f32_e32 vcc, v25, v23
	v_cmp_class_f32_e64 s[0:1], v25, s4
	s_or_b64 s[2:3], vcc, s[0:1]
	s_and_saveexec_b64 s[0:1], s[2:3]
	s_cbranch_execz .LBB482_154
; %bb.153:
	v_sub_f32_e32 v24, v25, v23
	s_mov_b32 s2, 0x3fb8aa3b
	v_mul_f32_e32 v25, 0x3fb8aa3b, v24
	v_fma_f32 v26, v24, s2, -v25
	v_rndne_f32_e32 v27, v25
	v_fmac_f32_e32 v26, 0x32a5705f, v24
	v_sub_f32_e32 v25, v25, v27
	v_add_f32_e32 v25, v25, v26
	v_exp_f32_e32 v25, v25
	v_cvt_i32_f32_e32 v26, v27
	s_mov_b32 s2, 0xc2ce8ed0
	v_cmp_ngt_f32_e32 vcc, s2, v24
	s_mov_b32 s2, 0x42b17218
	v_ldexp_f32 v25, v25, v26
	v_cndmask_b32_e32 v25, 0, v25, vcc
	v_mov_b32_e32 v26, 0x7f800000
	v_cmp_nlt_f32_e32 vcc, s2, v24
	v_cndmask_b32_e32 v37, v26, v25, vcc
	v_add_f32_e32 v26, 1.0, v37
	v_add_f32_e32 v24, -1.0, v26
	v_sub_f32_e32 v25, v24, v26
	v_add_f32_e32 v25, 1.0, v25
	v_sub_f32_e32 v24, v37, v24
	v_add_f32_e32 v27, v24, v25
	v_frexp_mant_f32_e32 v28, v26
	s_mov_b32 s2, 0x3f2aaaab
	v_cvt_f64_f32_e32 v[24:25], v26
	v_frexp_exp_i32_f64_e32 v24, v[24:25]
	v_cmp_gt_f32_e32 vcc, s2, v28
	v_subbrev_co_u32_e32 v32, vcc, 0, v24, vcc
	v_sub_u32_e32 v24, 0, v32
	v_ldexp_f32 v25, v26, v24
	v_add_f32_e32 v26, -1.0, v25
	v_add_f32_e32 v28, 1.0, v25
	v_ldexp_f32 v24, v27, v24
	v_add_f32_e32 v27, 1.0, v26
	v_add_f32_e32 v29, -1.0, v28
	v_sub_f32_e32 v27, v25, v27
	v_sub_f32_e32 v25, v25, v29
	v_add_f32_e32 v27, v24, v27
	v_add_f32_e32 v24, v24, v25
	;; [unrolled: 1-line block ×3, first 2 shown]
	v_rcp_f32_e32 v35, v33
	v_sub_f32_e32 v25, v28, v33
	v_add_f32_e32 v34, v24, v25
	v_add_f32_e32 v25, v26, v27
	v_mul_f32_e32 v51, v25, v35
	v_sub_f32_e32 v24, v26, v25
	v_mul_f32_e32 v26, v33, v51
	v_fma_f32 v28, v51, v33, -v26
	v_fmac_f32_e32 v28, v51, v34
	v_add_f32_e32 v50, v27, v24
	v_add_f32_e32 v24, v26, v28
	v_sub_f32_e32 v27, v25, v24
	v_pk_add_f32 v[30:31], v[24:25], v[26:27] neg_lo:[0,1] neg_hi:[0,1]
	v_mov_b32_e32 v29, v24
	v_pk_add_f32 v[24:25], v[30:31], v[28:29] neg_lo:[0,1] neg_hi:[0,1]
	v_add_f32_e32 v25, v50, v25
	v_add_f32_e32 v24, v24, v25
	;; [unrolled: 1-line block ×3, first 2 shown]
	v_mul_f32_e32 v50, v35, v25
	v_mul_f32_e32 v26, v33, v50
	v_fma_f32 v28, v50, v33, -v26
	v_fmac_f32_e32 v28, v50, v34
	v_sub_f32_e32 v27, v27, v25
	v_add_f32_e32 v33, v24, v27
	v_add_f32_e32 v24, v26, v28
	v_sub_f32_e32 v27, v25, v24
	v_pk_add_f32 v[30:31], v[24:25], v[26:27] neg_lo:[0,1] neg_hi:[0,1]
	v_mov_b32_e32 v29, v24
	v_pk_add_f32 v[24:25], v[30:31], v[28:29] neg_lo:[0,1] neg_hi:[0,1]
	v_add_f32_e32 v25, v33, v25
	v_add_f32_e32 v24, v24, v25
	;; [unrolled: 1-line block ×4, first 2 shown]
	v_sub_f32_e32 v25, v27, v51
	v_mul_f32_e32 v24, v35, v24
	v_sub_f32_e32 v25, v50, v25
	v_add_f32_e32 v24, v25, v24
	v_add_f32_e32 v28, v27, v24
	v_mul_f32_e32 v30, v28, v28
	v_mov_b32_e32 v26, 0x3ecc95a3
	v_fmac_f32_e32 v26, 0x3e9b6dac, v30
	v_mov_b32_e32 v25, 0x3f2aaada
	v_fmac_f32_e32 v25, v30, v26
	v_cvt_f32_i32_e32 v26, v32
	v_sub_f32_e32 v27, v28, v27
	v_sub_f32_e32 v24, v24, v27
	v_ldexp_f32 v31, v24, 1
	v_mul_f32_e32 v27, v28, v30
	v_mov_b32_e32 v24, 0x3f317218
	s_mov_b32 s2, 0x3f317218
	v_pk_mul_f32 v[24:25], v[26:27], v[24:25]
	v_ldexp_f32 v29, v28, 1
	v_fma_f32 v28, v26, s2, -v24
	v_fmac_f32_e32 v28, 0xb102e308, v26
	v_pk_add_f32 v[26:27], v[24:25], v[28:29]
	v_sub_f32_e32 v29, v27, v29
	v_sub_f32_e32 v29, v25, v29
	v_add_f32_e32 v31, v31, v29
	v_mov_b32_e32 v30, v24
	v_pk_add_f32 v[24:25], v[26:27], v[24:25] neg_lo:[0,1] neg_hi:[0,1]
	v_pk_add_f32 v[32:33], v[26:27], v[30:31]
	v_mov_b32_e32 v25, v33
	v_mov_b32_e32 v29, v26
	v_pk_add_f32 v[34:35], v[28:29], v[24:25] neg_lo:[0,1] neg_hi:[0,1]
	v_pk_add_f32 v[24:25], v[28:29], v[24:25]
	v_mov_b32_e32 v28, v25
	v_pk_add_f32 v[50:51], v[28:29], v[26:27] neg_lo:[0,1] neg_hi:[0,1]
	v_mov_b32_e32 v29, v50
	v_pk_add_f32 v[52:53], v[32:33], v[28:29] neg_lo:[0,1] neg_hi:[0,1]
	v_mov_b32_e32 v24, v33
	v_mov_b32_e32 v32, v27
	;; [unrolled: 1-line block ×4, first 2 shown]
	v_pk_add_f32 v[24:25], v[24:25], v[32:33] neg_lo:[0,1] neg_hi:[0,1]
	v_mov_b32_e32 v30, v31
	v_mov_b32_e32 v31, v26
	v_pk_add_f32 v[24:25], v[30:31], v[24:25] neg_lo:[0,1] neg_hi:[0,1]
	v_mov_b32_e32 v52, v34
	v_pk_add_f32 v[26:27], v[52:53], v[24:25]
	v_mov_b32_e32 v30, v27
	v_pk_add_f32 v[30:31], v[26:27], v[30:31]
	v_pk_add_f32 v[28:29], v[28:29], v[30:31]
	v_mov_b32_e32 v27, v28
	v_pk_add_f32 v[32:33], v[26:27], v[34:35] neg_lo:[0,1] neg_hi:[0,1]
	v_mov_b32_e32 v25, v30
	v_sub_f32_e32 v26, v26, v32
	v_pk_add_f32 v[24:25], v[24:25], v[32:33] neg_lo:[0,1] neg_hi:[0,1]
	v_sub_f32_e32 v26, v34, v26
	s_mov_b32 s3, 0x7f800000
	v_add_f32_e32 v24, v24, v26
	s_mov_b32 s2, 0x33800000
	v_add_f32_e32 v24, v24, v25
	v_cmp_eq_f32_e32 vcc, s3, v37
	v_cmp_lt_f32_e64 s[2:3], |v37|, s2
	v_add_f32_e32 v24, v28, v24
	s_or_b64 vcc, vcc, s[2:3]
	v_cndmask_b32_e32 v24, v24, v37, vcc
	v_add_f32_e32 v24, v23, v24
.LBB482_154:
	s_or_b64 exec, exec, s[0:1]
	v_bfe_u32 v23, v24, 16, 1
	v_add3_u32 v23, v24, v23, s5
	v_lshrrev_b32_e32 v23, 16, v23
	v_cmp_o_f32_e32 vcc, v24, v24
	v_cndmask_b32_e32 v22, v22, v23, vcc
	v_lshlrev_b32_e32 v24, 16, v22
	v_max_f32_e32 v25, v24, v24
	v_min_f32_e32 v23, v25, v38
	v_cmp_u_f32_e32 vcc, v24, v24
	v_max_f32_e32 v25, v25, v38
	v_cndmask_b32_e32 v23, v23, v24, vcc
	v_cndmask_b32_e32 v25, v25, v24, vcc
	v_cndmask_b32_e64 v23, v23, v13, s[76:77]
	v_cndmask_b32_e64 v13, v25, v13, s[76:77]
	v_cmp_neq_f32_e32 vcc, v23, v13
	v_cmp_class_f32_e64 s[0:1], v23, s4
	s_or_b64 s[2:3], vcc, s[0:1]
	s_and_saveexec_b64 s[0:1], s[2:3]
	s_cbranch_execz .LBB482_156
; %bb.155:
	v_sub_f32_e32 v23, v23, v13
	s_mov_b32 s2, 0x3fb8aa3b
	v_mul_f32_e32 v24, 0x3fb8aa3b, v23
	v_fma_f32 v25, v23, s2, -v24
	v_rndne_f32_e32 v26, v24
	v_fmac_f32_e32 v25, 0x32a5705f, v23
	v_sub_f32_e32 v24, v24, v26
	v_add_f32_e32 v24, v24, v25
	v_exp_f32_e32 v24, v24
	v_cvt_i32_f32_e32 v25, v26
	s_mov_b32 s2, 0xc2ce8ed0
	v_cmp_ngt_f32_e32 vcc, s2, v23
	s_mov_b32 s2, 0x42b17218
	v_ldexp_f32 v24, v24, v25
	v_cndmask_b32_e32 v24, 0, v24, vcc
	v_mov_b32_e32 v25, 0x7f800000
	v_cmp_nlt_f32_e32 vcc, s2, v23
	v_cndmask_b32_e32 v37, v25, v24, vcc
	v_add_f32_e32 v23, 1.0, v37
	v_add_f32_e32 v24, -1.0, v23
	v_sub_f32_e32 v25, v24, v23
	v_add_f32_e32 v25, 1.0, v25
	v_sub_f32_e32 v24, v37, v24
	v_add_f32_e32 v26, v24, v25
	v_frexp_mant_f32_e32 v27, v23
	s_mov_b32 s2, 0x3f2aaaab
	v_cvt_f64_f32_e32 v[24:25], v23
	v_frexp_exp_i32_f64_e32 v24, v[24:25]
	v_cmp_gt_f32_e32 vcc, s2, v27
	v_subbrev_co_u32_e32 v32, vcc, 0, v24, vcc
	v_sub_u32_e32 v24, 0, v32
	v_ldexp_f32 v23, v23, v24
	v_ldexp_f32 v24, v26, v24
	v_add_f32_e32 v26, -1.0, v23
	v_add_f32_e32 v25, 1.0, v26
	v_sub_f32_e32 v25, v23, v25
	v_add_f32_e32 v27, v24, v25
	v_add_f32_e32 v25, 1.0, v23
	v_add_f32_e32 v28, -1.0, v25
	v_sub_f32_e32 v23, v23, v28
	v_add_f32_e32 v23, v24, v23
	v_add_f32_e32 v33, v25, v23
	v_rcp_f32_e32 v34, v33
	v_sub_f32_e32 v24, v25, v33
	v_add_f32_e32 v25, v26, v27
	v_add_f32_e32 v23, v23, v24
	v_mul_f32_e32 v38, v25, v34
	v_sub_f32_e32 v24, v26, v25
	v_mul_f32_e32 v26, v33, v38
	v_fma_f32 v28, v38, v33, -v26
	v_fmac_f32_e32 v28, v38, v23
	v_add_f32_e32 v35, v27, v24
	v_add_f32_e32 v24, v26, v28
	v_sub_f32_e32 v27, v25, v24
	v_pk_add_f32 v[30:31], v[24:25], v[26:27] neg_lo:[0,1] neg_hi:[0,1]
	v_mov_b32_e32 v29, v24
	v_pk_add_f32 v[24:25], v[30:31], v[28:29] neg_lo:[0,1] neg_hi:[0,1]
	v_add_f32_e32 v25, v35, v25
	v_add_f32_e32 v24, v24, v25
	v_add_f32_e32 v25, v27, v24
	v_mul_f32_e32 v35, v34, v25
	v_mul_f32_e32 v26, v33, v35
	v_fma_f32 v28, v35, v33, -v26
	v_fmac_f32_e32 v28, v35, v23
	v_sub_f32_e32 v23, v27, v25
	v_add_f32_e32 v23, v24, v23
	v_add_f32_e32 v24, v26, v28
	v_sub_f32_e32 v27, v25, v24
	v_pk_add_f32 v[30:31], v[24:25], v[26:27] neg_lo:[0,1] neg_hi:[0,1]
	v_mov_b32_e32 v29, v24
	v_pk_add_f32 v[24:25], v[30:31], v[28:29] neg_lo:[0,1] neg_hi:[0,1]
	v_add_f32_e32 v23, v23, v25
	v_add_f32_e32 v23, v24, v23
	;; [unrolled: 1-line block ×4, first 2 shown]
	v_sub_f32_e32 v25, v24, v38
	v_mul_f32_e32 v23, v34, v23
	v_sub_f32_e32 v25, v35, v25
	v_add_f32_e32 v23, v25, v23
	v_add_f32_e32 v27, v24, v23
	v_mul_f32_e32 v28, v27, v27
	v_mov_b32_e32 v26, 0x3ecc95a3
	v_fmac_f32_e32 v26, 0x3e9b6dac, v28
	v_mov_b32_e32 v25, 0x3f2aaada
	v_fmac_f32_e32 v25, v28, v26
	v_cvt_f32_i32_e32 v26, v32
	v_sub_f32_e32 v24, v27, v24
	v_sub_f32_e32 v23, v23, v24
	v_ldexp_f32 v29, v27, 1
	v_mul_f32_e32 v27, v27, v28
	v_mov_b32_e32 v24, 0x3f317218
	s_mov_b32 s2, 0x3f317218
	v_pk_mul_f32 v[24:25], v[26:27], v[24:25]
	v_fma_f32 v28, v26, s2, -v24
	v_fmac_f32_e32 v28, 0xb102e308, v26
	v_pk_add_f32 v[26:27], v[24:25], v[28:29]
	v_sub_f32_e32 v29, v27, v29
	v_ldexp_f32 v23, v23, 1
	v_sub_f32_e32 v29, v25, v29
	v_add_f32_e32 v31, v23, v29
	v_mov_b32_e32 v30, v24
	v_pk_add_f32 v[24:25], v[26:27], v[24:25] neg_lo:[0,1] neg_hi:[0,1]
	v_pk_add_f32 v[32:33], v[26:27], v[30:31]
	v_mov_b32_e32 v25, v33
	v_mov_b32_e32 v29, v26
	v_pk_add_f32 v[34:35], v[28:29], v[24:25] neg_lo:[0,1] neg_hi:[0,1]
	v_pk_add_f32 v[24:25], v[28:29], v[24:25]
	v_mov_b32_e32 v28, v25
	v_pk_add_f32 v[50:51], v[28:29], v[26:27] neg_lo:[0,1] neg_hi:[0,1]
	v_mov_b32_e32 v23, v50
	v_pk_add_f32 v[52:53], v[32:33], v[22:23] neg_lo:[0,1] neg_hi:[0,1]
	v_mov_b32_e32 v24, v33
	v_mov_b32_e32 v32, v27
	;; [unrolled: 1-line block ×4, first 2 shown]
	v_pk_add_f32 v[24:25], v[24:25], v[32:33] neg_lo:[0,1] neg_hi:[0,1]
	v_mov_b32_e32 v30, v31
	v_mov_b32_e32 v31, v26
	v_pk_add_f32 v[24:25], v[30:31], v[24:25] neg_lo:[0,1] neg_hi:[0,1]
	v_mov_b32_e32 v52, v34
	v_pk_add_f32 v[26:27], v[52:53], v[24:25]
	v_mov_b32_e32 v30, v27
	v_pk_add_f32 v[30:31], v[26:27], v[30:31]
	v_pk_add_f32 v[28:29], v[28:29], v[30:31]
	v_mov_b32_e32 v27, v28
	v_pk_add_f32 v[32:33], v[26:27], v[34:35] neg_lo:[0,1] neg_hi:[0,1]
	v_mov_b32_e32 v25, v30
	v_sub_f32_e32 v23, v26, v32
	v_pk_add_f32 v[24:25], v[24:25], v[32:33] neg_lo:[0,1] neg_hi:[0,1]
	v_sub_f32_e32 v23, v34, v23
	s_mov_b32 s3, 0x7f800000
	v_add_f32_e32 v23, v24, v23
	s_mov_b32 s2, 0x33800000
	v_add_f32_e32 v23, v23, v25
	v_cmp_eq_f32_e32 vcc, s3, v37
	v_cmp_lt_f32_e64 s[2:3], |v37|, s2
	v_add_f32_e32 v23, v28, v23
	s_or_b64 vcc, vcc, s[2:3]
	v_cndmask_b32_e32 v23, v23, v37, vcc
	v_add_f32_e32 v24, v13, v23
.LBB482_156:
	s_or_b64 exec, exec, s[0:1]
	v_bfe_u32 v13, v24, 16, 1
	v_add3_u32 v13, v24, v13, s5
	v_lshrrev_b32_e32 v13, 16, v13
	v_mov_b32_e32 v23, 0x7fc0
	v_cmp_o_f32_e32 vcc, v24, v24
	v_cndmask_b32_e32 v13, v23, v13, vcc
	v_lshlrev_b32_e32 v25, 16, v13
	v_max_f32_e32 v24, v25, v25
	v_min_f32_e32 v26, v24, v40
	v_cmp_u_f32_e32 vcc, v25, v25
	v_max_f32_e32 v24, v24, v40
	v_cndmask_b32_e32 v26, v26, v25, vcc
	v_cndmask_b32_e32 v24, v24, v25, vcc
	v_cndmask_b32_e64 v26, v26, v36, s[78:79]
	v_cndmask_b32_e64 v24, v24, v36, s[78:79]
	v_cmp_neq_f32_e32 vcc, v26, v24
	v_cmp_class_f32_e64 s[0:1], v26, s4
	s_or_b64 s[2:3], vcc, s[0:1]
	s_and_saveexec_b64 s[0:1], s[2:3]
	s_cbranch_execz .LBB482_158
; %bb.157:
	v_sub_f32_e32 v25, v26, v24
	s_mov_b32 s2, 0x3fb8aa3b
	v_mul_f32_e32 v26, 0x3fb8aa3b, v25
	v_fma_f32 v27, v25, s2, -v26
	v_rndne_f32_e32 v28, v26
	v_fmac_f32_e32 v27, 0x32a5705f, v25
	v_sub_f32_e32 v26, v26, v28
	v_add_f32_e32 v26, v26, v27
	v_exp_f32_e32 v26, v26
	v_cvt_i32_f32_e32 v27, v28
	s_mov_b32 s2, 0xc2ce8ed0
	v_cmp_ngt_f32_e32 vcc, s2, v25
	s_mov_b32 s2, 0x42b17218
	v_ldexp_f32 v26, v26, v27
	v_cndmask_b32_e32 v26, 0, v26, vcc
	v_mov_b32_e32 v27, 0x7f800000
	v_cmp_nlt_f32_e32 vcc, s2, v25
	v_cndmask_b32_e32 v38, v27, v26, vcc
	v_add_f32_e32 v25, 1.0, v38
	v_add_f32_e32 v26, -1.0, v25
	v_sub_f32_e32 v27, v26, v25
	v_add_f32_e32 v27, 1.0, v27
	v_sub_f32_e32 v26, v38, v26
	v_add_f32_e32 v28, v26, v27
	v_frexp_mant_f32_e32 v29, v25
	s_mov_b32 s2, 0x3f2aaaab
	v_cvt_f64_f32_e32 v[26:27], v25
	v_frexp_exp_i32_f64_e32 v26, v[26:27]
	v_cmp_gt_f32_e32 vcc, s2, v29
	v_subbrev_co_u32_e32 v34, vcc, 0, v26, vcc
	v_sub_u32_e32 v26, 0, v34
	v_ldexp_f32 v25, v25, v26
	v_ldexp_f32 v26, v28, v26
	v_add_f32_e32 v28, -1.0, v25
	v_add_f32_e32 v27, 1.0, v28
	v_sub_f32_e32 v27, v25, v27
	v_add_f32_e32 v29, v26, v27
	v_add_f32_e32 v27, 1.0, v25
	v_add_f32_e32 v30, -1.0, v27
	v_sub_f32_e32 v25, v25, v30
	v_add_f32_e32 v25, v26, v25
	v_add_f32_e32 v35, v27, v25
	v_rcp_f32_e32 v36, v35
	v_sub_f32_e32 v26, v27, v35
	v_add_f32_e32 v27, v28, v29
	v_add_f32_e32 v25, v25, v26
	v_mul_f32_e32 v40, v27, v36
	v_sub_f32_e32 v26, v28, v27
	v_mul_f32_e32 v28, v35, v40
	v_fma_f32 v30, v40, v35, -v28
	v_fmac_f32_e32 v30, v40, v25
	v_add_f32_e32 v37, v29, v26
	v_add_f32_e32 v26, v28, v30
	v_sub_f32_e32 v29, v27, v26
	v_pk_add_f32 v[32:33], v[26:27], v[28:29] neg_lo:[0,1] neg_hi:[0,1]
	v_mov_b32_e32 v31, v26
	v_pk_add_f32 v[26:27], v[32:33], v[30:31] neg_lo:[0,1] neg_hi:[0,1]
	v_add_f32_e32 v27, v37, v27
	v_add_f32_e32 v26, v26, v27
	;; [unrolled: 1-line block ×3, first 2 shown]
	v_mul_f32_e32 v37, v36, v27
	v_mul_f32_e32 v28, v35, v37
	v_fma_f32 v30, v37, v35, -v28
	v_fmac_f32_e32 v30, v37, v25
	v_sub_f32_e32 v25, v29, v27
	v_add_f32_e32 v25, v26, v25
	v_add_f32_e32 v26, v28, v30
	v_sub_f32_e32 v29, v27, v26
	v_pk_add_f32 v[32:33], v[26:27], v[28:29] neg_lo:[0,1] neg_hi:[0,1]
	v_mov_b32_e32 v31, v26
	v_pk_add_f32 v[26:27], v[32:33], v[30:31] neg_lo:[0,1] neg_hi:[0,1]
	v_add_f32_e32 v25, v25, v27
	v_add_f32_e32 v25, v26, v25
	;; [unrolled: 1-line block ×4, first 2 shown]
	v_sub_f32_e32 v27, v26, v40
	v_mul_f32_e32 v25, v36, v25
	v_sub_f32_e32 v27, v37, v27
	v_add_f32_e32 v25, v27, v25
	v_add_f32_e32 v29, v26, v25
	v_mul_f32_e32 v30, v29, v29
	v_mov_b32_e32 v28, 0x3ecc95a3
	v_fmac_f32_e32 v28, 0x3e9b6dac, v30
	v_mov_b32_e32 v27, 0x3f2aaada
	v_fmac_f32_e32 v27, v30, v28
	v_cvt_f32_i32_e32 v28, v34
	v_sub_f32_e32 v26, v29, v26
	v_sub_f32_e32 v25, v25, v26
	v_ldexp_f32 v31, v29, 1
	v_mul_f32_e32 v29, v29, v30
	v_mov_b32_e32 v26, 0x3f317218
	s_mov_b32 s2, 0x3f317218
	v_pk_mul_f32 v[26:27], v[28:29], v[26:27]
	v_fma_f32 v30, v28, s2, -v26
	v_fmac_f32_e32 v30, 0xb102e308, v28
	v_pk_add_f32 v[28:29], v[26:27], v[30:31]
	v_sub_f32_e32 v31, v29, v31
	v_ldexp_f32 v25, v25, 1
	v_sub_f32_e32 v31, v27, v31
	v_add_f32_e32 v33, v25, v31
	v_mov_b32_e32 v32, v26
	v_pk_add_f32 v[26:27], v[28:29], v[26:27] neg_lo:[0,1] neg_hi:[0,1]
	v_pk_add_f32 v[34:35], v[28:29], v[32:33]
	v_mov_b32_e32 v27, v35
	v_mov_b32_e32 v31, v28
	v_pk_add_f32 v[36:37], v[30:31], v[26:27] neg_lo:[0,1] neg_hi:[0,1]
	v_pk_add_f32 v[26:27], v[30:31], v[26:27]
	v_mov_b32_e32 v30, v27
	v_pk_add_f32 v[50:51], v[30:31], v[28:29] neg_lo:[0,1] neg_hi:[0,1]
	v_mov_b32_e32 v25, v50
	v_pk_add_f32 v[52:53], v[34:35], v[24:25] neg_lo:[0,1] neg_hi:[0,1]
	v_mov_b32_e32 v26, v35
	v_mov_b32_e32 v34, v29
	v_mov_b32_e32 v35, v50
	v_mov_b32_e32 v37, v27
	v_pk_add_f32 v[26:27], v[26:27], v[34:35] neg_lo:[0,1] neg_hi:[0,1]
	v_mov_b32_e32 v32, v33
	v_mov_b32_e32 v33, v28
	v_pk_add_f32 v[26:27], v[32:33], v[26:27] neg_lo:[0,1] neg_hi:[0,1]
	v_mov_b32_e32 v52, v36
	v_pk_add_f32 v[28:29], v[52:53], v[26:27]
	v_mov_b32_e32 v32, v29
	v_pk_add_f32 v[32:33], v[28:29], v[32:33]
	v_pk_add_f32 v[30:31], v[30:31], v[32:33]
	v_mov_b32_e32 v29, v30
	v_pk_add_f32 v[34:35], v[28:29], v[36:37] neg_lo:[0,1] neg_hi:[0,1]
	v_mov_b32_e32 v27, v32
	v_sub_f32_e32 v25, v28, v34
	v_pk_add_f32 v[26:27], v[26:27], v[34:35] neg_lo:[0,1] neg_hi:[0,1]
	v_sub_f32_e32 v25, v36, v25
	s_mov_b32 s3, 0x7f800000
	v_add_f32_e32 v25, v26, v25
	s_mov_b32 s2, 0x33800000
	v_add_f32_e32 v25, v25, v27
	v_cmp_eq_f32_e32 vcc, s3, v38
	v_cmp_lt_f32_e64 s[2:3], |v38|, s2
	v_add_f32_e32 v25, v30, v25
	s_or_b64 vcc, vcc, s[2:3]
	v_cndmask_b32_e32 v25, v25, v38, vcc
	v_add_f32_e32 v25, v24, v25
.LBB482_158:
	s_or_b64 exec, exec, s[0:1]
	v_bfe_u32 v24, v25, 16, 1
	v_add3_u32 v24, v25, v24, s5
	v_lshrrev_b32_e32 v24, 16, v24
	v_cmp_o_f32_e32 vcc, v25, v25
	v_cndmask_b32_e32 v23, v23, v24, vcc
	v_lshlrev_b32_e32 v25, 16, v23
	v_max_f32_e32 v26, v25, v25
	v_min_f32_e32 v24, v26, v41
	v_cmp_u_f32_e32 vcc, v25, v25
	v_max_f32_e32 v26, v26, v41
	v_cndmask_b32_e32 v24, v24, v25, vcc
	v_cndmask_b32_e32 v26, v26, v25, vcc
	v_cndmask_b32_e64 v24, v24, v6, s[80:81]
	v_cndmask_b32_e64 v6, v26, v6, s[80:81]
	v_cmp_neq_f32_e32 vcc, v24, v6
	v_cmp_class_f32_e64 s[0:1], v24, s4
	s_or_b64 s[2:3], vcc, s[0:1]
	s_and_saveexec_b64 s[0:1], s[2:3]
	s_cbranch_execz .LBB482_160
; %bb.159:
	v_sub_f32_e32 v24, v24, v6
	s_mov_b32 s2, 0x3fb8aa3b
	v_mul_f32_e32 v25, 0x3fb8aa3b, v24
	v_fma_f32 v26, v24, s2, -v25
	v_rndne_f32_e32 v27, v25
	v_fmac_f32_e32 v26, 0x32a5705f, v24
	v_sub_f32_e32 v25, v25, v27
	v_add_f32_e32 v25, v25, v26
	v_exp_f32_e32 v25, v25
	v_cvt_i32_f32_e32 v26, v27
	s_mov_b32 s2, 0xc2ce8ed0
	v_cmp_ngt_f32_e32 vcc, s2, v24
	s_mov_b32 s2, 0x42b17218
	v_ldexp_f32 v25, v25, v26
	v_cndmask_b32_e32 v25, 0, v25, vcc
	v_mov_b32_e32 v26, 0x7f800000
	v_cmp_nlt_f32_e32 vcc, s2, v24
	v_cndmask_b32_e32 v38, v26, v25, vcc
	v_add_f32_e32 v26, 1.0, v38
	v_add_f32_e32 v24, -1.0, v26
	v_sub_f32_e32 v25, v24, v26
	v_add_f32_e32 v25, 1.0, v25
	v_sub_f32_e32 v24, v38, v24
	v_add_f32_e32 v27, v24, v25
	v_frexp_mant_f32_e32 v28, v26
	s_mov_b32 s2, 0x3f2aaaab
	v_cvt_f64_f32_e32 v[24:25], v26
	v_frexp_exp_i32_f64_e32 v24, v[24:25]
	v_cmp_gt_f32_e32 vcc, s2, v28
	v_subbrev_co_u32_e32 v32, vcc, 0, v24, vcc
	v_sub_u32_e32 v24, 0, v32
	v_ldexp_f32 v25, v26, v24
	v_add_f32_e32 v26, -1.0, v25
	v_add_f32_e32 v28, 1.0, v25
	v_ldexp_f32 v24, v27, v24
	v_add_f32_e32 v27, 1.0, v26
	v_add_f32_e32 v29, -1.0, v28
	v_sub_f32_e32 v27, v25, v27
	v_sub_f32_e32 v25, v25, v29
	v_add_f32_e32 v27, v24, v27
	v_add_f32_e32 v24, v24, v25
	;; [unrolled: 1-line block ×3, first 2 shown]
	v_rcp_f32_e32 v35, v33
	v_sub_f32_e32 v25, v28, v33
	v_add_f32_e32 v34, v24, v25
	v_add_f32_e32 v25, v26, v27
	v_mul_f32_e32 v37, v25, v35
	v_sub_f32_e32 v24, v26, v25
	v_mul_f32_e32 v26, v33, v37
	v_fma_f32 v28, v37, v33, -v26
	v_fmac_f32_e32 v28, v37, v34
	v_add_f32_e32 v36, v27, v24
	v_add_f32_e32 v24, v26, v28
	v_sub_f32_e32 v27, v25, v24
	v_pk_add_f32 v[30:31], v[24:25], v[26:27] neg_lo:[0,1] neg_hi:[0,1]
	v_mov_b32_e32 v29, v24
	v_pk_add_f32 v[24:25], v[30:31], v[28:29] neg_lo:[0,1] neg_hi:[0,1]
	v_add_f32_e32 v25, v36, v25
	v_add_f32_e32 v24, v24, v25
	;; [unrolled: 1-line block ×3, first 2 shown]
	v_mul_f32_e32 v36, v35, v25
	v_mul_f32_e32 v26, v33, v36
	v_fma_f32 v28, v36, v33, -v26
	v_fmac_f32_e32 v28, v36, v34
	v_sub_f32_e32 v27, v27, v25
	v_add_f32_e32 v33, v24, v27
	v_add_f32_e32 v24, v26, v28
	v_sub_f32_e32 v27, v25, v24
	v_pk_add_f32 v[30:31], v[24:25], v[26:27] neg_lo:[0,1] neg_hi:[0,1]
	v_mov_b32_e32 v29, v24
	v_pk_add_f32 v[24:25], v[30:31], v[28:29] neg_lo:[0,1] neg_hi:[0,1]
	v_add_f32_e32 v25, v33, v25
	v_add_f32_e32 v24, v24, v25
	;; [unrolled: 1-line block ×4, first 2 shown]
	v_sub_f32_e32 v25, v27, v37
	v_mul_f32_e32 v24, v35, v24
	v_sub_f32_e32 v25, v36, v25
	v_add_f32_e32 v24, v25, v24
	v_add_f32_e32 v28, v27, v24
	v_mul_f32_e32 v30, v28, v28
	v_mov_b32_e32 v26, 0x3ecc95a3
	v_fmac_f32_e32 v26, 0x3e9b6dac, v30
	v_mov_b32_e32 v25, 0x3f2aaada
	v_fmac_f32_e32 v25, v30, v26
	v_cvt_f32_i32_e32 v26, v32
	v_sub_f32_e32 v27, v28, v27
	v_sub_f32_e32 v24, v24, v27
	v_ldexp_f32 v31, v24, 1
	v_mul_f32_e32 v27, v28, v30
	v_mov_b32_e32 v24, 0x3f317218
	s_mov_b32 s2, 0x3f317218
	v_pk_mul_f32 v[24:25], v[26:27], v[24:25]
	v_ldexp_f32 v29, v28, 1
	v_fma_f32 v28, v26, s2, -v24
	v_fmac_f32_e32 v28, 0xb102e308, v26
	v_pk_add_f32 v[26:27], v[24:25], v[28:29]
	v_sub_f32_e32 v29, v27, v29
	v_sub_f32_e32 v29, v25, v29
	v_add_f32_e32 v31, v31, v29
	v_mov_b32_e32 v30, v24
	v_pk_add_f32 v[24:25], v[26:27], v[24:25] neg_lo:[0,1] neg_hi:[0,1]
	v_pk_add_f32 v[32:33], v[26:27], v[30:31]
	v_mov_b32_e32 v25, v33
	v_mov_b32_e32 v29, v26
	v_pk_add_f32 v[34:35], v[28:29], v[24:25] neg_lo:[0,1] neg_hi:[0,1]
	v_pk_add_f32 v[24:25], v[28:29], v[24:25]
	v_mov_b32_e32 v28, v25
	v_pk_add_f32 v[36:37], v[28:29], v[26:27] neg_lo:[0,1] neg_hi:[0,1]
	v_mov_b32_e32 v29, v36
	v_pk_add_f32 v[40:41], v[32:33], v[28:29] neg_lo:[0,1] neg_hi:[0,1]
	v_mov_b32_e32 v24, v33
	v_mov_b32_e32 v32, v27
	;; [unrolled: 1-line block ×4, first 2 shown]
	v_pk_add_f32 v[24:25], v[24:25], v[32:33] neg_lo:[0,1] neg_hi:[0,1]
	v_mov_b32_e32 v30, v31
	v_mov_b32_e32 v31, v26
	v_pk_add_f32 v[24:25], v[30:31], v[24:25] neg_lo:[0,1] neg_hi:[0,1]
	v_mov_b32_e32 v40, v34
	v_pk_add_f32 v[26:27], v[40:41], v[24:25]
	v_mov_b32_e32 v30, v27
	v_pk_add_f32 v[30:31], v[26:27], v[30:31]
	v_pk_add_f32 v[28:29], v[28:29], v[30:31]
	v_mov_b32_e32 v27, v28
	v_pk_add_f32 v[32:33], v[26:27], v[34:35] neg_lo:[0,1] neg_hi:[0,1]
	v_mov_b32_e32 v25, v30
	v_sub_f32_e32 v26, v26, v32
	v_pk_add_f32 v[24:25], v[24:25], v[32:33] neg_lo:[0,1] neg_hi:[0,1]
	v_sub_f32_e32 v26, v34, v26
	s_mov_b32 s3, 0x7f800000
	v_add_f32_e32 v24, v24, v26
	s_mov_b32 s2, 0x33800000
	v_add_f32_e32 v24, v24, v25
	v_cmp_eq_f32_e32 vcc, s3, v38
	v_cmp_lt_f32_e64 s[2:3], |v38|, s2
	v_add_f32_e32 v24, v28, v24
	s_or_b64 vcc, vcc, s[2:3]
	v_cndmask_b32_e32 v24, v24, v38, vcc
	v_add_f32_e32 v25, v6, v24
.LBB482_160:
	s_or_b64 exec, exec, s[0:1]
	v_bfe_u32 v6, v25, 16, 1
	v_add3_u32 v6, v25, v6, s5
	v_lshrrev_b32_e32 v6, 16, v6
	v_mov_b32_e32 v24, 0x7fc0
	v_cmp_o_f32_e32 vcc, v25, v25
	v_cndmask_b32_e32 v6, v24, v6, vcc
	v_lshlrev_b32_e32 v26, 16, v6
	v_max_f32_e32 v25, v26, v26
	v_min_f32_e32 v27, v25, v43
	v_cmp_u_f32_e32 vcc, v26, v26
	v_max_f32_e32 v25, v25, v43
	v_cndmask_b32_e32 v27, v27, v26, vcc
	v_cndmask_b32_e32 v25, v25, v26, vcc
	v_cndmask_b32_e64 v27, v27, v39, s[82:83]
	v_cndmask_b32_e64 v25, v25, v39, s[82:83]
	v_cmp_neq_f32_e32 vcc, v27, v25
	v_cmp_class_f32_e64 s[0:1], v27, s4
	s_or_b64 s[2:3], vcc, s[0:1]
	s_and_saveexec_b64 s[0:1], s[2:3]
	s_cbranch_execz .LBB482_162
; %bb.161:
	v_sub_f32_e32 v26, v27, v25
	s_mov_b32 s2, 0x3fb8aa3b
	v_mul_f32_e32 v27, 0x3fb8aa3b, v26
	v_fma_f32 v28, v26, s2, -v27
	v_rndne_f32_e32 v29, v27
	v_fmac_f32_e32 v28, 0x32a5705f, v26
	v_sub_f32_e32 v27, v27, v29
	v_add_f32_e32 v27, v27, v28
	v_exp_f32_e32 v27, v27
	v_cvt_i32_f32_e32 v28, v29
	s_mov_b32 s2, 0xc2ce8ed0
	v_cmp_ngt_f32_e32 vcc, s2, v26
	s_mov_b32 s2, 0x42b17218
	v_ldexp_f32 v27, v27, v28
	v_cndmask_b32_e32 v27, 0, v27, vcc
	v_mov_b32_e32 v28, 0x7f800000
	v_cmp_nlt_f32_e32 vcc, s2, v26
	v_cndmask_b32_e32 v43, v28, v27, vcc
	v_add_f32_e32 v28, 1.0, v43
	v_add_f32_e32 v26, -1.0, v28
	v_sub_f32_e32 v27, v26, v28
	v_add_f32_e32 v27, 1.0, v27
	v_sub_f32_e32 v26, v43, v26
	v_add_f32_e32 v29, v26, v27
	v_frexp_mant_f32_e32 v30, v28
	s_mov_b32 s2, 0x3f2aaaab
	v_cvt_f64_f32_e32 v[26:27], v28
	v_frexp_exp_i32_f64_e32 v26, v[26:27]
	v_cmp_gt_f32_e32 vcc, s2, v30
	v_subbrev_co_u32_e32 v34, vcc, 0, v26, vcc
	v_sub_u32_e32 v26, 0, v34
	v_ldexp_f32 v27, v28, v26
	v_add_f32_e32 v28, -1.0, v27
	v_add_f32_e32 v30, 1.0, v27
	v_ldexp_f32 v26, v29, v26
	v_add_f32_e32 v29, 1.0, v28
	v_add_f32_e32 v31, -1.0, v30
	v_sub_f32_e32 v29, v27, v29
	v_sub_f32_e32 v27, v27, v31
	v_add_f32_e32 v29, v26, v29
	v_add_f32_e32 v26, v26, v27
	;; [unrolled: 1-line block ×3, first 2 shown]
	v_rcp_f32_e32 v37, v35
	v_sub_f32_e32 v27, v30, v35
	v_add_f32_e32 v36, v26, v27
	v_add_f32_e32 v27, v28, v29
	v_mul_f32_e32 v39, v27, v37
	v_sub_f32_e32 v26, v28, v27
	v_mul_f32_e32 v28, v35, v39
	v_fma_f32 v30, v39, v35, -v28
	v_fmac_f32_e32 v30, v39, v36
	v_add_f32_e32 v38, v29, v26
	v_add_f32_e32 v26, v28, v30
	v_sub_f32_e32 v29, v27, v26
	v_pk_add_f32 v[32:33], v[26:27], v[28:29] neg_lo:[0,1] neg_hi:[0,1]
	v_mov_b32_e32 v31, v26
	v_pk_add_f32 v[26:27], v[32:33], v[30:31] neg_lo:[0,1] neg_hi:[0,1]
	v_add_f32_e32 v27, v38, v27
	v_add_f32_e32 v26, v26, v27
	v_add_f32_e32 v27, v29, v26
	v_mul_f32_e32 v38, v37, v27
	v_mul_f32_e32 v28, v35, v38
	v_fma_f32 v30, v38, v35, -v28
	v_fmac_f32_e32 v30, v38, v36
	v_sub_f32_e32 v29, v29, v27
	v_add_f32_e32 v35, v26, v29
	v_add_f32_e32 v26, v28, v30
	v_sub_f32_e32 v29, v27, v26
	v_pk_add_f32 v[32:33], v[26:27], v[28:29] neg_lo:[0,1] neg_hi:[0,1]
	v_mov_b32_e32 v31, v26
	v_pk_add_f32 v[26:27], v[32:33], v[30:31] neg_lo:[0,1] neg_hi:[0,1]
	v_add_f32_e32 v27, v35, v27
	v_add_f32_e32 v26, v26, v27
	;; [unrolled: 1-line block ×4, first 2 shown]
	v_sub_f32_e32 v27, v29, v39
	v_mul_f32_e32 v26, v37, v26
	v_sub_f32_e32 v27, v38, v27
	v_add_f32_e32 v26, v27, v26
	v_add_f32_e32 v30, v29, v26
	v_mul_f32_e32 v32, v30, v30
	v_mov_b32_e32 v28, 0x3ecc95a3
	v_fmac_f32_e32 v28, 0x3e9b6dac, v32
	v_mov_b32_e32 v27, 0x3f2aaada
	v_fmac_f32_e32 v27, v32, v28
	v_cvt_f32_i32_e32 v28, v34
	v_sub_f32_e32 v29, v30, v29
	v_sub_f32_e32 v26, v26, v29
	v_ldexp_f32 v33, v26, 1
	v_mul_f32_e32 v29, v30, v32
	v_mov_b32_e32 v26, 0x3f317218
	s_mov_b32 s2, 0x3f317218
	v_pk_mul_f32 v[26:27], v[28:29], v[26:27]
	v_ldexp_f32 v31, v30, 1
	v_fma_f32 v30, v28, s2, -v26
	v_fmac_f32_e32 v30, 0xb102e308, v28
	v_pk_add_f32 v[28:29], v[26:27], v[30:31]
	v_sub_f32_e32 v31, v29, v31
	v_sub_f32_e32 v31, v27, v31
	v_add_f32_e32 v33, v33, v31
	v_mov_b32_e32 v32, v26
	v_pk_add_f32 v[26:27], v[28:29], v[26:27] neg_lo:[0,1] neg_hi:[0,1]
	v_pk_add_f32 v[34:35], v[28:29], v[32:33]
	v_mov_b32_e32 v27, v35
	v_mov_b32_e32 v31, v28
	v_pk_add_f32 v[36:37], v[30:31], v[26:27] neg_lo:[0,1] neg_hi:[0,1]
	v_pk_add_f32 v[26:27], v[30:31], v[26:27]
	v_mov_b32_e32 v30, v27
	v_pk_add_f32 v[38:39], v[30:31], v[28:29] neg_lo:[0,1] neg_hi:[0,1]
	v_mov_b32_e32 v31, v38
	v_pk_add_f32 v[40:41], v[34:35], v[30:31] neg_lo:[0,1] neg_hi:[0,1]
	v_mov_b32_e32 v26, v35
	v_mov_b32_e32 v34, v29
	;; [unrolled: 1-line block ×4, first 2 shown]
	v_pk_add_f32 v[26:27], v[26:27], v[34:35] neg_lo:[0,1] neg_hi:[0,1]
	v_mov_b32_e32 v32, v33
	v_mov_b32_e32 v33, v28
	v_pk_add_f32 v[26:27], v[32:33], v[26:27] neg_lo:[0,1] neg_hi:[0,1]
	v_mov_b32_e32 v40, v36
	v_pk_add_f32 v[28:29], v[40:41], v[26:27]
	v_mov_b32_e32 v32, v29
	v_pk_add_f32 v[32:33], v[28:29], v[32:33]
	v_pk_add_f32 v[30:31], v[30:31], v[32:33]
	v_mov_b32_e32 v29, v30
	v_pk_add_f32 v[34:35], v[28:29], v[36:37] neg_lo:[0,1] neg_hi:[0,1]
	v_mov_b32_e32 v27, v32
	v_sub_f32_e32 v28, v28, v34
	v_pk_add_f32 v[26:27], v[26:27], v[34:35] neg_lo:[0,1] neg_hi:[0,1]
	v_sub_f32_e32 v28, v36, v28
	s_mov_b32 s3, 0x7f800000
	v_add_f32_e32 v26, v26, v28
	s_mov_b32 s2, 0x33800000
	v_add_f32_e32 v26, v26, v27
	v_cmp_eq_f32_e32 vcc, s3, v43
	v_cmp_lt_f32_e64 s[2:3], |v43|, s2
	v_add_f32_e32 v26, v30, v26
	s_or_b64 vcc, vcc, s[2:3]
	v_cndmask_b32_e32 v26, v26, v43, vcc
	v_add_f32_e32 v26, v25, v26
.LBB482_162:
	s_or_b64 exec, exec, s[0:1]
	v_bfe_u32 v25, v26, 16, 1
	v_add3_u32 v25, v26, v25, s5
	v_lshrrev_b32_e32 v25, 16, v25
	v_cmp_o_f32_e32 vcc, v26, v26
	v_cndmask_b32_e32 v24, v24, v25, vcc
	v_lshlrev_b32_e32 v26, 16, v24
	v_max_f32_e32 v27, v26, v26
	v_min_f32_e32 v25, v27, v44
	v_cmp_u_f32_e32 vcc, v26, v26
	v_max_f32_e32 v27, v27, v44
	v_cndmask_b32_e32 v25, v25, v26, vcc
	v_cndmask_b32_e32 v27, v27, v26, vcc
	v_cndmask_b32_e64 v25, v25, v7, s[84:85]
	v_cndmask_b32_e64 v7, v27, v7, s[84:85]
	v_cmp_neq_f32_e32 vcc, v25, v7
	v_cmp_class_f32_e64 s[0:1], v25, s4
	s_or_b64 s[2:3], vcc, s[0:1]
	s_and_saveexec_b64 s[0:1], s[2:3]
	s_cbranch_execz .LBB482_164
; %bb.163:
	v_sub_f32_e32 v25, v25, v7
	s_mov_b32 s2, 0x3fb8aa3b
	v_mul_f32_e32 v26, 0x3fb8aa3b, v25
	v_fma_f32 v27, v25, s2, -v26
	v_rndne_f32_e32 v28, v26
	v_fmac_f32_e32 v27, 0x32a5705f, v25
	v_sub_f32_e32 v26, v26, v28
	v_add_f32_e32 v26, v26, v27
	v_exp_f32_e32 v26, v26
	v_cvt_i32_f32_e32 v27, v28
	s_mov_b32 s2, 0xc2ce8ed0
	v_cmp_ngt_f32_e32 vcc, s2, v25
	s_mov_b32 s2, 0x42b17218
	v_ldexp_f32 v26, v26, v27
	v_cndmask_b32_e32 v26, 0, v26, vcc
	v_mov_b32_e32 v27, 0x7f800000
	v_cmp_nlt_f32_e32 vcc, s2, v25
	v_cndmask_b32_e32 v43, v27, v26, vcc
	v_add_f32_e32 v25, 1.0, v43
	v_add_f32_e32 v26, -1.0, v25
	v_sub_f32_e32 v27, v26, v25
	v_add_f32_e32 v27, 1.0, v27
	v_sub_f32_e32 v26, v43, v26
	v_add_f32_e32 v28, v26, v27
	v_frexp_mant_f32_e32 v29, v25
	s_mov_b32 s2, 0x3f2aaaab
	v_cvt_f64_f32_e32 v[26:27], v25
	v_frexp_exp_i32_f64_e32 v26, v[26:27]
	v_cmp_gt_f32_e32 vcc, s2, v29
	v_subbrev_co_u32_e32 v34, vcc, 0, v26, vcc
	v_sub_u32_e32 v26, 0, v34
	v_ldexp_f32 v25, v25, v26
	v_ldexp_f32 v26, v28, v26
	v_add_f32_e32 v28, -1.0, v25
	v_add_f32_e32 v27, 1.0, v28
	v_sub_f32_e32 v27, v25, v27
	v_add_f32_e32 v29, v26, v27
	v_add_f32_e32 v27, 1.0, v25
	v_add_f32_e32 v30, -1.0, v27
	v_sub_f32_e32 v25, v25, v30
	v_add_f32_e32 v25, v26, v25
	v_add_f32_e32 v35, v27, v25
	v_rcp_f32_e32 v36, v35
	v_sub_f32_e32 v26, v27, v35
	v_add_f32_e32 v27, v28, v29
	v_add_f32_e32 v25, v25, v26
	v_mul_f32_e32 v38, v27, v36
	v_sub_f32_e32 v26, v28, v27
	v_mul_f32_e32 v28, v35, v38
	v_fma_f32 v30, v38, v35, -v28
	v_fmac_f32_e32 v30, v38, v25
	v_add_f32_e32 v37, v29, v26
	v_add_f32_e32 v26, v28, v30
	v_sub_f32_e32 v29, v27, v26
	v_pk_add_f32 v[32:33], v[26:27], v[28:29] neg_lo:[0,1] neg_hi:[0,1]
	v_mov_b32_e32 v31, v26
	v_pk_add_f32 v[26:27], v[32:33], v[30:31] neg_lo:[0,1] neg_hi:[0,1]
	v_add_f32_e32 v27, v37, v27
	v_add_f32_e32 v26, v26, v27
	;; [unrolled: 1-line block ×3, first 2 shown]
	v_mul_f32_e32 v37, v36, v27
	v_mul_f32_e32 v28, v35, v37
	v_fma_f32 v30, v37, v35, -v28
	v_fmac_f32_e32 v30, v37, v25
	v_sub_f32_e32 v25, v29, v27
	v_add_f32_e32 v25, v26, v25
	v_add_f32_e32 v26, v28, v30
	v_sub_f32_e32 v29, v27, v26
	v_pk_add_f32 v[32:33], v[26:27], v[28:29] neg_lo:[0,1] neg_hi:[0,1]
	v_mov_b32_e32 v31, v26
	v_pk_add_f32 v[26:27], v[32:33], v[30:31] neg_lo:[0,1] neg_hi:[0,1]
	v_add_f32_e32 v25, v25, v27
	v_add_f32_e32 v25, v26, v25
	;; [unrolled: 1-line block ×4, first 2 shown]
	v_sub_f32_e32 v27, v26, v38
	v_mul_f32_e32 v25, v36, v25
	v_sub_f32_e32 v27, v37, v27
	v_add_f32_e32 v25, v27, v25
	v_add_f32_e32 v29, v26, v25
	v_mul_f32_e32 v30, v29, v29
	v_mov_b32_e32 v28, 0x3ecc95a3
	v_fmac_f32_e32 v28, 0x3e9b6dac, v30
	v_mov_b32_e32 v27, 0x3f2aaada
	v_fmac_f32_e32 v27, v30, v28
	v_cvt_f32_i32_e32 v28, v34
	v_sub_f32_e32 v26, v29, v26
	v_sub_f32_e32 v25, v25, v26
	v_ldexp_f32 v31, v29, 1
	v_mul_f32_e32 v29, v29, v30
	v_mov_b32_e32 v26, 0x3f317218
	s_mov_b32 s2, 0x3f317218
	v_pk_mul_f32 v[26:27], v[28:29], v[26:27]
	v_fma_f32 v30, v28, s2, -v26
	v_fmac_f32_e32 v30, 0xb102e308, v28
	v_pk_add_f32 v[28:29], v[26:27], v[30:31]
	v_sub_f32_e32 v31, v29, v31
	v_ldexp_f32 v25, v25, 1
	v_sub_f32_e32 v31, v27, v31
	v_add_f32_e32 v33, v25, v31
	v_mov_b32_e32 v32, v26
	v_pk_add_f32 v[26:27], v[28:29], v[26:27] neg_lo:[0,1] neg_hi:[0,1]
	v_pk_add_f32 v[34:35], v[28:29], v[32:33]
	v_mov_b32_e32 v27, v35
	v_mov_b32_e32 v31, v28
	v_pk_add_f32 v[36:37], v[30:31], v[26:27] neg_lo:[0,1] neg_hi:[0,1]
	v_pk_add_f32 v[26:27], v[30:31], v[26:27]
	v_mov_b32_e32 v30, v27
	v_pk_add_f32 v[38:39], v[30:31], v[28:29] neg_lo:[0,1] neg_hi:[0,1]
	v_mov_b32_e32 v25, v38
	v_pk_add_f32 v[40:41], v[34:35], v[24:25] neg_lo:[0,1] neg_hi:[0,1]
	v_mov_b32_e32 v26, v35
	v_mov_b32_e32 v34, v29
	v_mov_b32_e32 v35, v38
	v_mov_b32_e32 v37, v27
	v_pk_add_f32 v[26:27], v[26:27], v[34:35] neg_lo:[0,1] neg_hi:[0,1]
	v_mov_b32_e32 v32, v33
	v_mov_b32_e32 v33, v28
	v_pk_add_f32 v[26:27], v[32:33], v[26:27] neg_lo:[0,1] neg_hi:[0,1]
	v_mov_b32_e32 v40, v36
	v_pk_add_f32 v[28:29], v[40:41], v[26:27]
	v_mov_b32_e32 v32, v29
	v_pk_add_f32 v[32:33], v[28:29], v[32:33]
	v_pk_add_f32 v[30:31], v[30:31], v[32:33]
	v_mov_b32_e32 v29, v30
	v_pk_add_f32 v[34:35], v[28:29], v[36:37] neg_lo:[0,1] neg_hi:[0,1]
	v_mov_b32_e32 v27, v32
	v_sub_f32_e32 v25, v28, v34
	v_pk_add_f32 v[26:27], v[26:27], v[34:35] neg_lo:[0,1] neg_hi:[0,1]
	v_sub_f32_e32 v25, v36, v25
	s_mov_b32 s3, 0x7f800000
	v_add_f32_e32 v25, v26, v25
	s_mov_b32 s2, 0x33800000
	v_add_f32_e32 v25, v25, v27
	v_cmp_eq_f32_e32 vcc, s3, v43
	v_cmp_lt_f32_e64 s[2:3], |v43|, s2
	v_add_f32_e32 v25, v30, v25
	s_or_b64 vcc, vcc, s[2:3]
	v_cndmask_b32_e32 v25, v25, v43, vcc
	v_add_f32_e32 v26, v7, v25
.LBB482_164:
	s_or_b64 exec, exec, s[0:1]
	v_bfe_u32 v7, v26, 16, 1
	v_add3_u32 v7, v26, v7, s5
	v_lshrrev_b32_e32 v7, 16, v7
	v_mov_b32_e32 v25, 0x7fc0
	v_cmp_o_f32_e32 vcc, v26, v26
	v_cndmask_b32_e32 v7, v25, v7, vcc
	v_lshlrev_b32_e32 v27, 16, v7
	v_max_f32_e32 v26, v27, v27
	v_min_f32_e32 v28, v26, v46
	v_cmp_u_f32_e32 vcc, v27, v27
	v_max_f32_e32 v26, v26, v46
	v_cndmask_b32_e32 v28, v28, v27, vcc
	v_cndmask_b32_e32 v26, v26, v27, vcc
	v_cndmask_b32_e64 v28, v28, v42, s[86:87]
	v_cndmask_b32_e64 v26, v26, v42, s[86:87]
	v_cmp_neq_f32_e32 vcc, v28, v26
	v_cmp_class_f32_e64 s[0:1], v28, s4
	s_or_b64 s[2:3], vcc, s[0:1]
	s_and_saveexec_b64 s[0:1], s[2:3]
	s_cbranch_execz .LBB482_166
; %bb.165:
	v_sub_f32_e32 v27, v28, v26
	s_mov_b32 s2, 0x3fb8aa3b
	v_mul_f32_e32 v28, 0x3fb8aa3b, v27
	v_fma_f32 v29, v27, s2, -v28
	v_rndne_f32_e32 v30, v28
	v_fmac_f32_e32 v29, 0x32a5705f, v27
	v_sub_f32_e32 v28, v28, v30
	v_add_f32_e32 v28, v28, v29
	v_exp_f32_e32 v28, v28
	v_cvt_i32_f32_e32 v29, v30
	s_mov_b32 s2, 0xc2ce8ed0
	v_cmp_ngt_f32_e32 vcc, s2, v27
	s_mov_b32 s2, 0x42b17218
	v_ldexp_f32 v28, v28, v29
	v_cndmask_b32_e32 v28, 0, v28, vcc
	v_mov_b32_e32 v29, 0x7f800000
	v_cmp_nlt_f32_e32 vcc, s2, v27
	v_cndmask_b32_e32 v44, v29, v28, vcc
	v_add_f32_e32 v27, 1.0, v44
	v_add_f32_e32 v28, -1.0, v27
	v_sub_f32_e32 v29, v28, v27
	v_add_f32_e32 v29, 1.0, v29
	v_sub_f32_e32 v28, v44, v28
	v_add_f32_e32 v30, v28, v29
	v_frexp_mant_f32_e32 v31, v27
	s_mov_b32 s2, 0x3f2aaaab
	v_cvt_f64_f32_e32 v[28:29], v27
	v_frexp_exp_i32_f64_e32 v28, v[28:29]
	v_cmp_gt_f32_e32 vcc, s2, v31
	v_subbrev_co_u32_e32 v36, vcc, 0, v28, vcc
	v_sub_u32_e32 v28, 0, v36
	v_ldexp_f32 v27, v27, v28
	v_ldexp_f32 v28, v30, v28
	v_add_f32_e32 v30, -1.0, v27
	v_add_f32_e32 v29, 1.0, v30
	v_sub_f32_e32 v29, v27, v29
	v_add_f32_e32 v31, v28, v29
	v_add_f32_e32 v29, 1.0, v27
	v_add_f32_e32 v32, -1.0, v29
	v_sub_f32_e32 v27, v27, v32
	v_add_f32_e32 v27, v28, v27
	v_add_f32_e32 v37, v29, v27
	v_rcp_f32_e32 v38, v37
	v_sub_f32_e32 v28, v29, v37
	v_add_f32_e32 v29, v30, v31
	v_add_f32_e32 v27, v27, v28
	v_mul_f32_e32 v40, v29, v38
	v_sub_f32_e32 v28, v30, v29
	v_mul_f32_e32 v30, v37, v40
	v_fma_f32 v32, v40, v37, -v30
	v_fmac_f32_e32 v32, v40, v27
	v_add_f32_e32 v39, v31, v28
	v_add_f32_e32 v28, v30, v32
	v_sub_f32_e32 v31, v29, v28
	v_pk_add_f32 v[34:35], v[28:29], v[30:31] neg_lo:[0,1] neg_hi:[0,1]
	v_mov_b32_e32 v33, v28
	v_pk_add_f32 v[28:29], v[34:35], v[32:33] neg_lo:[0,1] neg_hi:[0,1]
	v_add_f32_e32 v29, v39, v29
	v_add_f32_e32 v28, v28, v29
	;; [unrolled: 1-line block ×3, first 2 shown]
	v_mul_f32_e32 v39, v38, v29
	v_mul_f32_e32 v30, v37, v39
	v_fma_f32 v32, v39, v37, -v30
	v_fmac_f32_e32 v32, v39, v27
	v_sub_f32_e32 v27, v31, v29
	v_add_f32_e32 v27, v28, v27
	v_add_f32_e32 v28, v30, v32
	v_sub_f32_e32 v31, v29, v28
	v_pk_add_f32 v[34:35], v[28:29], v[30:31] neg_lo:[0,1] neg_hi:[0,1]
	v_mov_b32_e32 v33, v28
	v_pk_add_f32 v[28:29], v[34:35], v[32:33] neg_lo:[0,1] neg_hi:[0,1]
	v_add_f32_e32 v27, v27, v29
	v_add_f32_e32 v27, v28, v27
	;; [unrolled: 1-line block ×4, first 2 shown]
	v_sub_f32_e32 v29, v28, v40
	v_mul_f32_e32 v27, v38, v27
	v_sub_f32_e32 v29, v39, v29
	v_add_f32_e32 v27, v29, v27
	v_add_f32_e32 v31, v28, v27
	v_mul_f32_e32 v32, v31, v31
	v_mov_b32_e32 v30, 0x3ecc95a3
	v_fmac_f32_e32 v30, 0x3e9b6dac, v32
	v_mov_b32_e32 v29, 0x3f2aaada
	v_fmac_f32_e32 v29, v32, v30
	v_cvt_f32_i32_e32 v30, v36
	v_sub_f32_e32 v28, v31, v28
	v_sub_f32_e32 v27, v27, v28
	v_ldexp_f32 v33, v31, 1
	v_mul_f32_e32 v31, v31, v32
	v_mov_b32_e32 v28, 0x3f317218
	s_mov_b32 s2, 0x3f317218
	v_pk_mul_f32 v[28:29], v[30:31], v[28:29]
	v_fma_f32 v32, v30, s2, -v28
	v_fmac_f32_e32 v32, 0xb102e308, v30
	v_pk_add_f32 v[30:31], v[28:29], v[32:33]
	v_sub_f32_e32 v33, v31, v33
	v_ldexp_f32 v27, v27, 1
	v_sub_f32_e32 v33, v29, v33
	v_add_f32_e32 v35, v27, v33
	v_mov_b32_e32 v34, v28
	v_pk_add_f32 v[28:29], v[30:31], v[28:29] neg_lo:[0,1] neg_hi:[0,1]
	v_pk_add_f32 v[36:37], v[30:31], v[34:35]
	v_mov_b32_e32 v29, v37
	v_mov_b32_e32 v33, v30
	v_pk_add_f32 v[38:39], v[32:33], v[28:29] neg_lo:[0,1] neg_hi:[0,1]
	v_pk_add_f32 v[28:29], v[32:33], v[28:29]
	v_mov_b32_e32 v32, v29
	v_pk_add_f32 v[40:41], v[32:33], v[30:31] neg_lo:[0,1] neg_hi:[0,1]
	v_mov_b32_e32 v27, v40
	v_pk_add_f32 v[42:43], v[36:37], v[26:27] neg_lo:[0,1] neg_hi:[0,1]
	v_mov_b32_e32 v28, v37
	v_mov_b32_e32 v36, v31
	;; [unrolled: 1-line block ×4, first 2 shown]
	v_pk_add_f32 v[28:29], v[28:29], v[36:37] neg_lo:[0,1] neg_hi:[0,1]
	v_mov_b32_e32 v34, v35
	v_mov_b32_e32 v35, v30
	v_pk_add_f32 v[28:29], v[34:35], v[28:29] neg_lo:[0,1] neg_hi:[0,1]
	v_mov_b32_e32 v42, v38
	v_pk_add_f32 v[30:31], v[42:43], v[28:29]
	v_mov_b32_e32 v34, v31
	v_pk_add_f32 v[34:35], v[30:31], v[34:35]
	v_pk_add_f32 v[32:33], v[32:33], v[34:35]
	v_mov_b32_e32 v31, v32
	v_pk_add_f32 v[36:37], v[30:31], v[38:39] neg_lo:[0,1] neg_hi:[0,1]
	v_mov_b32_e32 v29, v34
	v_sub_f32_e32 v27, v30, v36
	v_pk_add_f32 v[28:29], v[28:29], v[36:37] neg_lo:[0,1] neg_hi:[0,1]
	v_sub_f32_e32 v27, v38, v27
	s_mov_b32 s3, 0x7f800000
	v_add_f32_e32 v27, v28, v27
	s_mov_b32 s2, 0x33800000
	v_add_f32_e32 v27, v27, v29
	v_cmp_eq_f32_e32 vcc, s3, v44
	v_cmp_lt_f32_e64 s[2:3], |v44|, s2
	v_add_f32_e32 v27, v32, v27
	s_or_b64 vcc, vcc, s[2:3]
	v_cndmask_b32_e32 v27, v27, v44, vcc
	v_add_f32_e32 v27, v26, v27
.LBB482_166:
	s_or_b64 exec, exec, s[0:1]
	v_bfe_u32 v26, v27, 16, 1
	v_add3_u32 v26, v27, v26, s5
	v_lshrrev_b32_e32 v26, 16, v26
	v_cmp_o_f32_e32 vcc, v27, v27
	v_cndmask_b32_e32 v25, v25, v26, vcc
	v_lshlrev_b32_e32 v27, 16, v25
	v_max_f32_e32 v28, v27, v27
	v_min_f32_e32 v26, v28, v47
	v_cmp_u_f32_e32 vcc, v27, v27
	v_max_f32_e32 v28, v28, v47
	v_cndmask_b32_e32 v26, v26, v27, vcc
	v_cndmask_b32_e32 v28, v28, v27, vcc
	v_cndmask_b32_e64 v26, v26, v8, s[88:89]
	v_cndmask_b32_e64 v8, v28, v8, s[88:89]
	v_cmp_neq_f32_e32 vcc, v26, v8
	v_cmp_class_f32_e64 s[0:1], v26, s4
	s_or_b64 s[2:3], vcc, s[0:1]
	s_and_saveexec_b64 s[0:1], s[2:3]
	s_cbranch_execz .LBB482_168
; %bb.167:
	v_sub_f32_e32 v26, v26, v8
	s_mov_b32 s2, 0x3fb8aa3b
	v_mul_f32_e32 v27, 0x3fb8aa3b, v26
	v_fma_f32 v28, v26, s2, -v27
	v_rndne_f32_e32 v29, v27
	v_fmac_f32_e32 v28, 0x32a5705f, v26
	v_sub_f32_e32 v27, v27, v29
	v_add_f32_e32 v27, v27, v28
	v_exp_f32_e32 v27, v27
	v_cvt_i32_f32_e32 v28, v29
	s_mov_b32 s2, 0xc2ce8ed0
	v_cmp_ngt_f32_e32 vcc, s2, v26
	s_mov_b32 s2, 0x42b17218
	v_ldexp_f32 v27, v27, v28
	v_cndmask_b32_e32 v27, 0, v27, vcc
	v_mov_b32_e32 v28, 0x7f800000
	v_cmp_nlt_f32_e32 vcc, s2, v26
	v_cndmask_b32_e32 v42, v28, v27, vcc
	v_add_f32_e32 v28, 1.0, v42
	v_add_f32_e32 v26, -1.0, v28
	v_sub_f32_e32 v27, v26, v28
	v_add_f32_e32 v27, 1.0, v27
	v_sub_f32_e32 v26, v42, v26
	v_add_f32_e32 v29, v26, v27
	v_frexp_mant_f32_e32 v30, v28
	s_mov_b32 s2, 0x3f2aaaab
	v_cvt_f64_f32_e32 v[26:27], v28
	v_frexp_exp_i32_f64_e32 v26, v[26:27]
	v_cmp_gt_f32_e32 vcc, s2, v30
	v_subbrev_co_u32_e32 v34, vcc, 0, v26, vcc
	v_sub_u32_e32 v26, 0, v34
	v_ldexp_f32 v27, v28, v26
	v_add_f32_e32 v28, -1.0, v27
	v_add_f32_e32 v30, 1.0, v27
	v_ldexp_f32 v26, v29, v26
	v_add_f32_e32 v29, 1.0, v28
	v_add_f32_e32 v31, -1.0, v30
	v_sub_f32_e32 v29, v27, v29
	v_sub_f32_e32 v27, v27, v31
	v_add_f32_e32 v29, v26, v29
	v_add_f32_e32 v26, v26, v27
	;; [unrolled: 1-line block ×3, first 2 shown]
	v_rcp_f32_e32 v37, v35
	v_sub_f32_e32 v27, v30, v35
	v_add_f32_e32 v36, v26, v27
	v_add_f32_e32 v27, v28, v29
	v_mul_f32_e32 v39, v27, v37
	v_sub_f32_e32 v26, v28, v27
	v_mul_f32_e32 v28, v35, v39
	v_fma_f32 v30, v39, v35, -v28
	v_fmac_f32_e32 v30, v39, v36
	v_add_f32_e32 v38, v29, v26
	v_add_f32_e32 v26, v28, v30
	v_sub_f32_e32 v29, v27, v26
	v_pk_add_f32 v[32:33], v[26:27], v[28:29] neg_lo:[0,1] neg_hi:[0,1]
	v_mov_b32_e32 v31, v26
	v_pk_add_f32 v[26:27], v[32:33], v[30:31] neg_lo:[0,1] neg_hi:[0,1]
	v_add_f32_e32 v27, v38, v27
	v_add_f32_e32 v26, v26, v27
	;; [unrolled: 1-line block ×3, first 2 shown]
	v_mul_f32_e32 v38, v37, v27
	v_mul_f32_e32 v28, v35, v38
	v_fma_f32 v30, v38, v35, -v28
	v_fmac_f32_e32 v30, v38, v36
	v_sub_f32_e32 v29, v29, v27
	v_add_f32_e32 v35, v26, v29
	v_add_f32_e32 v26, v28, v30
	v_sub_f32_e32 v29, v27, v26
	v_pk_add_f32 v[32:33], v[26:27], v[28:29] neg_lo:[0,1] neg_hi:[0,1]
	v_mov_b32_e32 v31, v26
	v_pk_add_f32 v[26:27], v[32:33], v[30:31] neg_lo:[0,1] neg_hi:[0,1]
	v_add_f32_e32 v27, v35, v27
	v_add_f32_e32 v26, v26, v27
	;; [unrolled: 1-line block ×4, first 2 shown]
	v_sub_f32_e32 v27, v29, v39
	v_mul_f32_e32 v26, v37, v26
	v_sub_f32_e32 v27, v38, v27
	v_add_f32_e32 v26, v27, v26
	v_add_f32_e32 v30, v29, v26
	v_mul_f32_e32 v32, v30, v30
	v_mov_b32_e32 v28, 0x3ecc95a3
	v_fmac_f32_e32 v28, 0x3e9b6dac, v32
	v_mov_b32_e32 v27, 0x3f2aaada
	v_fmac_f32_e32 v27, v32, v28
	v_cvt_f32_i32_e32 v28, v34
	v_sub_f32_e32 v29, v30, v29
	v_sub_f32_e32 v26, v26, v29
	v_ldexp_f32 v33, v26, 1
	v_mul_f32_e32 v29, v30, v32
	v_mov_b32_e32 v26, 0x3f317218
	s_mov_b32 s2, 0x3f317218
	v_pk_mul_f32 v[26:27], v[28:29], v[26:27]
	v_ldexp_f32 v31, v30, 1
	v_fma_f32 v30, v28, s2, -v26
	v_fmac_f32_e32 v30, 0xb102e308, v28
	v_pk_add_f32 v[28:29], v[26:27], v[30:31]
	v_sub_f32_e32 v31, v29, v31
	v_sub_f32_e32 v31, v27, v31
	v_add_f32_e32 v33, v33, v31
	v_mov_b32_e32 v32, v26
	v_pk_add_f32 v[26:27], v[28:29], v[26:27] neg_lo:[0,1] neg_hi:[0,1]
	v_pk_add_f32 v[34:35], v[28:29], v[32:33]
	v_mov_b32_e32 v27, v35
	v_mov_b32_e32 v31, v28
	v_pk_add_f32 v[36:37], v[30:31], v[26:27] neg_lo:[0,1] neg_hi:[0,1]
	v_pk_add_f32 v[26:27], v[30:31], v[26:27]
	v_mov_b32_e32 v30, v27
	v_pk_add_f32 v[38:39], v[30:31], v[28:29] neg_lo:[0,1] neg_hi:[0,1]
	v_mov_b32_e32 v31, v38
	v_pk_add_f32 v[40:41], v[34:35], v[30:31] neg_lo:[0,1] neg_hi:[0,1]
	v_mov_b32_e32 v26, v35
	v_mov_b32_e32 v34, v29
	;; [unrolled: 1-line block ×4, first 2 shown]
	v_pk_add_f32 v[26:27], v[26:27], v[34:35] neg_lo:[0,1] neg_hi:[0,1]
	v_mov_b32_e32 v32, v33
	v_mov_b32_e32 v33, v28
	v_pk_add_f32 v[26:27], v[32:33], v[26:27] neg_lo:[0,1] neg_hi:[0,1]
	v_mov_b32_e32 v40, v36
	v_pk_add_f32 v[28:29], v[40:41], v[26:27]
	v_mov_b32_e32 v32, v29
	v_pk_add_f32 v[32:33], v[28:29], v[32:33]
	v_pk_add_f32 v[30:31], v[30:31], v[32:33]
	v_mov_b32_e32 v29, v30
	v_pk_add_f32 v[34:35], v[28:29], v[36:37] neg_lo:[0,1] neg_hi:[0,1]
	v_mov_b32_e32 v27, v32
	v_sub_f32_e32 v28, v28, v34
	v_pk_add_f32 v[26:27], v[26:27], v[34:35] neg_lo:[0,1] neg_hi:[0,1]
	v_sub_f32_e32 v28, v36, v28
	s_mov_b32 s3, 0x7f800000
	v_add_f32_e32 v26, v26, v28
	s_mov_b32 s2, 0x33800000
	v_add_f32_e32 v26, v26, v27
	v_cmp_eq_f32_e32 vcc, s3, v42
	v_cmp_lt_f32_e64 s[2:3], |v42|, s2
	v_add_f32_e32 v26, v30, v26
	s_or_b64 vcc, vcc, s[2:3]
	v_cndmask_b32_e32 v26, v26, v42, vcc
	v_add_f32_e32 v27, v8, v26
.LBB482_168:
	s_or_b64 exec, exec, s[0:1]
	v_bfe_u32 v8, v27, 16, 1
	v_add3_u32 v8, v27, v8, s5
	v_lshrrev_b32_e32 v8, 16, v8
	v_mov_b32_e32 v26, 0x7fc0
	v_cmp_o_f32_e32 vcc, v27, v27
	v_cndmask_b32_e32 v8, v26, v8, vcc
	v_lshlrev_b32_e32 v28, 16, v8
	v_max_f32_e32 v27, v28, v28
	v_min_f32_e32 v29, v27, v48
	v_cmp_u_f32_e32 vcc, v28, v28
	v_max_f32_e32 v27, v27, v48
	v_cndmask_b32_e32 v29, v29, v28, vcc
	v_cndmask_b32_e32 v27, v27, v28, vcc
	v_cndmask_b32_e64 v29, v29, v45, s[90:91]
	v_cndmask_b32_e64 v27, v27, v45, s[90:91]
	v_cmp_neq_f32_e32 vcc, v29, v27
	v_cmp_class_f32_e64 s[0:1], v29, s4
	s_or_b64 s[2:3], vcc, s[0:1]
	s_and_saveexec_b64 s[0:1], s[2:3]
	s_cbranch_execz .LBB482_170
; %bb.169:
	v_sub_f32_e32 v28, v29, v27
	s_mov_b32 s2, 0x3fb8aa3b
	v_mul_f32_e32 v29, 0x3fb8aa3b, v28
	v_fma_f32 v30, v28, s2, -v29
	v_rndne_f32_e32 v31, v29
	v_fmac_f32_e32 v30, 0x32a5705f, v28
	v_sub_f32_e32 v29, v29, v31
	v_add_f32_e32 v29, v29, v30
	v_exp_f32_e32 v29, v29
	v_cvt_i32_f32_e32 v30, v31
	s_mov_b32 s2, 0xc2ce8ed0
	v_cmp_ngt_f32_e32 vcc, s2, v28
	s_mov_b32 s2, 0x42b17218
	v_ldexp_f32 v29, v29, v30
	v_cndmask_b32_e32 v29, 0, v29, vcc
	v_mov_b32_e32 v30, 0x7f800000
	v_cmp_nlt_f32_e32 vcc, s2, v28
	v_cndmask_b32_e32 v44, v30, v29, vcc
	v_add_f32_e32 v30, 1.0, v44
	v_add_f32_e32 v28, -1.0, v30
	v_sub_f32_e32 v29, v28, v30
	v_add_f32_e32 v29, 1.0, v29
	v_sub_f32_e32 v28, v44, v28
	v_add_f32_e32 v31, v28, v29
	v_frexp_mant_f32_e32 v32, v30
	s_mov_b32 s2, 0x3f2aaaab
	v_cvt_f64_f32_e32 v[28:29], v30
	v_frexp_exp_i32_f64_e32 v28, v[28:29]
	v_cmp_gt_f32_e32 vcc, s2, v32
	v_subbrev_co_u32_e32 v36, vcc, 0, v28, vcc
	v_sub_u32_e32 v28, 0, v36
	v_ldexp_f32 v29, v30, v28
	v_add_f32_e32 v30, -1.0, v29
	v_add_f32_e32 v32, 1.0, v29
	v_ldexp_f32 v28, v31, v28
	v_add_f32_e32 v31, 1.0, v30
	v_add_f32_e32 v33, -1.0, v32
	v_sub_f32_e32 v31, v29, v31
	v_sub_f32_e32 v29, v29, v33
	v_add_f32_e32 v31, v28, v31
	v_add_f32_e32 v28, v28, v29
	;; [unrolled: 1-line block ×3, first 2 shown]
	v_rcp_f32_e32 v39, v37
	v_sub_f32_e32 v29, v32, v37
	v_add_f32_e32 v38, v28, v29
	v_add_f32_e32 v29, v30, v31
	v_mul_f32_e32 v41, v29, v39
	v_sub_f32_e32 v28, v30, v29
	v_mul_f32_e32 v30, v37, v41
	v_fma_f32 v32, v41, v37, -v30
	v_fmac_f32_e32 v32, v41, v38
	v_add_f32_e32 v40, v31, v28
	v_add_f32_e32 v28, v30, v32
	v_sub_f32_e32 v31, v29, v28
	v_pk_add_f32 v[34:35], v[28:29], v[30:31] neg_lo:[0,1] neg_hi:[0,1]
	v_mov_b32_e32 v33, v28
	v_pk_add_f32 v[28:29], v[34:35], v[32:33] neg_lo:[0,1] neg_hi:[0,1]
	v_add_f32_e32 v29, v40, v29
	v_add_f32_e32 v28, v28, v29
	;; [unrolled: 1-line block ×3, first 2 shown]
	v_mul_f32_e32 v40, v39, v29
	v_mul_f32_e32 v30, v37, v40
	v_fma_f32 v32, v40, v37, -v30
	v_fmac_f32_e32 v32, v40, v38
	v_sub_f32_e32 v31, v31, v29
	v_add_f32_e32 v37, v28, v31
	v_add_f32_e32 v28, v30, v32
	v_sub_f32_e32 v31, v29, v28
	v_pk_add_f32 v[34:35], v[28:29], v[30:31] neg_lo:[0,1] neg_hi:[0,1]
	v_mov_b32_e32 v33, v28
	v_pk_add_f32 v[28:29], v[34:35], v[32:33] neg_lo:[0,1] neg_hi:[0,1]
	v_add_f32_e32 v29, v37, v29
	v_add_f32_e32 v28, v28, v29
	;; [unrolled: 1-line block ×4, first 2 shown]
	v_sub_f32_e32 v29, v31, v41
	v_mul_f32_e32 v28, v39, v28
	v_sub_f32_e32 v29, v40, v29
	v_add_f32_e32 v28, v29, v28
	v_add_f32_e32 v32, v31, v28
	v_mul_f32_e32 v34, v32, v32
	v_mov_b32_e32 v30, 0x3ecc95a3
	v_fmac_f32_e32 v30, 0x3e9b6dac, v34
	v_mov_b32_e32 v29, 0x3f2aaada
	v_fmac_f32_e32 v29, v34, v30
	v_cvt_f32_i32_e32 v30, v36
	v_sub_f32_e32 v31, v32, v31
	v_sub_f32_e32 v28, v28, v31
	v_ldexp_f32 v35, v28, 1
	v_mul_f32_e32 v31, v32, v34
	v_mov_b32_e32 v28, 0x3f317218
	s_mov_b32 s2, 0x3f317218
	v_pk_mul_f32 v[28:29], v[30:31], v[28:29]
	v_ldexp_f32 v33, v32, 1
	v_fma_f32 v32, v30, s2, -v28
	v_fmac_f32_e32 v32, 0xb102e308, v30
	v_pk_add_f32 v[30:31], v[28:29], v[32:33]
	v_sub_f32_e32 v33, v31, v33
	v_sub_f32_e32 v33, v29, v33
	v_add_f32_e32 v35, v35, v33
	v_mov_b32_e32 v34, v28
	v_pk_add_f32 v[28:29], v[30:31], v[28:29] neg_lo:[0,1] neg_hi:[0,1]
	v_pk_add_f32 v[36:37], v[30:31], v[34:35]
	v_mov_b32_e32 v29, v37
	v_mov_b32_e32 v33, v30
	v_pk_add_f32 v[38:39], v[32:33], v[28:29] neg_lo:[0,1] neg_hi:[0,1]
	v_pk_add_f32 v[28:29], v[32:33], v[28:29]
	v_mov_b32_e32 v32, v29
	v_pk_add_f32 v[40:41], v[32:33], v[30:31] neg_lo:[0,1] neg_hi:[0,1]
	v_mov_b32_e32 v33, v40
	v_pk_add_f32 v[42:43], v[36:37], v[32:33] neg_lo:[0,1] neg_hi:[0,1]
	v_mov_b32_e32 v28, v37
	v_mov_b32_e32 v36, v31
	;; [unrolled: 1-line block ×4, first 2 shown]
	v_pk_add_f32 v[28:29], v[28:29], v[36:37] neg_lo:[0,1] neg_hi:[0,1]
	v_mov_b32_e32 v34, v35
	v_mov_b32_e32 v35, v30
	v_pk_add_f32 v[28:29], v[34:35], v[28:29] neg_lo:[0,1] neg_hi:[0,1]
	v_mov_b32_e32 v42, v38
	v_pk_add_f32 v[30:31], v[42:43], v[28:29]
	v_mov_b32_e32 v34, v31
	v_pk_add_f32 v[34:35], v[30:31], v[34:35]
	v_pk_add_f32 v[32:33], v[32:33], v[34:35]
	v_mov_b32_e32 v31, v32
	v_pk_add_f32 v[36:37], v[30:31], v[38:39] neg_lo:[0,1] neg_hi:[0,1]
	v_mov_b32_e32 v29, v34
	v_sub_f32_e32 v30, v30, v36
	v_pk_add_f32 v[28:29], v[28:29], v[36:37] neg_lo:[0,1] neg_hi:[0,1]
	v_sub_f32_e32 v30, v38, v30
	s_mov_b32 s3, 0x7f800000
	v_add_f32_e32 v28, v28, v30
	s_mov_b32 s2, 0x33800000
	v_add_f32_e32 v28, v28, v29
	v_cmp_eq_f32_e32 vcc, s3, v44
	v_cmp_lt_f32_e64 s[2:3], |v44|, s2
	v_add_f32_e32 v28, v32, v28
	s_or_b64 vcc, vcc, s[2:3]
	v_cndmask_b32_e32 v28, v28, v44, vcc
	v_add_f32_e32 v28, v27, v28
.LBB482_170:
	s_or_b64 exec, exec, s[0:1]
	v_bfe_u32 v27, v28, 16, 1
	v_add3_u32 v27, v28, v27, s5
	v_lshrrev_b32_e32 v27, 16, v27
	v_cmp_o_f32_e32 vcc, v28, v28
	v_cndmask_b32_e32 v26, v26, v27, vcc
	v_lshlrev_b32_e32 v27, 16, v26
	v_max_f32_e32 v29, v27, v27
	v_min_f32_e32 v28, v29, v49
	v_cmp_u_f32_e32 vcc, v27, v27
	v_max_f32_e32 v29, v29, v49
	v_cndmask_b32_e32 v28, v28, v27, vcc
	v_cndmask_b32_e32 v29, v29, v27, vcc
	v_cndmask_b32_e64 v28, v28, v9, s[92:93]
	v_cndmask_b32_e64 v9, v29, v9, s[92:93]
	s_movk_i32 s0, 0x1f8
	v_cmp_neq_f32_e32 vcc, v28, v9
	v_cmp_class_f32_e64 s[0:1], v28, s0
	s_or_b64 s[2:3], vcc, s[0:1]
	s_and_saveexec_b64 s[0:1], s[2:3]
	s_cbranch_execz .LBB482_172
; %bb.171:
	v_sub_f32_e32 v27, v28, v9
	s_mov_b32 s2, 0x3fb8aa3b
	v_mul_f32_e32 v28, 0x3fb8aa3b, v27
	v_fma_f32 v29, v27, s2, -v28
	v_rndne_f32_e32 v30, v28
	v_fmac_f32_e32 v29, 0x32a5705f, v27
	v_sub_f32_e32 v28, v28, v30
	v_add_f32_e32 v28, v28, v29
	v_exp_f32_e32 v28, v28
	v_cvt_i32_f32_e32 v29, v30
	s_mov_b32 s2, 0xc2ce8ed0
	v_cmp_ngt_f32_e32 vcc, s2, v27
	s_mov_b32 s2, 0x42b17218
	v_ldexp_f32 v28, v28, v29
	v_cndmask_b32_e32 v28, 0, v28, vcc
	v_mov_b32_e32 v29, 0x7f800000
	v_cmp_nlt_f32_e32 vcc, s2, v27
	v_cndmask_b32_e32 v44, v29, v28, vcc
	v_add_f32_e32 v27, 1.0, v44
	v_add_f32_e32 v28, -1.0, v27
	v_sub_f32_e32 v29, v28, v27
	v_add_f32_e32 v29, 1.0, v29
	v_sub_f32_e32 v28, v44, v28
	v_add_f32_e32 v30, v28, v29
	v_frexp_mant_f32_e32 v31, v27
	s_mov_b32 s2, 0x3f2aaaab
	v_cvt_f64_f32_e32 v[28:29], v27
	v_frexp_exp_i32_f64_e32 v28, v[28:29]
	v_cmp_gt_f32_e32 vcc, s2, v31
	v_subbrev_co_u32_e32 v36, vcc, 0, v28, vcc
	v_sub_u32_e32 v28, 0, v36
	v_ldexp_f32 v27, v27, v28
	v_ldexp_f32 v28, v30, v28
	v_add_f32_e32 v30, -1.0, v27
	v_add_f32_e32 v29, 1.0, v30
	v_sub_f32_e32 v29, v27, v29
	v_add_f32_e32 v31, v28, v29
	v_add_f32_e32 v29, 1.0, v27
	v_add_f32_e32 v32, -1.0, v29
	v_sub_f32_e32 v27, v27, v32
	v_add_f32_e32 v27, v28, v27
	v_add_f32_e32 v37, v29, v27
	v_rcp_f32_e32 v38, v37
	v_sub_f32_e32 v28, v29, v37
	v_add_f32_e32 v29, v30, v31
	v_add_f32_e32 v27, v27, v28
	v_mul_f32_e32 v40, v29, v38
	v_sub_f32_e32 v28, v30, v29
	v_mul_f32_e32 v30, v37, v40
	v_fma_f32 v32, v40, v37, -v30
	v_fmac_f32_e32 v32, v40, v27
	v_add_f32_e32 v39, v31, v28
	v_add_f32_e32 v28, v30, v32
	v_sub_f32_e32 v31, v29, v28
	v_pk_add_f32 v[34:35], v[28:29], v[30:31] neg_lo:[0,1] neg_hi:[0,1]
	v_mov_b32_e32 v33, v28
	v_pk_add_f32 v[28:29], v[34:35], v[32:33] neg_lo:[0,1] neg_hi:[0,1]
	v_add_f32_e32 v29, v39, v29
	v_add_f32_e32 v28, v28, v29
	;; [unrolled: 1-line block ×3, first 2 shown]
	v_mul_f32_e32 v39, v38, v29
	v_mul_f32_e32 v30, v37, v39
	v_fma_f32 v32, v39, v37, -v30
	v_fmac_f32_e32 v32, v39, v27
	v_sub_f32_e32 v27, v31, v29
	v_add_f32_e32 v27, v28, v27
	v_add_f32_e32 v28, v30, v32
	v_sub_f32_e32 v31, v29, v28
	v_pk_add_f32 v[34:35], v[28:29], v[30:31] neg_lo:[0,1] neg_hi:[0,1]
	v_mov_b32_e32 v33, v28
	v_pk_add_f32 v[28:29], v[34:35], v[32:33] neg_lo:[0,1] neg_hi:[0,1]
	v_add_f32_e32 v27, v27, v29
	v_add_f32_e32 v27, v28, v27
	;; [unrolled: 1-line block ×4, first 2 shown]
	v_sub_f32_e32 v29, v28, v40
	v_mul_f32_e32 v27, v38, v27
	v_sub_f32_e32 v29, v39, v29
	v_add_f32_e32 v27, v29, v27
	v_add_f32_e32 v31, v28, v27
	v_mul_f32_e32 v32, v31, v31
	v_mov_b32_e32 v30, 0x3ecc95a3
	v_fmac_f32_e32 v30, 0x3e9b6dac, v32
	v_mov_b32_e32 v29, 0x3f2aaada
	v_fmac_f32_e32 v29, v32, v30
	v_cvt_f32_i32_e32 v30, v36
	v_sub_f32_e32 v28, v31, v28
	v_sub_f32_e32 v27, v27, v28
	v_ldexp_f32 v33, v31, 1
	v_mul_f32_e32 v31, v31, v32
	v_mov_b32_e32 v28, 0x3f317218
	s_mov_b32 s2, 0x3f317218
	v_pk_mul_f32 v[28:29], v[30:31], v[28:29]
	v_fma_f32 v32, v30, s2, -v28
	v_fmac_f32_e32 v32, 0xb102e308, v30
	v_pk_add_f32 v[30:31], v[28:29], v[32:33]
	v_sub_f32_e32 v33, v31, v33
	v_ldexp_f32 v27, v27, 1
	v_sub_f32_e32 v33, v29, v33
	v_add_f32_e32 v35, v27, v33
	v_mov_b32_e32 v34, v28
	v_pk_add_f32 v[28:29], v[30:31], v[28:29] neg_lo:[0,1] neg_hi:[0,1]
	v_pk_add_f32 v[36:37], v[30:31], v[34:35]
	v_mov_b32_e32 v29, v37
	v_mov_b32_e32 v33, v30
	v_pk_add_f32 v[38:39], v[32:33], v[28:29] neg_lo:[0,1] neg_hi:[0,1]
	v_pk_add_f32 v[28:29], v[32:33], v[28:29]
	v_mov_b32_e32 v32, v29
	v_pk_add_f32 v[40:41], v[32:33], v[30:31] neg_lo:[0,1] neg_hi:[0,1]
	v_mov_b32_e32 v27, v40
	v_pk_add_f32 v[42:43], v[36:37], v[26:27] neg_lo:[0,1] neg_hi:[0,1]
	v_mov_b32_e32 v28, v37
	v_mov_b32_e32 v36, v31
	;; [unrolled: 1-line block ×4, first 2 shown]
	v_pk_add_f32 v[28:29], v[28:29], v[36:37] neg_lo:[0,1] neg_hi:[0,1]
	v_mov_b32_e32 v34, v35
	v_mov_b32_e32 v35, v30
	v_pk_add_f32 v[28:29], v[34:35], v[28:29] neg_lo:[0,1] neg_hi:[0,1]
	v_mov_b32_e32 v42, v38
	v_pk_add_f32 v[30:31], v[42:43], v[28:29]
	v_mov_b32_e32 v34, v31
	v_pk_add_f32 v[34:35], v[30:31], v[34:35]
	v_pk_add_f32 v[32:33], v[32:33], v[34:35]
	v_mov_b32_e32 v31, v32
	v_pk_add_f32 v[36:37], v[30:31], v[38:39] neg_lo:[0,1] neg_hi:[0,1]
	v_mov_b32_e32 v29, v34
	v_sub_f32_e32 v27, v30, v36
	v_pk_add_f32 v[28:29], v[28:29], v[36:37] neg_lo:[0,1] neg_hi:[0,1]
	v_sub_f32_e32 v27, v38, v27
	s_mov_b32 s3, 0x7f800000
	v_add_f32_e32 v27, v28, v27
	s_mov_b32 s2, 0x33800000
	v_add_f32_e32 v27, v27, v29
	v_cmp_eq_f32_e32 vcc, s3, v44
	v_cmp_lt_f32_e64 s[2:3], |v44|, s2
	v_add_f32_e32 v27, v32, v27
	s_or_b64 vcc, vcc, s[2:3]
	v_cndmask_b32_e32 v27, v27, v44, vcc
	v_add_f32_e32 v27, v9, v27
.LBB482_172:
	s_or_b64 exec, exec, s[0:1]
	v_bfe_u32 v9, v27, 16, 1
	s_movk_i32 s0, 0x7fff
	v_add3_u32 v9, v27, v9, s0
	s_mov_b32 s0, 0x5040100
	v_lshrrev_b32_e32 v9, 16, v9
	v_mov_b32_e32 v28, 0x7fc0
	v_cmp_o_f32_e32 vcc, v27, v27
	v_add_u32_e32 v27, v14, v54
	v_perm_b32 v5, v5, v18, s0
	v_perm_b32 v4, v4, v17, s0
	v_perm_b32 v3, v3, v16, s0
	v_perm_b32 v2, v15, v2, s0
	v_cndmask_b32_e32 v9, v28, v9, vcc
	s_waitcnt lgkmcnt(0)
	; wave barrier
	ds_write_b128 v27, v[2:5]
	v_perm_b32 v5, v13, v22, s0
	v_perm_b32 v4, v12, v21, s0
	;; [unrolled: 1-line block ×4, first 2 shown]
	ds_write_b128 v27, v[2:5] offset:16
	v_perm_b32 v4, v8, v25, s0
	v_perm_b32 v3, v7, v24, s0
	;; [unrolled: 1-line block ×4, first 2 shown]
	ds_write_b128 v27, v[2:5] offset:32
	s_waitcnt lgkmcnt(0)
	; wave barrier
	s_waitcnt lgkmcnt(0)
	ds_read_u16 v25, v14 offset:128
	ds_read_u16 v24, v14 offset:256
	;; [unrolled: 1-line block ×23, first 2 shown]
	v_readlane_b32 s0, v75, 8
	v_lshlrev_b64 v[0:1], 1, v[0:1]
	v_readlane_b32 s1, v75, 9
	v_mov_b32_e32 v26, s1
	v_add_co_u32_e32 v0, vcc, s0, v0
	v_addc_co_u32_e32 v1, vcc, v26, v1, vcc
	s_mov_b64 s[0:1], exec
	v_readlane_b32 s2, v75, 0
	v_readlane_b32 s3, v75, 1
	s_and_b64 s[2:3], s[0:1], s[2:3]
	s_mov_b64 exec, s[2:3]
	s_cbranch_execz .LBB482_174
; %bb.173:
	ds_read_u16 v14, v14
	s_waitcnt lgkmcnt(0)
	global_store_short v[0:1], v14, off
.LBB482_174:
	s_or_b64 exec, exec, s[0:1]
	s_mov_b64 s[0:1], exec
	v_readlane_b32 s2, v75, 2
	v_readlane_b32 s3, v75, 3
	s_and_b64 s[2:3], s[0:1], s[2:3]
	s_mov_b64 exec, s[2:3]
	s_cbranch_execz .LBB482_176
; %bb.175:
	s_waitcnt lgkmcnt(14)
	global_store_short v[0:1], v25, off offset:128
.LBB482_176:
	s_or_b64 exec, exec, s[0:1]
	s_mov_b64 s[0:1], exec
	v_readlane_b32 s2, v75, 4
	v_readlane_b32 s3, v75, 5
	s_and_b64 s[2:3], s[0:1], s[2:3]
	s_mov_b64 exec, s[2:3]
	s_cbranch_execnz .LBB482_201
; %bb.177:
	s_or_b64 exec, exec, s[0:1]
	s_and_saveexec_b64 s[0:1], s[46:47]
	s_cbranch_execnz .LBB482_202
.LBB482_178:
	s_or_b64 exec, exec, s[0:1]
	s_and_saveexec_b64 s[0:1], s[6:7]
	s_cbranch_execnz .LBB482_203
.LBB482_179:
	s_or_b64 exec, exec, s[0:1]
	s_and_saveexec_b64 s[0:1], s[8:9]
	s_cbranch_execnz .LBB482_204
.LBB482_180:
	s_or_b64 exec, exec, s[0:1]
	s_and_saveexec_b64 s[0:1], s[10:11]
	s_cbranch_execnz .LBB482_205
.LBB482_181:
	s_or_b64 exec, exec, s[0:1]
	s_and_saveexec_b64 s[0:1], s[12:13]
	s_cbranch_execnz .LBB482_206
.LBB482_182:
	s_or_b64 exec, exec, s[0:1]
	s_and_saveexec_b64 s[0:1], s[14:15]
	s_cbranch_execnz .LBB482_207
.LBB482_183:
	s_or_b64 exec, exec, s[0:1]
	s_and_saveexec_b64 s[0:1], s[16:17]
	s_cbranch_execnz .LBB482_208
.LBB482_184:
	s_or_b64 exec, exec, s[0:1]
	s_and_saveexec_b64 s[0:1], s[18:19]
	s_cbranch_execnz .LBB482_209
.LBB482_185:
	s_or_b64 exec, exec, s[0:1]
	s_and_saveexec_b64 s[0:1], s[20:21]
	s_cbranch_execnz .LBB482_210
.LBB482_186:
	s_or_b64 exec, exec, s[0:1]
	s_and_saveexec_b64 s[0:1], s[22:23]
	s_cbranch_execnz .LBB482_211
.LBB482_187:
	s_or_b64 exec, exec, s[0:1]
	s_and_saveexec_b64 s[0:1], s[24:25]
	s_cbranch_execnz .LBB482_212
.LBB482_188:
	s_or_b64 exec, exec, s[0:1]
	s_and_saveexec_b64 s[0:1], s[26:27]
	s_cbranch_execnz .LBB482_213
.LBB482_189:
	s_or_b64 exec, exec, s[0:1]
	s_and_saveexec_b64 s[0:1], s[28:29]
	s_cbranch_execnz .LBB482_214
.LBB482_190:
	s_or_b64 exec, exec, s[0:1]
	s_and_saveexec_b64 s[0:1], s[30:31]
	s_cbranch_execnz .LBB482_215
.LBB482_191:
	s_or_b64 exec, exec, s[0:1]
	s_and_saveexec_b64 s[0:1], s[34:35]
	s_cbranch_execnz .LBB482_216
.LBB482_192:
	s_or_b64 exec, exec, s[0:1]
	s_and_saveexec_b64 s[0:1], s[36:37]
	s_cbranch_execnz .LBB482_217
.LBB482_193:
	s_or_b64 exec, exec, s[0:1]
	s_and_saveexec_b64 s[0:1], s[38:39]
	s_cbranch_execnz .LBB482_218
.LBB482_194:
	s_or_b64 exec, exec, s[0:1]
	s_and_saveexec_b64 s[0:1], s[40:41]
	s_cbranch_execnz .LBB482_219
.LBB482_195:
	s_or_b64 exec, exec, s[0:1]
	s_and_saveexec_b64 s[0:1], s[42:43]
	s_cbranch_execnz .LBB482_220
.LBB482_196:
	s_or_b64 exec, exec, s[0:1]
	s_and_saveexec_b64 s[0:1], s[44:45]
	s_cbranch_execz .LBB482_198
.LBB482_197:
	s_waitcnt lgkmcnt(1)
	global_store_short v[0:1], v3, off offset:2816
.LBB482_198:
	s_or_b64 exec, exec, s[0:1]
	v_readlane_b32 s2, v75, 6
	v_readlane_b32 s3, v75, 7
	s_and_saveexec_b64 s[0:1], s[2:3]
	s_cbranch_execz .LBB482_200
; %bb.199:
	s_waitcnt lgkmcnt(0)
	global_store_short v[0:1], v2, off offset:2944
.LBB482_200:
	s_endpgm
.LBB482_201:
	s_waitcnt lgkmcnt(14)
	global_store_short v[0:1], v24, off offset:256
	s_or_b64 exec, exec, s[0:1]
	s_and_saveexec_b64 s[0:1], s[46:47]
	s_cbranch_execz .LBB482_178
.LBB482_202:
	s_waitcnt lgkmcnt(14)
	global_store_short v[0:1], v23, off offset:384
	s_or_b64 exec, exec, s[0:1]
	s_and_saveexec_b64 s[0:1], s[6:7]
	s_cbranch_execz .LBB482_179
.LBB482_203:
	s_waitcnt lgkmcnt(14)
	global_store_short v[0:1], v22, off offset:512
	s_or_b64 exec, exec, s[0:1]
	s_and_saveexec_b64 s[0:1], s[8:9]
	s_cbranch_execz .LBB482_180
.LBB482_204:
	s_waitcnt lgkmcnt(14)
	global_store_short v[0:1], v21, off offset:640
	s_or_b64 exec, exec, s[0:1]
	s_and_saveexec_b64 s[0:1], s[10:11]
	s_cbranch_execz .LBB482_181
.LBB482_205:
	s_waitcnt lgkmcnt(14)
	global_store_short v[0:1], v20, off offset:768
	s_or_b64 exec, exec, s[0:1]
	s_and_saveexec_b64 s[0:1], s[12:13]
	s_cbranch_execz .LBB482_182
.LBB482_206:
	s_waitcnt lgkmcnt(14)
	global_store_short v[0:1], v19, off offset:896
	s_or_b64 exec, exec, s[0:1]
	s_and_saveexec_b64 s[0:1], s[14:15]
	s_cbranch_execz .LBB482_183
.LBB482_207:
	s_waitcnt lgkmcnt(14)
	global_store_short v[0:1], v18, off offset:1024
	s_or_b64 exec, exec, s[0:1]
	s_and_saveexec_b64 s[0:1], s[16:17]
	s_cbranch_execz .LBB482_184
.LBB482_208:
	s_waitcnt lgkmcnt(14)
	global_store_short v[0:1], v17, off offset:1152
	s_or_b64 exec, exec, s[0:1]
	s_and_saveexec_b64 s[0:1], s[18:19]
	s_cbranch_execz .LBB482_185
.LBB482_209:
	s_waitcnt lgkmcnt(13)
	global_store_short v[0:1], v16, off offset:1280
	s_or_b64 exec, exec, s[0:1]
	s_and_saveexec_b64 s[0:1], s[20:21]
	s_cbranch_execz .LBB482_186
.LBB482_210:
	s_waitcnt lgkmcnt(12)
	global_store_short v[0:1], v15, off offset:1408
	s_or_b64 exec, exec, s[0:1]
	s_and_saveexec_b64 s[0:1], s[22:23]
	s_cbranch_execz .LBB482_187
.LBB482_211:
	s_waitcnt lgkmcnt(11)
	global_store_short v[0:1], v13, off offset:1536
	s_or_b64 exec, exec, s[0:1]
	s_and_saveexec_b64 s[0:1], s[24:25]
	s_cbranch_execz .LBB482_188
.LBB482_212:
	s_waitcnt lgkmcnt(10)
	global_store_short v[0:1], v12, off offset:1664
	s_or_b64 exec, exec, s[0:1]
	s_and_saveexec_b64 s[0:1], s[26:27]
	s_cbranch_execz .LBB482_189
.LBB482_213:
	s_waitcnt lgkmcnt(9)
	global_store_short v[0:1], v11, off offset:1792
	s_or_b64 exec, exec, s[0:1]
	s_and_saveexec_b64 s[0:1], s[28:29]
	s_cbranch_execz .LBB482_190
.LBB482_214:
	s_waitcnt lgkmcnt(8)
	global_store_short v[0:1], v10, off offset:1920
	s_or_b64 exec, exec, s[0:1]
	s_and_saveexec_b64 s[0:1], s[30:31]
	s_cbranch_execz .LBB482_191
.LBB482_215:
	s_waitcnt lgkmcnt(7)
	global_store_short v[0:1], v9, off offset:2048
	s_or_b64 exec, exec, s[0:1]
	s_and_saveexec_b64 s[0:1], s[34:35]
	s_cbranch_execz .LBB482_192
.LBB482_216:
	s_waitcnt lgkmcnt(6)
	global_store_short v[0:1], v8, off offset:2176
	s_or_b64 exec, exec, s[0:1]
	s_and_saveexec_b64 s[0:1], s[36:37]
	s_cbranch_execz .LBB482_193
.LBB482_217:
	s_waitcnt lgkmcnt(5)
	global_store_short v[0:1], v7, off offset:2304
	s_or_b64 exec, exec, s[0:1]
	s_and_saveexec_b64 s[0:1], s[38:39]
	s_cbranch_execz .LBB482_194
.LBB482_218:
	s_waitcnt lgkmcnt(4)
	global_store_short v[0:1], v6, off offset:2432
	s_or_b64 exec, exec, s[0:1]
	s_and_saveexec_b64 s[0:1], s[40:41]
	s_cbranch_execz .LBB482_195
.LBB482_219:
	s_waitcnt lgkmcnt(3)
	global_store_short v[0:1], v5, off offset:2560
	s_or_b64 exec, exec, s[0:1]
	s_and_saveexec_b64 s[0:1], s[42:43]
	s_cbranch_execz .LBB482_196
.LBB482_220:
	s_waitcnt lgkmcnt(2)
	global_store_short v[0:1], v4, off offset:2688
	s_or_b64 exec, exec, s[0:1]
	s_and_saveexec_b64 s[0:1], s[44:45]
	s_cbranch_execnz .LBB482_197
	s_branch .LBB482_198
	.section	.rodata,"a",@progbits
	.p2align	6, 0x0
	.amdhsa_kernel _ZN7rocprim17ROCPRIM_400000_NS6detail17trampoline_kernelINS0_14default_configENS1_20scan_config_selectorIN3c108BFloat16EEEZZNS1_9scan_implILNS1_25lookback_scan_determinismE0ELb0ELb0ES3_PKS6_PS6_S6_ZZZN2at6native31launch_logcumsumexp_cuda_kernelERKNSD_10TensorBaseESH_lENKUlvE_clEvENKUlvE4_clEvEUlS6_S6_E_S6_EEDaPvRmT3_T4_T5_mT6_P12ihipStream_tbENKUlT_T0_E_clISt17integral_constantIbLb1EESY_EEDaST_SU_EUlST_E0_NS1_11comp_targetILNS1_3genE4ELNS1_11target_archE910ELNS1_3gpuE8ELNS1_3repE0EEENS1_30default_config_static_selectorELNS0_4arch9wavefront6targetE1EEEvT1_
		.amdhsa_group_segment_fixed_size 3072
		.amdhsa_private_segment_fixed_size 0
		.amdhsa_kernarg_size 32
		.amdhsa_user_sgpr_count 6
		.amdhsa_user_sgpr_private_segment_buffer 1
		.amdhsa_user_sgpr_dispatch_ptr 0
		.amdhsa_user_sgpr_queue_ptr 0
		.amdhsa_user_sgpr_kernarg_segment_ptr 1
		.amdhsa_user_sgpr_dispatch_id 0
		.amdhsa_user_sgpr_flat_scratch_init 0
		.amdhsa_user_sgpr_kernarg_preload_length 0
		.amdhsa_user_sgpr_kernarg_preload_offset 0
		.amdhsa_user_sgpr_private_segment_size 0
		.amdhsa_uses_dynamic_stack 0
		.amdhsa_system_sgpr_private_segment_wavefront_offset 0
		.amdhsa_system_sgpr_workgroup_id_x 1
		.amdhsa_system_sgpr_workgroup_id_y 0
		.amdhsa_system_sgpr_workgroup_id_z 0
		.amdhsa_system_sgpr_workgroup_info 0
		.amdhsa_system_vgpr_workitem_id 0
		.amdhsa_next_free_vgpr 76
		.amdhsa_next_free_sgpr 96
		.amdhsa_accum_offset 76
		.amdhsa_reserve_vcc 1
		.amdhsa_reserve_flat_scratch 0
		.amdhsa_float_round_mode_32 0
		.amdhsa_float_round_mode_16_64 0
		.amdhsa_float_denorm_mode_32 3
		.amdhsa_float_denorm_mode_16_64 3
		.amdhsa_dx10_clamp 1
		.amdhsa_ieee_mode 1
		.amdhsa_fp16_overflow 0
		.amdhsa_tg_split 0
		.amdhsa_exception_fp_ieee_invalid_op 0
		.amdhsa_exception_fp_denorm_src 0
		.amdhsa_exception_fp_ieee_div_zero 0
		.amdhsa_exception_fp_ieee_overflow 0
		.amdhsa_exception_fp_ieee_underflow 0
		.amdhsa_exception_fp_ieee_inexact 0
		.amdhsa_exception_int_div_zero 0
	.end_amdhsa_kernel
	.section	.text._ZN7rocprim17ROCPRIM_400000_NS6detail17trampoline_kernelINS0_14default_configENS1_20scan_config_selectorIN3c108BFloat16EEEZZNS1_9scan_implILNS1_25lookback_scan_determinismE0ELb0ELb0ES3_PKS6_PS6_S6_ZZZN2at6native31launch_logcumsumexp_cuda_kernelERKNSD_10TensorBaseESH_lENKUlvE_clEvENKUlvE4_clEvEUlS6_S6_E_S6_EEDaPvRmT3_T4_T5_mT6_P12ihipStream_tbENKUlT_T0_E_clISt17integral_constantIbLb1EESY_EEDaST_SU_EUlST_E0_NS1_11comp_targetILNS1_3genE4ELNS1_11target_archE910ELNS1_3gpuE8ELNS1_3repE0EEENS1_30default_config_static_selectorELNS0_4arch9wavefront6targetE1EEEvT1_,"axG",@progbits,_ZN7rocprim17ROCPRIM_400000_NS6detail17trampoline_kernelINS0_14default_configENS1_20scan_config_selectorIN3c108BFloat16EEEZZNS1_9scan_implILNS1_25lookback_scan_determinismE0ELb0ELb0ES3_PKS6_PS6_S6_ZZZN2at6native31launch_logcumsumexp_cuda_kernelERKNSD_10TensorBaseESH_lENKUlvE_clEvENKUlvE4_clEvEUlS6_S6_E_S6_EEDaPvRmT3_T4_T5_mT6_P12ihipStream_tbENKUlT_T0_E_clISt17integral_constantIbLb1EESY_EEDaST_SU_EUlST_E0_NS1_11comp_targetILNS1_3genE4ELNS1_11target_archE910ELNS1_3gpuE8ELNS1_3repE0EEENS1_30default_config_static_selectorELNS0_4arch9wavefront6targetE1EEEvT1_,comdat
.Lfunc_end482:
	.size	_ZN7rocprim17ROCPRIM_400000_NS6detail17trampoline_kernelINS0_14default_configENS1_20scan_config_selectorIN3c108BFloat16EEEZZNS1_9scan_implILNS1_25lookback_scan_determinismE0ELb0ELb0ES3_PKS6_PS6_S6_ZZZN2at6native31launch_logcumsumexp_cuda_kernelERKNSD_10TensorBaseESH_lENKUlvE_clEvENKUlvE4_clEvEUlS6_S6_E_S6_EEDaPvRmT3_T4_T5_mT6_P12ihipStream_tbENKUlT_T0_E_clISt17integral_constantIbLb1EESY_EEDaST_SU_EUlST_E0_NS1_11comp_targetILNS1_3genE4ELNS1_11target_archE910ELNS1_3gpuE8ELNS1_3repE0EEENS1_30default_config_static_selectorELNS0_4arch9wavefront6targetE1EEEvT1_, .Lfunc_end482-_ZN7rocprim17ROCPRIM_400000_NS6detail17trampoline_kernelINS0_14default_configENS1_20scan_config_selectorIN3c108BFloat16EEEZZNS1_9scan_implILNS1_25lookback_scan_determinismE0ELb0ELb0ES3_PKS6_PS6_S6_ZZZN2at6native31launch_logcumsumexp_cuda_kernelERKNSD_10TensorBaseESH_lENKUlvE_clEvENKUlvE4_clEvEUlS6_S6_E_S6_EEDaPvRmT3_T4_T5_mT6_P12ihipStream_tbENKUlT_T0_E_clISt17integral_constantIbLb1EESY_EEDaST_SU_EUlST_E0_NS1_11comp_targetILNS1_3genE4ELNS1_11target_archE910ELNS1_3gpuE8ELNS1_3repE0EEENS1_30default_config_static_selectorELNS0_4arch9wavefront6targetE1EEEvT1_
                                        ; -- End function
	.section	.AMDGPU.csdata,"",@progbits
; Kernel info:
; codeLenInByte = 49384
; NumSgprs: 100
; NumVgprs: 76
; NumAgprs: 0
; TotalNumVgprs: 76
; ScratchSize: 0
; MemoryBound: 0
; FloatMode: 240
; IeeeMode: 1
; LDSByteSize: 3072 bytes/workgroup (compile time only)
; SGPRBlocks: 12
; VGPRBlocks: 9
; NumSGPRsForWavesPerEU: 100
; NumVGPRsForWavesPerEU: 76
; AccumOffset: 76
; Occupancy: 6
; WaveLimiterHint : 0
; COMPUTE_PGM_RSRC2:SCRATCH_EN: 0
; COMPUTE_PGM_RSRC2:USER_SGPR: 6
; COMPUTE_PGM_RSRC2:TRAP_HANDLER: 0
; COMPUTE_PGM_RSRC2:TGID_X_EN: 1
; COMPUTE_PGM_RSRC2:TGID_Y_EN: 0
; COMPUTE_PGM_RSRC2:TGID_Z_EN: 0
; COMPUTE_PGM_RSRC2:TIDIG_COMP_CNT: 0
; COMPUTE_PGM_RSRC3_GFX90A:ACCUM_OFFSET: 18
; COMPUTE_PGM_RSRC3_GFX90A:TG_SPLIT: 0
	.section	.text._ZN7rocprim17ROCPRIM_400000_NS6detail17trampoline_kernelINS0_14default_configENS1_20scan_config_selectorIN3c108BFloat16EEEZZNS1_9scan_implILNS1_25lookback_scan_determinismE0ELb0ELb0ES3_PKS6_PS6_S6_ZZZN2at6native31launch_logcumsumexp_cuda_kernelERKNSD_10TensorBaseESH_lENKUlvE_clEvENKUlvE4_clEvEUlS6_S6_E_S6_EEDaPvRmT3_T4_T5_mT6_P12ihipStream_tbENKUlT_T0_E_clISt17integral_constantIbLb1EESY_EEDaST_SU_EUlST_E0_NS1_11comp_targetILNS1_3genE3ELNS1_11target_archE908ELNS1_3gpuE7ELNS1_3repE0EEENS1_30default_config_static_selectorELNS0_4arch9wavefront6targetE1EEEvT1_,"axG",@progbits,_ZN7rocprim17ROCPRIM_400000_NS6detail17trampoline_kernelINS0_14default_configENS1_20scan_config_selectorIN3c108BFloat16EEEZZNS1_9scan_implILNS1_25lookback_scan_determinismE0ELb0ELb0ES3_PKS6_PS6_S6_ZZZN2at6native31launch_logcumsumexp_cuda_kernelERKNSD_10TensorBaseESH_lENKUlvE_clEvENKUlvE4_clEvEUlS6_S6_E_S6_EEDaPvRmT3_T4_T5_mT6_P12ihipStream_tbENKUlT_T0_E_clISt17integral_constantIbLb1EESY_EEDaST_SU_EUlST_E0_NS1_11comp_targetILNS1_3genE3ELNS1_11target_archE908ELNS1_3gpuE7ELNS1_3repE0EEENS1_30default_config_static_selectorELNS0_4arch9wavefront6targetE1EEEvT1_,comdat
	.globl	_ZN7rocprim17ROCPRIM_400000_NS6detail17trampoline_kernelINS0_14default_configENS1_20scan_config_selectorIN3c108BFloat16EEEZZNS1_9scan_implILNS1_25lookback_scan_determinismE0ELb0ELb0ES3_PKS6_PS6_S6_ZZZN2at6native31launch_logcumsumexp_cuda_kernelERKNSD_10TensorBaseESH_lENKUlvE_clEvENKUlvE4_clEvEUlS6_S6_E_S6_EEDaPvRmT3_T4_T5_mT6_P12ihipStream_tbENKUlT_T0_E_clISt17integral_constantIbLb1EESY_EEDaST_SU_EUlST_E0_NS1_11comp_targetILNS1_3genE3ELNS1_11target_archE908ELNS1_3gpuE7ELNS1_3repE0EEENS1_30default_config_static_selectorELNS0_4arch9wavefront6targetE1EEEvT1_ ; -- Begin function _ZN7rocprim17ROCPRIM_400000_NS6detail17trampoline_kernelINS0_14default_configENS1_20scan_config_selectorIN3c108BFloat16EEEZZNS1_9scan_implILNS1_25lookback_scan_determinismE0ELb0ELb0ES3_PKS6_PS6_S6_ZZZN2at6native31launch_logcumsumexp_cuda_kernelERKNSD_10TensorBaseESH_lENKUlvE_clEvENKUlvE4_clEvEUlS6_S6_E_S6_EEDaPvRmT3_T4_T5_mT6_P12ihipStream_tbENKUlT_T0_E_clISt17integral_constantIbLb1EESY_EEDaST_SU_EUlST_E0_NS1_11comp_targetILNS1_3genE3ELNS1_11target_archE908ELNS1_3gpuE7ELNS1_3repE0EEENS1_30default_config_static_selectorELNS0_4arch9wavefront6targetE1EEEvT1_
	.p2align	8
	.type	_ZN7rocprim17ROCPRIM_400000_NS6detail17trampoline_kernelINS0_14default_configENS1_20scan_config_selectorIN3c108BFloat16EEEZZNS1_9scan_implILNS1_25lookback_scan_determinismE0ELb0ELb0ES3_PKS6_PS6_S6_ZZZN2at6native31launch_logcumsumexp_cuda_kernelERKNSD_10TensorBaseESH_lENKUlvE_clEvENKUlvE4_clEvEUlS6_S6_E_S6_EEDaPvRmT3_T4_T5_mT6_P12ihipStream_tbENKUlT_T0_E_clISt17integral_constantIbLb1EESY_EEDaST_SU_EUlST_E0_NS1_11comp_targetILNS1_3genE3ELNS1_11target_archE908ELNS1_3gpuE7ELNS1_3repE0EEENS1_30default_config_static_selectorELNS0_4arch9wavefront6targetE1EEEvT1_,@function
_ZN7rocprim17ROCPRIM_400000_NS6detail17trampoline_kernelINS0_14default_configENS1_20scan_config_selectorIN3c108BFloat16EEEZZNS1_9scan_implILNS1_25lookback_scan_determinismE0ELb0ELb0ES3_PKS6_PS6_S6_ZZZN2at6native31launch_logcumsumexp_cuda_kernelERKNSD_10TensorBaseESH_lENKUlvE_clEvENKUlvE4_clEvEUlS6_S6_E_S6_EEDaPvRmT3_T4_T5_mT6_P12ihipStream_tbENKUlT_T0_E_clISt17integral_constantIbLb1EESY_EEDaST_SU_EUlST_E0_NS1_11comp_targetILNS1_3genE3ELNS1_11target_archE908ELNS1_3gpuE7ELNS1_3repE0EEENS1_30default_config_static_selectorELNS0_4arch9wavefront6targetE1EEEvT1_: ; @_ZN7rocprim17ROCPRIM_400000_NS6detail17trampoline_kernelINS0_14default_configENS1_20scan_config_selectorIN3c108BFloat16EEEZZNS1_9scan_implILNS1_25lookback_scan_determinismE0ELb0ELb0ES3_PKS6_PS6_S6_ZZZN2at6native31launch_logcumsumexp_cuda_kernelERKNSD_10TensorBaseESH_lENKUlvE_clEvENKUlvE4_clEvEUlS6_S6_E_S6_EEDaPvRmT3_T4_T5_mT6_P12ihipStream_tbENKUlT_T0_E_clISt17integral_constantIbLb1EESY_EEDaST_SU_EUlST_E0_NS1_11comp_targetILNS1_3genE3ELNS1_11target_archE908ELNS1_3gpuE7ELNS1_3repE0EEENS1_30default_config_static_selectorELNS0_4arch9wavefront6targetE1EEEvT1_
; %bb.0:
	.section	.rodata,"a",@progbits
	.p2align	6, 0x0
	.amdhsa_kernel _ZN7rocprim17ROCPRIM_400000_NS6detail17trampoline_kernelINS0_14default_configENS1_20scan_config_selectorIN3c108BFloat16EEEZZNS1_9scan_implILNS1_25lookback_scan_determinismE0ELb0ELb0ES3_PKS6_PS6_S6_ZZZN2at6native31launch_logcumsumexp_cuda_kernelERKNSD_10TensorBaseESH_lENKUlvE_clEvENKUlvE4_clEvEUlS6_S6_E_S6_EEDaPvRmT3_T4_T5_mT6_P12ihipStream_tbENKUlT_T0_E_clISt17integral_constantIbLb1EESY_EEDaST_SU_EUlST_E0_NS1_11comp_targetILNS1_3genE3ELNS1_11target_archE908ELNS1_3gpuE7ELNS1_3repE0EEENS1_30default_config_static_selectorELNS0_4arch9wavefront6targetE1EEEvT1_
		.amdhsa_group_segment_fixed_size 0
		.amdhsa_private_segment_fixed_size 0
		.amdhsa_kernarg_size 32
		.amdhsa_user_sgpr_count 6
		.amdhsa_user_sgpr_private_segment_buffer 1
		.amdhsa_user_sgpr_dispatch_ptr 0
		.amdhsa_user_sgpr_queue_ptr 0
		.amdhsa_user_sgpr_kernarg_segment_ptr 1
		.amdhsa_user_sgpr_dispatch_id 0
		.amdhsa_user_sgpr_flat_scratch_init 0
		.amdhsa_user_sgpr_kernarg_preload_length 0
		.amdhsa_user_sgpr_kernarg_preload_offset 0
		.amdhsa_user_sgpr_private_segment_size 0
		.amdhsa_uses_dynamic_stack 0
		.amdhsa_system_sgpr_private_segment_wavefront_offset 0
		.amdhsa_system_sgpr_workgroup_id_x 1
		.amdhsa_system_sgpr_workgroup_id_y 0
		.amdhsa_system_sgpr_workgroup_id_z 0
		.amdhsa_system_sgpr_workgroup_info 0
		.amdhsa_system_vgpr_workitem_id 0
		.amdhsa_next_free_vgpr 1
		.amdhsa_next_free_sgpr 0
		.amdhsa_accum_offset 4
		.amdhsa_reserve_vcc 0
		.amdhsa_reserve_flat_scratch 0
		.amdhsa_float_round_mode_32 0
		.amdhsa_float_round_mode_16_64 0
		.amdhsa_float_denorm_mode_32 3
		.amdhsa_float_denorm_mode_16_64 3
		.amdhsa_dx10_clamp 1
		.amdhsa_ieee_mode 1
		.amdhsa_fp16_overflow 0
		.amdhsa_tg_split 0
		.amdhsa_exception_fp_ieee_invalid_op 0
		.amdhsa_exception_fp_denorm_src 0
		.amdhsa_exception_fp_ieee_div_zero 0
		.amdhsa_exception_fp_ieee_overflow 0
		.amdhsa_exception_fp_ieee_underflow 0
		.amdhsa_exception_fp_ieee_inexact 0
		.amdhsa_exception_int_div_zero 0
	.end_amdhsa_kernel
	.section	.text._ZN7rocprim17ROCPRIM_400000_NS6detail17trampoline_kernelINS0_14default_configENS1_20scan_config_selectorIN3c108BFloat16EEEZZNS1_9scan_implILNS1_25lookback_scan_determinismE0ELb0ELb0ES3_PKS6_PS6_S6_ZZZN2at6native31launch_logcumsumexp_cuda_kernelERKNSD_10TensorBaseESH_lENKUlvE_clEvENKUlvE4_clEvEUlS6_S6_E_S6_EEDaPvRmT3_T4_T5_mT6_P12ihipStream_tbENKUlT_T0_E_clISt17integral_constantIbLb1EESY_EEDaST_SU_EUlST_E0_NS1_11comp_targetILNS1_3genE3ELNS1_11target_archE908ELNS1_3gpuE7ELNS1_3repE0EEENS1_30default_config_static_selectorELNS0_4arch9wavefront6targetE1EEEvT1_,"axG",@progbits,_ZN7rocprim17ROCPRIM_400000_NS6detail17trampoline_kernelINS0_14default_configENS1_20scan_config_selectorIN3c108BFloat16EEEZZNS1_9scan_implILNS1_25lookback_scan_determinismE0ELb0ELb0ES3_PKS6_PS6_S6_ZZZN2at6native31launch_logcumsumexp_cuda_kernelERKNSD_10TensorBaseESH_lENKUlvE_clEvENKUlvE4_clEvEUlS6_S6_E_S6_EEDaPvRmT3_T4_T5_mT6_P12ihipStream_tbENKUlT_T0_E_clISt17integral_constantIbLb1EESY_EEDaST_SU_EUlST_E0_NS1_11comp_targetILNS1_3genE3ELNS1_11target_archE908ELNS1_3gpuE7ELNS1_3repE0EEENS1_30default_config_static_selectorELNS0_4arch9wavefront6targetE1EEEvT1_,comdat
.Lfunc_end483:
	.size	_ZN7rocprim17ROCPRIM_400000_NS6detail17trampoline_kernelINS0_14default_configENS1_20scan_config_selectorIN3c108BFloat16EEEZZNS1_9scan_implILNS1_25lookback_scan_determinismE0ELb0ELb0ES3_PKS6_PS6_S6_ZZZN2at6native31launch_logcumsumexp_cuda_kernelERKNSD_10TensorBaseESH_lENKUlvE_clEvENKUlvE4_clEvEUlS6_S6_E_S6_EEDaPvRmT3_T4_T5_mT6_P12ihipStream_tbENKUlT_T0_E_clISt17integral_constantIbLb1EESY_EEDaST_SU_EUlST_E0_NS1_11comp_targetILNS1_3genE3ELNS1_11target_archE908ELNS1_3gpuE7ELNS1_3repE0EEENS1_30default_config_static_selectorELNS0_4arch9wavefront6targetE1EEEvT1_, .Lfunc_end483-_ZN7rocprim17ROCPRIM_400000_NS6detail17trampoline_kernelINS0_14default_configENS1_20scan_config_selectorIN3c108BFloat16EEEZZNS1_9scan_implILNS1_25lookback_scan_determinismE0ELb0ELb0ES3_PKS6_PS6_S6_ZZZN2at6native31launch_logcumsumexp_cuda_kernelERKNSD_10TensorBaseESH_lENKUlvE_clEvENKUlvE4_clEvEUlS6_S6_E_S6_EEDaPvRmT3_T4_T5_mT6_P12ihipStream_tbENKUlT_T0_E_clISt17integral_constantIbLb1EESY_EEDaST_SU_EUlST_E0_NS1_11comp_targetILNS1_3genE3ELNS1_11target_archE908ELNS1_3gpuE7ELNS1_3repE0EEENS1_30default_config_static_selectorELNS0_4arch9wavefront6targetE1EEEvT1_
                                        ; -- End function
	.section	.AMDGPU.csdata,"",@progbits
; Kernel info:
; codeLenInByte = 0
; NumSgprs: 4
; NumVgprs: 0
; NumAgprs: 0
; TotalNumVgprs: 0
; ScratchSize: 0
; MemoryBound: 0
; FloatMode: 240
; IeeeMode: 1
; LDSByteSize: 0 bytes/workgroup (compile time only)
; SGPRBlocks: 0
; VGPRBlocks: 0
; NumSGPRsForWavesPerEU: 4
; NumVGPRsForWavesPerEU: 1
; AccumOffset: 4
; Occupancy: 8
; WaveLimiterHint : 0
; COMPUTE_PGM_RSRC2:SCRATCH_EN: 0
; COMPUTE_PGM_RSRC2:USER_SGPR: 6
; COMPUTE_PGM_RSRC2:TRAP_HANDLER: 0
; COMPUTE_PGM_RSRC2:TGID_X_EN: 1
; COMPUTE_PGM_RSRC2:TGID_Y_EN: 0
; COMPUTE_PGM_RSRC2:TGID_Z_EN: 0
; COMPUTE_PGM_RSRC2:TIDIG_COMP_CNT: 0
; COMPUTE_PGM_RSRC3_GFX90A:ACCUM_OFFSET: 0
; COMPUTE_PGM_RSRC3_GFX90A:TG_SPLIT: 0
	.section	.text._ZN7rocprim17ROCPRIM_400000_NS6detail17trampoline_kernelINS0_14default_configENS1_20scan_config_selectorIN3c108BFloat16EEEZZNS1_9scan_implILNS1_25lookback_scan_determinismE0ELb0ELb0ES3_PKS6_PS6_S6_ZZZN2at6native31launch_logcumsumexp_cuda_kernelERKNSD_10TensorBaseESH_lENKUlvE_clEvENKUlvE4_clEvEUlS6_S6_E_S6_EEDaPvRmT3_T4_T5_mT6_P12ihipStream_tbENKUlT_T0_E_clISt17integral_constantIbLb1EESY_EEDaST_SU_EUlST_E0_NS1_11comp_targetILNS1_3genE2ELNS1_11target_archE906ELNS1_3gpuE6ELNS1_3repE0EEENS1_30default_config_static_selectorELNS0_4arch9wavefront6targetE1EEEvT1_,"axG",@progbits,_ZN7rocprim17ROCPRIM_400000_NS6detail17trampoline_kernelINS0_14default_configENS1_20scan_config_selectorIN3c108BFloat16EEEZZNS1_9scan_implILNS1_25lookback_scan_determinismE0ELb0ELb0ES3_PKS6_PS6_S6_ZZZN2at6native31launch_logcumsumexp_cuda_kernelERKNSD_10TensorBaseESH_lENKUlvE_clEvENKUlvE4_clEvEUlS6_S6_E_S6_EEDaPvRmT3_T4_T5_mT6_P12ihipStream_tbENKUlT_T0_E_clISt17integral_constantIbLb1EESY_EEDaST_SU_EUlST_E0_NS1_11comp_targetILNS1_3genE2ELNS1_11target_archE906ELNS1_3gpuE6ELNS1_3repE0EEENS1_30default_config_static_selectorELNS0_4arch9wavefront6targetE1EEEvT1_,comdat
	.globl	_ZN7rocprim17ROCPRIM_400000_NS6detail17trampoline_kernelINS0_14default_configENS1_20scan_config_selectorIN3c108BFloat16EEEZZNS1_9scan_implILNS1_25lookback_scan_determinismE0ELb0ELb0ES3_PKS6_PS6_S6_ZZZN2at6native31launch_logcumsumexp_cuda_kernelERKNSD_10TensorBaseESH_lENKUlvE_clEvENKUlvE4_clEvEUlS6_S6_E_S6_EEDaPvRmT3_T4_T5_mT6_P12ihipStream_tbENKUlT_T0_E_clISt17integral_constantIbLb1EESY_EEDaST_SU_EUlST_E0_NS1_11comp_targetILNS1_3genE2ELNS1_11target_archE906ELNS1_3gpuE6ELNS1_3repE0EEENS1_30default_config_static_selectorELNS0_4arch9wavefront6targetE1EEEvT1_ ; -- Begin function _ZN7rocprim17ROCPRIM_400000_NS6detail17trampoline_kernelINS0_14default_configENS1_20scan_config_selectorIN3c108BFloat16EEEZZNS1_9scan_implILNS1_25lookback_scan_determinismE0ELb0ELb0ES3_PKS6_PS6_S6_ZZZN2at6native31launch_logcumsumexp_cuda_kernelERKNSD_10TensorBaseESH_lENKUlvE_clEvENKUlvE4_clEvEUlS6_S6_E_S6_EEDaPvRmT3_T4_T5_mT6_P12ihipStream_tbENKUlT_T0_E_clISt17integral_constantIbLb1EESY_EEDaST_SU_EUlST_E0_NS1_11comp_targetILNS1_3genE2ELNS1_11target_archE906ELNS1_3gpuE6ELNS1_3repE0EEENS1_30default_config_static_selectorELNS0_4arch9wavefront6targetE1EEEvT1_
	.p2align	8
	.type	_ZN7rocprim17ROCPRIM_400000_NS6detail17trampoline_kernelINS0_14default_configENS1_20scan_config_selectorIN3c108BFloat16EEEZZNS1_9scan_implILNS1_25lookback_scan_determinismE0ELb0ELb0ES3_PKS6_PS6_S6_ZZZN2at6native31launch_logcumsumexp_cuda_kernelERKNSD_10TensorBaseESH_lENKUlvE_clEvENKUlvE4_clEvEUlS6_S6_E_S6_EEDaPvRmT3_T4_T5_mT6_P12ihipStream_tbENKUlT_T0_E_clISt17integral_constantIbLb1EESY_EEDaST_SU_EUlST_E0_NS1_11comp_targetILNS1_3genE2ELNS1_11target_archE906ELNS1_3gpuE6ELNS1_3repE0EEENS1_30default_config_static_selectorELNS0_4arch9wavefront6targetE1EEEvT1_,@function
_ZN7rocprim17ROCPRIM_400000_NS6detail17trampoline_kernelINS0_14default_configENS1_20scan_config_selectorIN3c108BFloat16EEEZZNS1_9scan_implILNS1_25lookback_scan_determinismE0ELb0ELb0ES3_PKS6_PS6_S6_ZZZN2at6native31launch_logcumsumexp_cuda_kernelERKNSD_10TensorBaseESH_lENKUlvE_clEvENKUlvE4_clEvEUlS6_S6_E_S6_EEDaPvRmT3_T4_T5_mT6_P12ihipStream_tbENKUlT_T0_E_clISt17integral_constantIbLb1EESY_EEDaST_SU_EUlST_E0_NS1_11comp_targetILNS1_3genE2ELNS1_11target_archE906ELNS1_3gpuE6ELNS1_3repE0EEENS1_30default_config_static_selectorELNS0_4arch9wavefront6targetE1EEEvT1_: ; @_ZN7rocprim17ROCPRIM_400000_NS6detail17trampoline_kernelINS0_14default_configENS1_20scan_config_selectorIN3c108BFloat16EEEZZNS1_9scan_implILNS1_25lookback_scan_determinismE0ELb0ELb0ES3_PKS6_PS6_S6_ZZZN2at6native31launch_logcumsumexp_cuda_kernelERKNSD_10TensorBaseESH_lENKUlvE_clEvENKUlvE4_clEvEUlS6_S6_E_S6_EEDaPvRmT3_T4_T5_mT6_P12ihipStream_tbENKUlT_T0_E_clISt17integral_constantIbLb1EESY_EEDaST_SU_EUlST_E0_NS1_11comp_targetILNS1_3genE2ELNS1_11target_archE906ELNS1_3gpuE6ELNS1_3repE0EEENS1_30default_config_static_selectorELNS0_4arch9wavefront6targetE1EEEvT1_
; %bb.0:
	.section	.rodata,"a",@progbits
	.p2align	6, 0x0
	.amdhsa_kernel _ZN7rocprim17ROCPRIM_400000_NS6detail17trampoline_kernelINS0_14default_configENS1_20scan_config_selectorIN3c108BFloat16EEEZZNS1_9scan_implILNS1_25lookback_scan_determinismE0ELb0ELb0ES3_PKS6_PS6_S6_ZZZN2at6native31launch_logcumsumexp_cuda_kernelERKNSD_10TensorBaseESH_lENKUlvE_clEvENKUlvE4_clEvEUlS6_S6_E_S6_EEDaPvRmT3_T4_T5_mT6_P12ihipStream_tbENKUlT_T0_E_clISt17integral_constantIbLb1EESY_EEDaST_SU_EUlST_E0_NS1_11comp_targetILNS1_3genE2ELNS1_11target_archE906ELNS1_3gpuE6ELNS1_3repE0EEENS1_30default_config_static_selectorELNS0_4arch9wavefront6targetE1EEEvT1_
		.amdhsa_group_segment_fixed_size 0
		.amdhsa_private_segment_fixed_size 0
		.amdhsa_kernarg_size 32
		.amdhsa_user_sgpr_count 6
		.amdhsa_user_sgpr_private_segment_buffer 1
		.amdhsa_user_sgpr_dispatch_ptr 0
		.amdhsa_user_sgpr_queue_ptr 0
		.amdhsa_user_sgpr_kernarg_segment_ptr 1
		.amdhsa_user_sgpr_dispatch_id 0
		.amdhsa_user_sgpr_flat_scratch_init 0
		.amdhsa_user_sgpr_kernarg_preload_length 0
		.amdhsa_user_sgpr_kernarg_preload_offset 0
		.amdhsa_user_sgpr_private_segment_size 0
		.amdhsa_uses_dynamic_stack 0
		.amdhsa_system_sgpr_private_segment_wavefront_offset 0
		.amdhsa_system_sgpr_workgroup_id_x 1
		.amdhsa_system_sgpr_workgroup_id_y 0
		.amdhsa_system_sgpr_workgroup_id_z 0
		.amdhsa_system_sgpr_workgroup_info 0
		.amdhsa_system_vgpr_workitem_id 0
		.amdhsa_next_free_vgpr 1
		.amdhsa_next_free_sgpr 0
		.amdhsa_accum_offset 4
		.amdhsa_reserve_vcc 0
		.amdhsa_reserve_flat_scratch 0
		.amdhsa_float_round_mode_32 0
		.amdhsa_float_round_mode_16_64 0
		.amdhsa_float_denorm_mode_32 3
		.amdhsa_float_denorm_mode_16_64 3
		.amdhsa_dx10_clamp 1
		.amdhsa_ieee_mode 1
		.amdhsa_fp16_overflow 0
		.amdhsa_tg_split 0
		.amdhsa_exception_fp_ieee_invalid_op 0
		.amdhsa_exception_fp_denorm_src 0
		.amdhsa_exception_fp_ieee_div_zero 0
		.amdhsa_exception_fp_ieee_overflow 0
		.amdhsa_exception_fp_ieee_underflow 0
		.amdhsa_exception_fp_ieee_inexact 0
		.amdhsa_exception_int_div_zero 0
	.end_amdhsa_kernel
	.section	.text._ZN7rocprim17ROCPRIM_400000_NS6detail17trampoline_kernelINS0_14default_configENS1_20scan_config_selectorIN3c108BFloat16EEEZZNS1_9scan_implILNS1_25lookback_scan_determinismE0ELb0ELb0ES3_PKS6_PS6_S6_ZZZN2at6native31launch_logcumsumexp_cuda_kernelERKNSD_10TensorBaseESH_lENKUlvE_clEvENKUlvE4_clEvEUlS6_S6_E_S6_EEDaPvRmT3_T4_T5_mT6_P12ihipStream_tbENKUlT_T0_E_clISt17integral_constantIbLb1EESY_EEDaST_SU_EUlST_E0_NS1_11comp_targetILNS1_3genE2ELNS1_11target_archE906ELNS1_3gpuE6ELNS1_3repE0EEENS1_30default_config_static_selectorELNS0_4arch9wavefront6targetE1EEEvT1_,"axG",@progbits,_ZN7rocprim17ROCPRIM_400000_NS6detail17trampoline_kernelINS0_14default_configENS1_20scan_config_selectorIN3c108BFloat16EEEZZNS1_9scan_implILNS1_25lookback_scan_determinismE0ELb0ELb0ES3_PKS6_PS6_S6_ZZZN2at6native31launch_logcumsumexp_cuda_kernelERKNSD_10TensorBaseESH_lENKUlvE_clEvENKUlvE4_clEvEUlS6_S6_E_S6_EEDaPvRmT3_T4_T5_mT6_P12ihipStream_tbENKUlT_T0_E_clISt17integral_constantIbLb1EESY_EEDaST_SU_EUlST_E0_NS1_11comp_targetILNS1_3genE2ELNS1_11target_archE906ELNS1_3gpuE6ELNS1_3repE0EEENS1_30default_config_static_selectorELNS0_4arch9wavefront6targetE1EEEvT1_,comdat
.Lfunc_end484:
	.size	_ZN7rocprim17ROCPRIM_400000_NS6detail17trampoline_kernelINS0_14default_configENS1_20scan_config_selectorIN3c108BFloat16EEEZZNS1_9scan_implILNS1_25lookback_scan_determinismE0ELb0ELb0ES3_PKS6_PS6_S6_ZZZN2at6native31launch_logcumsumexp_cuda_kernelERKNSD_10TensorBaseESH_lENKUlvE_clEvENKUlvE4_clEvEUlS6_S6_E_S6_EEDaPvRmT3_T4_T5_mT6_P12ihipStream_tbENKUlT_T0_E_clISt17integral_constantIbLb1EESY_EEDaST_SU_EUlST_E0_NS1_11comp_targetILNS1_3genE2ELNS1_11target_archE906ELNS1_3gpuE6ELNS1_3repE0EEENS1_30default_config_static_selectorELNS0_4arch9wavefront6targetE1EEEvT1_, .Lfunc_end484-_ZN7rocprim17ROCPRIM_400000_NS6detail17trampoline_kernelINS0_14default_configENS1_20scan_config_selectorIN3c108BFloat16EEEZZNS1_9scan_implILNS1_25lookback_scan_determinismE0ELb0ELb0ES3_PKS6_PS6_S6_ZZZN2at6native31launch_logcumsumexp_cuda_kernelERKNSD_10TensorBaseESH_lENKUlvE_clEvENKUlvE4_clEvEUlS6_S6_E_S6_EEDaPvRmT3_T4_T5_mT6_P12ihipStream_tbENKUlT_T0_E_clISt17integral_constantIbLb1EESY_EEDaST_SU_EUlST_E0_NS1_11comp_targetILNS1_3genE2ELNS1_11target_archE906ELNS1_3gpuE6ELNS1_3repE0EEENS1_30default_config_static_selectorELNS0_4arch9wavefront6targetE1EEEvT1_
                                        ; -- End function
	.section	.AMDGPU.csdata,"",@progbits
; Kernel info:
; codeLenInByte = 0
; NumSgprs: 4
; NumVgprs: 0
; NumAgprs: 0
; TotalNumVgprs: 0
; ScratchSize: 0
; MemoryBound: 0
; FloatMode: 240
; IeeeMode: 1
; LDSByteSize: 0 bytes/workgroup (compile time only)
; SGPRBlocks: 0
; VGPRBlocks: 0
; NumSGPRsForWavesPerEU: 4
; NumVGPRsForWavesPerEU: 1
; AccumOffset: 4
; Occupancy: 8
; WaveLimiterHint : 0
; COMPUTE_PGM_RSRC2:SCRATCH_EN: 0
; COMPUTE_PGM_RSRC2:USER_SGPR: 6
; COMPUTE_PGM_RSRC2:TRAP_HANDLER: 0
; COMPUTE_PGM_RSRC2:TGID_X_EN: 1
; COMPUTE_PGM_RSRC2:TGID_Y_EN: 0
; COMPUTE_PGM_RSRC2:TGID_Z_EN: 0
; COMPUTE_PGM_RSRC2:TIDIG_COMP_CNT: 0
; COMPUTE_PGM_RSRC3_GFX90A:ACCUM_OFFSET: 0
; COMPUTE_PGM_RSRC3_GFX90A:TG_SPLIT: 0
	.section	.text._ZN7rocprim17ROCPRIM_400000_NS6detail17trampoline_kernelINS0_14default_configENS1_20scan_config_selectorIN3c108BFloat16EEEZZNS1_9scan_implILNS1_25lookback_scan_determinismE0ELb0ELb0ES3_PKS6_PS6_S6_ZZZN2at6native31launch_logcumsumexp_cuda_kernelERKNSD_10TensorBaseESH_lENKUlvE_clEvENKUlvE4_clEvEUlS6_S6_E_S6_EEDaPvRmT3_T4_T5_mT6_P12ihipStream_tbENKUlT_T0_E_clISt17integral_constantIbLb1EESY_EEDaST_SU_EUlST_E0_NS1_11comp_targetILNS1_3genE10ELNS1_11target_archE1201ELNS1_3gpuE5ELNS1_3repE0EEENS1_30default_config_static_selectorELNS0_4arch9wavefront6targetE1EEEvT1_,"axG",@progbits,_ZN7rocprim17ROCPRIM_400000_NS6detail17trampoline_kernelINS0_14default_configENS1_20scan_config_selectorIN3c108BFloat16EEEZZNS1_9scan_implILNS1_25lookback_scan_determinismE0ELb0ELb0ES3_PKS6_PS6_S6_ZZZN2at6native31launch_logcumsumexp_cuda_kernelERKNSD_10TensorBaseESH_lENKUlvE_clEvENKUlvE4_clEvEUlS6_S6_E_S6_EEDaPvRmT3_T4_T5_mT6_P12ihipStream_tbENKUlT_T0_E_clISt17integral_constantIbLb1EESY_EEDaST_SU_EUlST_E0_NS1_11comp_targetILNS1_3genE10ELNS1_11target_archE1201ELNS1_3gpuE5ELNS1_3repE0EEENS1_30default_config_static_selectorELNS0_4arch9wavefront6targetE1EEEvT1_,comdat
	.globl	_ZN7rocprim17ROCPRIM_400000_NS6detail17trampoline_kernelINS0_14default_configENS1_20scan_config_selectorIN3c108BFloat16EEEZZNS1_9scan_implILNS1_25lookback_scan_determinismE0ELb0ELb0ES3_PKS6_PS6_S6_ZZZN2at6native31launch_logcumsumexp_cuda_kernelERKNSD_10TensorBaseESH_lENKUlvE_clEvENKUlvE4_clEvEUlS6_S6_E_S6_EEDaPvRmT3_T4_T5_mT6_P12ihipStream_tbENKUlT_T0_E_clISt17integral_constantIbLb1EESY_EEDaST_SU_EUlST_E0_NS1_11comp_targetILNS1_3genE10ELNS1_11target_archE1201ELNS1_3gpuE5ELNS1_3repE0EEENS1_30default_config_static_selectorELNS0_4arch9wavefront6targetE1EEEvT1_ ; -- Begin function _ZN7rocprim17ROCPRIM_400000_NS6detail17trampoline_kernelINS0_14default_configENS1_20scan_config_selectorIN3c108BFloat16EEEZZNS1_9scan_implILNS1_25lookback_scan_determinismE0ELb0ELb0ES3_PKS6_PS6_S6_ZZZN2at6native31launch_logcumsumexp_cuda_kernelERKNSD_10TensorBaseESH_lENKUlvE_clEvENKUlvE4_clEvEUlS6_S6_E_S6_EEDaPvRmT3_T4_T5_mT6_P12ihipStream_tbENKUlT_T0_E_clISt17integral_constantIbLb1EESY_EEDaST_SU_EUlST_E0_NS1_11comp_targetILNS1_3genE10ELNS1_11target_archE1201ELNS1_3gpuE5ELNS1_3repE0EEENS1_30default_config_static_selectorELNS0_4arch9wavefront6targetE1EEEvT1_
	.p2align	8
	.type	_ZN7rocprim17ROCPRIM_400000_NS6detail17trampoline_kernelINS0_14default_configENS1_20scan_config_selectorIN3c108BFloat16EEEZZNS1_9scan_implILNS1_25lookback_scan_determinismE0ELb0ELb0ES3_PKS6_PS6_S6_ZZZN2at6native31launch_logcumsumexp_cuda_kernelERKNSD_10TensorBaseESH_lENKUlvE_clEvENKUlvE4_clEvEUlS6_S6_E_S6_EEDaPvRmT3_T4_T5_mT6_P12ihipStream_tbENKUlT_T0_E_clISt17integral_constantIbLb1EESY_EEDaST_SU_EUlST_E0_NS1_11comp_targetILNS1_3genE10ELNS1_11target_archE1201ELNS1_3gpuE5ELNS1_3repE0EEENS1_30default_config_static_selectorELNS0_4arch9wavefront6targetE1EEEvT1_,@function
_ZN7rocprim17ROCPRIM_400000_NS6detail17trampoline_kernelINS0_14default_configENS1_20scan_config_selectorIN3c108BFloat16EEEZZNS1_9scan_implILNS1_25lookback_scan_determinismE0ELb0ELb0ES3_PKS6_PS6_S6_ZZZN2at6native31launch_logcumsumexp_cuda_kernelERKNSD_10TensorBaseESH_lENKUlvE_clEvENKUlvE4_clEvEUlS6_S6_E_S6_EEDaPvRmT3_T4_T5_mT6_P12ihipStream_tbENKUlT_T0_E_clISt17integral_constantIbLb1EESY_EEDaST_SU_EUlST_E0_NS1_11comp_targetILNS1_3genE10ELNS1_11target_archE1201ELNS1_3gpuE5ELNS1_3repE0EEENS1_30default_config_static_selectorELNS0_4arch9wavefront6targetE1EEEvT1_: ; @_ZN7rocprim17ROCPRIM_400000_NS6detail17trampoline_kernelINS0_14default_configENS1_20scan_config_selectorIN3c108BFloat16EEEZZNS1_9scan_implILNS1_25lookback_scan_determinismE0ELb0ELb0ES3_PKS6_PS6_S6_ZZZN2at6native31launch_logcumsumexp_cuda_kernelERKNSD_10TensorBaseESH_lENKUlvE_clEvENKUlvE4_clEvEUlS6_S6_E_S6_EEDaPvRmT3_T4_T5_mT6_P12ihipStream_tbENKUlT_T0_E_clISt17integral_constantIbLb1EESY_EEDaST_SU_EUlST_E0_NS1_11comp_targetILNS1_3genE10ELNS1_11target_archE1201ELNS1_3gpuE5ELNS1_3repE0EEENS1_30default_config_static_selectorELNS0_4arch9wavefront6targetE1EEEvT1_
; %bb.0:
	.section	.rodata,"a",@progbits
	.p2align	6, 0x0
	.amdhsa_kernel _ZN7rocprim17ROCPRIM_400000_NS6detail17trampoline_kernelINS0_14default_configENS1_20scan_config_selectorIN3c108BFloat16EEEZZNS1_9scan_implILNS1_25lookback_scan_determinismE0ELb0ELb0ES3_PKS6_PS6_S6_ZZZN2at6native31launch_logcumsumexp_cuda_kernelERKNSD_10TensorBaseESH_lENKUlvE_clEvENKUlvE4_clEvEUlS6_S6_E_S6_EEDaPvRmT3_T4_T5_mT6_P12ihipStream_tbENKUlT_T0_E_clISt17integral_constantIbLb1EESY_EEDaST_SU_EUlST_E0_NS1_11comp_targetILNS1_3genE10ELNS1_11target_archE1201ELNS1_3gpuE5ELNS1_3repE0EEENS1_30default_config_static_selectorELNS0_4arch9wavefront6targetE1EEEvT1_
		.amdhsa_group_segment_fixed_size 0
		.amdhsa_private_segment_fixed_size 0
		.amdhsa_kernarg_size 32
		.amdhsa_user_sgpr_count 6
		.amdhsa_user_sgpr_private_segment_buffer 1
		.amdhsa_user_sgpr_dispatch_ptr 0
		.amdhsa_user_sgpr_queue_ptr 0
		.amdhsa_user_sgpr_kernarg_segment_ptr 1
		.amdhsa_user_sgpr_dispatch_id 0
		.amdhsa_user_sgpr_flat_scratch_init 0
		.amdhsa_user_sgpr_kernarg_preload_length 0
		.amdhsa_user_sgpr_kernarg_preload_offset 0
		.amdhsa_user_sgpr_private_segment_size 0
		.amdhsa_uses_dynamic_stack 0
		.amdhsa_system_sgpr_private_segment_wavefront_offset 0
		.amdhsa_system_sgpr_workgroup_id_x 1
		.amdhsa_system_sgpr_workgroup_id_y 0
		.amdhsa_system_sgpr_workgroup_id_z 0
		.amdhsa_system_sgpr_workgroup_info 0
		.amdhsa_system_vgpr_workitem_id 0
		.amdhsa_next_free_vgpr 1
		.amdhsa_next_free_sgpr 0
		.amdhsa_accum_offset 4
		.amdhsa_reserve_vcc 0
		.amdhsa_reserve_flat_scratch 0
		.amdhsa_float_round_mode_32 0
		.amdhsa_float_round_mode_16_64 0
		.amdhsa_float_denorm_mode_32 3
		.amdhsa_float_denorm_mode_16_64 3
		.amdhsa_dx10_clamp 1
		.amdhsa_ieee_mode 1
		.amdhsa_fp16_overflow 0
		.amdhsa_tg_split 0
		.amdhsa_exception_fp_ieee_invalid_op 0
		.amdhsa_exception_fp_denorm_src 0
		.amdhsa_exception_fp_ieee_div_zero 0
		.amdhsa_exception_fp_ieee_overflow 0
		.amdhsa_exception_fp_ieee_underflow 0
		.amdhsa_exception_fp_ieee_inexact 0
		.amdhsa_exception_int_div_zero 0
	.end_amdhsa_kernel
	.section	.text._ZN7rocprim17ROCPRIM_400000_NS6detail17trampoline_kernelINS0_14default_configENS1_20scan_config_selectorIN3c108BFloat16EEEZZNS1_9scan_implILNS1_25lookback_scan_determinismE0ELb0ELb0ES3_PKS6_PS6_S6_ZZZN2at6native31launch_logcumsumexp_cuda_kernelERKNSD_10TensorBaseESH_lENKUlvE_clEvENKUlvE4_clEvEUlS6_S6_E_S6_EEDaPvRmT3_T4_T5_mT6_P12ihipStream_tbENKUlT_T0_E_clISt17integral_constantIbLb1EESY_EEDaST_SU_EUlST_E0_NS1_11comp_targetILNS1_3genE10ELNS1_11target_archE1201ELNS1_3gpuE5ELNS1_3repE0EEENS1_30default_config_static_selectorELNS0_4arch9wavefront6targetE1EEEvT1_,"axG",@progbits,_ZN7rocprim17ROCPRIM_400000_NS6detail17trampoline_kernelINS0_14default_configENS1_20scan_config_selectorIN3c108BFloat16EEEZZNS1_9scan_implILNS1_25lookback_scan_determinismE0ELb0ELb0ES3_PKS6_PS6_S6_ZZZN2at6native31launch_logcumsumexp_cuda_kernelERKNSD_10TensorBaseESH_lENKUlvE_clEvENKUlvE4_clEvEUlS6_S6_E_S6_EEDaPvRmT3_T4_T5_mT6_P12ihipStream_tbENKUlT_T0_E_clISt17integral_constantIbLb1EESY_EEDaST_SU_EUlST_E0_NS1_11comp_targetILNS1_3genE10ELNS1_11target_archE1201ELNS1_3gpuE5ELNS1_3repE0EEENS1_30default_config_static_selectorELNS0_4arch9wavefront6targetE1EEEvT1_,comdat
.Lfunc_end485:
	.size	_ZN7rocprim17ROCPRIM_400000_NS6detail17trampoline_kernelINS0_14default_configENS1_20scan_config_selectorIN3c108BFloat16EEEZZNS1_9scan_implILNS1_25lookback_scan_determinismE0ELb0ELb0ES3_PKS6_PS6_S6_ZZZN2at6native31launch_logcumsumexp_cuda_kernelERKNSD_10TensorBaseESH_lENKUlvE_clEvENKUlvE4_clEvEUlS6_S6_E_S6_EEDaPvRmT3_T4_T5_mT6_P12ihipStream_tbENKUlT_T0_E_clISt17integral_constantIbLb1EESY_EEDaST_SU_EUlST_E0_NS1_11comp_targetILNS1_3genE10ELNS1_11target_archE1201ELNS1_3gpuE5ELNS1_3repE0EEENS1_30default_config_static_selectorELNS0_4arch9wavefront6targetE1EEEvT1_, .Lfunc_end485-_ZN7rocprim17ROCPRIM_400000_NS6detail17trampoline_kernelINS0_14default_configENS1_20scan_config_selectorIN3c108BFloat16EEEZZNS1_9scan_implILNS1_25lookback_scan_determinismE0ELb0ELb0ES3_PKS6_PS6_S6_ZZZN2at6native31launch_logcumsumexp_cuda_kernelERKNSD_10TensorBaseESH_lENKUlvE_clEvENKUlvE4_clEvEUlS6_S6_E_S6_EEDaPvRmT3_T4_T5_mT6_P12ihipStream_tbENKUlT_T0_E_clISt17integral_constantIbLb1EESY_EEDaST_SU_EUlST_E0_NS1_11comp_targetILNS1_3genE10ELNS1_11target_archE1201ELNS1_3gpuE5ELNS1_3repE0EEENS1_30default_config_static_selectorELNS0_4arch9wavefront6targetE1EEEvT1_
                                        ; -- End function
	.section	.AMDGPU.csdata,"",@progbits
; Kernel info:
; codeLenInByte = 0
; NumSgprs: 4
; NumVgprs: 0
; NumAgprs: 0
; TotalNumVgprs: 0
; ScratchSize: 0
; MemoryBound: 0
; FloatMode: 240
; IeeeMode: 1
; LDSByteSize: 0 bytes/workgroup (compile time only)
; SGPRBlocks: 0
; VGPRBlocks: 0
; NumSGPRsForWavesPerEU: 4
; NumVGPRsForWavesPerEU: 1
; AccumOffset: 4
; Occupancy: 8
; WaveLimiterHint : 0
; COMPUTE_PGM_RSRC2:SCRATCH_EN: 0
; COMPUTE_PGM_RSRC2:USER_SGPR: 6
; COMPUTE_PGM_RSRC2:TRAP_HANDLER: 0
; COMPUTE_PGM_RSRC2:TGID_X_EN: 1
; COMPUTE_PGM_RSRC2:TGID_Y_EN: 0
; COMPUTE_PGM_RSRC2:TGID_Z_EN: 0
; COMPUTE_PGM_RSRC2:TIDIG_COMP_CNT: 0
; COMPUTE_PGM_RSRC3_GFX90A:ACCUM_OFFSET: 0
; COMPUTE_PGM_RSRC3_GFX90A:TG_SPLIT: 0
	.section	.text._ZN7rocprim17ROCPRIM_400000_NS6detail17trampoline_kernelINS0_14default_configENS1_20scan_config_selectorIN3c108BFloat16EEEZZNS1_9scan_implILNS1_25lookback_scan_determinismE0ELb0ELb0ES3_PKS6_PS6_S6_ZZZN2at6native31launch_logcumsumexp_cuda_kernelERKNSD_10TensorBaseESH_lENKUlvE_clEvENKUlvE4_clEvEUlS6_S6_E_S6_EEDaPvRmT3_T4_T5_mT6_P12ihipStream_tbENKUlT_T0_E_clISt17integral_constantIbLb1EESY_EEDaST_SU_EUlST_E0_NS1_11comp_targetILNS1_3genE10ELNS1_11target_archE1200ELNS1_3gpuE4ELNS1_3repE0EEENS1_30default_config_static_selectorELNS0_4arch9wavefront6targetE1EEEvT1_,"axG",@progbits,_ZN7rocprim17ROCPRIM_400000_NS6detail17trampoline_kernelINS0_14default_configENS1_20scan_config_selectorIN3c108BFloat16EEEZZNS1_9scan_implILNS1_25lookback_scan_determinismE0ELb0ELb0ES3_PKS6_PS6_S6_ZZZN2at6native31launch_logcumsumexp_cuda_kernelERKNSD_10TensorBaseESH_lENKUlvE_clEvENKUlvE4_clEvEUlS6_S6_E_S6_EEDaPvRmT3_T4_T5_mT6_P12ihipStream_tbENKUlT_T0_E_clISt17integral_constantIbLb1EESY_EEDaST_SU_EUlST_E0_NS1_11comp_targetILNS1_3genE10ELNS1_11target_archE1200ELNS1_3gpuE4ELNS1_3repE0EEENS1_30default_config_static_selectorELNS0_4arch9wavefront6targetE1EEEvT1_,comdat
	.globl	_ZN7rocprim17ROCPRIM_400000_NS6detail17trampoline_kernelINS0_14default_configENS1_20scan_config_selectorIN3c108BFloat16EEEZZNS1_9scan_implILNS1_25lookback_scan_determinismE0ELb0ELb0ES3_PKS6_PS6_S6_ZZZN2at6native31launch_logcumsumexp_cuda_kernelERKNSD_10TensorBaseESH_lENKUlvE_clEvENKUlvE4_clEvEUlS6_S6_E_S6_EEDaPvRmT3_T4_T5_mT6_P12ihipStream_tbENKUlT_T0_E_clISt17integral_constantIbLb1EESY_EEDaST_SU_EUlST_E0_NS1_11comp_targetILNS1_3genE10ELNS1_11target_archE1200ELNS1_3gpuE4ELNS1_3repE0EEENS1_30default_config_static_selectorELNS0_4arch9wavefront6targetE1EEEvT1_ ; -- Begin function _ZN7rocprim17ROCPRIM_400000_NS6detail17trampoline_kernelINS0_14default_configENS1_20scan_config_selectorIN3c108BFloat16EEEZZNS1_9scan_implILNS1_25lookback_scan_determinismE0ELb0ELb0ES3_PKS6_PS6_S6_ZZZN2at6native31launch_logcumsumexp_cuda_kernelERKNSD_10TensorBaseESH_lENKUlvE_clEvENKUlvE4_clEvEUlS6_S6_E_S6_EEDaPvRmT3_T4_T5_mT6_P12ihipStream_tbENKUlT_T0_E_clISt17integral_constantIbLb1EESY_EEDaST_SU_EUlST_E0_NS1_11comp_targetILNS1_3genE10ELNS1_11target_archE1200ELNS1_3gpuE4ELNS1_3repE0EEENS1_30default_config_static_selectorELNS0_4arch9wavefront6targetE1EEEvT1_
	.p2align	8
	.type	_ZN7rocprim17ROCPRIM_400000_NS6detail17trampoline_kernelINS0_14default_configENS1_20scan_config_selectorIN3c108BFloat16EEEZZNS1_9scan_implILNS1_25lookback_scan_determinismE0ELb0ELb0ES3_PKS6_PS6_S6_ZZZN2at6native31launch_logcumsumexp_cuda_kernelERKNSD_10TensorBaseESH_lENKUlvE_clEvENKUlvE4_clEvEUlS6_S6_E_S6_EEDaPvRmT3_T4_T5_mT6_P12ihipStream_tbENKUlT_T0_E_clISt17integral_constantIbLb1EESY_EEDaST_SU_EUlST_E0_NS1_11comp_targetILNS1_3genE10ELNS1_11target_archE1200ELNS1_3gpuE4ELNS1_3repE0EEENS1_30default_config_static_selectorELNS0_4arch9wavefront6targetE1EEEvT1_,@function
_ZN7rocprim17ROCPRIM_400000_NS6detail17trampoline_kernelINS0_14default_configENS1_20scan_config_selectorIN3c108BFloat16EEEZZNS1_9scan_implILNS1_25lookback_scan_determinismE0ELb0ELb0ES3_PKS6_PS6_S6_ZZZN2at6native31launch_logcumsumexp_cuda_kernelERKNSD_10TensorBaseESH_lENKUlvE_clEvENKUlvE4_clEvEUlS6_S6_E_S6_EEDaPvRmT3_T4_T5_mT6_P12ihipStream_tbENKUlT_T0_E_clISt17integral_constantIbLb1EESY_EEDaST_SU_EUlST_E0_NS1_11comp_targetILNS1_3genE10ELNS1_11target_archE1200ELNS1_3gpuE4ELNS1_3repE0EEENS1_30default_config_static_selectorELNS0_4arch9wavefront6targetE1EEEvT1_: ; @_ZN7rocprim17ROCPRIM_400000_NS6detail17trampoline_kernelINS0_14default_configENS1_20scan_config_selectorIN3c108BFloat16EEEZZNS1_9scan_implILNS1_25lookback_scan_determinismE0ELb0ELb0ES3_PKS6_PS6_S6_ZZZN2at6native31launch_logcumsumexp_cuda_kernelERKNSD_10TensorBaseESH_lENKUlvE_clEvENKUlvE4_clEvEUlS6_S6_E_S6_EEDaPvRmT3_T4_T5_mT6_P12ihipStream_tbENKUlT_T0_E_clISt17integral_constantIbLb1EESY_EEDaST_SU_EUlST_E0_NS1_11comp_targetILNS1_3genE10ELNS1_11target_archE1200ELNS1_3gpuE4ELNS1_3repE0EEENS1_30default_config_static_selectorELNS0_4arch9wavefront6targetE1EEEvT1_
; %bb.0:
	.section	.rodata,"a",@progbits
	.p2align	6, 0x0
	.amdhsa_kernel _ZN7rocprim17ROCPRIM_400000_NS6detail17trampoline_kernelINS0_14default_configENS1_20scan_config_selectorIN3c108BFloat16EEEZZNS1_9scan_implILNS1_25lookback_scan_determinismE0ELb0ELb0ES3_PKS6_PS6_S6_ZZZN2at6native31launch_logcumsumexp_cuda_kernelERKNSD_10TensorBaseESH_lENKUlvE_clEvENKUlvE4_clEvEUlS6_S6_E_S6_EEDaPvRmT3_T4_T5_mT6_P12ihipStream_tbENKUlT_T0_E_clISt17integral_constantIbLb1EESY_EEDaST_SU_EUlST_E0_NS1_11comp_targetILNS1_3genE10ELNS1_11target_archE1200ELNS1_3gpuE4ELNS1_3repE0EEENS1_30default_config_static_selectorELNS0_4arch9wavefront6targetE1EEEvT1_
		.amdhsa_group_segment_fixed_size 0
		.amdhsa_private_segment_fixed_size 0
		.amdhsa_kernarg_size 32
		.amdhsa_user_sgpr_count 6
		.amdhsa_user_sgpr_private_segment_buffer 1
		.amdhsa_user_sgpr_dispatch_ptr 0
		.amdhsa_user_sgpr_queue_ptr 0
		.amdhsa_user_sgpr_kernarg_segment_ptr 1
		.amdhsa_user_sgpr_dispatch_id 0
		.amdhsa_user_sgpr_flat_scratch_init 0
		.amdhsa_user_sgpr_kernarg_preload_length 0
		.amdhsa_user_sgpr_kernarg_preload_offset 0
		.amdhsa_user_sgpr_private_segment_size 0
		.amdhsa_uses_dynamic_stack 0
		.amdhsa_system_sgpr_private_segment_wavefront_offset 0
		.amdhsa_system_sgpr_workgroup_id_x 1
		.amdhsa_system_sgpr_workgroup_id_y 0
		.amdhsa_system_sgpr_workgroup_id_z 0
		.amdhsa_system_sgpr_workgroup_info 0
		.amdhsa_system_vgpr_workitem_id 0
		.amdhsa_next_free_vgpr 1
		.amdhsa_next_free_sgpr 0
		.amdhsa_accum_offset 4
		.amdhsa_reserve_vcc 0
		.amdhsa_reserve_flat_scratch 0
		.amdhsa_float_round_mode_32 0
		.amdhsa_float_round_mode_16_64 0
		.amdhsa_float_denorm_mode_32 3
		.amdhsa_float_denorm_mode_16_64 3
		.amdhsa_dx10_clamp 1
		.amdhsa_ieee_mode 1
		.amdhsa_fp16_overflow 0
		.amdhsa_tg_split 0
		.amdhsa_exception_fp_ieee_invalid_op 0
		.amdhsa_exception_fp_denorm_src 0
		.amdhsa_exception_fp_ieee_div_zero 0
		.amdhsa_exception_fp_ieee_overflow 0
		.amdhsa_exception_fp_ieee_underflow 0
		.amdhsa_exception_fp_ieee_inexact 0
		.amdhsa_exception_int_div_zero 0
	.end_amdhsa_kernel
	.section	.text._ZN7rocprim17ROCPRIM_400000_NS6detail17trampoline_kernelINS0_14default_configENS1_20scan_config_selectorIN3c108BFloat16EEEZZNS1_9scan_implILNS1_25lookback_scan_determinismE0ELb0ELb0ES3_PKS6_PS6_S6_ZZZN2at6native31launch_logcumsumexp_cuda_kernelERKNSD_10TensorBaseESH_lENKUlvE_clEvENKUlvE4_clEvEUlS6_S6_E_S6_EEDaPvRmT3_T4_T5_mT6_P12ihipStream_tbENKUlT_T0_E_clISt17integral_constantIbLb1EESY_EEDaST_SU_EUlST_E0_NS1_11comp_targetILNS1_3genE10ELNS1_11target_archE1200ELNS1_3gpuE4ELNS1_3repE0EEENS1_30default_config_static_selectorELNS0_4arch9wavefront6targetE1EEEvT1_,"axG",@progbits,_ZN7rocprim17ROCPRIM_400000_NS6detail17trampoline_kernelINS0_14default_configENS1_20scan_config_selectorIN3c108BFloat16EEEZZNS1_9scan_implILNS1_25lookback_scan_determinismE0ELb0ELb0ES3_PKS6_PS6_S6_ZZZN2at6native31launch_logcumsumexp_cuda_kernelERKNSD_10TensorBaseESH_lENKUlvE_clEvENKUlvE4_clEvEUlS6_S6_E_S6_EEDaPvRmT3_T4_T5_mT6_P12ihipStream_tbENKUlT_T0_E_clISt17integral_constantIbLb1EESY_EEDaST_SU_EUlST_E0_NS1_11comp_targetILNS1_3genE10ELNS1_11target_archE1200ELNS1_3gpuE4ELNS1_3repE0EEENS1_30default_config_static_selectorELNS0_4arch9wavefront6targetE1EEEvT1_,comdat
.Lfunc_end486:
	.size	_ZN7rocprim17ROCPRIM_400000_NS6detail17trampoline_kernelINS0_14default_configENS1_20scan_config_selectorIN3c108BFloat16EEEZZNS1_9scan_implILNS1_25lookback_scan_determinismE0ELb0ELb0ES3_PKS6_PS6_S6_ZZZN2at6native31launch_logcumsumexp_cuda_kernelERKNSD_10TensorBaseESH_lENKUlvE_clEvENKUlvE4_clEvEUlS6_S6_E_S6_EEDaPvRmT3_T4_T5_mT6_P12ihipStream_tbENKUlT_T0_E_clISt17integral_constantIbLb1EESY_EEDaST_SU_EUlST_E0_NS1_11comp_targetILNS1_3genE10ELNS1_11target_archE1200ELNS1_3gpuE4ELNS1_3repE0EEENS1_30default_config_static_selectorELNS0_4arch9wavefront6targetE1EEEvT1_, .Lfunc_end486-_ZN7rocprim17ROCPRIM_400000_NS6detail17trampoline_kernelINS0_14default_configENS1_20scan_config_selectorIN3c108BFloat16EEEZZNS1_9scan_implILNS1_25lookback_scan_determinismE0ELb0ELb0ES3_PKS6_PS6_S6_ZZZN2at6native31launch_logcumsumexp_cuda_kernelERKNSD_10TensorBaseESH_lENKUlvE_clEvENKUlvE4_clEvEUlS6_S6_E_S6_EEDaPvRmT3_T4_T5_mT6_P12ihipStream_tbENKUlT_T0_E_clISt17integral_constantIbLb1EESY_EEDaST_SU_EUlST_E0_NS1_11comp_targetILNS1_3genE10ELNS1_11target_archE1200ELNS1_3gpuE4ELNS1_3repE0EEENS1_30default_config_static_selectorELNS0_4arch9wavefront6targetE1EEEvT1_
                                        ; -- End function
	.section	.AMDGPU.csdata,"",@progbits
; Kernel info:
; codeLenInByte = 0
; NumSgprs: 4
; NumVgprs: 0
; NumAgprs: 0
; TotalNumVgprs: 0
; ScratchSize: 0
; MemoryBound: 0
; FloatMode: 240
; IeeeMode: 1
; LDSByteSize: 0 bytes/workgroup (compile time only)
; SGPRBlocks: 0
; VGPRBlocks: 0
; NumSGPRsForWavesPerEU: 4
; NumVGPRsForWavesPerEU: 1
; AccumOffset: 4
; Occupancy: 8
; WaveLimiterHint : 0
; COMPUTE_PGM_RSRC2:SCRATCH_EN: 0
; COMPUTE_PGM_RSRC2:USER_SGPR: 6
; COMPUTE_PGM_RSRC2:TRAP_HANDLER: 0
; COMPUTE_PGM_RSRC2:TGID_X_EN: 1
; COMPUTE_PGM_RSRC2:TGID_Y_EN: 0
; COMPUTE_PGM_RSRC2:TGID_Z_EN: 0
; COMPUTE_PGM_RSRC2:TIDIG_COMP_CNT: 0
; COMPUTE_PGM_RSRC3_GFX90A:ACCUM_OFFSET: 0
; COMPUTE_PGM_RSRC3_GFX90A:TG_SPLIT: 0
	.section	.text._ZN7rocprim17ROCPRIM_400000_NS6detail17trampoline_kernelINS0_14default_configENS1_20scan_config_selectorIN3c108BFloat16EEEZZNS1_9scan_implILNS1_25lookback_scan_determinismE0ELb0ELb0ES3_PKS6_PS6_S6_ZZZN2at6native31launch_logcumsumexp_cuda_kernelERKNSD_10TensorBaseESH_lENKUlvE_clEvENKUlvE4_clEvEUlS6_S6_E_S6_EEDaPvRmT3_T4_T5_mT6_P12ihipStream_tbENKUlT_T0_E_clISt17integral_constantIbLb1EESY_EEDaST_SU_EUlST_E0_NS1_11comp_targetILNS1_3genE9ELNS1_11target_archE1100ELNS1_3gpuE3ELNS1_3repE0EEENS1_30default_config_static_selectorELNS0_4arch9wavefront6targetE1EEEvT1_,"axG",@progbits,_ZN7rocprim17ROCPRIM_400000_NS6detail17trampoline_kernelINS0_14default_configENS1_20scan_config_selectorIN3c108BFloat16EEEZZNS1_9scan_implILNS1_25lookback_scan_determinismE0ELb0ELb0ES3_PKS6_PS6_S6_ZZZN2at6native31launch_logcumsumexp_cuda_kernelERKNSD_10TensorBaseESH_lENKUlvE_clEvENKUlvE4_clEvEUlS6_S6_E_S6_EEDaPvRmT3_T4_T5_mT6_P12ihipStream_tbENKUlT_T0_E_clISt17integral_constantIbLb1EESY_EEDaST_SU_EUlST_E0_NS1_11comp_targetILNS1_3genE9ELNS1_11target_archE1100ELNS1_3gpuE3ELNS1_3repE0EEENS1_30default_config_static_selectorELNS0_4arch9wavefront6targetE1EEEvT1_,comdat
	.globl	_ZN7rocprim17ROCPRIM_400000_NS6detail17trampoline_kernelINS0_14default_configENS1_20scan_config_selectorIN3c108BFloat16EEEZZNS1_9scan_implILNS1_25lookback_scan_determinismE0ELb0ELb0ES3_PKS6_PS6_S6_ZZZN2at6native31launch_logcumsumexp_cuda_kernelERKNSD_10TensorBaseESH_lENKUlvE_clEvENKUlvE4_clEvEUlS6_S6_E_S6_EEDaPvRmT3_T4_T5_mT6_P12ihipStream_tbENKUlT_T0_E_clISt17integral_constantIbLb1EESY_EEDaST_SU_EUlST_E0_NS1_11comp_targetILNS1_3genE9ELNS1_11target_archE1100ELNS1_3gpuE3ELNS1_3repE0EEENS1_30default_config_static_selectorELNS0_4arch9wavefront6targetE1EEEvT1_ ; -- Begin function _ZN7rocprim17ROCPRIM_400000_NS6detail17trampoline_kernelINS0_14default_configENS1_20scan_config_selectorIN3c108BFloat16EEEZZNS1_9scan_implILNS1_25lookback_scan_determinismE0ELb0ELb0ES3_PKS6_PS6_S6_ZZZN2at6native31launch_logcumsumexp_cuda_kernelERKNSD_10TensorBaseESH_lENKUlvE_clEvENKUlvE4_clEvEUlS6_S6_E_S6_EEDaPvRmT3_T4_T5_mT6_P12ihipStream_tbENKUlT_T0_E_clISt17integral_constantIbLb1EESY_EEDaST_SU_EUlST_E0_NS1_11comp_targetILNS1_3genE9ELNS1_11target_archE1100ELNS1_3gpuE3ELNS1_3repE0EEENS1_30default_config_static_selectorELNS0_4arch9wavefront6targetE1EEEvT1_
	.p2align	8
	.type	_ZN7rocprim17ROCPRIM_400000_NS6detail17trampoline_kernelINS0_14default_configENS1_20scan_config_selectorIN3c108BFloat16EEEZZNS1_9scan_implILNS1_25lookback_scan_determinismE0ELb0ELb0ES3_PKS6_PS6_S6_ZZZN2at6native31launch_logcumsumexp_cuda_kernelERKNSD_10TensorBaseESH_lENKUlvE_clEvENKUlvE4_clEvEUlS6_S6_E_S6_EEDaPvRmT3_T4_T5_mT6_P12ihipStream_tbENKUlT_T0_E_clISt17integral_constantIbLb1EESY_EEDaST_SU_EUlST_E0_NS1_11comp_targetILNS1_3genE9ELNS1_11target_archE1100ELNS1_3gpuE3ELNS1_3repE0EEENS1_30default_config_static_selectorELNS0_4arch9wavefront6targetE1EEEvT1_,@function
_ZN7rocprim17ROCPRIM_400000_NS6detail17trampoline_kernelINS0_14default_configENS1_20scan_config_selectorIN3c108BFloat16EEEZZNS1_9scan_implILNS1_25lookback_scan_determinismE0ELb0ELb0ES3_PKS6_PS6_S6_ZZZN2at6native31launch_logcumsumexp_cuda_kernelERKNSD_10TensorBaseESH_lENKUlvE_clEvENKUlvE4_clEvEUlS6_S6_E_S6_EEDaPvRmT3_T4_T5_mT6_P12ihipStream_tbENKUlT_T0_E_clISt17integral_constantIbLb1EESY_EEDaST_SU_EUlST_E0_NS1_11comp_targetILNS1_3genE9ELNS1_11target_archE1100ELNS1_3gpuE3ELNS1_3repE0EEENS1_30default_config_static_selectorELNS0_4arch9wavefront6targetE1EEEvT1_: ; @_ZN7rocprim17ROCPRIM_400000_NS6detail17trampoline_kernelINS0_14default_configENS1_20scan_config_selectorIN3c108BFloat16EEEZZNS1_9scan_implILNS1_25lookback_scan_determinismE0ELb0ELb0ES3_PKS6_PS6_S6_ZZZN2at6native31launch_logcumsumexp_cuda_kernelERKNSD_10TensorBaseESH_lENKUlvE_clEvENKUlvE4_clEvEUlS6_S6_E_S6_EEDaPvRmT3_T4_T5_mT6_P12ihipStream_tbENKUlT_T0_E_clISt17integral_constantIbLb1EESY_EEDaST_SU_EUlST_E0_NS1_11comp_targetILNS1_3genE9ELNS1_11target_archE1100ELNS1_3gpuE3ELNS1_3repE0EEENS1_30default_config_static_selectorELNS0_4arch9wavefront6targetE1EEEvT1_
; %bb.0:
	.section	.rodata,"a",@progbits
	.p2align	6, 0x0
	.amdhsa_kernel _ZN7rocprim17ROCPRIM_400000_NS6detail17trampoline_kernelINS0_14default_configENS1_20scan_config_selectorIN3c108BFloat16EEEZZNS1_9scan_implILNS1_25lookback_scan_determinismE0ELb0ELb0ES3_PKS6_PS6_S6_ZZZN2at6native31launch_logcumsumexp_cuda_kernelERKNSD_10TensorBaseESH_lENKUlvE_clEvENKUlvE4_clEvEUlS6_S6_E_S6_EEDaPvRmT3_T4_T5_mT6_P12ihipStream_tbENKUlT_T0_E_clISt17integral_constantIbLb1EESY_EEDaST_SU_EUlST_E0_NS1_11comp_targetILNS1_3genE9ELNS1_11target_archE1100ELNS1_3gpuE3ELNS1_3repE0EEENS1_30default_config_static_selectorELNS0_4arch9wavefront6targetE1EEEvT1_
		.amdhsa_group_segment_fixed_size 0
		.amdhsa_private_segment_fixed_size 0
		.amdhsa_kernarg_size 32
		.amdhsa_user_sgpr_count 6
		.amdhsa_user_sgpr_private_segment_buffer 1
		.amdhsa_user_sgpr_dispatch_ptr 0
		.amdhsa_user_sgpr_queue_ptr 0
		.amdhsa_user_sgpr_kernarg_segment_ptr 1
		.amdhsa_user_sgpr_dispatch_id 0
		.amdhsa_user_sgpr_flat_scratch_init 0
		.amdhsa_user_sgpr_kernarg_preload_length 0
		.amdhsa_user_sgpr_kernarg_preload_offset 0
		.amdhsa_user_sgpr_private_segment_size 0
		.amdhsa_uses_dynamic_stack 0
		.amdhsa_system_sgpr_private_segment_wavefront_offset 0
		.amdhsa_system_sgpr_workgroup_id_x 1
		.amdhsa_system_sgpr_workgroup_id_y 0
		.amdhsa_system_sgpr_workgroup_id_z 0
		.amdhsa_system_sgpr_workgroup_info 0
		.amdhsa_system_vgpr_workitem_id 0
		.amdhsa_next_free_vgpr 1
		.amdhsa_next_free_sgpr 0
		.amdhsa_accum_offset 4
		.amdhsa_reserve_vcc 0
		.amdhsa_reserve_flat_scratch 0
		.amdhsa_float_round_mode_32 0
		.amdhsa_float_round_mode_16_64 0
		.amdhsa_float_denorm_mode_32 3
		.amdhsa_float_denorm_mode_16_64 3
		.amdhsa_dx10_clamp 1
		.amdhsa_ieee_mode 1
		.amdhsa_fp16_overflow 0
		.amdhsa_tg_split 0
		.amdhsa_exception_fp_ieee_invalid_op 0
		.amdhsa_exception_fp_denorm_src 0
		.amdhsa_exception_fp_ieee_div_zero 0
		.amdhsa_exception_fp_ieee_overflow 0
		.amdhsa_exception_fp_ieee_underflow 0
		.amdhsa_exception_fp_ieee_inexact 0
		.amdhsa_exception_int_div_zero 0
	.end_amdhsa_kernel
	.section	.text._ZN7rocprim17ROCPRIM_400000_NS6detail17trampoline_kernelINS0_14default_configENS1_20scan_config_selectorIN3c108BFloat16EEEZZNS1_9scan_implILNS1_25lookback_scan_determinismE0ELb0ELb0ES3_PKS6_PS6_S6_ZZZN2at6native31launch_logcumsumexp_cuda_kernelERKNSD_10TensorBaseESH_lENKUlvE_clEvENKUlvE4_clEvEUlS6_S6_E_S6_EEDaPvRmT3_T4_T5_mT6_P12ihipStream_tbENKUlT_T0_E_clISt17integral_constantIbLb1EESY_EEDaST_SU_EUlST_E0_NS1_11comp_targetILNS1_3genE9ELNS1_11target_archE1100ELNS1_3gpuE3ELNS1_3repE0EEENS1_30default_config_static_selectorELNS0_4arch9wavefront6targetE1EEEvT1_,"axG",@progbits,_ZN7rocprim17ROCPRIM_400000_NS6detail17trampoline_kernelINS0_14default_configENS1_20scan_config_selectorIN3c108BFloat16EEEZZNS1_9scan_implILNS1_25lookback_scan_determinismE0ELb0ELb0ES3_PKS6_PS6_S6_ZZZN2at6native31launch_logcumsumexp_cuda_kernelERKNSD_10TensorBaseESH_lENKUlvE_clEvENKUlvE4_clEvEUlS6_S6_E_S6_EEDaPvRmT3_T4_T5_mT6_P12ihipStream_tbENKUlT_T0_E_clISt17integral_constantIbLb1EESY_EEDaST_SU_EUlST_E0_NS1_11comp_targetILNS1_3genE9ELNS1_11target_archE1100ELNS1_3gpuE3ELNS1_3repE0EEENS1_30default_config_static_selectorELNS0_4arch9wavefront6targetE1EEEvT1_,comdat
.Lfunc_end487:
	.size	_ZN7rocprim17ROCPRIM_400000_NS6detail17trampoline_kernelINS0_14default_configENS1_20scan_config_selectorIN3c108BFloat16EEEZZNS1_9scan_implILNS1_25lookback_scan_determinismE0ELb0ELb0ES3_PKS6_PS6_S6_ZZZN2at6native31launch_logcumsumexp_cuda_kernelERKNSD_10TensorBaseESH_lENKUlvE_clEvENKUlvE4_clEvEUlS6_S6_E_S6_EEDaPvRmT3_T4_T5_mT6_P12ihipStream_tbENKUlT_T0_E_clISt17integral_constantIbLb1EESY_EEDaST_SU_EUlST_E0_NS1_11comp_targetILNS1_3genE9ELNS1_11target_archE1100ELNS1_3gpuE3ELNS1_3repE0EEENS1_30default_config_static_selectorELNS0_4arch9wavefront6targetE1EEEvT1_, .Lfunc_end487-_ZN7rocprim17ROCPRIM_400000_NS6detail17trampoline_kernelINS0_14default_configENS1_20scan_config_selectorIN3c108BFloat16EEEZZNS1_9scan_implILNS1_25lookback_scan_determinismE0ELb0ELb0ES3_PKS6_PS6_S6_ZZZN2at6native31launch_logcumsumexp_cuda_kernelERKNSD_10TensorBaseESH_lENKUlvE_clEvENKUlvE4_clEvEUlS6_S6_E_S6_EEDaPvRmT3_T4_T5_mT6_P12ihipStream_tbENKUlT_T0_E_clISt17integral_constantIbLb1EESY_EEDaST_SU_EUlST_E0_NS1_11comp_targetILNS1_3genE9ELNS1_11target_archE1100ELNS1_3gpuE3ELNS1_3repE0EEENS1_30default_config_static_selectorELNS0_4arch9wavefront6targetE1EEEvT1_
                                        ; -- End function
	.section	.AMDGPU.csdata,"",@progbits
; Kernel info:
; codeLenInByte = 0
; NumSgprs: 4
; NumVgprs: 0
; NumAgprs: 0
; TotalNumVgprs: 0
; ScratchSize: 0
; MemoryBound: 0
; FloatMode: 240
; IeeeMode: 1
; LDSByteSize: 0 bytes/workgroup (compile time only)
; SGPRBlocks: 0
; VGPRBlocks: 0
; NumSGPRsForWavesPerEU: 4
; NumVGPRsForWavesPerEU: 1
; AccumOffset: 4
; Occupancy: 8
; WaveLimiterHint : 0
; COMPUTE_PGM_RSRC2:SCRATCH_EN: 0
; COMPUTE_PGM_RSRC2:USER_SGPR: 6
; COMPUTE_PGM_RSRC2:TRAP_HANDLER: 0
; COMPUTE_PGM_RSRC2:TGID_X_EN: 1
; COMPUTE_PGM_RSRC2:TGID_Y_EN: 0
; COMPUTE_PGM_RSRC2:TGID_Z_EN: 0
; COMPUTE_PGM_RSRC2:TIDIG_COMP_CNT: 0
; COMPUTE_PGM_RSRC3_GFX90A:ACCUM_OFFSET: 0
; COMPUTE_PGM_RSRC3_GFX90A:TG_SPLIT: 0
	.section	.text._ZN7rocprim17ROCPRIM_400000_NS6detail17trampoline_kernelINS0_14default_configENS1_20scan_config_selectorIN3c108BFloat16EEEZZNS1_9scan_implILNS1_25lookback_scan_determinismE0ELb0ELb0ES3_PKS6_PS6_S6_ZZZN2at6native31launch_logcumsumexp_cuda_kernelERKNSD_10TensorBaseESH_lENKUlvE_clEvENKUlvE4_clEvEUlS6_S6_E_S6_EEDaPvRmT3_T4_T5_mT6_P12ihipStream_tbENKUlT_T0_E_clISt17integral_constantIbLb1EESY_EEDaST_SU_EUlST_E0_NS1_11comp_targetILNS1_3genE8ELNS1_11target_archE1030ELNS1_3gpuE2ELNS1_3repE0EEENS1_30default_config_static_selectorELNS0_4arch9wavefront6targetE1EEEvT1_,"axG",@progbits,_ZN7rocprim17ROCPRIM_400000_NS6detail17trampoline_kernelINS0_14default_configENS1_20scan_config_selectorIN3c108BFloat16EEEZZNS1_9scan_implILNS1_25lookback_scan_determinismE0ELb0ELb0ES3_PKS6_PS6_S6_ZZZN2at6native31launch_logcumsumexp_cuda_kernelERKNSD_10TensorBaseESH_lENKUlvE_clEvENKUlvE4_clEvEUlS6_S6_E_S6_EEDaPvRmT3_T4_T5_mT6_P12ihipStream_tbENKUlT_T0_E_clISt17integral_constantIbLb1EESY_EEDaST_SU_EUlST_E0_NS1_11comp_targetILNS1_3genE8ELNS1_11target_archE1030ELNS1_3gpuE2ELNS1_3repE0EEENS1_30default_config_static_selectorELNS0_4arch9wavefront6targetE1EEEvT1_,comdat
	.globl	_ZN7rocprim17ROCPRIM_400000_NS6detail17trampoline_kernelINS0_14default_configENS1_20scan_config_selectorIN3c108BFloat16EEEZZNS1_9scan_implILNS1_25lookback_scan_determinismE0ELb0ELb0ES3_PKS6_PS6_S6_ZZZN2at6native31launch_logcumsumexp_cuda_kernelERKNSD_10TensorBaseESH_lENKUlvE_clEvENKUlvE4_clEvEUlS6_S6_E_S6_EEDaPvRmT3_T4_T5_mT6_P12ihipStream_tbENKUlT_T0_E_clISt17integral_constantIbLb1EESY_EEDaST_SU_EUlST_E0_NS1_11comp_targetILNS1_3genE8ELNS1_11target_archE1030ELNS1_3gpuE2ELNS1_3repE0EEENS1_30default_config_static_selectorELNS0_4arch9wavefront6targetE1EEEvT1_ ; -- Begin function _ZN7rocprim17ROCPRIM_400000_NS6detail17trampoline_kernelINS0_14default_configENS1_20scan_config_selectorIN3c108BFloat16EEEZZNS1_9scan_implILNS1_25lookback_scan_determinismE0ELb0ELb0ES3_PKS6_PS6_S6_ZZZN2at6native31launch_logcumsumexp_cuda_kernelERKNSD_10TensorBaseESH_lENKUlvE_clEvENKUlvE4_clEvEUlS6_S6_E_S6_EEDaPvRmT3_T4_T5_mT6_P12ihipStream_tbENKUlT_T0_E_clISt17integral_constantIbLb1EESY_EEDaST_SU_EUlST_E0_NS1_11comp_targetILNS1_3genE8ELNS1_11target_archE1030ELNS1_3gpuE2ELNS1_3repE0EEENS1_30default_config_static_selectorELNS0_4arch9wavefront6targetE1EEEvT1_
	.p2align	8
	.type	_ZN7rocprim17ROCPRIM_400000_NS6detail17trampoline_kernelINS0_14default_configENS1_20scan_config_selectorIN3c108BFloat16EEEZZNS1_9scan_implILNS1_25lookback_scan_determinismE0ELb0ELb0ES3_PKS6_PS6_S6_ZZZN2at6native31launch_logcumsumexp_cuda_kernelERKNSD_10TensorBaseESH_lENKUlvE_clEvENKUlvE4_clEvEUlS6_S6_E_S6_EEDaPvRmT3_T4_T5_mT6_P12ihipStream_tbENKUlT_T0_E_clISt17integral_constantIbLb1EESY_EEDaST_SU_EUlST_E0_NS1_11comp_targetILNS1_3genE8ELNS1_11target_archE1030ELNS1_3gpuE2ELNS1_3repE0EEENS1_30default_config_static_selectorELNS0_4arch9wavefront6targetE1EEEvT1_,@function
_ZN7rocprim17ROCPRIM_400000_NS6detail17trampoline_kernelINS0_14default_configENS1_20scan_config_selectorIN3c108BFloat16EEEZZNS1_9scan_implILNS1_25lookback_scan_determinismE0ELb0ELb0ES3_PKS6_PS6_S6_ZZZN2at6native31launch_logcumsumexp_cuda_kernelERKNSD_10TensorBaseESH_lENKUlvE_clEvENKUlvE4_clEvEUlS6_S6_E_S6_EEDaPvRmT3_T4_T5_mT6_P12ihipStream_tbENKUlT_T0_E_clISt17integral_constantIbLb1EESY_EEDaST_SU_EUlST_E0_NS1_11comp_targetILNS1_3genE8ELNS1_11target_archE1030ELNS1_3gpuE2ELNS1_3repE0EEENS1_30default_config_static_selectorELNS0_4arch9wavefront6targetE1EEEvT1_: ; @_ZN7rocprim17ROCPRIM_400000_NS6detail17trampoline_kernelINS0_14default_configENS1_20scan_config_selectorIN3c108BFloat16EEEZZNS1_9scan_implILNS1_25lookback_scan_determinismE0ELb0ELb0ES3_PKS6_PS6_S6_ZZZN2at6native31launch_logcumsumexp_cuda_kernelERKNSD_10TensorBaseESH_lENKUlvE_clEvENKUlvE4_clEvEUlS6_S6_E_S6_EEDaPvRmT3_T4_T5_mT6_P12ihipStream_tbENKUlT_T0_E_clISt17integral_constantIbLb1EESY_EEDaST_SU_EUlST_E0_NS1_11comp_targetILNS1_3genE8ELNS1_11target_archE1030ELNS1_3gpuE2ELNS1_3repE0EEENS1_30default_config_static_selectorELNS0_4arch9wavefront6targetE1EEEvT1_
; %bb.0:
	.section	.rodata,"a",@progbits
	.p2align	6, 0x0
	.amdhsa_kernel _ZN7rocprim17ROCPRIM_400000_NS6detail17trampoline_kernelINS0_14default_configENS1_20scan_config_selectorIN3c108BFloat16EEEZZNS1_9scan_implILNS1_25lookback_scan_determinismE0ELb0ELb0ES3_PKS6_PS6_S6_ZZZN2at6native31launch_logcumsumexp_cuda_kernelERKNSD_10TensorBaseESH_lENKUlvE_clEvENKUlvE4_clEvEUlS6_S6_E_S6_EEDaPvRmT3_T4_T5_mT6_P12ihipStream_tbENKUlT_T0_E_clISt17integral_constantIbLb1EESY_EEDaST_SU_EUlST_E0_NS1_11comp_targetILNS1_3genE8ELNS1_11target_archE1030ELNS1_3gpuE2ELNS1_3repE0EEENS1_30default_config_static_selectorELNS0_4arch9wavefront6targetE1EEEvT1_
		.amdhsa_group_segment_fixed_size 0
		.amdhsa_private_segment_fixed_size 0
		.amdhsa_kernarg_size 32
		.amdhsa_user_sgpr_count 6
		.amdhsa_user_sgpr_private_segment_buffer 1
		.amdhsa_user_sgpr_dispatch_ptr 0
		.amdhsa_user_sgpr_queue_ptr 0
		.amdhsa_user_sgpr_kernarg_segment_ptr 1
		.amdhsa_user_sgpr_dispatch_id 0
		.amdhsa_user_sgpr_flat_scratch_init 0
		.amdhsa_user_sgpr_kernarg_preload_length 0
		.amdhsa_user_sgpr_kernarg_preload_offset 0
		.amdhsa_user_sgpr_private_segment_size 0
		.amdhsa_uses_dynamic_stack 0
		.amdhsa_system_sgpr_private_segment_wavefront_offset 0
		.amdhsa_system_sgpr_workgroup_id_x 1
		.amdhsa_system_sgpr_workgroup_id_y 0
		.amdhsa_system_sgpr_workgroup_id_z 0
		.amdhsa_system_sgpr_workgroup_info 0
		.amdhsa_system_vgpr_workitem_id 0
		.amdhsa_next_free_vgpr 1
		.amdhsa_next_free_sgpr 0
		.amdhsa_accum_offset 4
		.amdhsa_reserve_vcc 0
		.amdhsa_reserve_flat_scratch 0
		.amdhsa_float_round_mode_32 0
		.amdhsa_float_round_mode_16_64 0
		.amdhsa_float_denorm_mode_32 3
		.amdhsa_float_denorm_mode_16_64 3
		.amdhsa_dx10_clamp 1
		.amdhsa_ieee_mode 1
		.amdhsa_fp16_overflow 0
		.amdhsa_tg_split 0
		.amdhsa_exception_fp_ieee_invalid_op 0
		.amdhsa_exception_fp_denorm_src 0
		.amdhsa_exception_fp_ieee_div_zero 0
		.amdhsa_exception_fp_ieee_overflow 0
		.amdhsa_exception_fp_ieee_underflow 0
		.amdhsa_exception_fp_ieee_inexact 0
		.amdhsa_exception_int_div_zero 0
	.end_amdhsa_kernel
	.section	.text._ZN7rocprim17ROCPRIM_400000_NS6detail17trampoline_kernelINS0_14default_configENS1_20scan_config_selectorIN3c108BFloat16EEEZZNS1_9scan_implILNS1_25lookback_scan_determinismE0ELb0ELb0ES3_PKS6_PS6_S6_ZZZN2at6native31launch_logcumsumexp_cuda_kernelERKNSD_10TensorBaseESH_lENKUlvE_clEvENKUlvE4_clEvEUlS6_S6_E_S6_EEDaPvRmT3_T4_T5_mT6_P12ihipStream_tbENKUlT_T0_E_clISt17integral_constantIbLb1EESY_EEDaST_SU_EUlST_E0_NS1_11comp_targetILNS1_3genE8ELNS1_11target_archE1030ELNS1_3gpuE2ELNS1_3repE0EEENS1_30default_config_static_selectorELNS0_4arch9wavefront6targetE1EEEvT1_,"axG",@progbits,_ZN7rocprim17ROCPRIM_400000_NS6detail17trampoline_kernelINS0_14default_configENS1_20scan_config_selectorIN3c108BFloat16EEEZZNS1_9scan_implILNS1_25lookback_scan_determinismE0ELb0ELb0ES3_PKS6_PS6_S6_ZZZN2at6native31launch_logcumsumexp_cuda_kernelERKNSD_10TensorBaseESH_lENKUlvE_clEvENKUlvE4_clEvEUlS6_S6_E_S6_EEDaPvRmT3_T4_T5_mT6_P12ihipStream_tbENKUlT_T0_E_clISt17integral_constantIbLb1EESY_EEDaST_SU_EUlST_E0_NS1_11comp_targetILNS1_3genE8ELNS1_11target_archE1030ELNS1_3gpuE2ELNS1_3repE0EEENS1_30default_config_static_selectorELNS0_4arch9wavefront6targetE1EEEvT1_,comdat
.Lfunc_end488:
	.size	_ZN7rocprim17ROCPRIM_400000_NS6detail17trampoline_kernelINS0_14default_configENS1_20scan_config_selectorIN3c108BFloat16EEEZZNS1_9scan_implILNS1_25lookback_scan_determinismE0ELb0ELb0ES3_PKS6_PS6_S6_ZZZN2at6native31launch_logcumsumexp_cuda_kernelERKNSD_10TensorBaseESH_lENKUlvE_clEvENKUlvE4_clEvEUlS6_S6_E_S6_EEDaPvRmT3_T4_T5_mT6_P12ihipStream_tbENKUlT_T0_E_clISt17integral_constantIbLb1EESY_EEDaST_SU_EUlST_E0_NS1_11comp_targetILNS1_3genE8ELNS1_11target_archE1030ELNS1_3gpuE2ELNS1_3repE0EEENS1_30default_config_static_selectorELNS0_4arch9wavefront6targetE1EEEvT1_, .Lfunc_end488-_ZN7rocprim17ROCPRIM_400000_NS6detail17trampoline_kernelINS0_14default_configENS1_20scan_config_selectorIN3c108BFloat16EEEZZNS1_9scan_implILNS1_25lookback_scan_determinismE0ELb0ELb0ES3_PKS6_PS6_S6_ZZZN2at6native31launch_logcumsumexp_cuda_kernelERKNSD_10TensorBaseESH_lENKUlvE_clEvENKUlvE4_clEvEUlS6_S6_E_S6_EEDaPvRmT3_T4_T5_mT6_P12ihipStream_tbENKUlT_T0_E_clISt17integral_constantIbLb1EESY_EEDaST_SU_EUlST_E0_NS1_11comp_targetILNS1_3genE8ELNS1_11target_archE1030ELNS1_3gpuE2ELNS1_3repE0EEENS1_30default_config_static_selectorELNS0_4arch9wavefront6targetE1EEEvT1_
                                        ; -- End function
	.section	.AMDGPU.csdata,"",@progbits
; Kernel info:
; codeLenInByte = 0
; NumSgprs: 4
; NumVgprs: 0
; NumAgprs: 0
; TotalNumVgprs: 0
; ScratchSize: 0
; MemoryBound: 0
; FloatMode: 240
; IeeeMode: 1
; LDSByteSize: 0 bytes/workgroup (compile time only)
; SGPRBlocks: 0
; VGPRBlocks: 0
; NumSGPRsForWavesPerEU: 4
; NumVGPRsForWavesPerEU: 1
; AccumOffset: 4
; Occupancy: 8
; WaveLimiterHint : 0
; COMPUTE_PGM_RSRC2:SCRATCH_EN: 0
; COMPUTE_PGM_RSRC2:USER_SGPR: 6
; COMPUTE_PGM_RSRC2:TRAP_HANDLER: 0
; COMPUTE_PGM_RSRC2:TGID_X_EN: 1
; COMPUTE_PGM_RSRC2:TGID_Y_EN: 0
; COMPUTE_PGM_RSRC2:TGID_Z_EN: 0
; COMPUTE_PGM_RSRC2:TIDIG_COMP_CNT: 0
; COMPUTE_PGM_RSRC3_GFX90A:ACCUM_OFFSET: 0
; COMPUTE_PGM_RSRC3_GFX90A:TG_SPLIT: 0
	.section	.text._ZN7rocprim17ROCPRIM_400000_NS6detail31init_lookback_scan_state_kernelINS1_19lookback_scan_stateIN3c108BFloat16ELb1ELb1EEENS1_16block_id_wrapperIjLb0EEEEEvT_jT0_jPNS9_10value_typeE,"axG",@progbits,_ZN7rocprim17ROCPRIM_400000_NS6detail31init_lookback_scan_state_kernelINS1_19lookback_scan_stateIN3c108BFloat16ELb1ELb1EEENS1_16block_id_wrapperIjLb0EEEEEvT_jT0_jPNS9_10value_typeE,comdat
	.protected	_ZN7rocprim17ROCPRIM_400000_NS6detail31init_lookback_scan_state_kernelINS1_19lookback_scan_stateIN3c108BFloat16ELb1ELb1EEENS1_16block_id_wrapperIjLb0EEEEEvT_jT0_jPNS9_10value_typeE ; -- Begin function _ZN7rocprim17ROCPRIM_400000_NS6detail31init_lookback_scan_state_kernelINS1_19lookback_scan_stateIN3c108BFloat16ELb1ELb1EEENS1_16block_id_wrapperIjLb0EEEEEvT_jT0_jPNS9_10value_typeE
	.globl	_ZN7rocprim17ROCPRIM_400000_NS6detail31init_lookback_scan_state_kernelINS1_19lookback_scan_stateIN3c108BFloat16ELb1ELb1EEENS1_16block_id_wrapperIjLb0EEEEEvT_jT0_jPNS9_10value_typeE
	.p2align	8
	.type	_ZN7rocprim17ROCPRIM_400000_NS6detail31init_lookback_scan_state_kernelINS1_19lookback_scan_stateIN3c108BFloat16ELb1ELb1EEENS1_16block_id_wrapperIjLb0EEEEEvT_jT0_jPNS9_10value_typeE,@function
_ZN7rocprim17ROCPRIM_400000_NS6detail31init_lookback_scan_state_kernelINS1_19lookback_scan_stateIN3c108BFloat16ELb1ELb1EEENS1_16block_id_wrapperIjLb0EEEEEvT_jT0_jPNS9_10value_typeE: ; @_ZN7rocprim17ROCPRIM_400000_NS6detail31init_lookback_scan_state_kernelINS1_19lookback_scan_stateIN3c108BFloat16ELb1ELb1EEENS1_16block_id_wrapperIjLb0EEEEEvT_jT0_jPNS9_10value_typeE
; %bb.0:
	s_load_dword s7, s[4:5], 0x2c
	s_load_dwordx2 s[2:3], s[4:5], 0x18
	s_load_dwordx2 s[0:1], s[4:5], 0x0
	s_load_dword s8, s[4:5], 0x8
	s_waitcnt lgkmcnt(0)
	s_and_b32 s7, s7, 0xffff
	s_mul_i32 s6, s6, s7
	s_cmp_eq_u64 s[2:3], 0
	v_add_u32_e32 v0, s6, v0
	s_cbranch_scc1 .LBB489_9
; %bb.1:
	s_load_dword s6, s[4:5], 0x10
	s_mov_b32 s7, 0
	s_waitcnt lgkmcnt(0)
	s_cmp_lt_u32 s6, s8
	s_cselect_b32 s4, s6, 0
	v_cmp_eq_u32_e32 vcc, s4, v0
	s_and_saveexec_b64 s[4:5], vcc
	s_cbranch_execz .LBB489_8
; %bb.2:
	s_add_i32 s6, s6, 64
	s_lshl_b64 s[6:7], s[6:7], 2
	s_add_u32 s6, s0, s6
	s_addc_u32 s7, s1, s7
	v_mov_b32_e32 v1, 0
	global_load_dword v2, v1, s[6:7] glc
	s_waitcnt vmcnt(0)
	v_and_b32_e32 v3, 0xff0000, v2
	v_cmp_ne_u32_e32 vcc, 0, v3
	s_cbranch_vccnz .LBB489_7
; %bb.3:
	s_mov_b32 s9, 1
.LBB489_4:                              ; =>This Loop Header: Depth=1
                                        ;     Child Loop BB489_5 Depth 2
	s_max_u32 s10, s9, 1
.LBB489_5:                              ;   Parent Loop BB489_4 Depth=1
                                        ; =>  This Inner Loop Header: Depth=2
	s_add_i32 s10, s10, -1
	s_cmp_eq_u32 s10, 0
	s_sleep 1
	s_cbranch_scc0 .LBB489_5
; %bb.6:                                ;   in Loop: Header=BB489_4 Depth=1
	global_load_dword v2, v1, s[6:7] glc
	s_cmp_lt_u32 s9, 32
	s_cselect_b64 s[10:11], -1, 0
	s_cmp_lg_u64 s[10:11], 0
	s_addc_u32 s9, s9, 0
	s_waitcnt vmcnt(0)
	v_and_b32_e32 v3, 0xff0000, v2
	v_cmp_ne_u32_e32 vcc, 0, v3
	s_cbranch_vccz .LBB489_4
.LBB489_7:
	v_mov_b32_e32 v1, 0
	global_store_short v1, v2, s[2:3]
.LBB489_8:
	s_or_b64 exec, exec, s[4:5]
.LBB489_9:
	v_cmp_gt_u32_e32 vcc, s8, v0
	s_and_saveexec_b64 s[2:3], vcc
	s_cbranch_execnz .LBB489_12
; %bb.10:
	s_or_b64 exec, exec, s[2:3]
	v_cmp_gt_u32_e32 vcc, 64, v0
	s_and_saveexec_b64 s[2:3], vcc
	s_cbranch_execnz .LBB489_13
.LBB489_11:
	s_endpgm
.LBB489_12:
	v_add_u32_e32 v2, 64, v0
	v_mov_b32_e32 v3, 0
	v_lshlrev_b64 v[4:5], 2, v[2:3]
	v_mov_b32_e32 v1, s1
	v_add_co_u32_e32 v4, vcc, s0, v4
	v_addc_co_u32_e32 v5, vcc, v1, v5, vcc
	global_store_dword v[4:5], v3, off
	s_or_b64 exec, exec, s[2:3]
	v_cmp_gt_u32_e32 vcc, 64, v0
	s_and_saveexec_b64 s[2:3], vcc
	s_cbranch_execz .LBB489_11
.LBB489_13:
	v_mov_b32_e32 v1, 0
	v_lshlrev_b64 v[0:1], 2, v[0:1]
	v_mov_b32_e32 v2, s1
	v_add_co_u32_e32 v0, vcc, s0, v0
	v_addc_co_u32_e32 v1, vcc, v2, v1, vcc
	v_mov_b32_e32 v2, 0xff0000
	global_store_dword v[0:1], v2, off
	s_endpgm
	.section	.rodata,"a",@progbits
	.p2align	6, 0x0
	.amdhsa_kernel _ZN7rocprim17ROCPRIM_400000_NS6detail31init_lookback_scan_state_kernelINS1_19lookback_scan_stateIN3c108BFloat16ELb1ELb1EEENS1_16block_id_wrapperIjLb0EEEEEvT_jT0_jPNS9_10value_typeE
		.amdhsa_group_segment_fixed_size 0
		.amdhsa_private_segment_fixed_size 0
		.amdhsa_kernarg_size 288
		.amdhsa_user_sgpr_count 6
		.amdhsa_user_sgpr_private_segment_buffer 1
		.amdhsa_user_sgpr_dispatch_ptr 0
		.amdhsa_user_sgpr_queue_ptr 0
		.amdhsa_user_sgpr_kernarg_segment_ptr 1
		.amdhsa_user_sgpr_dispatch_id 0
		.amdhsa_user_sgpr_flat_scratch_init 0
		.amdhsa_user_sgpr_kernarg_preload_length 0
		.amdhsa_user_sgpr_kernarg_preload_offset 0
		.amdhsa_user_sgpr_private_segment_size 0
		.amdhsa_uses_dynamic_stack 0
		.amdhsa_system_sgpr_private_segment_wavefront_offset 0
		.amdhsa_system_sgpr_workgroup_id_x 1
		.amdhsa_system_sgpr_workgroup_id_y 0
		.amdhsa_system_sgpr_workgroup_id_z 0
		.amdhsa_system_sgpr_workgroup_info 0
		.amdhsa_system_vgpr_workitem_id 0
		.amdhsa_next_free_vgpr 6
		.amdhsa_next_free_sgpr 12
		.amdhsa_accum_offset 8
		.amdhsa_reserve_vcc 1
		.amdhsa_reserve_flat_scratch 0
		.amdhsa_float_round_mode_32 0
		.amdhsa_float_round_mode_16_64 0
		.amdhsa_float_denorm_mode_32 3
		.amdhsa_float_denorm_mode_16_64 3
		.amdhsa_dx10_clamp 1
		.amdhsa_ieee_mode 1
		.amdhsa_fp16_overflow 0
		.amdhsa_tg_split 0
		.amdhsa_exception_fp_ieee_invalid_op 0
		.amdhsa_exception_fp_denorm_src 0
		.amdhsa_exception_fp_ieee_div_zero 0
		.amdhsa_exception_fp_ieee_overflow 0
		.amdhsa_exception_fp_ieee_underflow 0
		.amdhsa_exception_fp_ieee_inexact 0
		.amdhsa_exception_int_div_zero 0
	.end_amdhsa_kernel
	.section	.text._ZN7rocprim17ROCPRIM_400000_NS6detail31init_lookback_scan_state_kernelINS1_19lookback_scan_stateIN3c108BFloat16ELb1ELb1EEENS1_16block_id_wrapperIjLb0EEEEEvT_jT0_jPNS9_10value_typeE,"axG",@progbits,_ZN7rocprim17ROCPRIM_400000_NS6detail31init_lookback_scan_state_kernelINS1_19lookback_scan_stateIN3c108BFloat16ELb1ELb1EEENS1_16block_id_wrapperIjLb0EEEEEvT_jT0_jPNS9_10value_typeE,comdat
.Lfunc_end489:
	.size	_ZN7rocprim17ROCPRIM_400000_NS6detail31init_lookback_scan_state_kernelINS1_19lookback_scan_stateIN3c108BFloat16ELb1ELb1EEENS1_16block_id_wrapperIjLb0EEEEEvT_jT0_jPNS9_10value_typeE, .Lfunc_end489-_ZN7rocprim17ROCPRIM_400000_NS6detail31init_lookback_scan_state_kernelINS1_19lookback_scan_stateIN3c108BFloat16ELb1ELb1EEENS1_16block_id_wrapperIjLb0EEEEEvT_jT0_jPNS9_10value_typeE
                                        ; -- End function
	.section	.AMDGPU.csdata,"",@progbits
; Kernel info:
; codeLenInByte = 356
; NumSgprs: 16
; NumVgprs: 6
; NumAgprs: 0
; TotalNumVgprs: 6
; ScratchSize: 0
; MemoryBound: 0
; FloatMode: 240
; IeeeMode: 1
; LDSByteSize: 0 bytes/workgroup (compile time only)
; SGPRBlocks: 1
; VGPRBlocks: 0
; NumSGPRsForWavesPerEU: 16
; NumVGPRsForWavesPerEU: 6
; AccumOffset: 8
; Occupancy: 8
; WaveLimiterHint : 0
; COMPUTE_PGM_RSRC2:SCRATCH_EN: 0
; COMPUTE_PGM_RSRC2:USER_SGPR: 6
; COMPUTE_PGM_RSRC2:TRAP_HANDLER: 0
; COMPUTE_PGM_RSRC2:TGID_X_EN: 1
; COMPUTE_PGM_RSRC2:TGID_Y_EN: 0
; COMPUTE_PGM_RSRC2:TGID_Z_EN: 0
; COMPUTE_PGM_RSRC2:TIDIG_COMP_CNT: 0
; COMPUTE_PGM_RSRC3_GFX90A:ACCUM_OFFSET: 1
; COMPUTE_PGM_RSRC3_GFX90A:TG_SPLIT: 0
	.section	.text._ZN7rocprim17ROCPRIM_400000_NS6detail17trampoline_kernelINS0_14default_configENS1_20scan_config_selectorIN3c108BFloat16EEEZZNS1_9scan_implILNS1_25lookback_scan_determinismE0ELb0ELb0ES3_PKS6_PS6_S6_ZZZN2at6native31launch_logcumsumexp_cuda_kernelERKNSD_10TensorBaseESH_lENKUlvE_clEvENKUlvE4_clEvEUlS6_S6_E_S6_EEDaPvRmT3_T4_T5_mT6_P12ihipStream_tbENKUlT_T0_E_clISt17integral_constantIbLb1EESX_IbLb0EEEEDaST_SU_EUlST_E_NS1_11comp_targetILNS1_3genE0ELNS1_11target_archE4294967295ELNS1_3gpuE0ELNS1_3repE0EEENS1_30default_config_static_selectorELNS0_4arch9wavefront6targetE1EEEvT1_,"axG",@progbits,_ZN7rocprim17ROCPRIM_400000_NS6detail17trampoline_kernelINS0_14default_configENS1_20scan_config_selectorIN3c108BFloat16EEEZZNS1_9scan_implILNS1_25lookback_scan_determinismE0ELb0ELb0ES3_PKS6_PS6_S6_ZZZN2at6native31launch_logcumsumexp_cuda_kernelERKNSD_10TensorBaseESH_lENKUlvE_clEvENKUlvE4_clEvEUlS6_S6_E_S6_EEDaPvRmT3_T4_T5_mT6_P12ihipStream_tbENKUlT_T0_E_clISt17integral_constantIbLb1EESX_IbLb0EEEEDaST_SU_EUlST_E_NS1_11comp_targetILNS1_3genE0ELNS1_11target_archE4294967295ELNS1_3gpuE0ELNS1_3repE0EEENS1_30default_config_static_selectorELNS0_4arch9wavefront6targetE1EEEvT1_,comdat
	.globl	_ZN7rocprim17ROCPRIM_400000_NS6detail17trampoline_kernelINS0_14default_configENS1_20scan_config_selectorIN3c108BFloat16EEEZZNS1_9scan_implILNS1_25lookback_scan_determinismE0ELb0ELb0ES3_PKS6_PS6_S6_ZZZN2at6native31launch_logcumsumexp_cuda_kernelERKNSD_10TensorBaseESH_lENKUlvE_clEvENKUlvE4_clEvEUlS6_S6_E_S6_EEDaPvRmT3_T4_T5_mT6_P12ihipStream_tbENKUlT_T0_E_clISt17integral_constantIbLb1EESX_IbLb0EEEEDaST_SU_EUlST_E_NS1_11comp_targetILNS1_3genE0ELNS1_11target_archE4294967295ELNS1_3gpuE0ELNS1_3repE0EEENS1_30default_config_static_selectorELNS0_4arch9wavefront6targetE1EEEvT1_ ; -- Begin function _ZN7rocprim17ROCPRIM_400000_NS6detail17trampoline_kernelINS0_14default_configENS1_20scan_config_selectorIN3c108BFloat16EEEZZNS1_9scan_implILNS1_25lookback_scan_determinismE0ELb0ELb0ES3_PKS6_PS6_S6_ZZZN2at6native31launch_logcumsumexp_cuda_kernelERKNSD_10TensorBaseESH_lENKUlvE_clEvENKUlvE4_clEvEUlS6_S6_E_S6_EEDaPvRmT3_T4_T5_mT6_P12ihipStream_tbENKUlT_T0_E_clISt17integral_constantIbLb1EESX_IbLb0EEEEDaST_SU_EUlST_E_NS1_11comp_targetILNS1_3genE0ELNS1_11target_archE4294967295ELNS1_3gpuE0ELNS1_3repE0EEENS1_30default_config_static_selectorELNS0_4arch9wavefront6targetE1EEEvT1_
	.p2align	8
	.type	_ZN7rocprim17ROCPRIM_400000_NS6detail17trampoline_kernelINS0_14default_configENS1_20scan_config_selectorIN3c108BFloat16EEEZZNS1_9scan_implILNS1_25lookback_scan_determinismE0ELb0ELb0ES3_PKS6_PS6_S6_ZZZN2at6native31launch_logcumsumexp_cuda_kernelERKNSD_10TensorBaseESH_lENKUlvE_clEvENKUlvE4_clEvEUlS6_S6_E_S6_EEDaPvRmT3_T4_T5_mT6_P12ihipStream_tbENKUlT_T0_E_clISt17integral_constantIbLb1EESX_IbLb0EEEEDaST_SU_EUlST_E_NS1_11comp_targetILNS1_3genE0ELNS1_11target_archE4294967295ELNS1_3gpuE0ELNS1_3repE0EEENS1_30default_config_static_selectorELNS0_4arch9wavefront6targetE1EEEvT1_,@function
_ZN7rocprim17ROCPRIM_400000_NS6detail17trampoline_kernelINS0_14default_configENS1_20scan_config_selectorIN3c108BFloat16EEEZZNS1_9scan_implILNS1_25lookback_scan_determinismE0ELb0ELb0ES3_PKS6_PS6_S6_ZZZN2at6native31launch_logcumsumexp_cuda_kernelERKNSD_10TensorBaseESH_lENKUlvE_clEvENKUlvE4_clEvEUlS6_S6_E_S6_EEDaPvRmT3_T4_T5_mT6_P12ihipStream_tbENKUlT_T0_E_clISt17integral_constantIbLb1EESX_IbLb0EEEEDaST_SU_EUlST_E_NS1_11comp_targetILNS1_3genE0ELNS1_11target_archE4294967295ELNS1_3gpuE0ELNS1_3repE0EEENS1_30default_config_static_selectorELNS0_4arch9wavefront6targetE1EEEvT1_: ; @_ZN7rocprim17ROCPRIM_400000_NS6detail17trampoline_kernelINS0_14default_configENS1_20scan_config_selectorIN3c108BFloat16EEEZZNS1_9scan_implILNS1_25lookback_scan_determinismE0ELb0ELb0ES3_PKS6_PS6_S6_ZZZN2at6native31launch_logcumsumexp_cuda_kernelERKNSD_10TensorBaseESH_lENKUlvE_clEvENKUlvE4_clEvEUlS6_S6_E_S6_EEDaPvRmT3_T4_T5_mT6_P12ihipStream_tbENKUlT_T0_E_clISt17integral_constantIbLb1EESX_IbLb0EEEEDaST_SU_EUlST_E_NS1_11comp_targetILNS1_3genE0ELNS1_11target_archE4294967295ELNS1_3gpuE0ELNS1_3repE0EEENS1_30default_config_static_selectorELNS0_4arch9wavefront6targetE1EEEvT1_
; %bb.0:
	.section	.rodata,"a",@progbits
	.p2align	6, 0x0
	.amdhsa_kernel _ZN7rocprim17ROCPRIM_400000_NS6detail17trampoline_kernelINS0_14default_configENS1_20scan_config_selectorIN3c108BFloat16EEEZZNS1_9scan_implILNS1_25lookback_scan_determinismE0ELb0ELb0ES3_PKS6_PS6_S6_ZZZN2at6native31launch_logcumsumexp_cuda_kernelERKNSD_10TensorBaseESH_lENKUlvE_clEvENKUlvE4_clEvEUlS6_S6_E_S6_EEDaPvRmT3_T4_T5_mT6_P12ihipStream_tbENKUlT_T0_E_clISt17integral_constantIbLb1EESX_IbLb0EEEEDaST_SU_EUlST_E_NS1_11comp_targetILNS1_3genE0ELNS1_11target_archE4294967295ELNS1_3gpuE0ELNS1_3repE0EEENS1_30default_config_static_selectorELNS0_4arch9wavefront6targetE1EEEvT1_
		.amdhsa_group_segment_fixed_size 0
		.amdhsa_private_segment_fixed_size 0
		.amdhsa_kernarg_size 96
		.amdhsa_user_sgpr_count 6
		.amdhsa_user_sgpr_private_segment_buffer 1
		.amdhsa_user_sgpr_dispatch_ptr 0
		.amdhsa_user_sgpr_queue_ptr 0
		.amdhsa_user_sgpr_kernarg_segment_ptr 1
		.amdhsa_user_sgpr_dispatch_id 0
		.amdhsa_user_sgpr_flat_scratch_init 0
		.amdhsa_user_sgpr_kernarg_preload_length 0
		.amdhsa_user_sgpr_kernarg_preload_offset 0
		.amdhsa_user_sgpr_private_segment_size 0
		.amdhsa_uses_dynamic_stack 0
		.amdhsa_system_sgpr_private_segment_wavefront_offset 0
		.amdhsa_system_sgpr_workgroup_id_x 1
		.amdhsa_system_sgpr_workgroup_id_y 0
		.amdhsa_system_sgpr_workgroup_id_z 0
		.amdhsa_system_sgpr_workgroup_info 0
		.amdhsa_system_vgpr_workitem_id 0
		.amdhsa_next_free_vgpr 1
		.amdhsa_next_free_sgpr 0
		.amdhsa_accum_offset 4
		.amdhsa_reserve_vcc 0
		.amdhsa_reserve_flat_scratch 0
		.amdhsa_float_round_mode_32 0
		.amdhsa_float_round_mode_16_64 0
		.amdhsa_float_denorm_mode_32 3
		.amdhsa_float_denorm_mode_16_64 3
		.amdhsa_dx10_clamp 1
		.amdhsa_ieee_mode 1
		.amdhsa_fp16_overflow 0
		.amdhsa_tg_split 0
		.amdhsa_exception_fp_ieee_invalid_op 0
		.amdhsa_exception_fp_denorm_src 0
		.amdhsa_exception_fp_ieee_div_zero 0
		.amdhsa_exception_fp_ieee_overflow 0
		.amdhsa_exception_fp_ieee_underflow 0
		.amdhsa_exception_fp_ieee_inexact 0
		.amdhsa_exception_int_div_zero 0
	.end_amdhsa_kernel
	.section	.text._ZN7rocprim17ROCPRIM_400000_NS6detail17trampoline_kernelINS0_14default_configENS1_20scan_config_selectorIN3c108BFloat16EEEZZNS1_9scan_implILNS1_25lookback_scan_determinismE0ELb0ELb0ES3_PKS6_PS6_S6_ZZZN2at6native31launch_logcumsumexp_cuda_kernelERKNSD_10TensorBaseESH_lENKUlvE_clEvENKUlvE4_clEvEUlS6_S6_E_S6_EEDaPvRmT3_T4_T5_mT6_P12ihipStream_tbENKUlT_T0_E_clISt17integral_constantIbLb1EESX_IbLb0EEEEDaST_SU_EUlST_E_NS1_11comp_targetILNS1_3genE0ELNS1_11target_archE4294967295ELNS1_3gpuE0ELNS1_3repE0EEENS1_30default_config_static_selectorELNS0_4arch9wavefront6targetE1EEEvT1_,"axG",@progbits,_ZN7rocprim17ROCPRIM_400000_NS6detail17trampoline_kernelINS0_14default_configENS1_20scan_config_selectorIN3c108BFloat16EEEZZNS1_9scan_implILNS1_25lookback_scan_determinismE0ELb0ELb0ES3_PKS6_PS6_S6_ZZZN2at6native31launch_logcumsumexp_cuda_kernelERKNSD_10TensorBaseESH_lENKUlvE_clEvENKUlvE4_clEvEUlS6_S6_E_S6_EEDaPvRmT3_T4_T5_mT6_P12ihipStream_tbENKUlT_T0_E_clISt17integral_constantIbLb1EESX_IbLb0EEEEDaST_SU_EUlST_E_NS1_11comp_targetILNS1_3genE0ELNS1_11target_archE4294967295ELNS1_3gpuE0ELNS1_3repE0EEENS1_30default_config_static_selectorELNS0_4arch9wavefront6targetE1EEEvT1_,comdat
.Lfunc_end490:
	.size	_ZN7rocprim17ROCPRIM_400000_NS6detail17trampoline_kernelINS0_14default_configENS1_20scan_config_selectorIN3c108BFloat16EEEZZNS1_9scan_implILNS1_25lookback_scan_determinismE0ELb0ELb0ES3_PKS6_PS6_S6_ZZZN2at6native31launch_logcumsumexp_cuda_kernelERKNSD_10TensorBaseESH_lENKUlvE_clEvENKUlvE4_clEvEUlS6_S6_E_S6_EEDaPvRmT3_T4_T5_mT6_P12ihipStream_tbENKUlT_T0_E_clISt17integral_constantIbLb1EESX_IbLb0EEEEDaST_SU_EUlST_E_NS1_11comp_targetILNS1_3genE0ELNS1_11target_archE4294967295ELNS1_3gpuE0ELNS1_3repE0EEENS1_30default_config_static_selectorELNS0_4arch9wavefront6targetE1EEEvT1_, .Lfunc_end490-_ZN7rocprim17ROCPRIM_400000_NS6detail17trampoline_kernelINS0_14default_configENS1_20scan_config_selectorIN3c108BFloat16EEEZZNS1_9scan_implILNS1_25lookback_scan_determinismE0ELb0ELb0ES3_PKS6_PS6_S6_ZZZN2at6native31launch_logcumsumexp_cuda_kernelERKNSD_10TensorBaseESH_lENKUlvE_clEvENKUlvE4_clEvEUlS6_S6_E_S6_EEDaPvRmT3_T4_T5_mT6_P12ihipStream_tbENKUlT_T0_E_clISt17integral_constantIbLb1EESX_IbLb0EEEEDaST_SU_EUlST_E_NS1_11comp_targetILNS1_3genE0ELNS1_11target_archE4294967295ELNS1_3gpuE0ELNS1_3repE0EEENS1_30default_config_static_selectorELNS0_4arch9wavefront6targetE1EEEvT1_
                                        ; -- End function
	.section	.AMDGPU.csdata,"",@progbits
; Kernel info:
; codeLenInByte = 0
; NumSgprs: 4
; NumVgprs: 0
; NumAgprs: 0
; TotalNumVgprs: 0
; ScratchSize: 0
; MemoryBound: 0
; FloatMode: 240
; IeeeMode: 1
; LDSByteSize: 0 bytes/workgroup (compile time only)
; SGPRBlocks: 0
; VGPRBlocks: 0
; NumSGPRsForWavesPerEU: 4
; NumVGPRsForWavesPerEU: 1
; AccumOffset: 4
; Occupancy: 8
; WaveLimiterHint : 0
; COMPUTE_PGM_RSRC2:SCRATCH_EN: 0
; COMPUTE_PGM_RSRC2:USER_SGPR: 6
; COMPUTE_PGM_RSRC2:TRAP_HANDLER: 0
; COMPUTE_PGM_RSRC2:TGID_X_EN: 1
; COMPUTE_PGM_RSRC2:TGID_Y_EN: 0
; COMPUTE_PGM_RSRC2:TGID_Z_EN: 0
; COMPUTE_PGM_RSRC2:TIDIG_COMP_CNT: 0
; COMPUTE_PGM_RSRC3_GFX90A:ACCUM_OFFSET: 0
; COMPUTE_PGM_RSRC3_GFX90A:TG_SPLIT: 0
	.section	.text._ZN7rocprim17ROCPRIM_400000_NS6detail17trampoline_kernelINS0_14default_configENS1_20scan_config_selectorIN3c108BFloat16EEEZZNS1_9scan_implILNS1_25lookback_scan_determinismE0ELb0ELb0ES3_PKS6_PS6_S6_ZZZN2at6native31launch_logcumsumexp_cuda_kernelERKNSD_10TensorBaseESH_lENKUlvE_clEvENKUlvE4_clEvEUlS6_S6_E_S6_EEDaPvRmT3_T4_T5_mT6_P12ihipStream_tbENKUlT_T0_E_clISt17integral_constantIbLb1EESX_IbLb0EEEEDaST_SU_EUlST_E_NS1_11comp_targetILNS1_3genE5ELNS1_11target_archE942ELNS1_3gpuE9ELNS1_3repE0EEENS1_30default_config_static_selectorELNS0_4arch9wavefront6targetE1EEEvT1_,"axG",@progbits,_ZN7rocprim17ROCPRIM_400000_NS6detail17trampoline_kernelINS0_14default_configENS1_20scan_config_selectorIN3c108BFloat16EEEZZNS1_9scan_implILNS1_25lookback_scan_determinismE0ELb0ELb0ES3_PKS6_PS6_S6_ZZZN2at6native31launch_logcumsumexp_cuda_kernelERKNSD_10TensorBaseESH_lENKUlvE_clEvENKUlvE4_clEvEUlS6_S6_E_S6_EEDaPvRmT3_T4_T5_mT6_P12ihipStream_tbENKUlT_T0_E_clISt17integral_constantIbLb1EESX_IbLb0EEEEDaST_SU_EUlST_E_NS1_11comp_targetILNS1_3genE5ELNS1_11target_archE942ELNS1_3gpuE9ELNS1_3repE0EEENS1_30default_config_static_selectorELNS0_4arch9wavefront6targetE1EEEvT1_,comdat
	.globl	_ZN7rocprim17ROCPRIM_400000_NS6detail17trampoline_kernelINS0_14default_configENS1_20scan_config_selectorIN3c108BFloat16EEEZZNS1_9scan_implILNS1_25lookback_scan_determinismE0ELb0ELb0ES3_PKS6_PS6_S6_ZZZN2at6native31launch_logcumsumexp_cuda_kernelERKNSD_10TensorBaseESH_lENKUlvE_clEvENKUlvE4_clEvEUlS6_S6_E_S6_EEDaPvRmT3_T4_T5_mT6_P12ihipStream_tbENKUlT_T0_E_clISt17integral_constantIbLb1EESX_IbLb0EEEEDaST_SU_EUlST_E_NS1_11comp_targetILNS1_3genE5ELNS1_11target_archE942ELNS1_3gpuE9ELNS1_3repE0EEENS1_30default_config_static_selectorELNS0_4arch9wavefront6targetE1EEEvT1_ ; -- Begin function _ZN7rocprim17ROCPRIM_400000_NS6detail17trampoline_kernelINS0_14default_configENS1_20scan_config_selectorIN3c108BFloat16EEEZZNS1_9scan_implILNS1_25lookback_scan_determinismE0ELb0ELb0ES3_PKS6_PS6_S6_ZZZN2at6native31launch_logcumsumexp_cuda_kernelERKNSD_10TensorBaseESH_lENKUlvE_clEvENKUlvE4_clEvEUlS6_S6_E_S6_EEDaPvRmT3_T4_T5_mT6_P12ihipStream_tbENKUlT_T0_E_clISt17integral_constantIbLb1EESX_IbLb0EEEEDaST_SU_EUlST_E_NS1_11comp_targetILNS1_3genE5ELNS1_11target_archE942ELNS1_3gpuE9ELNS1_3repE0EEENS1_30default_config_static_selectorELNS0_4arch9wavefront6targetE1EEEvT1_
	.p2align	8
	.type	_ZN7rocprim17ROCPRIM_400000_NS6detail17trampoline_kernelINS0_14default_configENS1_20scan_config_selectorIN3c108BFloat16EEEZZNS1_9scan_implILNS1_25lookback_scan_determinismE0ELb0ELb0ES3_PKS6_PS6_S6_ZZZN2at6native31launch_logcumsumexp_cuda_kernelERKNSD_10TensorBaseESH_lENKUlvE_clEvENKUlvE4_clEvEUlS6_S6_E_S6_EEDaPvRmT3_T4_T5_mT6_P12ihipStream_tbENKUlT_T0_E_clISt17integral_constantIbLb1EESX_IbLb0EEEEDaST_SU_EUlST_E_NS1_11comp_targetILNS1_3genE5ELNS1_11target_archE942ELNS1_3gpuE9ELNS1_3repE0EEENS1_30default_config_static_selectorELNS0_4arch9wavefront6targetE1EEEvT1_,@function
_ZN7rocprim17ROCPRIM_400000_NS6detail17trampoline_kernelINS0_14default_configENS1_20scan_config_selectorIN3c108BFloat16EEEZZNS1_9scan_implILNS1_25lookback_scan_determinismE0ELb0ELb0ES3_PKS6_PS6_S6_ZZZN2at6native31launch_logcumsumexp_cuda_kernelERKNSD_10TensorBaseESH_lENKUlvE_clEvENKUlvE4_clEvEUlS6_S6_E_S6_EEDaPvRmT3_T4_T5_mT6_P12ihipStream_tbENKUlT_T0_E_clISt17integral_constantIbLb1EESX_IbLb0EEEEDaST_SU_EUlST_E_NS1_11comp_targetILNS1_3genE5ELNS1_11target_archE942ELNS1_3gpuE9ELNS1_3repE0EEENS1_30default_config_static_selectorELNS0_4arch9wavefront6targetE1EEEvT1_: ; @_ZN7rocprim17ROCPRIM_400000_NS6detail17trampoline_kernelINS0_14default_configENS1_20scan_config_selectorIN3c108BFloat16EEEZZNS1_9scan_implILNS1_25lookback_scan_determinismE0ELb0ELb0ES3_PKS6_PS6_S6_ZZZN2at6native31launch_logcumsumexp_cuda_kernelERKNSD_10TensorBaseESH_lENKUlvE_clEvENKUlvE4_clEvEUlS6_S6_E_S6_EEDaPvRmT3_T4_T5_mT6_P12ihipStream_tbENKUlT_T0_E_clISt17integral_constantIbLb1EESX_IbLb0EEEEDaST_SU_EUlST_E_NS1_11comp_targetILNS1_3genE5ELNS1_11target_archE942ELNS1_3gpuE9ELNS1_3repE0EEENS1_30default_config_static_selectorELNS0_4arch9wavefront6targetE1EEEvT1_
; %bb.0:
	.section	.rodata,"a",@progbits
	.p2align	6, 0x0
	.amdhsa_kernel _ZN7rocprim17ROCPRIM_400000_NS6detail17trampoline_kernelINS0_14default_configENS1_20scan_config_selectorIN3c108BFloat16EEEZZNS1_9scan_implILNS1_25lookback_scan_determinismE0ELb0ELb0ES3_PKS6_PS6_S6_ZZZN2at6native31launch_logcumsumexp_cuda_kernelERKNSD_10TensorBaseESH_lENKUlvE_clEvENKUlvE4_clEvEUlS6_S6_E_S6_EEDaPvRmT3_T4_T5_mT6_P12ihipStream_tbENKUlT_T0_E_clISt17integral_constantIbLb1EESX_IbLb0EEEEDaST_SU_EUlST_E_NS1_11comp_targetILNS1_3genE5ELNS1_11target_archE942ELNS1_3gpuE9ELNS1_3repE0EEENS1_30default_config_static_selectorELNS0_4arch9wavefront6targetE1EEEvT1_
		.amdhsa_group_segment_fixed_size 0
		.amdhsa_private_segment_fixed_size 0
		.amdhsa_kernarg_size 96
		.amdhsa_user_sgpr_count 6
		.amdhsa_user_sgpr_private_segment_buffer 1
		.amdhsa_user_sgpr_dispatch_ptr 0
		.amdhsa_user_sgpr_queue_ptr 0
		.amdhsa_user_sgpr_kernarg_segment_ptr 1
		.amdhsa_user_sgpr_dispatch_id 0
		.amdhsa_user_sgpr_flat_scratch_init 0
		.amdhsa_user_sgpr_kernarg_preload_length 0
		.amdhsa_user_sgpr_kernarg_preload_offset 0
		.amdhsa_user_sgpr_private_segment_size 0
		.amdhsa_uses_dynamic_stack 0
		.amdhsa_system_sgpr_private_segment_wavefront_offset 0
		.amdhsa_system_sgpr_workgroup_id_x 1
		.amdhsa_system_sgpr_workgroup_id_y 0
		.amdhsa_system_sgpr_workgroup_id_z 0
		.amdhsa_system_sgpr_workgroup_info 0
		.amdhsa_system_vgpr_workitem_id 0
		.amdhsa_next_free_vgpr 1
		.amdhsa_next_free_sgpr 0
		.amdhsa_accum_offset 4
		.amdhsa_reserve_vcc 0
		.amdhsa_reserve_flat_scratch 0
		.amdhsa_float_round_mode_32 0
		.amdhsa_float_round_mode_16_64 0
		.amdhsa_float_denorm_mode_32 3
		.amdhsa_float_denorm_mode_16_64 3
		.amdhsa_dx10_clamp 1
		.amdhsa_ieee_mode 1
		.amdhsa_fp16_overflow 0
		.amdhsa_tg_split 0
		.amdhsa_exception_fp_ieee_invalid_op 0
		.amdhsa_exception_fp_denorm_src 0
		.amdhsa_exception_fp_ieee_div_zero 0
		.amdhsa_exception_fp_ieee_overflow 0
		.amdhsa_exception_fp_ieee_underflow 0
		.amdhsa_exception_fp_ieee_inexact 0
		.amdhsa_exception_int_div_zero 0
	.end_amdhsa_kernel
	.section	.text._ZN7rocprim17ROCPRIM_400000_NS6detail17trampoline_kernelINS0_14default_configENS1_20scan_config_selectorIN3c108BFloat16EEEZZNS1_9scan_implILNS1_25lookback_scan_determinismE0ELb0ELb0ES3_PKS6_PS6_S6_ZZZN2at6native31launch_logcumsumexp_cuda_kernelERKNSD_10TensorBaseESH_lENKUlvE_clEvENKUlvE4_clEvEUlS6_S6_E_S6_EEDaPvRmT3_T4_T5_mT6_P12ihipStream_tbENKUlT_T0_E_clISt17integral_constantIbLb1EESX_IbLb0EEEEDaST_SU_EUlST_E_NS1_11comp_targetILNS1_3genE5ELNS1_11target_archE942ELNS1_3gpuE9ELNS1_3repE0EEENS1_30default_config_static_selectorELNS0_4arch9wavefront6targetE1EEEvT1_,"axG",@progbits,_ZN7rocprim17ROCPRIM_400000_NS6detail17trampoline_kernelINS0_14default_configENS1_20scan_config_selectorIN3c108BFloat16EEEZZNS1_9scan_implILNS1_25lookback_scan_determinismE0ELb0ELb0ES3_PKS6_PS6_S6_ZZZN2at6native31launch_logcumsumexp_cuda_kernelERKNSD_10TensorBaseESH_lENKUlvE_clEvENKUlvE4_clEvEUlS6_S6_E_S6_EEDaPvRmT3_T4_T5_mT6_P12ihipStream_tbENKUlT_T0_E_clISt17integral_constantIbLb1EESX_IbLb0EEEEDaST_SU_EUlST_E_NS1_11comp_targetILNS1_3genE5ELNS1_11target_archE942ELNS1_3gpuE9ELNS1_3repE0EEENS1_30default_config_static_selectorELNS0_4arch9wavefront6targetE1EEEvT1_,comdat
.Lfunc_end491:
	.size	_ZN7rocprim17ROCPRIM_400000_NS6detail17trampoline_kernelINS0_14default_configENS1_20scan_config_selectorIN3c108BFloat16EEEZZNS1_9scan_implILNS1_25lookback_scan_determinismE0ELb0ELb0ES3_PKS6_PS6_S6_ZZZN2at6native31launch_logcumsumexp_cuda_kernelERKNSD_10TensorBaseESH_lENKUlvE_clEvENKUlvE4_clEvEUlS6_S6_E_S6_EEDaPvRmT3_T4_T5_mT6_P12ihipStream_tbENKUlT_T0_E_clISt17integral_constantIbLb1EESX_IbLb0EEEEDaST_SU_EUlST_E_NS1_11comp_targetILNS1_3genE5ELNS1_11target_archE942ELNS1_3gpuE9ELNS1_3repE0EEENS1_30default_config_static_selectorELNS0_4arch9wavefront6targetE1EEEvT1_, .Lfunc_end491-_ZN7rocprim17ROCPRIM_400000_NS6detail17trampoline_kernelINS0_14default_configENS1_20scan_config_selectorIN3c108BFloat16EEEZZNS1_9scan_implILNS1_25lookback_scan_determinismE0ELb0ELb0ES3_PKS6_PS6_S6_ZZZN2at6native31launch_logcumsumexp_cuda_kernelERKNSD_10TensorBaseESH_lENKUlvE_clEvENKUlvE4_clEvEUlS6_S6_E_S6_EEDaPvRmT3_T4_T5_mT6_P12ihipStream_tbENKUlT_T0_E_clISt17integral_constantIbLb1EESX_IbLb0EEEEDaST_SU_EUlST_E_NS1_11comp_targetILNS1_3genE5ELNS1_11target_archE942ELNS1_3gpuE9ELNS1_3repE0EEENS1_30default_config_static_selectorELNS0_4arch9wavefront6targetE1EEEvT1_
                                        ; -- End function
	.section	.AMDGPU.csdata,"",@progbits
; Kernel info:
; codeLenInByte = 0
; NumSgprs: 4
; NumVgprs: 0
; NumAgprs: 0
; TotalNumVgprs: 0
; ScratchSize: 0
; MemoryBound: 0
; FloatMode: 240
; IeeeMode: 1
; LDSByteSize: 0 bytes/workgroup (compile time only)
; SGPRBlocks: 0
; VGPRBlocks: 0
; NumSGPRsForWavesPerEU: 4
; NumVGPRsForWavesPerEU: 1
; AccumOffset: 4
; Occupancy: 8
; WaveLimiterHint : 0
; COMPUTE_PGM_RSRC2:SCRATCH_EN: 0
; COMPUTE_PGM_RSRC2:USER_SGPR: 6
; COMPUTE_PGM_RSRC2:TRAP_HANDLER: 0
; COMPUTE_PGM_RSRC2:TGID_X_EN: 1
; COMPUTE_PGM_RSRC2:TGID_Y_EN: 0
; COMPUTE_PGM_RSRC2:TGID_Z_EN: 0
; COMPUTE_PGM_RSRC2:TIDIG_COMP_CNT: 0
; COMPUTE_PGM_RSRC3_GFX90A:ACCUM_OFFSET: 0
; COMPUTE_PGM_RSRC3_GFX90A:TG_SPLIT: 0
	.text
	.p2align	2                               ; -- Begin function _ZZZN7rocprim17ROCPRIM_400000_NS6detail9scan_implILNS1_25lookback_scan_determinismE0ELb0ELb0ENS0_14default_configEPKN3c108BFloat16EPS6_S6_ZZZN2at6native31launch_logcumsumexp_cuda_kernelERKNSA_10TensorBaseESE_lENKUlvE_clEvENKUlvE4_clEvEUlS6_S6_E_S6_EEDaPvRmT3_T4_T5_mT6_P12ihipStream_tbENKUlT_T0_E_clISt17integral_constantIbLb1EESU_IbLb0EEEEDaSQ_SR_ENKUlSQ_E_clINS1_13target_configIS4_NS1_20scan_config_selectorIS6_EENS1_11comp_targetILNS1_3genE4ELNS1_11target_archE910ELNS1_3gpuE8ELNS1_3repE0EEELNS0_4arch9wavefront6targetE1EEEEEDaSQ_
	.type	_ZZZN7rocprim17ROCPRIM_400000_NS6detail9scan_implILNS1_25lookback_scan_determinismE0ELb0ELb0ENS0_14default_configEPKN3c108BFloat16EPS6_S6_ZZZN2at6native31launch_logcumsumexp_cuda_kernelERKNSA_10TensorBaseESE_lENKUlvE_clEvENKUlvE4_clEvEUlS6_S6_E_S6_EEDaPvRmT3_T4_T5_mT6_P12ihipStream_tbENKUlT_T0_E_clISt17integral_constantIbLb1EESU_IbLb0EEEEDaSQ_SR_ENKUlSQ_E_clINS1_13target_configIS4_NS1_20scan_config_selectorIS6_EENS1_11comp_targetILNS1_3genE4ELNS1_11target_archE910ELNS1_3gpuE8ELNS1_3repE0EEELNS0_4arch9wavefront6targetE1EEEEEDaSQ_,@function
_ZZZN7rocprim17ROCPRIM_400000_NS6detail9scan_implILNS1_25lookback_scan_determinismE0ELb0ELb0ENS0_14default_configEPKN3c108BFloat16EPS6_S6_ZZZN2at6native31launch_logcumsumexp_cuda_kernelERKNSA_10TensorBaseESE_lENKUlvE_clEvENKUlvE4_clEvEUlS6_S6_E_S6_EEDaPvRmT3_T4_T5_mT6_P12ihipStream_tbENKUlT_T0_E_clISt17integral_constantIbLb1EESU_IbLb0EEEEDaSQ_SR_ENKUlSQ_E_clINS1_13target_configIS4_NS1_20scan_config_selectorIS6_EENS1_11comp_targetILNS1_3genE4ELNS1_11target_archE910ELNS1_3gpuE8ELNS1_3repE0EEELNS0_4arch9wavefront6targetE1EEEEEDaSQ_: ; @_ZZZN7rocprim17ROCPRIM_400000_NS6detail9scan_implILNS1_25lookback_scan_determinismE0ELb0ELb0ENS0_14default_configEPKN3c108BFloat16EPS6_S6_ZZZN2at6native31launch_logcumsumexp_cuda_kernelERKNSA_10TensorBaseESE_lENKUlvE_clEvENKUlvE4_clEvEUlS6_S6_E_S6_EEDaPvRmT3_T4_T5_mT6_P12ihipStream_tbENKUlT_T0_E_clISt17integral_constantIbLb1EESU_IbLb0EEEEDaSQ_SR_ENKUlSQ_E_clINS1_13target_configIS4_NS1_20scan_config_selectorIS6_EENS1_11comp_targetILNS1_3genE4ELNS1_11target_archE910ELNS1_3gpuE8ELNS1_3repE0EEELNS0_4arch9wavefront6targetE1EEEEEDaSQ_
; %bb.0:
	s_waitcnt vmcnt(0) expcnt(0) lgkmcnt(0)
	s_or_saveexec_b64 s[4:5], -1
	buffer_store_dword v40, off, s[0:3], s32 ; 4-byte Folded Spill
	s_mov_b64 exec, s[4:5]
	v_writelane_b32 v40, s30, 0
	v_writelane_b32 v40, s31, 1
	flat_load_dwordx4 v[14:17], v[0:1]
	flat_load_dwordx3 v[24:26], v[0:1] offset:40
	flat_load_dwordx4 v[10:13], v[0:1] offset:16
	flat_load_dwordx4 v[2:5], v[0:1] offset:56
	flat_load_dwordx4 v[6:9], v[0:1] offset:72
	s_movk_i32 s6, 0x600
	s_mov_b32 s5, 0
	s_mul_i32 s4, s12, 0x600
	s_lshl_b64 s[62:63], s[4:5], 1
	v_and_b32_e32 v0, 0x3ff, v31
	v_mov_b32_e32 v1, s63
	v_lshlrev_b32_e32 v38, 1, v0
	s_waitcnt vmcnt(0) lgkmcnt(0)
	v_lshlrev_b64 v[28:29], 1, v[16:17]
	v_add_u32_e32 v16, -1, v26
	v_add_co_u32_e32 v14, vcc, v14, v28
	v_addc_co_u32_e32 v15, vcc, v15, v29, vcc
	v_mul_lo_u32 v17, v16, s6
	v_sub_co_u32_e32 v36, vcc, v12, v17
	v_subbrev_co_u32_e32 v37, vcc, 0, v13, vcc
	v_add_co_u32_e32 v12, vcc, s62, v14
	v_cmp_ne_u32_e64 s[4:5], s12, v16
	v_addc_co_u32_e32 v13, vcc, v15, v1, vcc
	s_and_saveexec_b64 s[6:7], s[4:5]
	s_xor_b64 s[6:7], exec, s[6:7]
	s_cbranch_execz .LBB492_2
; %bb.1:
	v_add_co_u32_e32 v12, vcc, v12, v38
	v_addc_co_u32_e32 v13, vcc, 0, v13, vcc
	flat_load_ushort v1, v[12:13]
	flat_load_ushort v14, v[12:13] offset:128
	flat_load_ushort v15, v[12:13] offset:256
	;; [unrolled: 1-line block ×23, first 2 shown]
                                        ; implicit-def: $vgpr12
	s_waitcnt vmcnt(0) lgkmcnt(0)
	ds_write_b16 v38, v1
	ds_write_b16 v38, v14 offset:128
	ds_write_b16 v38, v15 offset:256
	;; [unrolled: 1-line block ×23, first 2 shown]
	s_waitcnt lgkmcnt(0)
	; wave barrier
.LBB492_2:
	s_andn2_saveexec_b64 s[6:7], s[6:7]
	s_cbranch_execz .LBB492_52
; %bb.3:
	flat_load_ushort v1, v[12:13]
	v_cmp_lt_u32_e32 vcc, v0, v36
	s_waitcnt vmcnt(0) lgkmcnt(0)
	v_mov_b32_e32 v14, v1
	s_and_saveexec_b64 s[8:9], vcc
	s_cbranch_execz .LBB492_5
; %bb.4:
	v_add_co_u32_e32 v14, vcc, v12, v38
	v_addc_co_u32_e32 v15, vcc, 0, v13, vcc
	flat_load_ushort v14, v[14:15]
.LBB492_5:
	s_or_b64 exec, exec, s[8:9]
	v_add_u32_e32 v15, 64, v0
	v_cmp_lt_u32_e32 vcc, v15, v36
	v_mov_b32_e32 v15, v1
	s_and_saveexec_b64 s[8:9], vcc
	s_cbranch_execz .LBB492_7
; %bb.6:
	v_add_co_u32_e32 v16, vcc, v12, v38
	v_addc_co_u32_e32 v17, vcc, 0, v13, vcc
	flat_load_ushort v15, v[16:17] offset:128
.LBB492_7:
	s_or_b64 exec, exec, s[8:9]
	v_add_u32_e32 v16, 0x80, v0
	v_cmp_lt_u32_e32 vcc, v16, v36
	v_mov_b32_e32 v16, v1
	s_and_saveexec_b64 s[8:9], vcc
	s_cbranch_execz .LBB492_9
; %bb.8:
	v_add_co_u32_e32 v16, vcc, v12, v38
	v_addc_co_u32_e32 v17, vcc, 0, v13, vcc
	flat_load_ushort v16, v[16:17] offset:256
.LBB492_9:
	;; [unrolled: 11-line block ×15, first 2 shown]
	s_or_b64 exec, exec, s[8:9]
	v_or_b32_e32 v34, 0x400, v0
	v_cmp_lt_u32_e32 vcc, v34, v36
	v_mov_b32_e32 v34, v1
	s_and_saveexec_b64 s[8:9], vcc
	s_cbranch_execz .LBB492_37
; %bb.36:
	v_add_co_u32_e32 v34, vcc, v12, v38
	v_addc_co_u32_e32 v35, vcc, 0, v13, vcc
	flat_load_ushort v34, v[34:35] offset:2048
.LBB492_37:
	s_or_b64 exec, exec, s[8:9]
	v_add_u32_e32 v35, 0x440, v0
	v_cmp_lt_u32_e32 vcc, v35, v36
	v_mov_b32_e32 v35, v1
	s_and_saveexec_b64 s[8:9], vcc
	s_cbranch_execz .LBB492_39
; %bb.38:
	v_add_co_u32_e32 v48, vcc, v12, v38
	v_addc_co_u32_e32 v49, vcc, 0, v13, vcc
	flat_load_ushort v35, v[48:49] offset:2176
.LBB492_39:
	s_or_b64 exec, exec, s[8:9]
	v_add_u32_e32 v39, 0x480, v0
	;; [unrolled: 11-line block ×7, first 2 shown]
	v_cmp_lt_u32_e32 vcc, v52, v36
	s_and_saveexec_b64 s[8:9], vcc
	s_cbranch_execz .LBB492_51
; %bb.50:
	v_add_co_u32_e32 v12, vcc, v12, v38
	v_addc_co_u32_e32 v13, vcc, 0, v13, vcc
	flat_load_ushort v1, v[12:13] offset:2944
.LBB492_51:
	s_or_b64 exec, exec, s[8:9]
	s_waitcnt vmcnt(0) lgkmcnt(0)
	ds_write_b16 v38, v14
	ds_write_b16 v38, v15 offset:128
	ds_write_b16 v38, v16 offset:256
	;; [unrolled: 1-line block ×23, first 2 shown]
	s_waitcnt lgkmcnt(0)
	; wave barrier
.LBB492_52:
	s_or_b64 exec, exec, s[6:7]
	v_mul_u32_u24_e32 v39, 24, v0
	v_lshlrev_b32_e32 v1, 1, v39
	s_waitcnt lgkmcnt(0)
	ds_read_b128 v[20:23], v1
	ds_read_b128 v[16:19], v1 offset:16
	ds_read_b128 v[12:15], v1 offset:32
	s_cmp_lg_u32 s12, 0
	s_waitcnt lgkmcnt(0)
	; wave barrier
	s_waitcnt lgkmcnt(0)
	s_cbranch_scc0 .LBB492_253
; %bb.53:
	v_mov_b32_e32 v26, 16
	v_lshlrev_b32_e32 v134, 16, v20
	v_lshlrev_b32_sdwa v48, v26, v20 dst_sel:DWORD dst_unused:UNUSED_PAD src0_sel:DWORD src1_sel:WORD_1
	v_max_f32_e32 v49, v48, v48
	v_max_f32_e32 v135, v134, v134
	v_min_f32_e32 v27, v135, v49
	v_cmp_u_f32_e64 s[54:55], v134, v134
	v_cndmask_b32_e64 v27, v27, v134, s[54:55]
	v_cmp_u_f32_e64 s[6:7], v48, v48
	v_cndmask_b32_e64 v31, v27, v48, s[6:7]
	v_max_f32_e32 v27, v135, v49
	v_cndmask_b32_e64 v27, v27, v134, s[54:55]
	v_cndmask_b32_e64 v27, v27, v48, s[6:7]
	s_movk_i32 s10, 0x1f8
	v_cmp_neq_f32_e32 vcc, v31, v27
	v_cmp_class_f32_e64 s[8:9], v31, s10
	s_or_b64 s[14:15], vcc, s[8:9]
	v_mov_b32_e32 v30, v134
	s_and_saveexec_b64 s[8:9], s[14:15]
	s_cbranch_execz .LBB492_55
; %bb.54:
	v_sub_f32_e32 v30, v31, v27
	s_mov_b32 s11, 0x3fb8aa3b
	v_mul_f32_e32 v31, 0x3fb8aa3b, v30
	v_fma_f32 v32, v30, s11, -v31
	v_rndne_f32_e32 v33, v31
	v_fmac_f32_e32 v32, 0x32a5705f, v30
	v_sub_f32_e32 v31, v31, v33
	v_add_f32_e32 v31, v31, v32
	v_exp_f32_e32 v31, v31
	v_cvt_i32_f32_e32 v32, v33
	s_mov_b32 s11, 0xc2ce8ed0
	v_cmp_ngt_f32_e32 vcc, s11, v30
	s_mov_b32 s11, 0x42b17218
	v_ldexp_f32 v31, v31, v32
	v_cndmask_b32_e32 v31, 0, v31, vcc
	v_mov_b32_e32 v32, 0x7f800000
	v_cmp_nlt_f32_e32 vcc, s11, v30
	v_cndmask_b32_e32 v68, v32, v31, vcc
	v_add_f32_e32 v32, 1.0, v68
	v_add_f32_e32 v30, -1.0, v32
	v_sub_f32_e32 v31, v30, v32
	v_add_f32_e32 v31, 1.0, v31
	v_sub_f32_e32 v30, v68, v30
	v_add_f32_e32 v33, v30, v31
	v_frexp_mant_f32_e32 v34, v32
	s_mov_b32 s11, 0x3f2aaaab
	v_cvt_f64_f32_e32 v[30:31], v32
	v_frexp_exp_i32_f64_e32 v30, v[30:31]
	v_cmp_gt_f32_e32 vcc, s11, v34
	v_subbrev_co_u32_e32 v52, vcc, 0, v30, vcc
	v_sub_u32_e32 v30, 0, v52
	v_ldexp_f32 v31, v32, v30
	v_add_f32_e32 v32, -1.0, v31
	v_add_f32_e32 v34, 1.0, v31
	v_ldexp_f32 v30, v33, v30
	v_add_f32_e32 v33, 1.0, v32
	v_add_f32_e32 v35, -1.0, v34
	v_sub_f32_e32 v33, v31, v33
	v_sub_f32_e32 v31, v31, v35
	v_add_f32_e32 v33, v30, v33
	v_add_f32_e32 v30, v30, v31
	;; [unrolled: 1-line block ×3, first 2 shown]
	v_rcp_f32_e32 v55, v53
	v_sub_f32_e32 v31, v34, v53
	v_add_f32_e32 v54, v30, v31
	v_add_f32_e32 v31, v32, v33
	v_mul_f32_e32 v65, v31, v55
	v_sub_f32_e32 v30, v32, v31
	v_mul_f32_e32 v32, v53, v65
	v_fma_f32 v34, v65, v53, -v32
	v_fmac_f32_e32 v34, v65, v54
	v_add_f32_e32 v64, v33, v30
	v_add_f32_e32 v30, v32, v34
	v_sub_f32_e32 v33, v31, v30
	v_pk_add_f32 v[50:51], v[30:31], v[32:33] neg_lo:[0,1] neg_hi:[0,1]
	v_mov_b32_e32 v35, v30
	v_pk_add_f32 v[30:31], v[50:51], v[34:35] neg_lo:[0,1] neg_hi:[0,1]
	v_add_f32_e32 v31, v64, v31
	v_add_f32_e32 v30, v30, v31
	v_add_f32_e32 v31, v33, v30
	v_mul_f32_e32 v64, v55, v31
	v_mul_f32_e32 v32, v53, v64
	v_fma_f32 v34, v64, v53, -v32
	v_fmac_f32_e32 v34, v64, v54
	v_sub_f32_e32 v33, v33, v31
	v_add_f32_e32 v53, v30, v33
	v_add_f32_e32 v30, v32, v34
	v_sub_f32_e32 v33, v31, v30
	v_pk_add_f32 v[50:51], v[30:31], v[32:33] neg_lo:[0,1] neg_hi:[0,1]
	v_mov_b32_e32 v35, v30
	v_pk_add_f32 v[30:31], v[50:51], v[34:35] neg_lo:[0,1] neg_hi:[0,1]
	v_add_f32_e32 v31, v53, v31
	v_add_f32_e32 v30, v30, v31
	;; [unrolled: 1-line block ×4, first 2 shown]
	v_sub_f32_e32 v31, v33, v65
	v_mul_f32_e32 v30, v55, v30
	v_sub_f32_e32 v31, v64, v31
	v_add_f32_e32 v30, v31, v30
	v_add_f32_e32 v34, v33, v30
	v_mul_f32_e32 v50, v34, v34
	v_mov_b32_e32 v32, 0x3ecc95a3
	v_fmac_f32_e32 v32, 0x3e9b6dac, v50
	v_mov_b32_e32 v31, 0x3f2aaada
	v_fmac_f32_e32 v31, v50, v32
	v_cvt_f32_i32_e32 v32, v52
	v_sub_f32_e32 v33, v34, v33
	v_sub_f32_e32 v30, v30, v33
	v_ldexp_f32 v51, v30, 1
	v_mul_f32_e32 v33, v34, v50
	v_mov_b32_e32 v30, 0x3f317218
	s_mov_b32 s11, 0x3f317218
	v_pk_mul_f32 v[30:31], v[32:33], v[30:31]
	v_ldexp_f32 v35, v34, 1
	v_fma_f32 v34, v32, s11, -v30
	v_fmac_f32_e32 v34, 0xb102e308, v32
	v_pk_add_f32 v[32:33], v[30:31], v[34:35]
	v_sub_f32_e32 v35, v33, v35
	v_sub_f32_e32 v35, v31, v35
	v_add_f32_e32 v51, v51, v35
	v_mov_b32_e32 v50, v30
	v_pk_add_f32 v[30:31], v[32:33], v[30:31] neg_lo:[0,1] neg_hi:[0,1]
	v_pk_add_f32 v[52:53], v[32:33], v[50:51]
	v_mov_b32_e32 v31, v53
	v_mov_b32_e32 v35, v32
	v_pk_add_f32 v[54:55], v[34:35], v[30:31] neg_lo:[0,1] neg_hi:[0,1]
	v_pk_add_f32 v[30:31], v[34:35], v[30:31]
	v_mov_b32_e32 v34, v31
	v_pk_add_f32 v[64:65], v[34:35], v[32:33] neg_lo:[0,1] neg_hi:[0,1]
	v_mov_b32_e32 v35, v64
	v_pk_add_f32 v[66:67], v[52:53], v[34:35] neg_lo:[0,1] neg_hi:[0,1]
	v_mov_b32_e32 v30, v53
	v_mov_b32_e32 v52, v33
	;; [unrolled: 1-line block ×4, first 2 shown]
	v_pk_add_f32 v[30:31], v[30:31], v[52:53] neg_lo:[0,1] neg_hi:[0,1]
	v_mov_b32_e32 v50, v51
	v_mov_b32_e32 v51, v32
	v_pk_add_f32 v[30:31], v[50:51], v[30:31] neg_lo:[0,1] neg_hi:[0,1]
	v_mov_b32_e32 v66, v54
	v_pk_add_f32 v[32:33], v[66:67], v[30:31]
	v_mov_b32_e32 v50, v33
	v_pk_add_f32 v[50:51], v[32:33], v[50:51]
	v_pk_add_f32 v[34:35], v[34:35], v[50:51]
	v_mov_b32_e32 v33, v34
	v_pk_add_f32 v[52:53], v[32:33], v[54:55] neg_lo:[0,1] neg_hi:[0,1]
	v_mov_b32_e32 v31, v50
	v_sub_f32_e32 v32, v32, v52
	v_pk_add_f32 v[30:31], v[30:31], v[52:53] neg_lo:[0,1] neg_hi:[0,1]
	v_sub_f32_e32 v32, v54, v32
	s_mov_b32 s13, 0x7f800000
	v_add_f32_e32 v30, v30, v32
	s_mov_b32 s11, 0x33800000
	v_add_f32_e32 v30, v30, v31
	v_cmp_eq_f32_e32 vcc, s13, v68
	v_cmp_lt_f32_e64 s[14:15], |v68|, s11
	v_add_f32_e32 v30, v34, v30
	s_or_b64 vcc, vcc, s[14:15]
	v_cndmask_b32_e32 v30, v30, v68, vcc
	v_add_f32_e32 v30, v27, v30
.LBB492_55:
	s_or_b64 exec, exec, s[8:9]
	v_bfe_u32 v27, v30, 16, 1
	s_movk_i32 s13, 0x7fff
	v_add3_u32 v27, v30, v27, s13
	v_and_b32_e32 v31, 0xffff0000, v27
	v_mov_b32_e32 v27, 0x7fc00000
	v_cmp_o_f32_e32 vcc, v30, v30
	v_cndmask_b32_e32 v30, v27, v31, vcc
	v_lshlrev_b32_sdwa v50, v26, v21 dst_sel:DWORD dst_unused:UNUSED_PAD src0_sel:DWORD src1_sel:WORD_0
	v_max_f32_e32 v26, v30, v30
	v_max_f32_e32 v54, v50, v50
	v_min_f32_e32 v31, v26, v54
	v_cmp_u_f32_e32 vcc, v30, v30
	v_max_f32_e32 v26, v26, v54
	v_cndmask_b32_e32 v31, v31, v30, vcc
	v_cmp_u_f32_e64 s[8:9], v50, v50
	v_cndmask_b32_e32 v26, v26, v30, vcc
	v_cndmask_b32_e64 v31, v31, v50, s[8:9]
	v_cndmask_b32_e64 v26, v26, v50, s[8:9]
	v_cmp_neq_f32_e32 vcc, v31, v26
	v_cmp_class_f32_e64 s[10:11], v31, s10
	s_or_b64 s[14:15], vcc, s[10:11]
	s_and_saveexec_b64 s[10:11], s[14:15]
	s_cbranch_execz .LBB492_57
; %bb.56:
	v_sub_f32_e32 v30, v31, v26
	s_mov_b32 s14, 0x3fb8aa3b
	v_mul_f32_e32 v31, 0x3fb8aa3b, v30
	v_fma_f32 v32, v30, s14, -v31
	v_rndne_f32_e32 v33, v31
	v_fmac_f32_e32 v32, 0x32a5705f, v30
	v_sub_f32_e32 v31, v31, v33
	v_add_f32_e32 v31, v31, v32
	v_exp_f32_e32 v31, v31
	v_cvt_i32_f32_e32 v32, v33
	s_mov_b32 s14, 0xc2ce8ed0
	v_cmp_ngt_f32_e32 vcc, s14, v30
	s_mov_b32 s14, 0x42b17218
	v_ldexp_f32 v31, v31, v32
	v_cndmask_b32_e32 v31, 0, v31, vcc
	v_mov_b32_e32 v32, 0x7f800000
	v_cmp_nlt_f32_e32 vcc, s14, v30
	v_cndmask_b32_e32 v51, v32, v31, vcc
	v_add_f32_e32 v32, 1.0, v51
	v_add_f32_e32 v30, -1.0, v32
	v_sub_f32_e32 v31, v30, v32
	v_add_f32_e32 v31, 1.0, v31
	v_sub_f32_e32 v30, v51, v30
	v_add_f32_e32 v33, v30, v31
	v_frexp_mant_f32_e32 v34, v32
	s_mov_b32 s14, 0x3f2aaaab
	v_cvt_f64_f32_e32 v[30:31], v32
	v_frexp_exp_i32_f64_e32 v30, v[30:31]
	v_cmp_gt_f32_e32 vcc, s14, v34
	v_subbrev_co_u32_e32 v55, vcc, 0, v30, vcc
	v_sub_u32_e32 v30, 0, v55
	v_ldexp_f32 v31, v32, v30
	v_add_f32_e32 v32, -1.0, v31
	v_add_f32_e32 v34, 1.0, v31
	v_ldexp_f32 v30, v33, v30
	v_add_f32_e32 v33, 1.0, v32
	v_add_f32_e32 v35, -1.0, v34
	v_sub_f32_e32 v33, v31, v33
	v_sub_f32_e32 v31, v31, v35
	v_add_f32_e32 v33, v30, v33
	v_add_f32_e32 v30, v30, v31
	;; [unrolled: 1-line block ×3, first 2 shown]
	v_rcp_f32_e32 v66, v64
	v_sub_f32_e32 v31, v34, v64
	v_add_f32_e32 v65, v30, v31
	v_add_f32_e32 v31, v32, v33
	v_mul_f32_e32 v68, v31, v66
	v_sub_f32_e32 v30, v32, v31
	v_mul_f32_e32 v32, v64, v68
	v_fma_f32 v34, v68, v64, -v32
	v_fmac_f32_e32 v34, v68, v65
	v_add_f32_e32 v67, v33, v30
	v_add_f32_e32 v30, v32, v34
	v_sub_f32_e32 v33, v31, v30
	v_pk_add_f32 v[52:53], v[30:31], v[32:33] neg_lo:[0,1] neg_hi:[0,1]
	v_mov_b32_e32 v35, v30
	v_pk_add_f32 v[30:31], v[52:53], v[34:35] neg_lo:[0,1] neg_hi:[0,1]
	v_add_f32_e32 v31, v67, v31
	v_add_f32_e32 v30, v30, v31
	;; [unrolled: 1-line block ×3, first 2 shown]
	v_mul_f32_e32 v67, v66, v31
	v_mul_f32_e32 v32, v64, v67
	v_fma_f32 v34, v67, v64, -v32
	v_fmac_f32_e32 v34, v67, v65
	v_sub_f32_e32 v33, v33, v31
	v_add_f32_e32 v64, v30, v33
	v_add_f32_e32 v30, v32, v34
	v_sub_f32_e32 v33, v31, v30
	v_pk_add_f32 v[52:53], v[30:31], v[32:33] neg_lo:[0,1] neg_hi:[0,1]
	v_mov_b32_e32 v35, v30
	v_pk_add_f32 v[30:31], v[52:53], v[34:35] neg_lo:[0,1] neg_hi:[0,1]
	v_add_f32_e32 v31, v64, v31
	v_add_f32_e32 v30, v30, v31
	;; [unrolled: 1-line block ×4, first 2 shown]
	v_sub_f32_e32 v31, v33, v68
	v_mul_f32_e32 v30, v66, v30
	v_sub_f32_e32 v31, v67, v31
	v_add_f32_e32 v30, v31, v30
	v_add_f32_e32 v34, v33, v30
	v_mul_f32_e32 v52, v34, v34
	v_mov_b32_e32 v32, 0x3ecc95a3
	v_fmac_f32_e32 v32, 0x3e9b6dac, v52
	v_mov_b32_e32 v31, 0x3f2aaada
	v_fmac_f32_e32 v31, v52, v32
	v_cvt_f32_i32_e32 v32, v55
	v_sub_f32_e32 v33, v34, v33
	v_sub_f32_e32 v30, v30, v33
	v_ldexp_f32 v53, v30, 1
	v_mul_f32_e32 v33, v34, v52
	v_mov_b32_e32 v30, 0x3f317218
	s_mov_b32 s14, 0x3f317218
	v_pk_mul_f32 v[30:31], v[32:33], v[30:31]
	v_ldexp_f32 v35, v34, 1
	v_fma_f32 v34, v32, s14, -v30
	v_fmac_f32_e32 v34, 0xb102e308, v32
	v_pk_add_f32 v[32:33], v[30:31], v[34:35]
	v_sub_f32_e32 v35, v33, v35
	v_sub_f32_e32 v35, v31, v35
	v_add_f32_e32 v53, v53, v35
	v_mov_b32_e32 v52, v30
	v_pk_add_f32 v[30:31], v[32:33], v[30:31] neg_lo:[0,1] neg_hi:[0,1]
	v_pk_add_f32 v[64:65], v[32:33], v[52:53]
	v_mov_b32_e32 v31, v65
	v_mov_b32_e32 v35, v32
	v_pk_add_f32 v[66:67], v[34:35], v[30:31] neg_lo:[0,1] neg_hi:[0,1]
	v_pk_add_f32 v[30:31], v[34:35], v[30:31]
	v_mov_b32_e32 v34, v31
	v_pk_add_f32 v[68:69], v[34:35], v[32:33] neg_lo:[0,1] neg_hi:[0,1]
	v_mov_b32_e32 v35, v68
	v_pk_add_f32 v[70:71], v[64:65], v[34:35] neg_lo:[0,1] neg_hi:[0,1]
	v_mov_b32_e32 v30, v65
	v_mov_b32_e32 v64, v33
	;; [unrolled: 1-line block ×4, first 2 shown]
	v_pk_add_f32 v[30:31], v[30:31], v[64:65] neg_lo:[0,1] neg_hi:[0,1]
	v_mov_b32_e32 v52, v53
	v_mov_b32_e32 v53, v32
	v_pk_add_f32 v[30:31], v[52:53], v[30:31] neg_lo:[0,1] neg_hi:[0,1]
	v_mov_b32_e32 v70, v66
	v_pk_add_f32 v[32:33], v[70:71], v[30:31]
	v_mov_b32_e32 v52, v33
	v_pk_add_f32 v[52:53], v[32:33], v[52:53]
	v_pk_add_f32 v[34:35], v[34:35], v[52:53]
	v_mov_b32_e32 v33, v34
	v_pk_add_f32 v[64:65], v[32:33], v[66:67] neg_lo:[0,1] neg_hi:[0,1]
	v_mov_b32_e32 v31, v52
	v_sub_f32_e32 v32, v32, v64
	v_pk_add_f32 v[30:31], v[30:31], v[64:65] neg_lo:[0,1] neg_hi:[0,1]
	v_sub_f32_e32 v32, v66, v32
	s_mov_b32 s15, 0x7f800000
	v_add_f32_e32 v30, v30, v32
	s_mov_b32 s14, 0x33800000
	v_add_f32_e32 v30, v30, v31
	v_cmp_eq_f32_e32 vcc, s15, v51
	v_cmp_lt_f32_e64 s[14:15], |v51|, s14
	v_add_f32_e32 v30, v34, v30
	s_or_b64 vcc, vcc, s[14:15]
	v_cndmask_b32_e32 v30, v30, v51, vcc
	v_add_f32_e32 v30, v26, v30
.LBB492_57:
	s_or_b64 exec, exec, s[10:11]
	v_bfe_u32 v26, v30, 16, 1
	v_add3_u32 v26, v30, v26, s13
	v_and_b32_e32 v26, 0xffff0000, v26
	v_cmp_o_f32_e32 vcc, v30, v30
	v_cndmask_b32_e32 v30, v27, v26, vcc
	v_mov_b32_e32 v26, 16
	v_lshlrev_b32_sdwa v51, v26, v21 dst_sel:DWORD dst_unused:UNUSED_PAD src0_sel:DWORD src1_sel:WORD_1
	v_max_f32_e32 v27, v30, v30
	v_max_f32_e32 v55, v51, v51
	v_min_f32_e32 v31, v27, v55
	v_cmp_u_f32_e32 vcc, v30, v30
	v_max_f32_e32 v27, v27, v55
	v_cndmask_b32_e32 v31, v31, v30, vcc
	v_cmp_u_f32_e64 s[10:11], v51, v51
	v_cndmask_b32_e32 v27, v27, v30, vcc
	v_cndmask_b32_e64 v31, v31, v51, s[10:11]
	v_cndmask_b32_e64 v27, v27, v51, s[10:11]
	s_movk_i32 s13, 0x1f8
	v_cmp_neq_f32_e32 vcc, v31, v27
	v_cmp_class_f32_e64 s[14:15], v31, s13
	s_or_b64 s[16:17], vcc, s[14:15]
	s_and_saveexec_b64 s[14:15], s[16:17]
	s_cbranch_execz .LBB492_59
; %bb.58:
	v_sub_f32_e32 v30, v31, v27
	s_mov_b32 s16, 0x3fb8aa3b
	v_mul_f32_e32 v31, 0x3fb8aa3b, v30
	v_fma_f32 v32, v30, s16, -v31
	v_rndne_f32_e32 v33, v31
	v_fmac_f32_e32 v32, 0x32a5705f, v30
	v_sub_f32_e32 v31, v31, v33
	v_add_f32_e32 v31, v31, v32
	v_exp_f32_e32 v31, v31
	v_cvt_i32_f32_e32 v32, v33
	s_mov_b32 s16, 0xc2ce8ed0
	v_cmp_ngt_f32_e32 vcc, s16, v30
	s_mov_b32 s16, 0x42b17218
	v_ldexp_f32 v31, v31, v32
	v_cndmask_b32_e32 v31, 0, v31, vcc
	v_mov_b32_e32 v32, 0x7f800000
	v_cmp_nlt_f32_e32 vcc, s16, v30
	v_cndmask_b32_e32 v80, v32, v31, vcc
	v_add_f32_e32 v32, 1.0, v80
	v_add_f32_e32 v30, -1.0, v32
	v_sub_f32_e32 v31, v30, v32
	v_add_f32_e32 v31, 1.0, v31
	v_sub_f32_e32 v30, v80, v30
	v_add_f32_e32 v33, v30, v31
	v_frexp_mant_f32_e32 v34, v32
	s_mov_b32 s16, 0x3f2aaaab
	v_cvt_f64_f32_e32 v[30:31], v32
	v_frexp_exp_i32_f64_e32 v30, v[30:31]
	v_cmp_gt_f32_e32 vcc, s16, v34
	v_subbrev_co_u32_e32 v64, vcc, 0, v30, vcc
	v_sub_u32_e32 v30, 0, v64
	v_ldexp_f32 v31, v32, v30
	v_add_f32_e32 v32, -1.0, v31
	v_add_f32_e32 v34, 1.0, v31
	v_ldexp_f32 v30, v33, v30
	v_add_f32_e32 v33, 1.0, v32
	v_add_f32_e32 v35, -1.0, v34
	v_sub_f32_e32 v33, v31, v33
	v_sub_f32_e32 v31, v31, v35
	v_add_f32_e32 v33, v30, v33
	v_add_f32_e32 v30, v30, v31
	;; [unrolled: 1-line block ×3, first 2 shown]
	v_rcp_f32_e32 v67, v65
	v_sub_f32_e32 v31, v34, v65
	v_add_f32_e32 v66, v30, v31
	v_add_f32_e32 v31, v32, v33
	v_mul_f32_e32 v69, v31, v67
	v_sub_f32_e32 v30, v32, v31
	v_mul_f32_e32 v32, v65, v69
	v_fma_f32 v34, v69, v65, -v32
	v_fmac_f32_e32 v34, v69, v66
	v_add_f32_e32 v68, v33, v30
	v_add_f32_e32 v30, v32, v34
	v_sub_f32_e32 v33, v31, v30
	v_pk_add_f32 v[52:53], v[30:31], v[32:33] neg_lo:[0,1] neg_hi:[0,1]
	v_mov_b32_e32 v35, v30
	v_pk_add_f32 v[30:31], v[52:53], v[34:35] neg_lo:[0,1] neg_hi:[0,1]
	v_add_f32_e32 v31, v68, v31
	v_add_f32_e32 v30, v30, v31
	;; [unrolled: 1-line block ×3, first 2 shown]
	v_mul_f32_e32 v68, v67, v31
	v_mul_f32_e32 v32, v65, v68
	v_fma_f32 v34, v68, v65, -v32
	v_fmac_f32_e32 v34, v68, v66
	v_sub_f32_e32 v33, v33, v31
	v_add_f32_e32 v65, v30, v33
	v_add_f32_e32 v30, v32, v34
	v_sub_f32_e32 v33, v31, v30
	v_pk_add_f32 v[52:53], v[30:31], v[32:33] neg_lo:[0,1] neg_hi:[0,1]
	v_mov_b32_e32 v35, v30
	v_pk_add_f32 v[30:31], v[52:53], v[34:35] neg_lo:[0,1] neg_hi:[0,1]
	v_add_f32_e32 v31, v65, v31
	v_add_f32_e32 v30, v30, v31
	;; [unrolled: 1-line block ×4, first 2 shown]
	v_sub_f32_e32 v31, v33, v69
	v_mul_f32_e32 v30, v67, v30
	v_sub_f32_e32 v31, v68, v31
	v_add_f32_e32 v30, v31, v30
	v_add_f32_e32 v34, v33, v30
	v_mul_f32_e32 v52, v34, v34
	v_mov_b32_e32 v32, 0x3ecc95a3
	v_fmac_f32_e32 v32, 0x3e9b6dac, v52
	v_mov_b32_e32 v31, 0x3f2aaada
	v_fmac_f32_e32 v31, v52, v32
	v_cvt_f32_i32_e32 v32, v64
	v_sub_f32_e32 v33, v34, v33
	v_sub_f32_e32 v30, v30, v33
	v_ldexp_f32 v53, v30, 1
	v_mul_f32_e32 v33, v34, v52
	v_mov_b32_e32 v30, 0x3f317218
	s_mov_b32 s16, 0x3f317218
	v_pk_mul_f32 v[30:31], v[32:33], v[30:31]
	v_ldexp_f32 v35, v34, 1
	v_fma_f32 v34, v32, s16, -v30
	v_fmac_f32_e32 v34, 0xb102e308, v32
	v_pk_add_f32 v[32:33], v[30:31], v[34:35]
	v_sub_f32_e32 v35, v33, v35
	v_sub_f32_e32 v35, v31, v35
	v_add_f32_e32 v53, v53, v35
	v_mov_b32_e32 v52, v30
	v_pk_add_f32 v[30:31], v[32:33], v[30:31] neg_lo:[0,1] neg_hi:[0,1]
	v_pk_add_f32 v[64:65], v[32:33], v[52:53]
	v_mov_b32_e32 v31, v65
	v_mov_b32_e32 v35, v32
	v_pk_add_f32 v[66:67], v[34:35], v[30:31] neg_lo:[0,1] neg_hi:[0,1]
	v_pk_add_f32 v[30:31], v[34:35], v[30:31]
	v_mov_b32_e32 v34, v31
	v_pk_add_f32 v[68:69], v[34:35], v[32:33] neg_lo:[0,1] neg_hi:[0,1]
	v_mov_b32_e32 v35, v68
	v_pk_add_f32 v[70:71], v[64:65], v[34:35] neg_lo:[0,1] neg_hi:[0,1]
	v_mov_b32_e32 v30, v65
	v_mov_b32_e32 v64, v33
	;; [unrolled: 1-line block ×4, first 2 shown]
	v_pk_add_f32 v[30:31], v[30:31], v[64:65] neg_lo:[0,1] neg_hi:[0,1]
	v_mov_b32_e32 v52, v53
	v_mov_b32_e32 v53, v32
	v_pk_add_f32 v[30:31], v[52:53], v[30:31] neg_lo:[0,1] neg_hi:[0,1]
	v_mov_b32_e32 v70, v66
	v_pk_add_f32 v[32:33], v[70:71], v[30:31]
	v_mov_b32_e32 v52, v33
	v_pk_add_f32 v[52:53], v[32:33], v[52:53]
	v_pk_add_f32 v[34:35], v[34:35], v[52:53]
	v_mov_b32_e32 v33, v34
	v_pk_add_f32 v[64:65], v[32:33], v[66:67] neg_lo:[0,1] neg_hi:[0,1]
	v_mov_b32_e32 v31, v52
	v_sub_f32_e32 v32, v32, v64
	v_pk_add_f32 v[30:31], v[30:31], v[64:65] neg_lo:[0,1] neg_hi:[0,1]
	v_sub_f32_e32 v32, v66, v32
	s_mov_b32 s17, 0x7f800000
	v_add_f32_e32 v30, v30, v32
	s_mov_b32 s16, 0x33800000
	v_add_f32_e32 v30, v30, v31
	v_cmp_eq_f32_e32 vcc, s17, v80
	v_cmp_lt_f32_e64 s[16:17], |v80|, s16
	v_add_f32_e32 v30, v34, v30
	s_or_b64 vcc, vcc, s[16:17]
	v_cndmask_b32_e32 v30, v30, v80, vcc
	v_add_f32_e32 v30, v27, v30
.LBB492_59:
	s_or_b64 exec, exec, s[14:15]
	v_bfe_u32 v27, v30, 16, 1
	s_movk_i32 s16, 0x7fff
	v_add3_u32 v27, v30, v27, s16
	v_and_b32_e32 v31, 0xffff0000, v27
	v_mov_b32_e32 v27, 0x7fc00000
	v_cmp_o_f32_e32 vcc, v30, v30
	v_cndmask_b32_e32 v30, v27, v31, vcc
	v_lshlrev_b32_sdwa v52, v26, v22 dst_sel:DWORD dst_unused:UNUSED_PAD src0_sel:DWORD src1_sel:WORD_0
	v_max_f32_e32 v26, v30, v30
	v_max_f32_e32 v66, v52, v52
	v_min_f32_e32 v31, v26, v66
	v_cmp_u_f32_e32 vcc, v30, v30
	v_max_f32_e32 v26, v26, v66
	v_cndmask_b32_e32 v31, v31, v30, vcc
	v_cmp_u_f32_e64 s[58:59], v52, v52
	v_cndmask_b32_e32 v26, v26, v30, vcc
	v_cndmask_b32_e64 v31, v31, v52, s[58:59]
	v_cndmask_b32_e64 v26, v26, v52, s[58:59]
	v_cmp_neq_f32_e32 vcc, v31, v26
	v_cmp_class_f32_e64 s[14:15], v31, s13
	s_or_b64 s[18:19], vcc, s[14:15]
	s_and_saveexec_b64 s[14:15], s[18:19]
	s_cbranch_execz .LBB492_61
; %bb.60:
	v_sub_f32_e32 v30, v31, v26
	s_mov_b32 s13, 0x3fb8aa3b
	v_mul_f32_e32 v31, 0x3fb8aa3b, v30
	v_fma_f32 v32, v30, s13, -v31
	v_rndne_f32_e32 v33, v31
	v_fmac_f32_e32 v32, 0x32a5705f, v30
	v_sub_f32_e32 v31, v31, v33
	v_add_f32_e32 v31, v31, v32
	v_exp_f32_e32 v31, v31
	v_cvt_i32_f32_e32 v32, v33
	s_mov_b32 s13, 0xc2ce8ed0
	v_cmp_ngt_f32_e32 vcc, s13, v30
	s_mov_b32 s13, 0x42b17218
	v_ldexp_f32 v31, v31, v32
	v_cndmask_b32_e32 v31, 0, v31, vcc
	v_mov_b32_e32 v32, 0x7f800000
	v_cmp_nlt_f32_e32 vcc, s13, v30
	v_cndmask_b32_e32 v53, v32, v31, vcc
	v_add_f32_e32 v32, 1.0, v53
	v_add_f32_e32 v30, -1.0, v32
	v_sub_f32_e32 v31, v30, v32
	v_add_f32_e32 v31, 1.0, v31
	v_sub_f32_e32 v30, v53, v30
	v_add_f32_e32 v33, v30, v31
	v_frexp_mant_f32_e32 v34, v32
	s_mov_b32 s13, 0x3f2aaaab
	v_cvt_f64_f32_e32 v[30:31], v32
	v_frexp_exp_i32_f64_e32 v30, v[30:31]
	v_cmp_gt_f32_e32 vcc, s13, v34
	v_subbrev_co_u32_e32 v67, vcc, 0, v30, vcc
	v_sub_u32_e32 v30, 0, v67
	v_ldexp_f32 v31, v32, v30
	v_add_f32_e32 v32, -1.0, v31
	v_add_f32_e32 v34, 1.0, v31
	v_ldexp_f32 v30, v33, v30
	v_add_f32_e32 v33, 1.0, v32
	v_add_f32_e32 v35, -1.0, v34
	v_sub_f32_e32 v33, v31, v33
	v_sub_f32_e32 v31, v31, v35
	v_add_f32_e32 v33, v30, v33
	v_add_f32_e32 v30, v30, v31
	;; [unrolled: 1-line block ×3, first 2 shown]
	v_rcp_f32_e32 v70, v68
	v_sub_f32_e32 v31, v34, v68
	v_add_f32_e32 v69, v30, v31
	v_add_f32_e32 v31, v32, v33
	v_mul_f32_e32 v80, v31, v70
	v_sub_f32_e32 v30, v32, v31
	v_mul_f32_e32 v32, v68, v80
	v_fma_f32 v34, v80, v68, -v32
	v_fmac_f32_e32 v34, v80, v69
	v_add_f32_e32 v71, v33, v30
	v_add_f32_e32 v30, v32, v34
	v_sub_f32_e32 v33, v31, v30
	v_pk_add_f32 v[64:65], v[30:31], v[32:33] neg_lo:[0,1] neg_hi:[0,1]
	v_mov_b32_e32 v35, v30
	v_pk_add_f32 v[30:31], v[64:65], v[34:35] neg_lo:[0,1] neg_hi:[0,1]
	v_add_f32_e32 v31, v71, v31
	v_add_f32_e32 v30, v30, v31
	;; [unrolled: 1-line block ×3, first 2 shown]
	v_mul_f32_e32 v71, v70, v31
	v_mul_f32_e32 v32, v68, v71
	v_fma_f32 v34, v71, v68, -v32
	v_fmac_f32_e32 v34, v71, v69
	v_sub_f32_e32 v33, v33, v31
	v_add_f32_e32 v68, v30, v33
	v_add_f32_e32 v30, v32, v34
	v_sub_f32_e32 v33, v31, v30
	v_pk_add_f32 v[64:65], v[30:31], v[32:33] neg_lo:[0,1] neg_hi:[0,1]
	v_mov_b32_e32 v35, v30
	v_pk_add_f32 v[30:31], v[64:65], v[34:35] neg_lo:[0,1] neg_hi:[0,1]
	v_add_f32_e32 v31, v68, v31
	v_add_f32_e32 v30, v30, v31
	;; [unrolled: 1-line block ×4, first 2 shown]
	v_sub_f32_e32 v31, v33, v80
	v_mul_f32_e32 v30, v70, v30
	v_sub_f32_e32 v31, v71, v31
	v_add_f32_e32 v30, v31, v30
	v_add_f32_e32 v34, v33, v30
	v_mul_f32_e32 v64, v34, v34
	v_mov_b32_e32 v32, 0x3ecc95a3
	v_fmac_f32_e32 v32, 0x3e9b6dac, v64
	v_mov_b32_e32 v31, 0x3f2aaada
	v_fmac_f32_e32 v31, v64, v32
	v_cvt_f32_i32_e32 v32, v67
	v_sub_f32_e32 v33, v34, v33
	v_sub_f32_e32 v30, v30, v33
	v_ldexp_f32 v65, v30, 1
	v_mul_f32_e32 v33, v34, v64
	v_mov_b32_e32 v30, 0x3f317218
	s_mov_b32 s13, 0x3f317218
	v_pk_mul_f32 v[30:31], v[32:33], v[30:31]
	v_ldexp_f32 v35, v34, 1
	v_fma_f32 v34, v32, s13, -v30
	v_fmac_f32_e32 v34, 0xb102e308, v32
	v_pk_add_f32 v[32:33], v[30:31], v[34:35]
	v_sub_f32_e32 v35, v33, v35
	v_sub_f32_e32 v35, v31, v35
	v_add_f32_e32 v65, v65, v35
	v_mov_b32_e32 v64, v30
	v_pk_add_f32 v[30:31], v[32:33], v[30:31] neg_lo:[0,1] neg_hi:[0,1]
	v_pk_add_f32 v[68:69], v[32:33], v[64:65]
	v_mov_b32_e32 v31, v69
	v_mov_b32_e32 v35, v32
	v_pk_add_f32 v[70:71], v[34:35], v[30:31] neg_lo:[0,1] neg_hi:[0,1]
	v_pk_add_f32 v[30:31], v[34:35], v[30:31]
	v_mov_b32_e32 v34, v31
	v_pk_add_f32 v[80:81], v[34:35], v[32:33] neg_lo:[0,1] neg_hi:[0,1]
	v_mov_b32_e32 v35, v80
	v_pk_add_f32 v[82:83], v[68:69], v[34:35] neg_lo:[0,1] neg_hi:[0,1]
	v_mov_b32_e32 v30, v69
	v_mov_b32_e32 v68, v33
	;; [unrolled: 1-line block ×4, first 2 shown]
	v_pk_add_f32 v[30:31], v[30:31], v[68:69] neg_lo:[0,1] neg_hi:[0,1]
	v_mov_b32_e32 v64, v65
	v_mov_b32_e32 v65, v32
	v_pk_add_f32 v[30:31], v[64:65], v[30:31] neg_lo:[0,1] neg_hi:[0,1]
	v_mov_b32_e32 v82, v70
	v_pk_add_f32 v[32:33], v[82:83], v[30:31]
	v_mov_b32_e32 v64, v33
	v_pk_add_f32 v[64:65], v[32:33], v[64:65]
	v_pk_add_f32 v[34:35], v[34:35], v[64:65]
	v_mov_b32_e32 v33, v34
	v_pk_add_f32 v[68:69], v[32:33], v[70:71] neg_lo:[0,1] neg_hi:[0,1]
	v_mov_b32_e32 v31, v64
	v_sub_f32_e32 v32, v32, v68
	v_pk_add_f32 v[30:31], v[30:31], v[68:69] neg_lo:[0,1] neg_hi:[0,1]
	v_sub_f32_e32 v32, v70, v32
	s_mov_b32 s17, 0x7f800000
	v_add_f32_e32 v30, v30, v32
	s_mov_b32 s13, 0x33800000
	v_add_f32_e32 v30, v30, v31
	v_cmp_eq_f32_e32 vcc, s17, v53
	v_cmp_lt_f32_e64 s[18:19], |v53|, s13
	v_add_f32_e32 v30, v34, v30
	s_or_b64 vcc, vcc, s[18:19]
	v_cndmask_b32_e32 v30, v30, v53, vcc
	v_add_f32_e32 v30, v26, v30
.LBB492_61:
	s_or_b64 exec, exec, s[14:15]
	v_bfe_u32 v26, v30, 16, 1
	v_add3_u32 v26, v30, v26, s16
	v_and_b32_e32 v26, 0xffff0000, v26
	v_cmp_o_f32_e32 vcc, v30, v30
	v_cndmask_b32_e32 v30, v27, v26, vcc
	v_mov_b32_e32 v26, 16
	v_lshlrev_b32_sdwa v53, v26, v22 dst_sel:DWORD dst_unused:UNUSED_PAD src0_sel:DWORD src1_sel:WORD_1
	v_max_f32_e32 v27, v30, v30
	v_max_f32_e32 v67, v53, v53
	v_min_f32_e32 v31, v27, v67
	v_cmp_u_f32_e32 vcc, v30, v30
	v_max_f32_e32 v27, v27, v67
	v_cndmask_b32_e32 v31, v31, v30, vcc
	v_cmp_u_f32_e64 s[14:15], v53, v53
	v_cndmask_b32_e32 v27, v27, v30, vcc
	v_cndmask_b32_e64 v31, v31, v53, s[14:15]
	v_cndmask_b32_e64 v27, v27, v53, s[14:15]
	s_movk_i32 s13, 0x1f8
	v_cmp_neq_f32_e32 vcc, v31, v27
	v_cmp_class_f32_e64 s[16:17], v31, s13
	s_or_b64 s[18:19], vcc, s[16:17]
	s_and_saveexec_b64 s[16:17], s[18:19]
	s_cbranch_execz .LBB492_63
; %bb.62:
	v_sub_f32_e32 v30, v31, v27
	s_mov_b32 s18, 0x3fb8aa3b
	v_mul_f32_e32 v31, 0x3fb8aa3b, v30
	v_fma_f32 v32, v30, s18, -v31
	v_rndne_f32_e32 v33, v31
	v_fmac_f32_e32 v32, 0x32a5705f, v30
	v_sub_f32_e32 v31, v31, v33
	v_add_f32_e32 v31, v31, v32
	v_exp_f32_e32 v31, v31
	v_cvt_i32_f32_e32 v32, v33
	s_mov_b32 s18, 0xc2ce8ed0
	v_cmp_ngt_f32_e32 vcc, s18, v30
	s_mov_b32 s18, 0x42b17218
	v_ldexp_f32 v31, v31, v32
	v_cndmask_b32_e32 v31, 0, v31, vcc
	v_mov_b32_e32 v32, 0x7f800000
	v_cmp_nlt_f32_e32 vcc, s18, v30
	v_cndmask_b32_e32 v84, v32, v31, vcc
	v_add_f32_e32 v32, 1.0, v84
	v_add_f32_e32 v30, -1.0, v32
	v_sub_f32_e32 v31, v30, v32
	v_add_f32_e32 v31, 1.0, v31
	v_sub_f32_e32 v30, v84, v30
	v_add_f32_e32 v33, v30, v31
	v_frexp_mant_f32_e32 v34, v32
	s_mov_b32 s18, 0x3f2aaaab
	v_cvt_f64_f32_e32 v[30:31], v32
	v_frexp_exp_i32_f64_e32 v30, v[30:31]
	v_cmp_gt_f32_e32 vcc, s18, v34
	v_subbrev_co_u32_e32 v68, vcc, 0, v30, vcc
	v_sub_u32_e32 v30, 0, v68
	v_ldexp_f32 v31, v32, v30
	v_add_f32_e32 v32, -1.0, v31
	v_add_f32_e32 v34, 1.0, v31
	v_ldexp_f32 v30, v33, v30
	v_add_f32_e32 v33, 1.0, v32
	v_add_f32_e32 v35, -1.0, v34
	v_sub_f32_e32 v33, v31, v33
	v_sub_f32_e32 v31, v31, v35
	v_add_f32_e32 v33, v30, v33
	v_add_f32_e32 v30, v30, v31
	;; [unrolled: 1-line block ×3, first 2 shown]
	v_rcp_f32_e32 v71, v69
	v_sub_f32_e32 v31, v34, v69
	v_add_f32_e32 v70, v30, v31
	v_add_f32_e32 v31, v32, v33
	v_mul_f32_e32 v81, v31, v71
	v_sub_f32_e32 v30, v32, v31
	v_mul_f32_e32 v32, v69, v81
	v_fma_f32 v34, v81, v69, -v32
	v_fmac_f32_e32 v34, v81, v70
	v_add_f32_e32 v80, v33, v30
	v_add_f32_e32 v30, v32, v34
	v_sub_f32_e32 v33, v31, v30
	v_pk_add_f32 v[64:65], v[30:31], v[32:33] neg_lo:[0,1] neg_hi:[0,1]
	v_mov_b32_e32 v35, v30
	v_pk_add_f32 v[30:31], v[64:65], v[34:35] neg_lo:[0,1] neg_hi:[0,1]
	v_add_f32_e32 v31, v80, v31
	v_add_f32_e32 v30, v30, v31
	;; [unrolled: 1-line block ×3, first 2 shown]
	v_mul_f32_e32 v80, v71, v31
	v_mul_f32_e32 v32, v69, v80
	v_fma_f32 v34, v80, v69, -v32
	v_fmac_f32_e32 v34, v80, v70
	v_sub_f32_e32 v33, v33, v31
	v_add_f32_e32 v69, v30, v33
	v_add_f32_e32 v30, v32, v34
	v_sub_f32_e32 v33, v31, v30
	v_pk_add_f32 v[64:65], v[30:31], v[32:33] neg_lo:[0,1] neg_hi:[0,1]
	v_mov_b32_e32 v35, v30
	v_pk_add_f32 v[30:31], v[64:65], v[34:35] neg_lo:[0,1] neg_hi:[0,1]
	v_add_f32_e32 v31, v69, v31
	v_add_f32_e32 v30, v30, v31
	;; [unrolled: 1-line block ×4, first 2 shown]
	v_sub_f32_e32 v31, v33, v81
	v_mul_f32_e32 v30, v71, v30
	v_sub_f32_e32 v31, v80, v31
	v_add_f32_e32 v30, v31, v30
	v_add_f32_e32 v34, v33, v30
	v_mul_f32_e32 v64, v34, v34
	v_mov_b32_e32 v32, 0x3ecc95a3
	v_fmac_f32_e32 v32, 0x3e9b6dac, v64
	v_mov_b32_e32 v31, 0x3f2aaada
	v_fmac_f32_e32 v31, v64, v32
	v_cvt_f32_i32_e32 v32, v68
	v_sub_f32_e32 v33, v34, v33
	v_sub_f32_e32 v30, v30, v33
	v_ldexp_f32 v65, v30, 1
	v_mul_f32_e32 v33, v34, v64
	v_mov_b32_e32 v30, 0x3f317218
	s_mov_b32 s18, 0x3f317218
	v_pk_mul_f32 v[30:31], v[32:33], v[30:31]
	v_ldexp_f32 v35, v34, 1
	v_fma_f32 v34, v32, s18, -v30
	v_fmac_f32_e32 v34, 0xb102e308, v32
	v_pk_add_f32 v[32:33], v[30:31], v[34:35]
	v_sub_f32_e32 v35, v33, v35
	v_sub_f32_e32 v35, v31, v35
	v_add_f32_e32 v65, v65, v35
	v_mov_b32_e32 v64, v30
	v_pk_add_f32 v[30:31], v[32:33], v[30:31] neg_lo:[0,1] neg_hi:[0,1]
	v_pk_add_f32 v[68:69], v[32:33], v[64:65]
	v_mov_b32_e32 v31, v69
	v_mov_b32_e32 v35, v32
	v_pk_add_f32 v[70:71], v[34:35], v[30:31] neg_lo:[0,1] neg_hi:[0,1]
	v_pk_add_f32 v[30:31], v[34:35], v[30:31]
	v_mov_b32_e32 v34, v31
	v_pk_add_f32 v[80:81], v[34:35], v[32:33] neg_lo:[0,1] neg_hi:[0,1]
	v_mov_b32_e32 v35, v80
	v_pk_add_f32 v[82:83], v[68:69], v[34:35] neg_lo:[0,1] neg_hi:[0,1]
	v_mov_b32_e32 v30, v69
	v_mov_b32_e32 v68, v33
	;; [unrolled: 1-line block ×4, first 2 shown]
	v_pk_add_f32 v[30:31], v[30:31], v[68:69] neg_lo:[0,1] neg_hi:[0,1]
	v_mov_b32_e32 v64, v65
	v_mov_b32_e32 v65, v32
	v_pk_add_f32 v[30:31], v[64:65], v[30:31] neg_lo:[0,1] neg_hi:[0,1]
	v_mov_b32_e32 v82, v70
	v_pk_add_f32 v[32:33], v[82:83], v[30:31]
	v_mov_b32_e32 v64, v33
	v_pk_add_f32 v[64:65], v[32:33], v[64:65]
	v_pk_add_f32 v[34:35], v[34:35], v[64:65]
	v_mov_b32_e32 v33, v34
	v_pk_add_f32 v[68:69], v[32:33], v[70:71] neg_lo:[0,1] neg_hi:[0,1]
	v_mov_b32_e32 v31, v64
	v_sub_f32_e32 v32, v32, v68
	v_pk_add_f32 v[30:31], v[30:31], v[68:69] neg_lo:[0,1] neg_hi:[0,1]
	v_sub_f32_e32 v32, v70, v32
	s_mov_b32 s19, 0x7f800000
	v_add_f32_e32 v30, v30, v32
	s_mov_b32 s18, 0x33800000
	v_add_f32_e32 v30, v30, v31
	v_cmp_eq_f32_e32 vcc, s19, v84
	v_cmp_lt_f32_e64 s[18:19], |v84|, s18
	v_add_f32_e32 v30, v34, v30
	s_or_b64 vcc, vcc, s[18:19]
	v_cndmask_b32_e32 v30, v30, v84, vcc
	v_add_f32_e32 v30, v27, v30
.LBB492_63:
	s_or_b64 exec, exec, s[16:17]
	v_bfe_u32 v27, v30, 16, 1
	s_movk_i32 s20, 0x7fff
	v_add3_u32 v27, v30, v27, s20
	v_and_b32_e32 v31, 0xffff0000, v27
	v_mov_b32_e32 v27, 0x7fc00000
	v_cmp_o_f32_e32 vcc, v30, v30
	v_cndmask_b32_e32 v30, v27, v31, vcc
	v_lshlrev_b32_sdwa v64, v26, v23 dst_sel:DWORD dst_unused:UNUSED_PAD src0_sel:DWORD src1_sel:WORD_0
	v_max_f32_e32 v26, v30, v30
	v_max_f32_e32 v70, v64, v64
	v_min_f32_e32 v31, v26, v70
	v_cmp_u_f32_e32 vcc, v30, v30
	v_max_f32_e32 v26, v26, v70
	v_cndmask_b32_e32 v31, v31, v30, vcc
	v_cmp_u_f32_e64 s[16:17], v64, v64
	v_cndmask_b32_e32 v26, v26, v30, vcc
	v_cndmask_b32_e64 v31, v31, v64, s[16:17]
	v_cndmask_b32_e64 v26, v26, v64, s[16:17]
	v_cmp_neq_f32_e32 vcc, v31, v26
	v_cmp_class_f32_e64 s[18:19], v31, s13
	s_or_b64 s[22:23], vcc, s[18:19]
	s_and_saveexec_b64 s[18:19], s[22:23]
	s_cbranch_execz .LBB492_65
; %bb.64:
	v_sub_f32_e32 v30, v31, v26
	s_mov_b32 s13, 0x3fb8aa3b
	v_mul_f32_e32 v31, 0x3fb8aa3b, v30
	v_fma_f32 v32, v30, s13, -v31
	v_rndne_f32_e32 v33, v31
	v_fmac_f32_e32 v32, 0x32a5705f, v30
	v_sub_f32_e32 v31, v31, v33
	v_add_f32_e32 v31, v31, v32
	v_exp_f32_e32 v31, v31
	v_cvt_i32_f32_e32 v32, v33
	s_mov_b32 s13, 0xc2ce8ed0
	v_cmp_ngt_f32_e32 vcc, s13, v30
	s_mov_b32 s13, 0x42b17218
	v_ldexp_f32 v31, v31, v32
	v_cndmask_b32_e32 v31, 0, v31, vcc
	v_mov_b32_e32 v32, 0x7f800000
	v_cmp_nlt_f32_e32 vcc, s13, v30
	v_cndmask_b32_e32 v65, v32, v31, vcc
	v_add_f32_e32 v32, 1.0, v65
	v_add_f32_e32 v30, -1.0, v32
	v_sub_f32_e32 v31, v30, v32
	v_add_f32_e32 v31, 1.0, v31
	v_sub_f32_e32 v30, v65, v30
	v_add_f32_e32 v33, v30, v31
	v_frexp_mant_f32_e32 v34, v32
	s_mov_b32 s13, 0x3f2aaaab
	v_cvt_f64_f32_e32 v[30:31], v32
	v_frexp_exp_i32_f64_e32 v30, v[30:31]
	v_cmp_gt_f32_e32 vcc, s13, v34
	v_subbrev_co_u32_e32 v71, vcc, 0, v30, vcc
	v_sub_u32_e32 v30, 0, v71
	v_ldexp_f32 v31, v32, v30
	v_add_f32_e32 v32, -1.0, v31
	v_add_f32_e32 v34, 1.0, v31
	v_ldexp_f32 v30, v33, v30
	v_add_f32_e32 v33, 1.0, v32
	v_add_f32_e32 v35, -1.0, v34
	v_sub_f32_e32 v33, v31, v33
	v_sub_f32_e32 v31, v31, v35
	v_add_f32_e32 v33, v30, v33
	v_add_f32_e32 v30, v30, v31
	v_add_f32_e32 v80, v34, v30
	v_rcp_f32_e32 v82, v80
	v_sub_f32_e32 v31, v34, v80
	v_add_f32_e32 v81, v30, v31
	v_add_f32_e32 v31, v32, v33
	v_mul_f32_e32 v84, v31, v82
	v_sub_f32_e32 v30, v32, v31
	v_mul_f32_e32 v32, v80, v84
	v_fma_f32 v34, v84, v80, -v32
	v_fmac_f32_e32 v34, v84, v81
	v_add_f32_e32 v83, v33, v30
	v_add_f32_e32 v30, v32, v34
	v_sub_f32_e32 v33, v31, v30
	v_pk_add_f32 v[68:69], v[30:31], v[32:33] neg_lo:[0,1] neg_hi:[0,1]
	v_mov_b32_e32 v35, v30
	v_pk_add_f32 v[30:31], v[68:69], v[34:35] neg_lo:[0,1] neg_hi:[0,1]
	v_add_f32_e32 v31, v83, v31
	v_add_f32_e32 v30, v30, v31
	;; [unrolled: 1-line block ×3, first 2 shown]
	v_mul_f32_e32 v83, v82, v31
	v_mul_f32_e32 v32, v80, v83
	v_fma_f32 v34, v83, v80, -v32
	v_fmac_f32_e32 v34, v83, v81
	v_sub_f32_e32 v33, v33, v31
	v_add_f32_e32 v80, v30, v33
	v_add_f32_e32 v30, v32, v34
	v_sub_f32_e32 v33, v31, v30
	v_pk_add_f32 v[68:69], v[30:31], v[32:33] neg_lo:[0,1] neg_hi:[0,1]
	v_mov_b32_e32 v35, v30
	v_pk_add_f32 v[30:31], v[68:69], v[34:35] neg_lo:[0,1] neg_hi:[0,1]
	v_add_f32_e32 v31, v80, v31
	v_add_f32_e32 v30, v30, v31
	;; [unrolled: 1-line block ×4, first 2 shown]
	v_sub_f32_e32 v31, v33, v84
	v_mul_f32_e32 v30, v82, v30
	v_sub_f32_e32 v31, v83, v31
	v_add_f32_e32 v30, v31, v30
	v_add_f32_e32 v34, v33, v30
	v_mul_f32_e32 v68, v34, v34
	v_mov_b32_e32 v32, 0x3ecc95a3
	v_fmac_f32_e32 v32, 0x3e9b6dac, v68
	v_mov_b32_e32 v31, 0x3f2aaada
	v_fmac_f32_e32 v31, v68, v32
	v_cvt_f32_i32_e32 v32, v71
	v_sub_f32_e32 v33, v34, v33
	v_sub_f32_e32 v30, v30, v33
	v_ldexp_f32 v69, v30, 1
	v_mul_f32_e32 v33, v34, v68
	v_mov_b32_e32 v30, 0x3f317218
	s_mov_b32 s13, 0x3f317218
	v_pk_mul_f32 v[30:31], v[32:33], v[30:31]
	v_ldexp_f32 v35, v34, 1
	v_fma_f32 v34, v32, s13, -v30
	v_fmac_f32_e32 v34, 0xb102e308, v32
	v_pk_add_f32 v[32:33], v[30:31], v[34:35]
	v_sub_f32_e32 v35, v33, v35
	v_sub_f32_e32 v35, v31, v35
	v_add_f32_e32 v69, v69, v35
	v_mov_b32_e32 v68, v30
	v_pk_add_f32 v[30:31], v[32:33], v[30:31] neg_lo:[0,1] neg_hi:[0,1]
	v_pk_add_f32 v[80:81], v[32:33], v[68:69]
	v_mov_b32_e32 v31, v81
	v_mov_b32_e32 v35, v32
	v_pk_add_f32 v[82:83], v[34:35], v[30:31] neg_lo:[0,1] neg_hi:[0,1]
	v_pk_add_f32 v[30:31], v[34:35], v[30:31]
	v_mov_b32_e32 v34, v31
	v_pk_add_f32 v[84:85], v[34:35], v[32:33] neg_lo:[0,1] neg_hi:[0,1]
	v_mov_b32_e32 v35, v84
	v_pk_add_f32 v[86:87], v[80:81], v[34:35] neg_lo:[0,1] neg_hi:[0,1]
	v_mov_b32_e32 v30, v81
	v_mov_b32_e32 v80, v33
	;; [unrolled: 1-line block ×4, first 2 shown]
	v_pk_add_f32 v[30:31], v[30:31], v[80:81] neg_lo:[0,1] neg_hi:[0,1]
	v_mov_b32_e32 v68, v69
	v_mov_b32_e32 v69, v32
	v_pk_add_f32 v[30:31], v[68:69], v[30:31] neg_lo:[0,1] neg_hi:[0,1]
	v_mov_b32_e32 v86, v82
	v_pk_add_f32 v[32:33], v[86:87], v[30:31]
	v_mov_b32_e32 v68, v33
	v_pk_add_f32 v[68:69], v[32:33], v[68:69]
	v_pk_add_f32 v[34:35], v[34:35], v[68:69]
	v_mov_b32_e32 v33, v34
	v_pk_add_f32 v[80:81], v[32:33], v[82:83] neg_lo:[0,1] neg_hi:[0,1]
	v_mov_b32_e32 v31, v68
	v_sub_f32_e32 v32, v32, v80
	v_pk_add_f32 v[30:31], v[30:31], v[80:81] neg_lo:[0,1] neg_hi:[0,1]
	v_sub_f32_e32 v32, v82, v32
	s_mov_b32 s21, 0x7f800000
	v_add_f32_e32 v30, v30, v32
	s_mov_b32 s13, 0x33800000
	v_add_f32_e32 v30, v30, v31
	v_cmp_eq_f32_e32 vcc, s21, v65
	v_cmp_lt_f32_e64 s[22:23], |v65|, s13
	v_add_f32_e32 v30, v34, v30
	s_or_b64 vcc, vcc, s[22:23]
	v_cndmask_b32_e32 v30, v30, v65, vcc
	v_add_f32_e32 v30, v26, v30
.LBB492_65:
	s_or_b64 exec, exec, s[18:19]
	v_bfe_u32 v26, v30, 16, 1
	v_add3_u32 v26, v30, v26, s20
	v_and_b32_e32 v26, 0xffff0000, v26
	v_cmp_o_f32_e32 vcc, v30, v30
	v_cndmask_b32_e32 v30, v27, v26, vcc
	v_mov_b32_e32 v26, 16
	v_lshlrev_b32_sdwa v65, v26, v23 dst_sel:DWORD dst_unused:UNUSED_PAD src0_sel:DWORD src1_sel:WORD_1
	v_max_f32_e32 v27, v30, v30
	v_max_f32_e32 v71, v65, v65
	v_min_f32_e32 v31, v27, v71
	v_cmp_u_f32_e32 vcc, v30, v30
	v_max_f32_e32 v27, v27, v71
	v_cndmask_b32_e32 v31, v31, v30, vcc
	v_cmp_u_f32_e64 s[18:19], v65, v65
	v_cndmask_b32_e32 v27, v27, v30, vcc
	v_cndmask_b32_e64 v31, v31, v65, s[18:19]
	v_cndmask_b32_e64 v27, v27, v65, s[18:19]
	s_movk_i32 s13, 0x1f8
	v_cmp_neq_f32_e32 vcc, v31, v27
	v_cmp_class_f32_e64 s[20:21], v31, s13
	s_or_b64 s[22:23], vcc, s[20:21]
	s_and_saveexec_b64 s[20:21], s[22:23]
	s_cbranch_execz .LBB492_67
; %bb.66:
	v_sub_f32_e32 v30, v31, v27
	s_mov_b32 s22, 0x3fb8aa3b
	v_mul_f32_e32 v31, 0x3fb8aa3b, v30
	v_fma_f32 v32, v30, s22, -v31
	v_rndne_f32_e32 v33, v31
	v_fmac_f32_e32 v32, 0x32a5705f, v30
	v_sub_f32_e32 v31, v31, v33
	v_add_f32_e32 v31, v31, v32
	v_exp_f32_e32 v31, v31
	v_cvt_i32_f32_e32 v32, v33
	s_mov_b32 s22, 0xc2ce8ed0
	v_cmp_ngt_f32_e32 vcc, s22, v30
	s_mov_b32 s22, 0x42b17218
	v_ldexp_f32 v31, v31, v32
	v_cndmask_b32_e32 v31, 0, v31, vcc
	v_mov_b32_e32 v32, 0x7f800000
	v_cmp_nlt_f32_e32 vcc, s22, v30
	v_cndmask_b32_e32 v96, v32, v31, vcc
	v_add_f32_e32 v32, 1.0, v96
	v_add_f32_e32 v30, -1.0, v32
	v_sub_f32_e32 v31, v30, v32
	v_add_f32_e32 v31, 1.0, v31
	v_sub_f32_e32 v30, v96, v30
	v_add_f32_e32 v33, v30, v31
	v_frexp_mant_f32_e32 v34, v32
	s_mov_b32 s22, 0x3f2aaaab
	v_cvt_f64_f32_e32 v[30:31], v32
	v_frexp_exp_i32_f64_e32 v30, v[30:31]
	v_cmp_gt_f32_e32 vcc, s22, v34
	v_subbrev_co_u32_e32 v80, vcc, 0, v30, vcc
	v_sub_u32_e32 v30, 0, v80
	v_ldexp_f32 v31, v32, v30
	v_add_f32_e32 v32, -1.0, v31
	v_add_f32_e32 v34, 1.0, v31
	v_ldexp_f32 v30, v33, v30
	v_add_f32_e32 v33, 1.0, v32
	v_add_f32_e32 v35, -1.0, v34
	v_sub_f32_e32 v33, v31, v33
	v_sub_f32_e32 v31, v31, v35
	v_add_f32_e32 v33, v30, v33
	v_add_f32_e32 v30, v30, v31
	v_add_f32_e32 v81, v34, v30
	v_rcp_f32_e32 v83, v81
	v_sub_f32_e32 v31, v34, v81
	v_add_f32_e32 v82, v30, v31
	v_add_f32_e32 v31, v32, v33
	v_mul_f32_e32 v85, v31, v83
	v_sub_f32_e32 v30, v32, v31
	v_mul_f32_e32 v32, v81, v85
	v_fma_f32 v34, v85, v81, -v32
	v_fmac_f32_e32 v34, v85, v82
	v_add_f32_e32 v84, v33, v30
	v_add_f32_e32 v30, v32, v34
	v_sub_f32_e32 v33, v31, v30
	v_pk_add_f32 v[68:69], v[30:31], v[32:33] neg_lo:[0,1] neg_hi:[0,1]
	v_mov_b32_e32 v35, v30
	v_pk_add_f32 v[30:31], v[68:69], v[34:35] neg_lo:[0,1] neg_hi:[0,1]
	v_add_f32_e32 v31, v84, v31
	v_add_f32_e32 v30, v30, v31
	;; [unrolled: 1-line block ×3, first 2 shown]
	v_mul_f32_e32 v84, v83, v31
	v_mul_f32_e32 v32, v81, v84
	v_fma_f32 v34, v84, v81, -v32
	v_fmac_f32_e32 v34, v84, v82
	v_sub_f32_e32 v33, v33, v31
	v_add_f32_e32 v81, v30, v33
	v_add_f32_e32 v30, v32, v34
	v_sub_f32_e32 v33, v31, v30
	v_pk_add_f32 v[68:69], v[30:31], v[32:33] neg_lo:[0,1] neg_hi:[0,1]
	v_mov_b32_e32 v35, v30
	v_pk_add_f32 v[30:31], v[68:69], v[34:35] neg_lo:[0,1] neg_hi:[0,1]
	v_add_f32_e32 v31, v81, v31
	v_add_f32_e32 v30, v30, v31
	;; [unrolled: 1-line block ×4, first 2 shown]
	v_sub_f32_e32 v31, v33, v85
	v_mul_f32_e32 v30, v83, v30
	v_sub_f32_e32 v31, v84, v31
	v_add_f32_e32 v30, v31, v30
	v_add_f32_e32 v34, v33, v30
	v_mul_f32_e32 v68, v34, v34
	v_mov_b32_e32 v32, 0x3ecc95a3
	v_fmac_f32_e32 v32, 0x3e9b6dac, v68
	v_mov_b32_e32 v31, 0x3f2aaada
	v_fmac_f32_e32 v31, v68, v32
	v_cvt_f32_i32_e32 v32, v80
	v_sub_f32_e32 v33, v34, v33
	v_sub_f32_e32 v30, v30, v33
	v_ldexp_f32 v69, v30, 1
	v_mul_f32_e32 v33, v34, v68
	v_mov_b32_e32 v30, 0x3f317218
	s_mov_b32 s22, 0x3f317218
	v_pk_mul_f32 v[30:31], v[32:33], v[30:31]
	v_ldexp_f32 v35, v34, 1
	v_fma_f32 v34, v32, s22, -v30
	v_fmac_f32_e32 v34, 0xb102e308, v32
	v_pk_add_f32 v[32:33], v[30:31], v[34:35]
	v_sub_f32_e32 v35, v33, v35
	v_sub_f32_e32 v35, v31, v35
	v_add_f32_e32 v69, v69, v35
	v_mov_b32_e32 v68, v30
	v_pk_add_f32 v[30:31], v[32:33], v[30:31] neg_lo:[0,1] neg_hi:[0,1]
	v_pk_add_f32 v[80:81], v[32:33], v[68:69]
	v_mov_b32_e32 v31, v81
	v_mov_b32_e32 v35, v32
	v_pk_add_f32 v[82:83], v[34:35], v[30:31] neg_lo:[0,1] neg_hi:[0,1]
	v_pk_add_f32 v[30:31], v[34:35], v[30:31]
	v_mov_b32_e32 v34, v31
	v_pk_add_f32 v[84:85], v[34:35], v[32:33] neg_lo:[0,1] neg_hi:[0,1]
	v_mov_b32_e32 v35, v84
	v_pk_add_f32 v[86:87], v[80:81], v[34:35] neg_lo:[0,1] neg_hi:[0,1]
	v_mov_b32_e32 v30, v81
	v_mov_b32_e32 v80, v33
	;; [unrolled: 1-line block ×4, first 2 shown]
	v_pk_add_f32 v[30:31], v[30:31], v[80:81] neg_lo:[0,1] neg_hi:[0,1]
	v_mov_b32_e32 v68, v69
	v_mov_b32_e32 v69, v32
	v_pk_add_f32 v[30:31], v[68:69], v[30:31] neg_lo:[0,1] neg_hi:[0,1]
	v_mov_b32_e32 v86, v82
	v_pk_add_f32 v[32:33], v[86:87], v[30:31]
	v_mov_b32_e32 v68, v33
	v_pk_add_f32 v[68:69], v[32:33], v[68:69]
	v_pk_add_f32 v[34:35], v[34:35], v[68:69]
	v_mov_b32_e32 v33, v34
	v_pk_add_f32 v[80:81], v[32:33], v[82:83] neg_lo:[0,1] neg_hi:[0,1]
	v_mov_b32_e32 v31, v68
	v_sub_f32_e32 v32, v32, v80
	v_pk_add_f32 v[30:31], v[30:31], v[80:81] neg_lo:[0,1] neg_hi:[0,1]
	v_sub_f32_e32 v32, v82, v32
	s_mov_b32 s23, 0x7f800000
	v_add_f32_e32 v30, v30, v32
	s_mov_b32 s22, 0x33800000
	v_add_f32_e32 v30, v30, v31
	v_cmp_eq_f32_e32 vcc, s23, v96
	v_cmp_lt_f32_e64 s[22:23], |v96|, s22
	v_add_f32_e32 v30, v34, v30
	s_or_b64 vcc, vcc, s[22:23]
	v_cndmask_b32_e32 v30, v30, v96, vcc
	v_add_f32_e32 v30, v27, v30
.LBB492_67:
	s_or_b64 exec, exec, s[20:21]
	v_bfe_u32 v27, v30, 16, 1
	s_movk_i32 s24, 0x7fff
	v_add3_u32 v27, v30, v27, s24
	v_and_b32_e32 v31, 0xffff0000, v27
	v_mov_b32_e32 v27, 0x7fc00000
	v_cmp_o_f32_e32 vcc, v30, v30
	v_cndmask_b32_e32 v30, v27, v31, vcc
	v_lshlrev_b32_sdwa v68, v26, v16 dst_sel:DWORD dst_unused:UNUSED_PAD src0_sel:DWORD src1_sel:WORD_0
	v_max_f32_e32 v26, v30, v30
	v_max_f32_e32 v82, v68, v68
	v_min_f32_e32 v31, v26, v82
	v_cmp_u_f32_e32 vcc, v30, v30
	v_max_f32_e32 v26, v26, v82
	v_cndmask_b32_e32 v31, v31, v30, vcc
	v_cmp_u_f32_e64 s[20:21], v68, v68
	v_cndmask_b32_e32 v26, v26, v30, vcc
	v_cndmask_b32_e64 v31, v31, v68, s[20:21]
	v_cndmask_b32_e64 v26, v26, v68, s[20:21]
	v_cmp_neq_f32_e32 vcc, v31, v26
	v_cmp_class_f32_e64 s[22:23], v31, s13
	s_or_b64 s[26:27], vcc, s[22:23]
	s_and_saveexec_b64 s[22:23], s[26:27]
	s_cbranch_execz .LBB492_69
; %bb.68:
	v_sub_f32_e32 v30, v31, v26
	s_mov_b32 s13, 0x3fb8aa3b
	v_mul_f32_e32 v31, 0x3fb8aa3b, v30
	v_fma_f32 v32, v30, s13, -v31
	v_rndne_f32_e32 v33, v31
	v_fmac_f32_e32 v32, 0x32a5705f, v30
	v_sub_f32_e32 v31, v31, v33
	v_add_f32_e32 v31, v31, v32
	v_exp_f32_e32 v31, v31
	v_cvt_i32_f32_e32 v32, v33
	s_mov_b32 s13, 0xc2ce8ed0
	v_cmp_ngt_f32_e32 vcc, s13, v30
	s_mov_b32 s13, 0x42b17218
	v_ldexp_f32 v31, v31, v32
	v_cndmask_b32_e32 v31, 0, v31, vcc
	v_mov_b32_e32 v32, 0x7f800000
	v_cmp_nlt_f32_e32 vcc, s13, v30
	v_cndmask_b32_e32 v69, v32, v31, vcc
	v_add_f32_e32 v32, 1.0, v69
	v_add_f32_e32 v30, -1.0, v32
	v_sub_f32_e32 v31, v30, v32
	v_add_f32_e32 v31, 1.0, v31
	v_sub_f32_e32 v30, v69, v30
	v_add_f32_e32 v33, v30, v31
	v_frexp_mant_f32_e32 v34, v32
	s_mov_b32 s13, 0x3f2aaaab
	v_cvt_f64_f32_e32 v[30:31], v32
	v_frexp_exp_i32_f64_e32 v30, v[30:31]
	v_cmp_gt_f32_e32 vcc, s13, v34
	v_subbrev_co_u32_e32 v83, vcc, 0, v30, vcc
	v_sub_u32_e32 v30, 0, v83
	v_ldexp_f32 v31, v32, v30
	v_add_f32_e32 v32, -1.0, v31
	v_add_f32_e32 v34, 1.0, v31
	v_ldexp_f32 v30, v33, v30
	v_add_f32_e32 v33, 1.0, v32
	v_add_f32_e32 v35, -1.0, v34
	v_sub_f32_e32 v33, v31, v33
	v_sub_f32_e32 v31, v31, v35
	v_add_f32_e32 v33, v30, v33
	v_add_f32_e32 v30, v30, v31
	;; [unrolled: 1-line block ×3, first 2 shown]
	v_rcp_f32_e32 v86, v84
	v_sub_f32_e32 v31, v34, v84
	v_add_f32_e32 v85, v30, v31
	v_add_f32_e32 v31, v32, v33
	v_mul_f32_e32 v96, v31, v86
	v_sub_f32_e32 v30, v32, v31
	v_mul_f32_e32 v32, v84, v96
	v_fma_f32 v34, v96, v84, -v32
	v_fmac_f32_e32 v34, v96, v85
	v_add_f32_e32 v87, v33, v30
	v_add_f32_e32 v30, v32, v34
	v_sub_f32_e32 v33, v31, v30
	v_pk_add_f32 v[80:81], v[30:31], v[32:33] neg_lo:[0,1] neg_hi:[0,1]
	v_mov_b32_e32 v35, v30
	v_pk_add_f32 v[30:31], v[80:81], v[34:35] neg_lo:[0,1] neg_hi:[0,1]
	v_add_f32_e32 v31, v87, v31
	v_add_f32_e32 v30, v30, v31
	;; [unrolled: 1-line block ×3, first 2 shown]
	v_mul_f32_e32 v87, v86, v31
	v_mul_f32_e32 v32, v84, v87
	v_fma_f32 v34, v87, v84, -v32
	v_fmac_f32_e32 v34, v87, v85
	v_sub_f32_e32 v33, v33, v31
	v_add_f32_e32 v84, v30, v33
	v_add_f32_e32 v30, v32, v34
	v_sub_f32_e32 v33, v31, v30
	v_pk_add_f32 v[80:81], v[30:31], v[32:33] neg_lo:[0,1] neg_hi:[0,1]
	v_mov_b32_e32 v35, v30
	v_pk_add_f32 v[30:31], v[80:81], v[34:35] neg_lo:[0,1] neg_hi:[0,1]
	v_add_f32_e32 v31, v84, v31
	v_add_f32_e32 v30, v30, v31
	;; [unrolled: 1-line block ×4, first 2 shown]
	v_sub_f32_e32 v31, v33, v96
	v_mul_f32_e32 v30, v86, v30
	v_sub_f32_e32 v31, v87, v31
	v_add_f32_e32 v30, v31, v30
	v_add_f32_e32 v34, v33, v30
	v_mul_f32_e32 v80, v34, v34
	v_mov_b32_e32 v32, 0x3ecc95a3
	v_fmac_f32_e32 v32, 0x3e9b6dac, v80
	v_mov_b32_e32 v31, 0x3f2aaada
	v_fmac_f32_e32 v31, v80, v32
	v_cvt_f32_i32_e32 v32, v83
	v_sub_f32_e32 v33, v34, v33
	v_sub_f32_e32 v30, v30, v33
	v_ldexp_f32 v81, v30, 1
	v_mul_f32_e32 v33, v34, v80
	v_mov_b32_e32 v30, 0x3f317218
	s_mov_b32 s13, 0x3f317218
	v_pk_mul_f32 v[30:31], v[32:33], v[30:31]
	v_ldexp_f32 v35, v34, 1
	v_fma_f32 v34, v32, s13, -v30
	v_fmac_f32_e32 v34, 0xb102e308, v32
	v_pk_add_f32 v[32:33], v[30:31], v[34:35]
	v_sub_f32_e32 v35, v33, v35
	v_sub_f32_e32 v35, v31, v35
	v_add_f32_e32 v81, v81, v35
	v_mov_b32_e32 v80, v30
	v_pk_add_f32 v[30:31], v[32:33], v[30:31] neg_lo:[0,1] neg_hi:[0,1]
	v_pk_add_f32 v[84:85], v[32:33], v[80:81]
	v_mov_b32_e32 v31, v85
	v_mov_b32_e32 v35, v32
	v_pk_add_f32 v[86:87], v[34:35], v[30:31] neg_lo:[0,1] neg_hi:[0,1]
	v_pk_add_f32 v[30:31], v[34:35], v[30:31]
	v_mov_b32_e32 v34, v31
	v_pk_add_f32 v[96:97], v[34:35], v[32:33] neg_lo:[0,1] neg_hi:[0,1]
	v_mov_b32_e32 v35, v96
	v_pk_add_f32 v[98:99], v[84:85], v[34:35] neg_lo:[0,1] neg_hi:[0,1]
	v_mov_b32_e32 v30, v85
	v_mov_b32_e32 v84, v33
	;; [unrolled: 1-line block ×4, first 2 shown]
	v_pk_add_f32 v[30:31], v[30:31], v[84:85] neg_lo:[0,1] neg_hi:[0,1]
	v_mov_b32_e32 v80, v81
	v_mov_b32_e32 v81, v32
	v_pk_add_f32 v[30:31], v[80:81], v[30:31] neg_lo:[0,1] neg_hi:[0,1]
	v_mov_b32_e32 v98, v86
	v_pk_add_f32 v[32:33], v[98:99], v[30:31]
	v_mov_b32_e32 v80, v33
	v_pk_add_f32 v[80:81], v[32:33], v[80:81]
	v_pk_add_f32 v[34:35], v[34:35], v[80:81]
	v_mov_b32_e32 v33, v34
	v_pk_add_f32 v[84:85], v[32:33], v[86:87] neg_lo:[0,1] neg_hi:[0,1]
	v_mov_b32_e32 v31, v80
	v_sub_f32_e32 v32, v32, v84
	v_pk_add_f32 v[30:31], v[30:31], v[84:85] neg_lo:[0,1] neg_hi:[0,1]
	v_sub_f32_e32 v32, v86, v32
	s_mov_b32 s25, 0x7f800000
	v_add_f32_e32 v30, v30, v32
	s_mov_b32 s13, 0x33800000
	v_add_f32_e32 v30, v30, v31
	v_cmp_eq_f32_e32 vcc, s25, v69
	v_cmp_lt_f32_e64 s[26:27], |v69|, s13
	v_add_f32_e32 v30, v34, v30
	s_or_b64 vcc, vcc, s[26:27]
	v_cndmask_b32_e32 v30, v30, v69, vcc
	v_add_f32_e32 v30, v26, v30
.LBB492_69:
	s_or_b64 exec, exec, s[22:23]
	v_bfe_u32 v26, v30, 16, 1
	v_add3_u32 v26, v30, v26, s24
	v_and_b32_e32 v26, 0xffff0000, v26
	v_cmp_o_f32_e32 vcc, v30, v30
	v_cndmask_b32_e32 v30, v27, v26, vcc
	v_mov_b32_e32 v26, 16
	v_lshlrev_b32_sdwa v69, v26, v16 dst_sel:DWORD dst_unused:UNUSED_PAD src0_sel:DWORD src1_sel:WORD_1
	v_max_f32_e32 v27, v30, v30
	v_max_f32_e32 v83, v69, v69
	v_min_f32_e32 v31, v27, v83
	v_cmp_u_f32_e32 vcc, v30, v30
	v_max_f32_e32 v27, v27, v83
	v_cndmask_b32_e32 v31, v31, v30, vcc
	v_cmp_u_f32_e64 s[22:23], v69, v69
	v_cndmask_b32_e32 v27, v27, v30, vcc
	v_cndmask_b32_e64 v31, v31, v69, s[22:23]
	v_cndmask_b32_e64 v27, v27, v69, s[22:23]
	s_movk_i32 s13, 0x1f8
	v_cmp_neq_f32_e32 vcc, v31, v27
	v_cmp_class_f32_e64 s[24:25], v31, s13
	s_or_b64 s[26:27], vcc, s[24:25]
	s_and_saveexec_b64 s[24:25], s[26:27]
	s_cbranch_execz .LBB492_71
; %bb.70:
	v_sub_f32_e32 v30, v31, v27
	s_mov_b32 s26, 0x3fb8aa3b
	v_mul_f32_e32 v31, 0x3fb8aa3b, v30
	v_fma_f32 v32, v30, s26, -v31
	v_rndne_f32_e32 v33, v31
	v_fmac_f32_e32 v32, 0x32a5705f, v30
	v_sub_f32_e32 v31, v31, v33
	v_add_f32_e32 v31, v31, v32
	v_exp_f32_e32 v31, v31
	v_cvt_i32_f32_e32 v32, v33
	s_mov_b32 s26, 0xc2ce8ed0
	v_cmp_ngt_f32_e32 vcc, s26, v30
	s_mov_b32 s26, 0x42b17218
	v_ldexp_f32 v31, v31, v32
	v_cndmask_b32_e32 v31, 0, v31, vcc
	v_mov_b32_e32 v32, 0x7f800000
	v_cmp_nlt_f32_e32 vcc, s26, v30
	v_cndmask_b32_e32 v100, v32, v31, vcc
	v_add_f32_e32 v32, 1.0, v100
	v_add_f32_e32 v30, -1.0, v32
	v_sub_f32_e32 v31, v30, v32
	v_add_f32_e32 v31, 1.0, v31
	v_sub_f32_e32 v30, v100, v30
	v_add_f32_e32 v33, v30, v31
	v_frexp_mant_f32_e32 v34, v32
	s_mov_b32 s26, 0x3f2aaaab
	v_cvt_f64_f32_e32 v[30:31], v32
	v_frexp_exp_i32_f64_e32 v30, v[30:31]
	v_cmp_gt_f32_e32 vcc, s26, v34
	v_subbrev_co_u32_e32 v84, vcc, 0, v30, vcc
	v_sub_u32_e32 v30, 0, v84
	v_ldexp_f32 v31, v32, v30
	v_add_f32_e32 v32, -1.0, v31
	v_add_f32_e32 v34, 1.0, v31
	v_ldexp_f32 v30, v33, v30
	v_add_f32_e32 v33, 1.0, v32
	v_add_f32_e32 v35, -1.0, v34
	v_sub_f32_e32 v33, v31, v33
	v_sub_f32_e32 v31, v31, v35
	v_add_f32_e32 v33, v30, v33
	v_add_f32_e32 v30, v30, v31
	;; [unrolled: 1-line block ×3, first 2 shown]
	v_rcp_f32_e32 v87, v85
	v_sub_f32_e32 v31, v34, v85
	v_add_f32_e32 v86, v30, v31
	v_add_f32_e32 v31, v32, v33
	v_mul_f32_e32 v97, v31, v87
	v_sub_f32_e32 v30, v32, v31
	v_mul_f32_e32 v32, v85, v97
	v_fma_f32 v34, v97, v85, -v32
	v_fmac_f32_e32 v34, v97, v86
	v_add_f32_e32 v96, v33, v30
	v_add_f32_e32 v30, v32, v34
	v_sub_f32_e32 v33, v31, v30
	v_pk_add_f32 v[80:81], v[30:31], v[32:33] neg_lo:[0,1] neg_hi:[0,1]
	v_mov_b32_e32 v35, v30
	v_pk_add_f32 v[30:31], v[80:81], v[34:35] neg_lo:[0,1] neg_hi:[0,1]
	v_add_f32_e32 v31, v96, v31
	v_add_f32_e32 v30, v30, v31
	;; [unrolled: 1-line block ×3, first 2 shown]
	v_mul_f32_e32 v96, v87, v31
	v_mul_f32_e32 v32, v85, v96
	v_fma_f32 v34, v96, v85, -v32
	v_fmac_f32_e32 v34, v96, v86
	v_sub_f32_e32 v33, v33, v31
	v_add_f32_e32 v85, v30, v33
	v_add_f32_e32 v30, v32, v34
	v_sub_f32_e32 v33, v31, v30
	v_pk_add_f32 v[80:81], v[30:31], v[32:33] neg_lo:[0,1] neg_hi:[0,1]
	v_mov_b32_e32 v35, v30
	v_pk_add_f32 v[30:31], v[80:81], v[34:35] neg_lo:[0,1] neg_hi:[0,1]
	v_add_f32_e32 v31, v85, v31
	v_add_f32_e32 v30, v30, v31
	;; [unrolled: 1-line block ×4, first 2 shown]
	v_sub_f32_e32 v31, v33, v97
	v_mul_f32_e32 v30, v87, v30
	v_sub_f32_e32 v31, v96, v31
	v_add_f32_e32 v30, v31, v30
	v_add_f32_e32 v34, v33, v30
	v_mul_f32_e32 v80, v34, v34
	v_mov_b32_e32 v32, 0x3ecc95a3
	v_fmac_f32_e32 v32, 0x3e9b6dac, v80
	v_mov_b32_e32 v31, 0x3f2aaada
	v_fmac_f32_e32 v31, v80, v32
	v_cvt_f32_i32_e32 v32, v84
	v_sub_f32_e32 v33, v34, v33
	v_sub_f32_e32 v30, v30, v33
	v_ldexp_f32 v81, v30, 1
	v_mul_f32_e32 v33, v34, v80
	v_mov_b32_e32 v30, 0x3f317218
	s_mov_b32 s26, 0x3f317218
	v_pk_mul_f32 v[30:31], v[32:33], v[30:31]
	v_ldexp_f32 v35, v34, 1
	v_fma_f32 v34, v32, s26, -v30
	v_fmac_f32_e32 v34, 0xb102e308, v32
	v_pk_add_f32 v[32:33], v[30:31], v[34:35]
	v_sub_f32_e32 v35, v33, v35
	v_sub_f32_e32 v35, v31, v35
	v_add_f32_e32 v81, v81, v35
	v_mov_b32_e32 v80, v30
	v_pk_add_f32 v[30:31], v[32:33], v[30:31] neg_lo:[0,1] neg_hi:[0,1]
	v_pk_add_f32 v[84:85], v[32:33], v[80:81]
	v_mov_b32_e32 v31, v85
	v_mov_b32_e32 v35, v32
	v_pk_add_f32 v[86:87], v[34:35], v[30:31] neg_lo:[0,1] neg_hi:[0,1]
	v_pk_add_f32 v[30:31], v[34:35], v[30:31]
	v_mov_b32_e32 v34, v31
	v_pk_add_f32 v[96:97], v[34:35], v[32:33] neg_lo:[0,1] neg_hi:[0,1]
	v_mov_b32_e32 v35, v96
	v_pk_add_f32 v[98:99], v[84:85], v[34:35] neg_lo:[0,1] neg_hi:[0,1]
	v_mov_b32_e32 v30, v85
	v_mov_b32_e32 v84, v33
	;; [unrolled: 1-line block ×4, first 2 shown]
	v_pk_add_f32 v[30:31], v[30:31], v[84:85] neg_lo:[0,1] neg_hi:[0,1]
	v_mov_b32_e32 v80, v81
	v_mov_b32_e32 v81, v32
	v_pk_add_f32 v[30:31], v[80:81], v[30:31] neg_lo:[0,1] neg_hi:[0,1]
	v_mov_b32_e32 v98, v86
	v_pk_add_f32 v[32:33], v[98:99], v[30:31]
	v_mov_b32_e32 v80, v33
	v_pk_add_f32 v[80:81], v[32:33], v[80:81]
	v_pk_add_f32 v[34:35], v[34:35], v[80:81]
	v_mov_b32_e32 v33, v34
	v_pk_add_f32 v[84:85], v[32:33], v[86:87] neg_lo:[0,1] neg_hi:[0,1]
	v_mov_b32_e32 v31, v80
	v_sub_f32_e32 v32, v32, v84
	v_pk_add_f32 v[30:31], v[30:31], v[84:85] neg_lo:[0,1] neg_hi:[0,1]
	v_sub_f32_e32 v32, v86, v32
	s_mov_b32 s27, 0x7f800000
	v_add_f32_e32 v30, v30, v32
	s_mov_b32 s26, 0x33800000
	v_add_f32_e32 v30, v30, v31
	v_cmp_eq_f32_e32 vcc, s27, v100
	v_cmp_lt_f32_e64 s[26:27], |v100|, s26
	v_add_f32_e32 v30, v34, v30
	s_or_b64 vcc, vcc, s[26:27]
	v_cndmask_b32_e32 v30, v30, v100, vcc
	v_add_f32_e32 v30, v27, v30
.LBB492_71:
	s_or_b64 exec, exec, s[24:25]
	v_bfe_u32 v27, v30, 16, 1
	s_movk_i32 s28, 0x7fff
	v_add3_u32 v27, v30, v27, s28
	v_and_b32_e32 v31, 0xffff0000, v27
	v_mov_b32_e32 v27, 0x7fc00000
	v_cmp_o_f32_e32 vcc, v30, v30
	v_cndmask_b32_e32 v30, v27, v31, vcc
	v_lshlrev_b32_sdwa v80, v26, v17 dst_sel:DWORD dst_unused:UNUSED_PAD src0_sel:DWORD src1_sel:WORD_0
	v_max_f32_e32 v26, v30, v30
	v_max_f32_e32 v86, v80, v80
	v_min_f32_e32 v31, v26, v86
	v_cmp_u_f32_e32 vcc, v30, v30
	v_max_f32_e32 v26, v26, v86
	v_cndmask_b32_e32 v31, v31, v30, vcc
	v_cmp_u_f32_e64 s[24:25], v80, v80
	v_cndmask_b32_e32 v26, v26, v30, vcc
	v_cndmask_b32_e64 v31, v31, v80, s[24:25]
	v_cndmask_b32_e64 v26, v26, v80, s[24:25]
	v_cmp_neq_f32_e32 vcc, v31, v26
	v_cmp_class_f32_e64 s[26:27], v31, s13
	s_or_b64 vcc, vcc, s[26:27]
	s_and_saveexec_b64 s[26:27], vcc
	s_cbranch_execz .LBB492_73
; %bb.72:
	v_sub_f32_e32 v30, v31, v26
	s_mov_b32 s13, 0x3fb8aa3b
	v_mul_f32_e32 v31, 0x3fb8aa3b, v30
	v_fma_f32 v32, v30, s13, -v31
	v_rndne_f32_e32 v33, v31
	v_fmac_f32_e32 v32, 0x32a5705f, v30
	v_sub_f32_e32 v31, v31, v33
	v_add_f32_e32 v31, v31, v32
	v_exp_f32_e32 v31, v31
	v_cvt_i32_f32_e32 v32, v33
	s_mov_b32 s13, 0xc2ce8ed0
	v_cmp_ngt_f32_e32 vcc, s13, v30
	s_mov_b32 s13, 0x42b17218
	v_ldexp_f32 v31, v31, v32
	v_cndmask_b32_e32 v31, 0, v31, vcc
	v_mov_b32_e32 v32, 0x7f800000
	v_cmp_nlt_f32_e32 vcc, s13, v30
	v_cndmask_b32_e32 v81, v32, v31, vcc
	v_add_f32_e32 v32, 1.0, v81
	v_add_f32_e32 v30, -1.0, v32
	v_sub_f32_e32 v31, v30, v32
	v_add_f32_e32 v31, 1.0, v31
	v_sub_f32_e32 v30, v81, v30
	v_add_f32_e32 v33, v30, v31
	v_frexp_mant_f32_e32 v34, v32
	s_mov_b32 s13, 0x3f2aaaab
	v_cvt_f64_f32_e32 v[30:31], v32
	v_frexp_exp_i32_f64_e32 v30, v[30:31]
	v_cmp_gt_f32_e32 vcc, s13, v34
	v_subbrev_co_u32_e32 v87, vcc, 0, v30, vcc
	v_sub_u32_e32 v30, 0, v87
	v_ldexp_f32 v31, v32, v30
	v_add_f32_e32 v32, -1.0, v31
	v_add_f32_e32 v34, 1.0, v31
	v_ldexp_f32 v30, v33, v30
	v_add_f32_e32 v33, 1.0, v32
	v_add_f32_e32 v35, -1.0, v34
	v_sub_f32_e32 v33, v31, v33
	v_sub_f32_e32 v31, v31, v35
	v_add_f32_e32 v33, v30, v33
	v_add_f32_e32 v30, v30, v31
	;; [unrolled: 1-line block ×3, first 2 shown]
	v_rcp_f32_e32 v98, v96
	v_sub_f32_e32 v31, v34, v96
	v_add_f32_e32 v97, v30, v31
	v_add_f32_e32 v31, v32, v33
	v_mul_f32_e32 v100, v31, v98
	v_sub_f32_e32 v30, v32, v31
	v_mul_f32_e32 v32, v96, v100
	v_fma_f32 v34, v100, v96, -v32
	v_fmac_f32_e32 v34, v100, v97
	v_add_f32_e32 v99, v33, v30
	v_add_f32_e32 v30, v32, v34
	v_sub_f32_e32 v33, v31, v30
	v_pk_add_f32 v[84:85], v[30:31], v[32:33] neg_lo:[0,1] neg_hi:[0,1]
	v_mov_b32_e32 v35, v30
	v_pk_add_f32 v[30:31], v[84:85], v[34:35] neg_lo:[0,1] neg_hi:[0,1]
	v_add_f32_e32 v31, v99, v31
	v_add_f32_e32 v30, v30, v31
	;; [unrolled: 1-line block ×3, first 2 shown]
	v_mul_f32_e32 v99, v98, v31
	v_mul_f32_e32 v32, v96, v99
	v_fma_f32 v34, v99, v96, -v32
	v_fmac_f32_e32 v34, v99, v97
	v_sub_f32_e32 v33, v33, v31
	v_add_f32_e32 v96, v30, v33
	v_add_f32_e32 v30, v32, v34
	v_sub_f32_e32 v33, v31, v30
	v_pk_add_f32 v[84:85], v[30:31], v[32:33] neg_lo:[0,1] neg_hi:[0,1]
	v_mov_b32_e32 v35, v30
	v_pk_add_f32 v[30:31], v[84:85], v[34:35] neg_lo:[0,1] neg_hi:[0,1]
	v_add_f32_e32 v31, v96, v31
	v_add_f32_e32 v30, v30, v31
	;; [unrolled: 1-line block ×4, first 2 shown]
	v_sub_f32_e32 v31, v33, v100
	v_mul_f32_e32 v30, v98, v30
	v_sub_f32_e32 v31, v99, v31
	v_add_f32_e32 v30, v31, v30
	v_add_f32_e32 v34, v33, v30
	v_mul_f32_e32 v84, v34, v34
	v_mov_b32_e32 v32, 0x3ecc95a3
	v_fmac_f32_e32 v32, 0x3e9b6dac, v84
	v_mov_b32_e32 v31, 0x3f2aaada
	v_fmac_f32_e32 v31, v84, v32
	v_cvt_f32_i32_e32 v32, v87
	v_sub_f32_e32 v33, v34, v33
	v_sub_f32_e32 v30, v30, v33
	v_ldexp_f32 v85, v30, 1
	v_mul_f32_e32 v33, v34, v84
	v_mov_b32_e32 v30, 0x3f317218
	s_mov_b32 s13, 0x3f317218
	v_pk_mul_f32 v[30:31], v[32:33], v[30:31]
	v_ldexp_f32 v35, v34, 1
	v_fma_f32 v34, v32, s13, -v30
	v_fmac_f32_e32 v34, 0xb102e308, v32
	v_pk_add_f32 v[32:33], v[30:31], v[34:35]
	v_sub_f32_e32 v35, v33, v35
	v_sub_f32_e32 v35, v31, v35
	v_add_f32_e32 v85, v85, v35
	v_mov_b32_e32 v84, v30
	v_pk_add_f32 v[30:31], v[32:33], v[30:31] neg_lo:[0,1] neg_hi:[0,1]
	v_pk_add_f32 v[96:97], v[32:33], v[84:85]
	v_mov_b32_e32 v31, v97
	v_mov_b32_e32 v35, v32
	v_pk_add_f32 v[98:99], v[34:35], v[30:31] neg_lo:[0,1] neg_hi:[0,1]
	v_pk_add_f32 v[30:31], v[34:35], v[30:31]
	v_mov_b32_e32 v34, v31
	v_pk_add_f32 v[100:101], v[34:35], v[32:33] neg_lo:[0,1] neg_hi:[0,1]
	v_mov_b32_e32 v35, v100
	v_pk_add_f32 v[102:103], v[96:97], v[34:35] neg_lo:[0,1] neg_hi:[0,1]
	v_mov_b32_e32 v30, v97
	v_mov_b32_e32 v96, v33
	;; [unrolled: 1-line block ×4, first 2 shown]
	v_pk_add_f32 v[30:31], v[30:31], v[96:97] neg_lo:[0,1] neg_hi:[0,1]
	v_mov_b32_e32 v84, v85
	v_mov_b32_e32 v85, v32
	v_pk_add_f32 v[30:31], v[84:85], v[30:31] neg_lo:[0,1] neg_hi:[0,1]
	v_mov_b32_e32 v102, v98
	v_pk_add_f32 v[32:33], v[102:103], v[30:31]
	v_mov_b32_e32 v84, v33
	v_pk_add_f32 v[84:85], v[32:33], v[84:85]
	v_pk_add_f32 v[34:35], v[34:35], v[84:85]
	v_mov_b32_e32 v33, v34
	v_pk_add_f32 v[96:97], v[32:33], v[98:99] neg_lo:[0,1] neg_hi:[0,1]
	v_mov_b32_e32 v31, v84
	v_sub_f32_e32 v32, v32, v96
	v_pk_add_f32 v[30:31], v[30:31], v[96:97] neg_lo:[0,1] neg_hi:[0,1]
	v_sub_f32_e32 v32, v98, v32
	s_mov_b32 s29, 0x7f800000
	v_add_f32_e32 v30, v30, v32
	s_mov_b32 s13, 0x33800000
	v_add_f32_e32 v30, v30, v31
	v_cmp_eq_f32_e32 vcc, s29, v81
	v_cmp_lt_f32_e64 s[30:31], |v81|, s13
	v_add_f32_e32 v30, v34, v30
	s_or_b64 vcc, vcc, s[30:31]
	v_cndmask_b32_e32 v30, v30, v81, vcc
	v_add_f32_e32 v30, v26, v30
.LBB492_73:
	s_or_b64 exec, exec, s[26:27]
	v_bfe_u32 v26, v30, 16, 1
	v_add3_u32 v26, v30, v26, s28
	v_and_b32_e32 v26, 0xffff0000, v26
	v_cmp_o_f32_e32 vcc, v30, v30
	v_cndmask_b32_e32 v30, v27, v26, vcc
	v_mov_b32_e32 v26, 16
	v_lshlrev_b32_sdwa v81, v26, v17 dst_sel:DWORD dst_unused:UNUSED_PAD src0_sel:DWORD src1_sel:WORD_1
	v_max_f32_e32 v27, v30, v30
	v_max_f32_e32 v87, v81, v81
	v_min_f32_e32 v31, v27, v87
	v_cmp_u_f32_e32 vcc, v30, v30
	v_max_f32_e32 v27, v27, v87
	v_cndmask_b32_e32 v31, v31, v30, vcc
	v_cmp_u_f32_e64 s[26:27], v81, v81
	v_cndmask_b32_e32 v27, v27, v30, vcc
	v_cndmask_b32_e64 v31, v31, v81, s[26:27]
	v_cndmask_b32_e64 v27, v27, v81, s[26:27]
	s_movk_i32 s13, 0x1f8
	v_cmp_neq_f32_e32 vcc, v31, v27
	v_cmp_class_f32_e64 s[28:29], v31, s13
	s_or_b64 vcc, vcc, s[28:29]
	s_and_saveexec_b64 s[28:29], vcc
	s_cbranch_execz .LBB492_75
; %bb.74:
	v_sub_f32_e32 v30, v31, v27
	s_mov_b32 s30, 0x3fb8aa3b
	v_mul_f32_e32 v31, 0x3fb8aa3b, v30
	v_fma_f32 v32, v30, s30, -v31
	v_rndne_f32_e32 v33, v31
	v_fmac_f32_e32 v32, 0x32a5705f, v30
	v_sub_f32_e32 v31, v31, v33
	v_add_f32_e32 v31, v31, v32
	v_exp_f32_e32 v31, v31
	v_cvt_i32_f32_e32 v32, v33
	s_mov_b32 s30, 0xc2ce8ed0
	v_cmp_ngt_f32_e32 vcc, s30, v30
	s_mov_b32 s30, 0x42b17218
	v_ldexp_f32 v31, v31, v32
	v_cndmask_b32_e32 v31, 0, v31, vcc
	v_mov_b32_e32 v32, 0x7f800000
	v_cmp_nlt_f32_e32 vcc, s30, v30
	v_cndmask_b32_e32 v112, v32, v31, vcc
	v_add_f32_e32 v32, 1.0, v112
	v_add_f32_e32 v30, -1.0, v32
	v_sub_f32_e32 v31, v30, v32
	v_add_f32_e32 v31, 1.0, v31
	v_sub_f32_e32 v30, v112, v30
	v_add_f32_e32 v33, v30, v31
	v_frexp_mant_f32_e32 v34, v32
	s_mov_b32 s30, 0x3f2aaaab
	v_cvt_f64_f32_e32 v[30:31], v32
	v_frexp_exp_i32_f64_e32 v30, v[30:31]
	v_cmp_gt_f32_e32 vcc, s30, v34
	v_subbrev_co_u32_e32 v96, vcc, 0, v30, vcc
	v_sub_u32_e32 v30, 0, v96
	v_ldexp_f32 v31, v32, v30
	v_add_f32_e32 v32, -1.0, v31
	v_add_f32_e32 v34, 1.0, v31
	v_ldexp_f32 v30, v33, v30
	v_add_f32_e32 v33, 1.0, v32
	v_add_f32_e32 v35, -1.0, v34
	v_sub_f32_e32 v33, v31, v33
	v_sub_f32_e32 v31, v31, v35
	v_add_f32_e32 v33, v30, v33
	v_add_f32_e32 v30, v30, v31
	;; [unrolled: 1-line block ×3, first 2 shown]
	v_rcp_f32_e32 v99, v97
	v_sub_f32_e32 v31, v34, v97
	v_add_f32_e32 v98, v30, v31
	v_add_f32_e32 v31, v32, v33
	v_mul_f32_e32 v101, v31, v99
	v_sub_f32_e32 v30, v32, v31
	v_mul_f32_e32 v32, v97, v101
	v_fma_f32 v34, v101, v97, -v32
	v_fmac_f32_e32 v34, v101, v98
	v_add_f32_e32 v100, v33, v30
	v_add_f32_e32 v30, v32, v34
	v_sub_f32_e32 v33, v31, v30
	v_pk_add_f32 v[84:85], v[30:31], v[32:33] neg_lo:[0,1] neg_hi:[0,1]
	v_mov_b32_e32 v35, v30
	v_pk_add_f32 v[30:31], v[84:85], v[34:35] neg_lo:[0,1] neg_hi:[0,1]
	v_add_f32_e32 v31, v100, v31
	v_add_f32_e32 v30, v30, v31
	;; [unrolled: 1-line block ×3, first 2 shown]
	v_mul_f32_e32 v100, v99, v31
	v_mul_f32_e32 v32, v97, v100
	v_fma_f32 v34, v100, v97, -v32
	v_fmac_f32_e32 v34, v100, v98
	v_sub_f32_e32 v33, v33, v31
	v_add_f32_e32 v97, v30, v33
	v_add_f32_e32 v30, v32, v34
	v_sub_f32_e32 v33, v31, v30
	v_pk_add_f32 v[84:85], v[30:31], v[32:33] neg_lo:[0,1] neg_hi:[0,1]
	v_mov_b32_e32 v35, v30
	v_pk_add_f32 v[30:31], v[84:85], v[34:35] neg_lo:[0,1] neg_hi:[0,1]
	v_add_f32_e32 v31, v97, v31
	v_add_f32_e32 v30, v30, v31
	;; [unrolled: 1-line block ×4, first 2 shown]
	v_sub_f32_e32 v31, v33, v101
	v_mul_f32_e32 v30, v99, v30
	v_sub_f32_e32 v31, v100, v31
	v_add_f32_e32 v30, v31, v30
	v_add_f32_e32 v34, v33, v30
	v_mul_f32_e32 v84, v34, v34
	v_mov_b32_e32 v32, 0x3ecc95a3
	v_fmac_f32_e32 v32, 0x3e9b6dac, v84
	v_mov_b32_e32 v31, 0x3f2aaada
	v_fmac_f32_e32 v31, v84, v32
	v_cvt_f32_i32_e32 v32, v96
	v_sub_f32_e32 v33, v34, v33
	v_sub_f32_e32 v30, v30, v33
	v_ldexp_f32 v85, v30, 1
	v_mul_f32_e32 v33, v34, v84
	v_mov_b32_e32 v30, 0x3f317218
	s_mov_b32 s30, 0x3f317218
	v_pk_mul_f32 v[30:31], v[32:33], v[30:31]
	v_ldexp_f32 v35, v34, 1
	v_fma_f32 v34, v32, s30, -v30
	v_fmac_f32_e32 v34, 0xb102e308, v32
	v_pk_add_f32 v[32:33], v[30:31], v[34:35]
	v_sub_f32_e32 v35, v33, v35
	v_sub_f32_e32 v35, v31, v35
	v_add_f32_e32 v85, v85, v35
	v_mov_b32_e32 v84, v30
	v_pk_add_f32 v[30:31], v[32:33], v[30:31] neg_lo:[0,1] neg_hi:[0,1]
	v_pk_add_f32 v[96:97], v[32:33], v[84:85]
	v_mov_b32_e32 v31, v97
	v_mov_b32_e32 v35, v32
	v_pk_add_f32 v[98:99], v[34:35], v[30:31] neg_lo:[0,1] neg_hi:[0,1]
	v_pk_add_f32 v[30:31], v[34:35], v[30:31]
	v_mov_b32_e32 v34, v31
	v_pk_add_f32 v[100:101], v[34:35], v[32:33] neg_lo:[0,1] neg_hi:[0,1]
	v_mov_b32_e32 v35, v100
	v_pk_add_f32 v[102:103], v[96:97], v[34:35] neg_lo:[0,1] neg_hi:[0,1]
	v_mov_b32_e32 v30, v97
	v_mov_b32_e32 v96, v33
	;; [unrolled: 1-line block ×4, first 2 shown]
	v_pk_add_f32 v[30:31], v[30:31], v[96:97] neg_lo:[0,1] neg_hi:[0,1]
	v_mov_b32_e32 v84, v85
	v_mov_b32_e32 v85, v32
	v_pk_add_f32 v[30:31], v[84:85], v[30:31] neg_lo:[0,1] neg_hi:[0,1]
	v_mov_b32_e32 v102, v98
	v_pk_add_f32 v[32:33], v[102:103], v[30:31]
	v_mov_b32_e32 v84, v33
	v_pk_add_f32 v[84:85], v[32:33], v[84:85]
	v_pk_add_f32 v[34:35], v[34:35], v[84:85]
	v_mov_b32_e32 v33, v34
	v_pk_add_f32 v[96:97], v[32:33], v[98:99] neg_lo:[0,1] neg_hi:[0,1]
	v_mov_b32_e32 v31, v84
	v_sub_f32_e32 v32, v32, v96
	v_pk_add_f32 v[30:31], v[30:31], v[96:97] neg_lo:[0,1] neg_hi:[0,1]
	v_sub_f32_e32 v32, v98, v32
	s_mov_b32 s31, 0x7f800000
	v_add_f32_e32 v30, v30, v32
	s_mov_b32 s30, 0x33800000
	v_add_f32_e32 v30, v30, v31
	v_cmp_eq_f32_e32 vcc, s31, v112
	v_cmp_lt_f32_e64 s[30:31], |v112|, s30
	v_add_f32_e32 v30, v34, v30
	s_or_b64 vcc, vcc, s[30:31]
	v_cndmask_b32_e32 v30, v30, v112, vcc
	v_add_f32_e32 v30, v27, v30
.LBB492_75:
	s_or_b64 exec, exec, s[28:29]
	v_bfe_u32 v27, v30, 16, 1
	s_movk_i32 s34, 0x7fff
	v_add3_u32 v27, v30, v27, s34
	v_and_b32_e32 v31, 0xffff0000, v27
	v_mov_b32_e32 v27, 0x7fc00000
	v_cmp_o_f32_e32 vcc, v30, v30
	v_cndmask_b32_e32 v30, v27, v31, vcc
	v_lshlrev_b32_sdwa v84, v26, v18 dst_sel:DWORD dst_unused:UNUSED_PAD src0_sel:DWORD src1_sel:WORD_0
	v_max_f32_e32 v26, v30, v30
	v_max_f32_e32 v98, v84, v84
	v_min_f32_e32 v31, v26, v98
	v_cmp_u_f32_e32 vcc, v30, v30
	v_max_f32_e32 v26, v26, v98
	v_cndmask_b32_e32 v31, v31, v30, vcc
	v_cmp_u_f32_e64 s[28:29], v84, v84
	v_cndmask_b32_e32 v26, v26, v30, vcc
	v_cndmask_b32_e64 v31, v31, v84, s[28:29]
	v_cndmask_b32_e64 v26, v26, v84, s[28:29]
	v_cmp_neq_f32_e32 vcc, v31, v26
	v_cmp_class_f32_e64 s[30:31], v31, s13
	s_or_b64 vcc, vcc, s[30:31]
	s_and_saveexec_b64 s[30:31], vcc
	s_cbranch_execz .LBB492_77
; %bb.76:
	v_sub_f32_e32 v30, v31, v26
	s_mov_b32 s13, 0x3fb8aa3b
	v_mul_f32_e32 v31, 0x3fb8aa3b, v30
	v_fma_f32 v32, v30, s13, -v31
	v_rndne_f32_e32 v33, v31
	v_fmac_f32_e32 v32, 0x32a5705f, v30
	v_sub_f32_e32 v31, v31, v33
	v_add_f32_e32 v31, v31, v32
	v_exp_f32_e32 v31, v31
	v_cvt_i32_f32_e32 v32, v33
	s_mov_b32 s13, 0xc2ce8ed0
	v_cmp_ngt_f32_e32 vcc, s13, v30
	s_mov_b32 s13, 0x42b17218
	v_ldexp_f32 v31, v31, v32
	v_cndmask_b32_e32 v31, 0, v31, vcc
	v_mov_b32_e32 v32, 0x7f800000
	v_cmp_nlt_f32_e32 vcc, s13, v30
	v_cndmask_b32_e32 v85, v32, v31, vcc
	v_add_f32_e32 v32, 1.0, v85
	v_add_f32_e32 v30, -1.0, v32
	v_sub_f32_e32 v31, v30, v32
	v_add_f32_e32 v31, 1.0, v31
	v_sub_f32_e32 v30, v85, v30
	v_add_f32_e32 v33, v30, v31
	v_frexp_mant_f32_e32 v34, v32
	s_mov_b32 s13, 0x3f2aaaab
	v_cvt_f64_f32_e32 v[30:31], v32
	v_frexp_exp_i32_f64_e32 v30, v[30:31]
	v_cmp_gt_f32_e32 vcc, s13, v34
	v_subbrev_co_u32_e32 v99, vcc, 0, v30, vcc
	v_sub_u32_e32 v30, 0, v99
	v_ldexp_f32 v31, v32, v30
	v_add_f32_e32 v32, -1.0, v31
	v_add_f32_e32 v34, 1.0, v31
	v_ldexp_f32 v30, v33, v30
	v_add_f32_e32 v33, 1.0, v32
	v_add_f32_e32 v35, -1.0, v34
	v_sub_f32_e32 v33, v31, v33
	v_sub_f32_e32 v31, v31, v35
	v_add_f32_e32 v33, v30, v33
	v_add_f32_e32 v30, v30, v31
	;; [unrolled: 1-line block ×3, first 2 shown]
	v_rcp_f32_e32 v102, v100
	v_sub_f32_e32 v31, v34, v100
	v_add_f32_e32 v101, v30, v31
	v_add_f32_e32 v31, v32, v33
	v_mul_f32_e32 v112, v31, v102
	v_sub_f32_e32 v30, v32, v31
	v_mul_f32_e32 v32, v100, v112
	v_fma_f32 v34, v112, v100, -v32
	v_fmac_f32_e32 v34, v112, v101
	v_add_f32_e32 v103, v33, v30
	v_add_f32_e32 v30, v32, v34
	v_sub_f32_e32 v33, v31, v30
	v_pk_add_f32 v[96:97], v[30:31], v[32:33] neg_lo:[0,1] neg_hi:[0,1]
	v_mov_b32_e32 v35, v30
	v_pk_add_f32 v[30:31], v[96:97], v[34:35] neg_lo:[0,1] neg_hi:[0,1]
	v_add_f32_e32 v31, v103, v31
	v_add_f32_e32 v30, v30, v31
	;; [unrolled: 1-line block ×3, first 2 shown]
	v_mul_f32_e32 v103, v102, v31
	v_mul_f32_e32 v32, v100, v103
	v_fma_f32 v34, v103, v100, -v32
	v_fmac_f32_e32 v34, v103, v101
	v_sub_f32_e32 v33, v33, v31
	v_add_f32_e32 v100, v30, v33
	v_add_f32_e32 v30, v32, v34
	v_sub_f32_e32 v33, v31, v30
	v_pk_add_f32 v[96:97], v[30:31], v[32:33] neg_lo:[0,1] neg_hi:[0,1]
	v_mov_b32_e32 v35, v30
	v_pk_add_f32 v[30:31], v[96:97], v[34:35] neg_lo:[0,1] neg_hi:[0,1]
	v_add_f32_e32 v31, v100, v31
	v_add_f32_e32 v30, v30, v31
	;; [unrolled: 1-line block ×4, first 2 shown]
	v_sub_f32_e32 v31, v33, v112
	v_mul_f32_e32 v30, v102, v30
	v_sub_f32_e32 v31, v103, v31
	v_add_f32_e32 v30, v31, v30
	v_add_f32_e32 v34, v33, v30
	v_mul_f32_e32 v96, v34, v34
	v_mov_b32_e32 v32, 0x3ecc95a3
	v_fmac_f32_e32 v32, 0x3e9b6dac, v96
	v_mov_b32_e32 v31, 0x3f2aaada
	v_fmac_f32_e32 v31, v96, v32
	v_cvt_f32_i32_e32 v32, v99
	v_sub_f32_e32 v33, v34, v33
	v_sub_f32_e32 v30, v30, v33
	v_ldexp_f32 v97, v30, 1
	v_mul_f32_e32 v33, v34, v96
	v_mov_b32_e32 v30, 0x3f317218
	s_mov_b32 s13, 0x3f317218
	v_pk_mul_f32 v[30:31], v[32:33], v[30:31]
	v_ldexp_f32 v35, v34, 1
	v_fma_f32 v34, v32, s13, -v30
	v_fmac_f32_e32 v34, 0xb102e308, v32
	v_pk_add_f32 v[32:33], v[30:31], v[34:35]
	v_sub_f32_e32 v35, v33, v35
	v_sub_f32_e32 v35, v31, v35
	v_add_f32_e32 v97, v97, v35
	v_mov_b32_e32 v96, v30
	v_pk_add_f32 v[30:31], v[32:33], v[30:31] neg_lo:[0,1] neg_hi:[0,1]
	v_pk_add_f32 v[100:101], v[32:33], v[96:97]
	v_mov_b32_e32 v31, v101
	v_mov_b32_e32 v35, v32
	v_pk_add_f32 v[102:103], v[34:35], v[30:31] neg_lo:[0,1] neg_hi:[0,1]
	v_pk_add_f32 v[30:31], v[34:35], v[30:31]
	v_mov_b32_e32 v34, v31
	v_pk_add_f32 v[112:113], v[34:35], v[32:33] neg_lo:[0,1] neg_hi:[0,1]
	v_mov_b32_e32 v35, v112
	v_pk_add_f32 v[114:115], v[100:101], v[34:35] neg_lo:[0,1] neg_hi:[0,1]
	v_mov_b32_e32 v30, v101
	v_mov_b32_e32 v100, v33
	v_mov_b32_e32 v101, v112
	v_mov_b32_e32 v103, v31
	v_pk_add_f32 v[30:31], v[30:31], v[100:101] neg_lo:[0,1] neg_hi:[0,1]
	v_mov_b32_e32 v96, v97
	v_mov_b32_e32 v97, v32
	v_pk_add_f32 v[30:31], v[96:97], v[30:31] neg_lo:[0,1] neg_hi:[0,1]
	v_mov_b32_e32 v114, v102
	v_pk_add_f32 v[32:33], v[114:115], v[30:31]
	v_mov_b32_e32 v96, v33
	v_pk_add_f32 v[96:97], v[32:33], v[96:97]
	v_pk_add_f32 v[34:35], v[34:35], v[96:97]
	v_mov_b32_e32 v33, v34
	v_pk_add_f32 v[100:101], v[32:33], v[102:103] neg_lo:[0,1] neg_hi:[0,1]
	v_mov_b32_e32 v31, v96
	v_sub_f32_e32 v32, v32, v100
	v_pk_add_f32 v[30:31], v[30:31], v[100:101] neg_lo:[0,1] neg_hi:[0,1]
	v_sub_f32_e32 v32, v102, v32
	s_mov_b32 s35, 0x7f800000
	v_add_f32_e32 v30, v30, v32
	s_mov_b32 s13, 0x33800000
	v_add_f32_e32 v30, v30, v31
	v_cmp_eq_f32_e32 vcc, s35, v85
	v_cmp_lt_f32_e64 s[36:37], |v85|, s13
	v_add_f32_e32 v30, v34, v30
	s_or_b64 vcc, vcc, s[36:37]
	v_cndmask_b32_e32 v30, v30, v85, vcc
	v_add_f32_e32 v30, v26, v30
.LBB492_77:
	s_or_b64 exec, exec, s[30:31]
	v_bfe_u32 v26, v30, 16, 1
	v_add3_u32 v26, v30, v26, s34
	v_and_b32_e32 v26, 0xffff0000, v26
	v_cmp_o_f32_e32 vcc, v30, v30
	v_cndmask_b32_e32 v30, v27, v26, vcc
	v_mov_b32_e32 v26, 16
	v_lshlrev_b32_sdwa v85, v26, v18 dst_sel:DWORD dst_unused:UNUSED_PAD src0_sel:DWORD src1_sel:WORD_1
	v_max_f32_e32 v27, v30, v30
	v_max_f32_e32 v99, v85, v85
	v_min_f32_e32 v31, v27, v99
	v_cmp_u_f32_e32 vcc, v30, v30
	v_max_f32_e32 v27, v27, v99
	v_cndmask_b32_e32 v31, v31, v30, vcc
	v_cmp_u_f32_e64 s[30:31], v85, v85
	v_cndmask_b32_e32 v27, v27, v30, vcc
	v_cndmask_b32_e64 v31, v31, v85, s[30:31]
	v_cndmask_b32_e64 v27, v27, v85, s[30:31]
	s_movk_i32 s13, 0x1f8
	v_cmp_neq_f32_e32 vcc, v31, v27
	v_cmp_class_f32_e64 s[34:35], v31, s13
	s_or_b64 vcc, vcc, s[34:35]
	s_and_saveexec_b64 s[34:35], vcc
	s_cbranch_execz .LBB492_79
; %bb.78:
	v_sub_f32_e32 v30, v31, v27
	s_mov_b32 s36, 0x3fb8aa3b
	v_mul_f32_e32 v31, 0x3fb8aa3b, v30
	v_fma_f32 v32, v30, s36, -v31
	v_rndne_f32_e32 v33, v31
	v_fmac_f32_e32 v32, 0x32a5705f, v30
	v_sub_f32_e32 v31, v31, v33
	v_add_f32_e32 v31, v31, v32
	v_exp_f32_e32 v31, v31
	v_cvt_i32_f32_e32 v32, v33
	s_mov_b32 s36, 0xc2ce8ed0
	v_cmp_ngt_f32_e32 vcc, s36, v30
	s_mov_b32 s36, 0x42b17218
	v_ldexp_f32 v31, v31, v32
	v_cndmask_b32_e32 v31, 0, v31, vcc
	v_mov_b32_e32 v32, 0x7f800000
	v_cmp_nlt_f32_e32 vcc, s36, v30
	v_cndmask_b32_e32 v116, v32, v31, vcc
	v_add_f32_e32 v32, 1.0, v116
	v_add_f32_e32 v30, -1.0, v32
	v_sub_f32_e32 v31, v30, v32
	v_add_f32_e32 v31, 1.0, v31
	v_sub_f32_e32 v30, v116, v30
	v_add_f32_e32 v33, v30, v31
	v_frexp_mant_f32_e32 v34, v32
	s_mov_b32 s36, 0x3f2aaaab
	v_cvt_f64_f32_e32 v[30:31], v32
	v_frexp_exp_i32_f64_e32 v30, v[30:31]
	v_cmp_gt_f32_e32 vcc, s36, v34
	v_subbrev_co_u32_e32 v100, vcc, 0, v30, vcc
	v_sub_u32_e32 v30, 0, v100
	v_ldexp_f32 v31, v32, v30
	v_add_f32_e32 v32, -1.0, v31
	v_add_f32_e32 v34, 1.0, v31
	v_ldexp_f32 v30, v33, v30
	v_add_f32_e32 v33, 1.0, v32
	v_add_f32_e32 v35, -1.0, v34
	v_sub_f32_e32 v33, v31, v33
	v_sub_f32_e32 v31, v31, v35
	v_add_f32_e32 v33, v30, v33
	v_add_f32_e32 v30, v30, v31
	;; [unrolled: 1-line block ×3, first 2 shown]
	v_rcp_f32_e32 v103, v101
	v_sub_f32_e32 v31, v34, v101
	v_add_f32_e32 v102, v30, v31
	v_add_f32_e32 v31, v32, v33
	v_mul_f32_e32 v113, v31, v103
	v_sub_f32_e32 v30, v32, v31
	v_mul_f32_e32 v32, v101, v113
	v_fma_f32 v34, v113, v101, -v32
	v_fmac_f32_e32 v34, v113, v102
	v_add_f32_e32 v112, v33, v30
	v_add_f32_e32 v30, v32, v34
	v_sub_f32_e32 v33, v31, v30
	v_pk_add_f32 v[96:97], v[30:31], v[32:33] neg_lo:[0,1] neg_hi:[0,1]
	v_mov_b32_e32 v35, v30
	v_pk_add_f32 v[30:31], v[96:97], v[34:35] neg_lo:[0,1] neg_hi:[0,1]
	v_add_f32_e32 v31, v112, v31
	v_add_f32_e32 v30, v30, v31
	;; [unrolled: 1-line block ×3, first 2 shown]
	v_mul_f32_e32 v112, v103, v31
	v_mul_f32_e32 v32, v101, v112
	v_fma_f32 v34, v112, v101, -v32
	v_fmac_f32_e32 v34, v112, v102
	v_sub_f32_e32 v33, v33, v31
	v_add_f32_e32 v101, v30, v33
	v_add_f32_e32 v30, v32, v34
	v_sub_f32_e32 v33, v31, v30
	v_pk_add_f32 v[96:97], v[30:31], v[32:33] neg_lo:[0,1] neg_hi:[0,1]
	v_mov_b32_e32 v35, v30
	v_pk_add_f32 v[30:31], v[96:97], v[34:35] neg_lo:[0,1] neg_hi:[0,1]
	v_add_f32_e32 v31, v101, v31
	v_add_f32_e32 v30, v30, v31
	;; [unrolled: 1-line block ×4, first 2 shown]
	v_sub_f32_e32 v31, v33, v113
	v_mul_f32_e32 v30, v103, v30
	v_sub_f32_e32 v31, v112, v31
	v_add_f32_e32 v30, v31, v30
	v_add_f32_e32 v34, v33, v30
	v_mul_f32_e32 v96, v34, v34
	v_mov_b32_e32 v32, 0x3ecc95a3
	v_fmac_f32_e32 v32, 0x3e9b6dac, v96
	v_mov_b32_e32 v31, 0x3f2aaada
	v_fmac_f32_e32 v31, v96, v32
	v_cvt_f32_i32_e32 v32, v100
	v_sub_f32_e32 v33, v34, v33
	v_sub_f32_e32 v30, v30, v33
	v_ldexp_f32 v97, v30, 1
	v_mul_f32_e32 v33, v34, v96
	v_mov_b32_e32 v30, 0x3f317218
	s_mov_b32 s36, 0x3f317218
	v_pk_mul_f32 v[30:31], v[32:33], v[30:31]
	v_ldexp_f32 v35, v34, 1
	v_fma_f32 v34, v32, s36, -v30
	v_fmac_f32_e32 v34, 0xb102e308, v32
	v_pk_add_f32 v[32:33], v[30:31], v[34:35]
	v_sub_f32_e32 v35, v33, v35
	v_sub_f32_e32 v35, v31, v35
	v_add_f32_e32 v97, v97, v35
	v_mov_b32_e32 v96, v30
	v_pk_add_f32 v[30:31], v[32:33], v[30:31] neg_lo:[0,1] neg_hi:[0,1]
	v_pk_add_f32 v[100:101], v[32:33], v[96:97]
	v_mov_b32_e32 v31, v101
	v_mov_b32_e32 v35, v32
	v_pk_add_f32 v[102:103], v[34:35], v[30:31] neg_lo:[0,1] neg_hi:[0,1]
	v_pk_add_f32 v[30:31], v[34:35], v[30:31]
	v_mov_b32_e32 v34, v31
	v_pk_add_f32 v[112:113], v[34:35], v[32:33] neg_lo:[0,1] neg_hi:[0,1]
	v_mov_b32_e32 v35, v112
	v_pk_add_f32 v[114:115], v[100:101], v[34:35] neg_lo:[0,1] neg_hi:[0,1]
	v_mov_b32_e32 v30, v101
	v_mov_b32_e32 v100, v33
	;; [unrolled: 1-line block ×4, first 2 shown]
	v_pk_add_f32 v[30:31], v[30:31], v[100:101] neg_lo:[0,1] neg_hi:[0,1]
	v_mov_b32_e32 v96, v97
	v_mov_b32_e32 v97, v32
	v_pk_add_f32 v[30:31], v[96:97], v[30:31] neg_lo:[0,1] neg_hi:[0,1]
	v_mov_b32_e32 v114, v102
	v_pk_add_f32 v[32:33], v[114:115], v[30:31]
	v_mov_b32_e32 v96, v33
	v_pk_add_f32 v[96:97], v[32:33], v[96:97]
	v_pk_add_f32 v[34:35], v[34:35], v[96:97]
	v_mov_b32_e32 v33, v34
	v_pk_add_f32 v[100:101], v[32:33], v[102:103] neg_lo:[0,1] neg_hi:[0,1]
	v_mov_b32_e32 v31, v96
	v_sub_f32_e32 v32, v32, v100
	v_pk_add_f32 v[30:31], v[30:31], v[100:101] neg_lo:[0,1] neg_hi:[0,1]
	v_sub_f32_e32 v32, v102, v32
	s_mov_b32 s37, 0x7f800000
	v_add_f32_e32 v30, v30, v32
	s_mov_b32 s36, 0x33800000
	v_add_f32_e32 v30, v30, v31
	v_cmp_eq_f32_e32 vcc, s37, v116
	v_cmp_lt_f32_e64 s[36:37], |v116|, s36
	v_add_f32_e32 v30, v34, v30
	s_or_b64 vcc, vcc, s[36:37]
	v_cndmask_b32_e32 v30, v30, v116, vcc
	v_add_f32_e32 v30, v27, v30
.LBB492_79:
	s_or_b64 exec, exec, s[34:35]
	v_bfe_u32 v27, v30, 16, 1
	s_movk_i32 s38, 0x7fff
	v_add3_u32 v27, v30, v27, s38
	v_and_b32_e32 v31, 0xffff0000, v27
	v_mov_b32_e32 v27, 0x7fc00000
	v_cmp_o_f32_e32 vcc, v30, v30
	v_cndmask_b32_e32 v30, v27, v31, vcc
	v_lshlrev_b32_sdwa v96, v26, v19 dst_sel:DWORD dst_unused:UNUSED_PAD src0_sel:DWORD src1_sel:WORD_0
	v_max_f32_e32 v26, v30, v30
	v_max_f32_e32 v102, v96, v96
	v_min_f32_e32 v31, v26, v102
	v_cmp_u_f32_e32 vcc, v30, v30
	v_max_f32_e32 v26, v26, v102
	v_cndmask_b32_e32 v31, v31, v30, vcc
	v_cmp_u_f32_e64 s[34:35], v96, v96
	v_cndmask_b32_e32 v26, v26, v30, vcc
	v_cndmask_b32_e64 v31, v31, v96, s[34:35]
	v_cndmask_b32_e64 v26, v26, v96, s[34:35]
	v_cmp_neq_f32_e32 vcc, v31, v26
	v_cmp_class_f32_e64 s[36:37], v31, s13
	s_or_b64 vcc, vcc, s[36:37]
	s_and_saveexec_b64 s[36:37], vcc
	s_cbranch_execz .LBB492_81
; %bb.80:
	v_sub_f32_e32 v30, v31, v26
	s_mov_b32 s13, 0x3fb8aa3b
	v_mul_f32_e32 v31, 0x3fb8aa3b, v30
	v_fma_f32 v32, v30, s13, -v31
	v_rndne_f32_e32 v33, v31
	v_fmac_f32_e32 v32, 0x32a5705f, v30
	v_sub_f32_e32 v31, v31, v33
	v_add_f32_e32 v31, v31, v32
	v_exp_f32_e32 v31, v31
	v_cvt_i32_f32_e32 v32, v33
	s_mov_b32 s13, 0xc2ce8ed0
	v_cmp_ngt_f32_e32 vcc, s13, v30
	s_mov_b32 s13, 0x42b17218
	v_ldexp_f32 v31, v31, v32
	v_cndmask_b32_e32 v31, 0, v31, vcc
	v_mov_b32_e32 v32, 0x7f800000
	v_cmp_nlt_f32_e32 vcc, s13, v30
	v_cndmask_b32_e32 v97, v32, v31, vcc
	v_add_f32_e32 v32, 1.0, v97
	v_add_f32_e32 v30, -1.0, v32
	v_sub_f32_e32 v31, v30, v32
	v_add_f32_e32 v31, 1.0, v31
	v_sub_f32_e32 v30, v97, v30
	v_add_f32_e32 v33, v30, v31
	v_frexp_mant_f32_e32 v34, v32
	s_mov_b32 s13, 0x3f2aaaab
	v_cvt_f64_f32_e32 v[30:31], v32
	v_frexp_exp_i32_f64_e32 v30, v[30:31]
	v_cmp_gt_f32_e32 vcc, s13, v34
	v_subbrev_co_u32_e32 v103, vcc, 0, v30, vcc
	v_sub_u32_e32 v30, 0, v103
	v_ldexp_f32 v31, v32, v30
	v_add_f32_e32 v32, -1.0, v31
	v_add_f32_e32 v34, 1.0, v31
	v_ldexp_f32 v30, v33, v30
	v_add_f32_e32 v33, 1.0, v32
	v_add_f32_e32 v35, -1.0, v34
	v_sub_f32_e32 v33, v31, v33
	v_sub_f32_e32 v31, v31, v35
	v_add_f32_e32 v33, v30, v33
	v_add_f32_e32 v30, v30, v31
	;; [unrolled: 1-line block ×3, first 2 shown]
	v_rcp_f32_e32 v114, v112
	v_sub_f32_e32 v31, v34, v112
	v_add_f32_e32 v113, v30, v31
	v_add_f32_e32 v31, v32, v33
	v_mul_f32_e32 v116, v31, v114
	v_sub_f32_e32 v30, v32, v31
	v_mul_f32_e32 v32, v112, v116
	v_fma_f32 v34, v116, v112, -v32
	v_fmac_f32_e32 v34, v116, v113
	v_add_f32_e32 v115, v33, v30
	v_add_f32_e32 v30, v32, v34
	v_sub_f32_e32 v33, v31, v30
	v_pk_add_f32 v[100:101], v[30:31], v[32:33] neg_lo:[0,1] neg_hi:[0,1]
	v_mov_b32_e32 v35, v30
	v_pk_add_f32 v[30:31], v[100:101], v[34:35] neg_lo:[0,1] neg_hi:[0,1]
	v_add_f32_e32 v31, v115, v31
	v_add_f32_e32 v30, v30, v31
	v_add_f32_e32 v31, v33, v30
	v_mul_f32_e32 v115, v114, v31
	v_mul_f32_e32 v32, v112, v115
	v_fma_f32 v34, v115, v112, -v32
	v_fmac_f32_e32 v34, v115, v113
	v_sub_f32_e32 v33, v33, v31
	v_add_f32_e32 v112, v30, v33
	v_add_f32_e32 v30, v32, v34
	v_sub_f32_e32 v33, v31, v30
	v_pk_add_f32 v[100:101], v[30:31], v[32:33] neg_lo:[0,1] neg_hi:[0,1]
	v_mov_b32_e32 v35, v30
	v_pk_add_f32 v[30:31], v[100:101], v[34:35] neg_lo:[0,1] neg_hi:[0,1]
	v_add_f32_e32 v31, v112, v31
	v_add_f32_e32 v30, v30, v31
	;; [unrolled: 1-line block ×4, first 2 shown]
	v_sub_f32_e32 v31, v33, v116
	v_mul_f32_e32 v30, v114, v30
	v_sub_f32_e32 v31, v115, v31
	v_add_f32_e32 v30, v31, v30
	v_add_f32_e32 v34, v33, v30
	v_mul_f32_e32 v100, v34, v34
	v_mov_b32_e32 v32, 0x3ecc95a3
	v_fmac_f32_e32 v32, 0x3e9b6dac, v100
	v_mov_b32_e32 v31, 0x3f2aaada
	v_fmac_f32_e32 v31, v100, v32
	v_cvt_f32_i32_e32 v32, v103
	v_sub_f32_e32 v33, v34, v33
	v_sub_f32_e32 v30, v30, v33
	v_ldexp_f32 v101, v30, 1
	v_mul_f32_e32 v33, v34, v100
	v_mov_b32_e32 v30, 0x3f317218
	s_mov_b32 s13, 0x3f317218
	v_pk_mul_f32 v[30:31], v[32:33], v[30:31]
	v_ldexp_f32 v35, v34, 1
	v_fma_f32 v34, v32, s13, -v30
	v_fmac_f32_e32 v34, 0xb102e308, v32
	v_pk_add_f32 v[32:33], v[30:31], v[34:35]
	v_sub_f32_e32 v35, v33, v35
	v_sub_f32_e32 v35, v31, v35
	v_add_f32_e32 v101, v101, v35
	v_mov_b32_e32 v100, v30
	v_pk_add_f32 v[30:31], v[32:33], v[30:31] neg_lo:[0,1] neg_hi:[0,1]
	v_pk_add_f32 v[112:113], v[32:33], v[100:101]
	v_mov_b32_e32 v31, v113
	v_mov_b32_e32 v35, v32
	v_pk_add_f32 v[114:115], v[34:35], v[30:31] neg_lo:[0,1] neg_hi:[0,1]
	v_pk_add_f32 v[30:31], v[34:35], v[30:31]
	v_mov_b32_e32 v34, v31
	v_pk_add_f32 v[116:117], v[34:35], v[32:33] neg_lo:[0,1] neg_hi:[0,1]
	v_mov_b32_e32 v35, v116
	v_pk_add_f32 v[118:119], v[112:113], v[34:35] neg_lo:[0,1] neg_hi:[0,1]
	v_mov_b32_e32 v30, v113
	v_mov_b32_e32 v112, v33
	v_mov_b32_e32 v113, v116
	v_mov_b32_e32 v115, v31
	v_pk_add_f32 v[30:31], v[30:31], v[112:113] neg_lo:[0,1] neg_hi:[0,1]
	v_mov_b32_e32 v100, v101
	v_mov_b32_e32 v101, v32
	v_pk_add_f32 v[30:31], v[100:101], v[30:31] neg_lo:[0,1] neg_hi:[0,1]
	v_mov_b32_e32 v118, v114
	v_pk_add_f32 v[32:33], v[118:119], v[30:31]
	v_mov_b32_e32 v100, v33
	v_pk_add_f32 v[100:101], v[32:33], v[100:101]
	v_pk_add_f32 v[34:35], v[34:35], v[100:101]
	v_mov_b32_e32 v33, v34
	v_pk_add_f32 v[112:113], v[32:33], v[114:115] neg_lo:[0,1] neg_hi:[0,1]
	v_mov_b32_e32 v31, v100
	v_sub_f32_e32 v32, v32, v112
	v_pk_add_f32 v[30:31], v[30:31], v[112:113] neg_lo:[0,1] neg_hi:[0,1]
	v_sub_f32_e32 v32, v114, v32
	s_mov_b32 s39, 0x7f800000
	v_add_f32_e32 v30, v30, v32
	s_mov_b32 s13, 0x33800000
	v_add_f32_e32 v30, v30, v31
	v_cmp_eq_f32_e32 vcc, s39, v97
	v_cmp_lt_f32_e64 s[40:41], |v97|, s13
	v_add_f32_e32 v30, v34, v30
	s_or_b64 vcc, vcc, s[40:41]
	v_cndmask_b32_e32 v30, v30, v97, vcc
	v_add_f32_e32 v30, v26, v30
.LBB492_81:
	s_or_b64 exec, exec, s[36:37]
	v_bfe_u32 v26, v30, 16, 1
	v_add3_u32 v26, v30, v26, s38
	v_and_b32_e32 v26, 0xffff0000, v26
	v_cmp_o_f32_e32 vcc, v30, v30
	v_cndmask_b32_e32 v30, v27, v26, vcc
	v_mov_b32_e32 v26, 16
	v_lshlrev_b32_sdwa v97, v26, v19 dst_sel:DWORD dst_unused:UNUSED_PAD src0_sel:DWORD src1_sel:WORD_1
	v_max_f32_e32 v27, v30, v30
	v_max_f32_e32 v103, v97, v97
	v_min_f32_e32 v31, v27, v103
	v_cmp_u_f32_e32 vcc, v30, v30
	v_max_f32_e32 v27, v27, v103
	v_cndmask_b32_e32 v31, v31, v30, vcc
	v_cmp_u_f32_e64 s[36:37], v97, v97
	v_cndmask_b32_e32 v27, v27, v30, vcc
	v_cndmask_b32_e64 v31, v31, v97, s[36:37]
	v_cndmask_b32_e64 v27, v27, v97, s[36:37]
	s_movk_i32 s13, 0x1f8
	v_cmp_neq_f32_e32 vcc, v31, v27
	v_cmp_class_f32_e64 s[38:39], v31, s13
	s_or_b64 vcc, vcc, s[38:39]
	s_and_saveexec_b64 s[38:39], vcc
	s_cbranch_execz .LBB492_83
; %bb.82:
	v_sub_f32_e32 v30, v31, v27
	s_mov_b32 s40, 0x3fb8aa3b
	v_mul_f32_e32 v31, 0x3fb8aa3b, v30
	v_fma_f32 v32, v30, s40, -v31
	v_rndne_f32_e32 v33, v31
	v_fmac_f32_e32 v32, 0x32a5705f, v30
	v_sub_f32_e32 v31, v31, v33
	v_add_f32_e32 v31, v31, v32
	v_exp_f32_e32 v31, v31
	v_cvt_i32_f32_e32 v32, v33
	s_mov_b32 s40, 0xc2ce8ed0
	v_cmp_ngt_f32_e32 vcc, s40, v30
	s_mov_b32 s40, 0x42b17218
	v_ldexp_f32 v31, v31, v32
	v_cndmask_b32_e32 v31, 0, v31, vcc
	v_mov_b32_e32 v32, 0x7f800000
	v_cmp_nlt_f32_e32 vcc, s40, v30
	v_cndmask_b32_e32 v128, v32, v31, vcc
	v_add_f32_e32 v32, 1.0, v128
	v_add_f32_e32 v30, -1.0, v32
	v_sub_f32_e32 v31, v30, v32
	v_add_f32_e32 v31, 1.0, v31
	v_sub_f32_e32 v30, v128, v30
	v_add_f32_e32 v33, v30, v31
	v_frexp_mant_f32_e32 v34, v32
	s_mov_b32 s40, 0x3f2aaaab
	v_cvt_f64_f32_e32 v[30:31], v32
	v_frexp_exp_i32_f64_e32 v30, v[30:31]
	v_cmp_gt_f32_e32 vcc, s40, v34
	v_subbrev_co_u32_e32 v112, vcc, 0, v30, vcc
	v_sub_u32_e32 v30, 0, v112
	v_ldexp_f32 v31, v32, v30
	v_add_f32_e32 v32, -1.0, v31
	v_add_f32_e32 v34, 1.0, v31
	v_ldexp_f32 v30, v33, v30
	v_add_f32_e32 v33, 1.0, v32
	v_add_f32_e32 v35, -1.0, v34
	v_sub_f32_e32 v33, v31, v33
	v_sub_f32_e32 v31, v31, v35
	v_add_f32_e32 v33, v30, v33
	v_add_f32_e32 v30, v30, v31
	;; [unrolled: 1-line block ×3, first 2 shown]
	v_rcp_f32_e32 v115, v113
	v_sub_f32_e32 v31, v34, v113
	v_add_f32_e32 v114, v30, v31
	v_add_f32_e32 v31, v32, v33
	v_mul_f32_e32 v117, v31, v115
	v_sub_f32_e32 v30, v32, v31
	v_mul_f32_e32 v32, v113, v117
	v_fma_f32 v34, v117, v113, -v32
	v_fmac_f32_e32 v34, v117, v114
	v_add_f32_e32 v116, v33, v30
	v_add_f32_e32 v30, v32, v34
	v_sub_f32_e32 v33, v31, v30
	v_pk_add_f32 v[100:101], v[30:31], v[32:33] neg_lo:[0,1] neg_hi:[0,1]
	v_mov_b32_e32 v35, v30
	v_pk_add_f32 v[30:31], v[100:101], v[34:35] neg_lo:[0,1] neg_hi:[0,1]
	v_add_f32_e32 v31, v116, v31
	v_add_f32_e32 v30, v30, v31
	;; [unrolled: 1-line block ×3, first 2 shown]
	v_mul_f32_e32 v116, v115, v31
	v_mul_f32_e32 v32, v113, v116
	v_fma_f32 v34, v116, v113, -v32
	v_fmac_f32_e32 v34, v116, v114
	v_sub_f32_e32 v33, v33, v31
	v_add_f32_e32 v113, v30, v33
	v_add_f32_e32 v30, v32, v34
	v_sub_f32_e32 v33, v31, v30
	v_pk_add_f32 v[100:101], v[30:31], v[32:33] neg_lo:[0,1] neg_hi:[0,1]
	v_mov_b32_e32 v35, v30
	v_pk_add_f32 v[30:31], v[100:101], v[34:35] neg_lo:[0,1] neg_hi:[0,1]
	v_add_f32_e32 v31, v113, v31
	v_add_f32_e32 v30, v30, v31
	;; [unrolled: 1-line block ×4, first 2 shown]
	v_sub_f32_e32 v31, v33, v117
	v_mul_f32_e32 v30, v115, v30
	v_sub_f32_e32 v31, v116, v31
	v_add_f32_e32 v30, v31, v30
	v_add_f32_e32 v34, v33, v30
	v_mul_f32_e32 v100, v34, v34
	v_mov_b32_e32 v32, 0x3ecc95a3
	v_fmac_f32_e32 v32, 0x3e9b6dac, v100
	v_mov_b32_e32 v31, 0x3f2aaada
	v_fmac_f32_e32 v31, v100, v32
	v_cvt_f32_i32_e32 v32, v112
	v_sub_f32_e32 v33, v34, v33
	v_sub_f32_e32 v30, v30, v33
	v_ldexp_f32 v101, v30, 1
	v_mul_f32_e32 v33, v34, v100
	v_mov_b32_e32 v30, 0x3f317218
	s_mov_b32 s40, 0x3f317218
	v_pk_mul_f32 v[30:31], v[32:33], v[30:31]
	v_ldexp_f32 v35, v34, 1
	v_fma_f32 v34, v32, s40, -v30
	v_fmac_f32_e32 v34, 0xb102e308, v32
	v_pk_add_f32 v[32:33], v[30:31], v[34:35]
	v_sub_f32_e32 v35, v33, v35
	v_sub_f32_e32 v35, v31, v35
	v_add_f32_e32 v101, v101, v35
	v_mov_b32_e32 v100, v30
	v_pk_add_f32 v[30:31], v[32:33], v[30:31] neg_lo:[0,1] neg_hi:[0,1]
	v_pk_add_f32 v[112:113], v[32:33], v[100:101]
	v_mov_b32_e32 v31, v113
	v_mov_b32_e32 v35, v32
	v_pk_add_f32 v[114:115], v[34:35], v[30:31] neg_lo:[0,1] neg_hi:[0,1]
	v_pk_add_f32 v[30:31], v[34:35], v[30:31]
	v_mov_b32_e32 v34, v31
	v_pk_add_f32 v[116:117], v[34:35], v[32:33] neg_lo:[0,1] neg_hi:[0,1]
	v_mov_b32_e32 v35, v116
	v_pk_add_f32 v[118:119], v[112:113], v[34:35] neg_lo:[0,1] neg_hi:[0,1]
	v_mov_b32_e32 v30, v113
	v_mov_b32_e32 v112, v33
	;; [unrolled: 1-line block ×4, first 2 shown]
	v_pk_add_f32 v[30:31], v[30:31], v[112:113] neg_lo:[0,1] neg_hi:[0,1]
	v_mov_b32_e32 v100, v101
	v_mov_b32_e32 v101, v32
	v_pk_add_f32 v[30:31], v[100:101], v[30:31] neg_lo:[0,1] neg_hi:[0,1]
	v_mov_b32_e32 v118, v114
	v_pk_add_f32 v[32:33], v[118:119], v[30:31]
	v_mov_b32_e32 v100, v33
	v_pk_add_f32 v[100:101], v[32:33], v[100:101]
	v_pk_add_f32 v[34:35], v[34:35], v[100:101]
	v_mov_b32_e32 v33, v34
	v_pk_add_f32 v[112:113], v[32:33], v[114:115] neg_lo:[0,1] neg_hi:[0,1]
	v_mov_b32_e32 v31, v100
	v_sub_f32_e32 v32, v32, v112
	v_pk_add_f32 v[30:31], v[30:31], v[112:113] neg_lo:[0,1] neg_hi:[0,1]
	v_sub_f32_e32 v32, v114, v32
	s_mov_b32 s41, 0x7f800000
	v_add_f32_e32 v30, v30, v32
	s_mov_b32 s40, 0x33800000
	v_add_f32_e32 v30, v30, v31
	v_cmp_eq_f32_e32 vcc, s41, v128
	v_cmp_lt_f32_e64 s[40:41], |v128|, s40
	v_add_f32_e32 v30, v34, v30
	s_or_b64 vcc, vcc, s[40:41]
	v_cndmask_b32_e32 v30, v30, v128, vcc
	v_add_f32_e32 v30, v27, v30
.LBB492_83:
	s_or_b64 exec, exec, s[38:39]
	v_bfe_u32 v27, v30, 16, 1
	s_movk_i32 s42, 0x7fff
	v_add3_u32 v27, v30, v27, s42
	v_and_b32_e32 v31, 0xffff0000, v27
	v_mov_b32_e32 v27, 0x7fc00000
	v_cmp_o_f32_e32 vcc, v30, v30
	v_cndmask_b32_e32 v30, v27, v31, vcc
	v_lshlrev_b32_sdwa v100, v26, v12 dst_sel:DWORD dst_unused:UNUSED_PAD src0_sel:DWORD src1_sel:WORD_0
	v_max_f32_e32 v26, v30, v30
	v_max_f32_e32 v114, v100, v100
	v_min_f32_e32 v31, v26, v114
	v_cmp_u_f32_e32 vcc, v30, v30
	v_max_f32_e32 v26, v26, v114
	v_cndmask_b32_e32 v31, v31, v30, vcc
	v_cmp_u_f32_e64 s[38:39], v100, v100
	v_cndmask_b32_e32 v26, v26, v30, vcc
	v_cndmask_b32_e64 v31, v31, v100, s[38:39]
	v_cndmask_b32_e64 v26, v26, v100, s[38:39]
	v_cmp_neq_f32_e32 vcc, v31, v26
	v_cmp_class_f32_e64 s[40:41], v31, s13
	s_or_b64 vcc, vcc, s[40:41]
	s_and_saveexec_b64 s[40:41], vcc
	s_cbranch_execz .LBB492_85
; %bb.84:
	v_sub_f32_e32 v30, v31, v26
	s_mov_b32 s13, 0x3fb8aa3b
	v_mul_f32_e32 v31, 0x3fb8aa3b, v30
	v_fma_f32 v32, v30, s13, -v31
	v_rndne_f32_e32 v33, v31
	v_fmac_f32_e32 v32, 0x32a5705f, v30
	v_sub_f32_e32 v31, v31, v33
	v_add_f32_e32 v31, v31, v32
	v_exp_f32_e32 v31, v31
	v_cvt_i32_f32_e32 v32, v33
	s_mov_b32 s13, 0xc2ce8ed0
	v_cmp_ngt_f32_e32 vcc, s13, v30
	s_mov_b32 s13, 0x42b17218
	v_ldexp_f32 v31, v31, v32
	v_cndmask_b32_e32 v31, 0, v31, vcc
	v_mov_b32_e32 v32, 0x7f800000
	v_cmp_nlt_f32_e32 vcc, s13, v30
	v_cndmask_b32_e32 v101, v32, v31, vcc
	v_add_f32_e32 v32, 1.0, v101
	v_add_f32_e32 v30, -1.0, v32
	v_sub_f32_e32 v31, v30, v32
	v_add_f32_e32 v31, 1.0, v31
	v_sub_f32_e32 v30, v101, v30
	v_add_f32_e32 v33, v30, v31
	v_frexp_mant_f32_e32 v34, v32
	s_mov_b32 s13, 0x3f2aaaab
	v_cvt_f64_f32_e32 v[30:31], v32
	v_frexp_exp_i32_f64_e32 v30, v[30:31]
	v_cmp_gt_f32_e32 vcc, s13, v34
	v_subbrev_co_u32_e32 v115, vcc, 0, v30, vcc
	v_sub_u32_e32 v30, 0, v115
	v_ldexp_f32 v31, v32, v30
	v_add_f32_e32 v32, -1.0, v31
	v_add_f32_e32 v34, 1.0, v31
	v_ldexp_f32 v30, v33, v30
	v_add_f32_e32 v33, 1.0, v32
	v_add_f32_e32 v35, -1.0, v34
	v_sub_f32_e32 v33, v31, v33
	v_sub_f32_e32 v31, v31, v35
	v_add_f32_e32 v33, v30, v33
	v_add_f32_e32 v30, v30, v31
	;; [unrolled: 1-line block ×3, first 2 shown]
	v_rcp_f32_e32 v118, v116
	v_sub_f32_e32 v31, v34, v116
	v_add_f32_e32 v117, v30, v31
	v_add_f32_e32 v31, v32, v33
	v_mul_f32_e32 v128, v31, v118
	v_sub_f32_e32 v30, v32, v31
	v_mul_f32_e32 v32, v116, v128
	v_fma_f32 v34, v128, v116, -v32
	v_fmac_f32_e32 v34, v128, v117
	v_add_f32_e32 v119, v33, v30
	v_add_f32_e32 v30, v32, v34
	v_sub_f32_e32 v33, v31, v30
	v_pk_add_f32 v[112:113], v[30:31], v[32:33] neg_lo:[0,1] neg_hi:[0,1]
	v_mov_b32_e32 v35, v30
	v_pk_add_f32 v[30:31], v[112:113], v[34:35] neg_lo:[0,1] neg_hi:[0,1]
	v_add_f32_e32 v31, v119, v31
	v_add_f32_e32 v30, v30, v31
	;; [unrolled: 1-line block ×3, first 2 shown]
	v_mul_f32_e32 v119, v118, v31
	v_mul_f32_e32 v32, v116, v119
	v_fma_f32 v34, v119, v116, -v32
	v_fmac_f32_e32 v34, v119, v117
	v_sub_f32_e32 v33, v33, v31
	v_add_f32_e32 v116, v30, v33
	v_add_f32_e32 v30, v32, v34
	v_sub_f32_e32 v33, v31, v30
	v_pk_add_f32 v[112:113], v[30:31], v[32:33] neg_lo:[0,1] neg_hi:[0,1]
	v_mov_b32_e32 v35, v30
	v_pk_add_f32 v[30:31], v[112:113], v[34:35] neg_lo:[0,1] neg_hi:[0,1]
	v_add_f32_e32 v31, v116, v31
	v_add_f32_e32 v30, v30, v31
	;; [unrolled: 1-line block ×4, first 2 shown]
	v_sub_f32_e32 v31, v33, v128
	v_mul_f32_e32 v30, v118, v30
	v_sub_f32_e32 v31, v119, v31
	v_add_f32_e32 v30, v31, v30
	v_add_f32_e32 v34, v33, v30
	v_mul_f32_e32 v112, v34, v34
	v_mov_b32_e32 v32, 0x3ecc95a3
	v_fmac_f32_e32 v32, 0x3e9b6dac, v112
	v_mov_b32_e32 v31, 0x3f2aaada
	v_fmac_f32_e32 v31, v112, v32
	v_cvt_f32_i32_e32 v32, v115
	v_sub_f32_e32 v33, v34, v33
	v_sub_f32_e32 v30, v30, v33
	v_ldexp_f32 v113, v30, 1
	v_mul_f32_e32 v33, v34, v112
	v_mov_b32_e32 v30, 0x3f317218
	s_mov_b32 s13, 0x3f317218
	v_pk_mul_f32 v[30:31], v[32:33], v[30:31]
	v_ldexp_f32 v35, v34, 1
	v_fma_f32 v34, v32, s13, -v30
	v_fmac_f32_e32 v34, 0xb102e308, v32
	v_pk_add_f32 v[32:33], v[30:31], v[34:35]
	v_sub_f32_e32 v35, v33, v35
	v_sub_f32_e32 v35, v31, v35
	v_add_f32_e32 v113, v113, v35
	v_mov_b32_e32 v112, v30
	v_pk_add_f32 v[30:31], v[32:33], v[30:31] neg_lo:[0,1] neg_hi:[0,1]
	v_pk_add_f32 v[116:117], v[32:33], v[112:113]
	v_mov_b32_e32 v31, v117
	v_mov_b32_e32 v35, v32
	v_pk_add_f32 v[118:119], v[34:35], v[30:31] neg_lo:[0,1] neg_hi:[0,1]
	v_pk_add_f32 v[30:31], v[34:35], v[30:31]
	v_mov_b32_e32 v34, v31
	v_pk_add_f32 v[128:129], v[34:35], v[32:33] neg_lo:[0,1] neg_hi:[0,1]
	v_mov_b32_e32 v35, v128
	v_pk_add_f32 v[130:131], v[116:117], v[34:35] neg_lo:[0,1] neg_hi:[0,1]
	v_mov_b32_e32 v30, v117
	v_mov_b32_e32 v116, v33
	;; [unrolled: 1-line block ×4, first 2 shown]
	v_pk_add_f32 v[30:31], v[30:31], v[116:117] neg_lo:[0,1] neg_hi:[0,1]
	v_mov_b32_e32 v112, v113
	v_mov_b32_e32 v113, v32
	v_pk_add_f32 v[30:31], v[112:113], v[30:31] neg_lo:[0,1] neg_hi:[0,1]
	v_mov_b32_e32 v130, v118
	v_pk_add_f32 v[32:33], v[130:131], v[30:31]
	v_mov_b32_e32 v112, v33
	v_pk_add_f32 v[112:113], v[32:33], v[112:113]
	v_pk_add_f32 v[34:35], v[34:35], v[112:113]
	v_mov_b32_e32 v33, v34
	v_pk_add_f32 v[116:117], v[32:33], v[118:119] neg_lo:[0,1] neg_hi:[0,1]
	v_mov_b32_e32 v31, v112
	v_sub_f32_e32 v32, v32, v116
	v_pk_add_f32 v[30:31], v[30:31], v[116:117] neg_lo:[0,1] neg_hi:[0,1]
	v_sub_f32_e32 v32, v118, v32
	s_mov_b32 s43, 0x7f800000
	v_add_f32_e32 v30, v30, v32
	s_mov_b32 s13, 0x33800000
	v_add_f32_e32 v30, v30, v31
	v_cmp_eq_f32_e32 vcc, s43, v101
	v_cmp_lt_f32_e64 s[44:45], |v101|, s13
	v_add_f32_e32 v30, v34, v30
	s_or_b64 vcc, vcc, s[44:45]
	v_cndmask_b32_e32 v30, v30, v101, vcc
	v_add_f32_e32 v30, v26, v30
.LBB492_85:
	s_or_b64 exec, exec, s[40:41]
	v_bfe_u32 v26, v30, 16, 1
	v_add3_u32 v26, v30, v26, s42
	v_and_b32_e32 v26, 0xffff0000, v26
	v_cmp_o_f32_e32 vcc, v30, v30
	v_cndmask_b32_e32 v30, v27, v26, vcc
	v_mov_b32_e32 v26, 16
	v_lshlrev_b32_sdwa v101, v26, v12 dst_sel:DWORD dst_unused:UNUSED_PAD src0_sel:DWORD src1_sel:WORD_1
	v_max_f32_e32 v27, v30, v30
	v_max_f32_e32 v115, v101, v101
	v_min_f32_e32 v31, v27, v115
	v_cmp_u_f32_e32 vcc, v30, v30
	v_max_f32_e32 v27, v27, v115
	v_cndmask_b32_e32 v31, v31, v30, vcc
	v_cmp_u_f32_e64 s[40:41], v101, v101
	v_cndmask_b32_e32 v27, v27, v30, vcc
	v_cndmask_b32_e64 v31, v31, v101, s[40:41]
	v_cndmask_b32_e64 v27, v27, v101, s[40:41]
	s_movk_i32 s13, 0x1f8
	v_cmp_neq_f32_e32 vcc, v31, v27
	v_cmp_class_f32_e64 s[42:43], v31, s13
	s_or_b64 vcc, vcc, s[42:43]
	s_and_saveexec_b64 s[42:43], vcc
	s_cbranch_execz .LBB492_87
; %bb.86:
	v_sub_f32_e32 v30, v31, v27
	s_mov_b32 s44, 0x3fb8aa3b
	v_mul_f32_e32 v31, 0x3fb8aa3b, v30
	v_fma_f32 v32, v30, s44, -v31
	v_rndne_f32_e32 v33, v31
	v_fmac_f32_e32 v32, 0x32a5705f, v30
	v_sub_f32_e32 v31, v31, v33
	v_add_f32_e32 v31, v31, v32
	v_exp_f32_e32 v31, v31
	v_cvt_i32_f32_e32 v32, v33
	s_mov_b32 s44, 0xc2ce8ed0
	v_cmp_ngt_f32_e32 vcc, s44, v30
	s_mov_b32 s44, 0x42b17218
	v_ldexp_f32 v31, v31, v32
	v_cndmask_b32_e32 v31, 0, v31, vcc
	v_mov_b32_e32 v32, 0x7f800000
	v_cmp_nlt_f32_e32 vcc, s44, v30
	v_cndmask_b32_e32 v132, v32, v31, vcc
	v_add_f32_e32 v32, 1.0, v132
	v_add_f32_e32 v30, -1.0, v32
	v_sub_f32_e32 v31, v30, v32
	v_add_f32_e32 v31, 1.0, v31
	v_sub_f32_e32 v30, v132, v30
	v_add_f32_e32 v33, v30, v31
	v_frexp_mant_f32_e32 v34, v32
	s_mov_b32 s44, 0x3f2aaaab
	v_cvt_f64_f32_e32 v[30:31], v32
	v_frexp_exp_i32_f64_e32 v30, v[30:31]
	v_cmp_gt_f32_e32 vcc, s44, v34
	v_subbrev_co_u32_e32 v116, vcc, 0, v30, vcc
	v_sub_u32_e32 v30, 0, v116
	v_ldexp_f32 v31, v32, v30
	v_add_f32_e32 v32, -1.0, v31
	v_add_f32_e32 v34, 1.0, v31
	v_ldexp_f32 v30, v33, v30
	v_add_f32_e32 v33, 1.0, v32
	v_add_f32_e32 v35, -1.0, v34
	v_sub_f32_e32 v33, v31, v33
	v_sub_f32_e32 v31, v31, v35
	v_add_f32_e32 v33, v30, v33
	v_add_f32_e32 v30, v30, v31
	;; [unrolled: 1-line block ×3, first 2 shown]
	v_rcp_f32_e32 v119, v117
	v_sub_f32_e32 v31, v34, v117
	v_add_f32_e32 v118, v30, v31
	v_add_f32_e32 v31, v32, v33
	v_mul_f32_e32 v129, v31, v119
	v_sub_f32_e32 v30, v32, v31
	v_mul_f32_e32 v32, v117, v129
	v_fma_f32 v34, v129, v117, -v32
	v_fmac_f32_e32 v34, v129, v118
	v_add_f32_e32 v128, v33, v30
	v_add_f32_e32 v30, v32, v34
	v_sub_f32_e32 v33, v31, v30
	v_pk_add_f32 v[112:113], v[30:31], v[32:33] neg_lo:[0,1] neg_hi:[0,1]
	v_mov_b32_e32 v35, v30
	v_pk_add_f32 v[30:31], v[112:113], v[34:35] neg_lo:[0,1] neg_hi:[0,1]
	v_add_f32_e32 v31, v128, v31
	v_add_f32_e32 v30, v30, v31
	;; [unrolled: 1-line block ×3, first 2 shown]
	v_mul_f32_e32 v128, v119, v31
	v_mul_f32_e32 v32, v117, v128
	v_fma_f32 v34, v128, v117, -v32
	v_fmac_f32_e32 v34, v128, v118
	v_sub_f32_e32 v33, v33, v31
	v_add_f32_e32 v117, v30, v33
	v_add_f32_e32 v30, v32, v34
	v_sub_f32_e32 v33, v31, v30
	v_pk_add_f32 v[112:113], v[30:31], v[32:33] neg_lo:[0,1] neg_hi:[0,1]
	v_mov_b32_e32 v35, v30
	v_pk_add_f32 v[30:31], v[112:113], v[34:35] neg_lo:[0,1] neg_hi:[0,1]
	v_add_f32_e32 v31, v117, v31
	v_add_f32_e32 v30, v30, v31
	v_add_f32_e32 v30, v33, v30
	v_add_f32_e32 v33, v129, v128
	v_sub_f32_e32 v31, v33, v129
	v_mul_f32_e32 v30, v119, v30
	v_sub_f32_e32 v31, v128, v31
	v_add_f32_e32 v30, v31, v30
	v_add_f32_e32 v34, v33, v30
	v_mul_f32_e32 v112, v34, v34
	v_mov_b32_e32 v32, 0x3ecc95a3
	v_fmac_f32_e32 v32, 0x3e9b6dac, v112
	v_mov_b32_e32 v31, 0x3f2aaada
	v_fmac_f32_e32 v31, v112, v32
	v_cvt_f32_i32_e32 v32, v116
	v_sub_f32_e32 v33, v34, v33
	v_sub_f32_e32 v30, v30, v33
	v_ldexp_f32 v113, v30, 1
	v_mul_f32_e32 v33, v34, v112
	v_mov_b32_e32 v30, 0x3f317218
	s_mov_b32 s44, 0x3f317218
	v_pk_mul_f32 v[30:31], v[32:33], v[30:31]
	v_ldexp_f32 v35, v34, 1
	v_fma_f32 v34, v32, s44, -v30
	v_fmac_f32_e32 v34, 0xb102e308, v32
	v_pk_add_f32 v[32:33], v[30:31], v[34:35]
	v_sub_f32_e32 v35, v33, v35
	v_sub_f32_e32 v35, v31, v35
	v_add_f32_e32 v113, v113, v35
	v_mov_b32_e32 v112, v30
	v_pk_add_f32 v[30:31], v[32:33], v[30:31] neg_lo:[0,1] neg_hi:[0,1]
	v_pk_add_f32 v[116:117], v[32:33], v[112:113]
	v_mov_b32_e32 v31, v117
	v_mov_b32_e32 v35, v32
	v_pk_add_f32 v[118:119], v[34:35], v[30:31] neg_lo:[0,1] neg_hi:[0,1]
	v_pk_add_f32 v[30:31], v[34:35], v[30:31]
	v_mov_b32_e32 v34, v31
	v_pk_add_f32 v[128:129], v[34:35], v[32:33] neg_lo:[0,1] neg_hi:[0,1]
	v_mov_b32_e32 v35, v128
	v_pk_add_f32 v[130:131], v[116:117], v[34:35] neg_lo:[0,1] neg_hi:[0,1]
	v_mov_b32_e32 v30, v117
	v_mov_b32_e32 v116, v33
	;; [unrolled: 1-line block ×4, first 2 shown]
	v_pk_add_f32 v[30:31], v[30:31], v[116:117] neg_lo:[0,1] neg_hi:[0,1]
	v_mov_b32_e32 v112, v113
	v_mov_b32_e32 v113, v32
	v_pk_add_f32 v[30:31], v[112:113], v[30:31] neg_lo:[0,1] neg_hi:[0,1]
	v_mov_b32_e32 v130, v118
	v_pk_add_f32 v[32:33], v[130:131], v[30:31]
	v_mov_b32_e32 v112, v33
	v_pk_add_f32 v[112:113], v[32:33], v[112:113]
	v_pk_add_f32 v[34:35], v[34:35], v[112:113]
	v_mov_b32_e32 v33, v34
	v_pk_add_f32 v[116:117], v[32:33], v[118:119] neg_lo:[0,1] neg_hi:[0,1]
	v_mov_b32_e32 v31, v112
	v_sub_f32_e32 v32, v32, v116
	v_pk_add_f32 v[30:31], v[30:31], v[116:117] neg_lo:[0,1] neg_hi:[0,1]
	v_sub_f32_e32 v32, v118, v32
	s_mov_b32 s45, 0x7f800000
	v_add_f32_e32 v30, v30, v32
	s_mov_b32 s44, 0x33800000
	v_add_f32_e32 v30, v30, v31
	v_cmp_eq_f32_e32 vcc, s45, v132
	v_cmp_lt_f32_e64 s[44:45], |v132|, s44
	v_add_f32_e32 v30, v34, v30
	s_or_b64 vcc, vcc, s[44:45]
	v_cndmask_b32_e32 v30, v30, v132, vcc
	v_add_f32_e32 v30, v27, v30
.LBB492_87:
	s_or_b64 exec, exec, s[42:43]
	v_bfe_u32 v27, v30, 16, 1
	s_movk_i32 s46, 0x7fff
	v_add3_u32 v27, v30, v27, s46
	v_and_b32_e32 v31, 0xffff0000, v27
	v_mov_b32_e32 v27, 0x7fc00000
	v_cmp_o_f32_e32 vcc, v30, v30
	v_cndmask_b32_e32 v30, v27, v31, vcc
	v_lshlrev_b32_sdwa v112, v26, v13 dst_sel:DWORD dst_unused:UNUSED_PAD src0_sel:DWORD src1_sel:WORD_0
	v_max_f32_e32 v26, v30, v30
	v_max_f32_e32 v118, v112, v112
	v_min_f32_e32 v31, v26, v118
	v_cmp_u_f32_e32 vcc, v30, v30
	v_max_f32_e32 v26, v26, v118
	v_cndmask_b32_e32 v31, v31, v30, vcc
	v_cmp_u_f32_e64 s[42:43], v112, v112
	v_cndmask_b32_e32 v26, v26, v30, vcc
	v_cndmask_b32_e64 v31, v31, v112, s[42:43]
	v_cndmask_b32_e64 v26, v26, v112, s[42:43]
	v_cmp_neq_f32_e32 vcc, v31, v26
	v_cmp_class_f32_e64 s[44:45], v31, s13
	s_or_b64 vcc, vcc, s[44:45]
	s_and_saveexec_b64 s[44:45], vcc
	s_cbranch_execz .LBB492_89
; %bb.88:
	v_sub_f32_e32 v30, v31, v26
	s_mov_b32 s13, 0x3fb8aa3b
	v_mul_f32_e32 v31, 0x3fb8aa3b, v30
	v_fma_f32 v32, v30, s13, -v31
	v_rndne_f32_e32 v33, v31
	v_fmac_f32_e32 v32, 0x32a5705f, v30
	v_sub_f32_e32 v31, v31, v33
	v_add_f32_e32 v31, v31, v32
	v_exp_f32_e32 v31, v31
	v_cvt_i32_f32_e32 v32, v33
	s_mov_b32 s13, 0xc2ce8ed0
	v_cmp_ngt_f32_e32 vcc, s13, v30
	s_mov_b32 s13, 0x42b17218
	v_ldexp_f32 v31, v31, v32
	v_cndmask_b32_e32 v31, 0, v31, vcc
	v_mov_b32_e32 v32, 0x7f800000
	v_cmp_nlt_f32_e32 vcc, s13, v30
	v_cndmask_b32_e32 v113, v32, v31, vcc
	v_add_f32_e32 v32, 1.0, v113
	v_add_f32_e32 v30, -1.0, v32
	v_sub_f32_e32 v31, v30, v32
	v_add_f32_e32 v31, 1.0, v31
	v_sub_f32_e32 v30, v113, v30
	v_add_f32_e32 v33, v30, v31
	v_frexp_mant_f32_e32 v34, v32
	s_mov_b32 s13, 0x3f2aaaab
	v_cvt_f64_f32_e32 v[30:31], v32
	v_frexp_exp_i32_f64_e32 v30, v[30:31]
	v_cmp_gt_f32_e32 vcc, s13, v34
	v_subbrev_co_u32_e32 v119, vcc, 0, v30, vcc
	v_sub_u32_e32 v30, 0, v119
	v_ldexp_f32 v31, v32, v30
	v_add_f32_e32 v32, -1.0, v31
	v_add_f32_e32 v34, 1.0, v31
	v_ldexp_f32 v30, v33, v30
	v_add_f32_e32 v33, 1.0, v32
	v_add_f32_e32 v35, -1.0, v34
	v_sub_f32_e32 v33, v31, v33
	v_sub_f32_e32 v31, v31, v35
	v_add_f32_e32 v33, v30, v33
	v_add_f32_e32 v30, v30, v31
	;; [unrolled: 1-line block ×3, first 2 shown]
	v_rcp_f32_e32 v130, v128
	v_sub_f32_e32 v31, v34, v128
	v_add_f32_e32 v129, v30, v31
	v_add_f32_e32 v31, v32, v33
	v_mul_f32_e32 v132, v31, v130
	v_sub_f32_e32 v30, v32, v31
	v_mul_f32_e32 v32, v128, v132
	v_fma_f32 v34, v132, v128, -v32
	v_fmac_f32_e32 v34, v132, v129
	v_add_f32_e32 v131, v33, v30
	v_add_f32_e32 v30, v32, v34
	v_sub_f32_e32 v33, v31, v30
	v_pk_add_f32 v[116:117], v[30:31], v[32:33] neg_lo:[0,1] neg_hi:[0,1]
	v_mov_b32_e32 v35, v30
	v_pk_add_f32 v[30:31], v[116:117], v[34:35] neg_lo:[0,1] neg_hi:[0,1]
	v_add_f32_e32 v31, v131, v31
	v_add_f32_e32 v30, v30, v31
	;; [unrolled: 1-line block ×3, first 2 shown]
	v_mul_f32_e32 v131, v130, v31
	v_mul_f32_e32 v32, v128, v131
	v_fma_f32 v34, v131, v128, -v32
	v_fmac_f32_e32 v34, v131, v129
	v_sub_f32_e32 v33, v33, v31
	v_add_f32_e32 v128, v30, v33
	v_add_f32_e32 v30, v32, v34
	v_sub_f32_e32 v33, v31, v30
	v_pk_add_f32 v[116:117], v[30:31], v[32:33] neg_lo:[0,1] neg_hi:[0,1]
	v_mov_b32_e32 v35, v30
	v_pk_add_f32 v[30:31], v[116:117], v[34:35] neg_lo:[0,1] neg_hi:[0,1]
	v_add_f32_e32 v31, v128, v31
	v_add_f32_e32 v30, v30, v31
	;; [unrolled: 1-line block ×4, first 2 shown]
	v_sub_f32_e32 v31, v33, v132
	v_mul_f32_e32 v30, v130, v30
	v_sub_f32_e32 v31, v131, v31
	v_add_f32_e32 v30, v31, v30
	v_add_f32_e32 v34, v33, v30
	v_mul_f32_e32 v116, v34, v34
	v_mov_b32_e32 v32, 0x3ecc95a3
	v_fmac_f32_e32 v32, 0x3e9b6dac, v116
	v_mov_b32_e32 v31, 0x3f2aaada
	v_fmac_f32_e32 v31, v116, v32
	v_cvt_f32_i32_e32 v32, v119
	v_sub_f32_e32 v33, v34, v33
	v_sub_f32_e32 v30, v30, v33
	v_ldexp_f32 v117, v30, 1
	v_mul_f32_e32 v33, v34, v116
	v_mov_b32_e32 v30, 0x3f317218
	s_mov_b32 s13, 0x3f317218
	v_pk_mul_f32 v[30:31], v[32:33], v[30:31]
	v_ldexp_f32 v35, v34, 1
	v_fma_f32 v34, v32, s13, -v30
	v_fmac_f32_e32 v34, 0xb102e308, v32
	v_pk_add_f32 v[32:33], v[30:31], v[34:35]
	v_sub_f32_e32 v35, v33, v35
	v_sub_f32_e32 v35, v31, v35
	v_add_f32_e32 v117, v117, v35
	v_mov_b32_e32 v116, v30
	v_pk_add_f32 v[30:31], v[32:33], v[30:31] neg_lo:[0,1] neg_hi:[0,1]
	v_pk_add_f32 v[128:129], v[32:33], v[116:117]
	v_mov_b32_e32 v31, v129
	v_mov_b32_e32 v35, v32
	v_pk_add_f32 v[130:131], v[34:35], v[30:31] neg_lo:[0,1] neg_hi:[0,1]
	v_pk_add_f32 v[30:31], v[34:35], v[30:31]
	v_mov_b32_e32 v34, v31
	v_pk_add_f32 v[132:133], v[34:35], v[32:33] neg_lo:[0,1] neg_hi:[0,1]
	v_mov_b32_e32 v35, v132
	v_pk_add_f32 v[144:145], v[128:129], v[34:35] neg_lo:[0,1] neg_hi:[0,1]
	v_mov_b32_e32 v30, v129
	v_mov_b32_e32 v128, v33
	v_mov_b32_e32 v129, v132
	v_mov_b32_e32 v131, v31
	v_pk_add_f32 v[30:31], v[30:31], v[128:129] neg_lo:[0,1] neg_hi:[0,1]
	v_mov_b32_e32 v116, v117
	v_mov_b32_e32 v117, v32
	v_pk_add_f32 v[30:31], v[116:117], v[30:31] neg_lo:[0,1] neg_hi:[0,1]
	v_mov_b32_e32 v144, v130
	v_pk_add_f32 v[32:33], v[144:145], v[30:31]
	v_mov_b32_e32 v116, v33
	v_pk_add_f32 v[116:117], v[32:33], v[116:117]
	v_pk_add_f32 v[34:35], v[34:35], v[116:117]
	v_mov_b32_e32 v33, v34
	v_pk_add_f32 v[128:129], v[32:33], v[130:131] neg_lo:[0,1] neg_hi:[0,1]
	v_mov_b32_e32 v31, v116
	v_sub_f32_e32 v32, v32, v128
	v_pk_add_f32 v[30:31], v[30:31], v[128:129] neg_lo:[0,1] neg_hi:[0,1]
	v_sub_f32_e32 v32, v130, v32
	s_mov_b32 s47, 0x7f800000
	v_add_f32_e32 v30, v30, v32
	s_mov_b32 s13, 0x33800000
	v_add_f32_e32 v30, v30, v31
	v_cmp_eq_f32_e32 vcc, s47, v113
	v_cmp_lt_f32_e64 s[48:49], |v113|, s13
	v_add_f32_e32 v30, v34, v30
	s_or_b64 vcc, vcc, s[48:49]
	v_cndmask_b32_e32 v30, v30, v113, vcc
	v_add_f32_e32 v30, v26, v30
.LBB492_89:
	s_or_b64 exec, exec, s[44:45]
	v_bfe_u32 v26, v30, 16, 1
	v_add3_u32 v26, v30, v26, s46
	v_and_b32_e32 v26, 0xffff0000, v26
	v_cmp_o_f32_e32 vcc, v30, v30
	v_cndmask_b32_e32 v30, v27, v26, vcc
	v_mov_b32_e32 v26, 16
	v_lshlrev_b32_sdwa v113, v26, v13 dst_sel:DWORD dst_unused:UNUSED_PAD src0_sel:DWORD src1_sel:WORD_1
	v_max_f32_e32 v27, v30, v30
	v_max_f32_e32 v119, v113, v113
	v_min_f32_e32 v31, v27, v119
	v_cmp_u_f32_e32 vcc, v30, v30
	v_max_f32_e32 v27, v27, v119
	v_cndmask_b32_e32 v31, v31, v30, vcc
	v_cmp_u_f32_e64 s[44:45], v113, v113
	v_cndmask_b32_e32 v27, v27, v30, vcc
	v_cndmask_b32_e64 v31, v31, v113, s[44:45]
	v_cndmask_b32_e64 v27, v27, v113, s[44:45]
	s_movk_i32 s13, 0x1f8
	v_cmp_neq_f32_e32 vcc, v31, v27
	v_cmp_class_f32_e64 s[46:47], v31, s13
	s_or_b64 vcc, vcc, s[46:47]
	s_and_saveexec_b64 s[46:47], vcc
	s_cbranch_execz .LBB492_91
; %bb.90:
	v_sub_f32_e32 v30, v31, v27
	s_mov_b32 s48, 0x3fb8aa3b
	v_mul_f32_e32 v31, 0x3fb8aa3b, v30
	v_fma_f32 v32, v30, s48, -v31
	v_rndne_f32_e32 v33, v31
	v_fmac_f32_e32 v32, 0x32a5705f, v30
	v_sub_f32_e32 v31, v31, v33
	v_add_f32_e32 v31, v31, v32
	v_exp_f32_e32 v31, v31
	v_cvt_i32_f32_e32 v32, v33
	s_mov_b32 s48, 0xc2ce8ed0
	v_cmp_ngt_f32_e32 vcc, s48, v30
	s_mov_b32 s48, 0x42b17218
	v_ldexp_f32 v31, v31, v32
	v_cndmask_b32_e32 v31, 0, v31, vcc
	v_mov_b32_e32 v32, 0x7f800000
	v_cmp_nlt_f32_e32 vcc, s48, v30
	v_cndmask_b32_e32 v146, v32, v31, vcc
	v_add_f32_e32 v32, 1.0, v146
	v_add_f32_e32 v30, -1.0, v32
	v_sub_f32_e32 v31, v30, v32
	v_add_f32_e32 v31, 1.0, v31
	v_sub_f32_e32 v30, v146, v30
	v_add_f32_e32 v33, v30, v31
	v_frexp_mant_f32_e32 v34, v32
	s_mov_b32 s48, 0x3f2aaaab
	v_cvt_f64_f32_e32 v[30:31], v32
	v_frexp_exp_i32_f64_e32 v30, v[30:31]
	v_cmp_gt_f32_e32 vcc, s48, v34
	v_subbrev_co_u32_e32 v128, vcc, 0, v30, vcc
	v_sub_u32_e32 v30, 0, v128
	v_ldexp_f32 v31, v32, v30
	v_add_f32_e32 v32, -1.0, v31
	v_add_f32_e32 v34, 1.0, v31
	v_ldexp_f32 v30, v33, v30
	v_add_f32_e32 v33, 1.0, v32
	v_add_f32_e32 v35, -1.0, v34
	v_sub_f32_e32 v33, v31, v33
	v_sub_f32_e32 v31, v31, v35
	v_add_f32_e32 v33, v30, v33
	v_add_f32_e32 v30, v30, v31
	;; [unrolled: 1-line block ×3, first 2 shown]
	v_rcp_f32_e32 v131, v129
	v_sub_f32_e32 v31, v34, v129
	v_add_f32_e32 v130, v30, v31
	v_add_f32_e32 v31, v32, v33
	v_mul_f32_e32 v133, v31, v131
	v_sub_f32_e32 v30, v32, v31
	v_mul_f32_e32 v32, v129, v133
	v_fma_f32 v34, v133, v129, -v32
	v_fmac_f32_e32 v34, v133, v130
	v_add_f32_e32 v132, v33, v30
	v_add_f32_e32 v30, v32, v34
	v_sub_f32_e32 v33, v31, v30
	v_pk_add_f32 v[116:117], v[30:31], v[32:33] neg_lo:[0,1] neg_hi:[0,1]
	v_mov_b32_e32 v35, v30
	v_pk_add_f32 v[30:31], v[116:117], v[34:35] neg_lo:[0,1] neg_hi:[0,1]
	v_add_f32_e32 v31, v132, v31
	v_add_f32_e32 v30, v30, v31
	;; [unrolled: 1-line block ×3, first 2 shown]
	v_mul_f32_e32 v132, v131, v31
	v_mul_f32_e32 v32, v129, v132
	v_fma_f32 v34, v132, v129, -v32
	v_fmac_f32_e32 v34, v132, v130
	v_sub_f32_e32 v33, v33, v31
	v_add_f32_e32 v129, v30, v33
	v_add_f32_e32 v30, v32, v34
	v_sub_f32_e32 v33, v31, v30
	v_pk_add_f32 v[116:117], v[30:31], v[32:33] neg_lo:[0,1] neg_hi:[0,1]
	v_mov_b32_e32 v35, v30
	v_pk_add_f32 v[30:31], v[116:117], v[34:35] neg_lo:[0,1] neg_hi:[0,1]
	v_add_f32_e32 v31, v129, v31
	v_add_f32_e32 v30, v30, v31
	;; [unrolled: 1-line block ×4, first 2 shown]
	v_sub_f32_e32 v31, v33, v133
	v_mul_f32_e32 v30, v131, v30
	v_sub_f32_e32 v31, v132, v31
	v_add_f32_e32 v30, v31, v30
	v_add_f32_e32 v34, v33, v30
	v_mul_f32_e32 v116, v34, v34
	v_mov_b32_e32 v32, 0x3ecc95a3
	v_fmac_f32_e32 v32, 0x3e9b6dac, v116
	v_mov_b32_e32 v31, 0x3f2aaada
	v_fmac_f32_e32 v31, v116, v32
	v_cvt_f32_i32_e32 v32, v128
	v_sub_f32_e32 v33, v34, v33
	v_sub_f32_e32 v30, v30, v33
	v_ldexp_f32 v117, v30, 1
	v_mul_f32_e32 v33, v34, v116
	v_mov_b32_e32 v30, 0x3f317218
	s_mov_b32 s48, 0x3f317218
	v_pk_mul_f32 v[30:31], v[32:33], v[30:31]
	v_ldexp_f32 v35, v34, 1
	v_fma_f32 v34, v32, s48, -v30
	v_fmac_f32_e32 v34, 0xb102e308, v32
	v_pk_add_f32 v[32:33], v[30:31], v[34:35]
	v_sub_f32_e32 v35, v33, v35
	v_sub_f32_e32 v35, v31, v35
	v_add_f32_e32 v117, v117, v35
	v_mov_b32_e32 v116, v30
	v_pk_add_f32 v[30:31], v[32:33], v[30:31] neg_lo:[0,1] neg_hi:[0,1]
	v_pk_add_f32 v[128:129], v[32:33], v[116:117]
	v_mov_b32_e32 v31, v129
	v_mov_b32_e32 v35, v32
	v_pk_add_f32 v[130:131], v[34:35], v[30:31] neg_lo:[0,1] neg_hi:[0,1]
	v_pk_add_f32 v[30:31], v[34:35], v[30:31]
	v_mov_b32_e32 v34, v31
	v_pk_add_f32 v[132:133], v[34:35], v[32:33] neg_lo:[0,1] neg_hi:[0,1]
	v_mov_b32_e32 v35, v132
	v_pk_add_f32 v[144:145], v[128:129], v[34:35] neg_lo:[0,1] neg_hi:[0,1]
	v_mov_b32_e32 v30, v129
	v_mov_b32_e32 v128, v33
	;; [unrolled: 1-line block ×4, first 2 shown]
	v_pk_add_f32 v[30:31], v[30:31], v[128:129] neg_lo:[0,1] neg_hi:[0,1]
	v_mov_b32_e32 v116, v117
	v_mov_b32_e32 v117, v32
	v_pk_add_f32 v[30:31], v[116:117], v[30:31] neg_lo:[0,1] neg_hi:[0,1]
	v_mov_b32_e32 v144, v130
	v_pk_add_f32 v[32:33], v[144:145], v[30:31]
	v_mov_b32_e32 v116, v33
	v_pk_add_f32 v[116:117], v[32:33], v[116:117]
	v_pk_add_f32 v[34:35], v[34:35], v[116:117]
	v_mov_b32_e32 v33, v34
	v_pk_add_f32 v[128:129], v[32:33], v[130:131] neg_lo:[0,1] neg_hi:[0,1]
	v_mov_b32_e32 v31, v116
	v_sub_f32_e32 v32, v32, v128
	v_pk_add_f32 v[30:31], v[30:31], v[128:129] neg_lo:[0,1] neg_hi:[0,1]
	v_sub_f32_e32 v32, v130, v32
	s_mov_b32 s49, 0x7f800000
	v_add_f32_e32 v30, v30, v32
	s_mov_b32 s48, 0x33800000
	v_add_f32_e32 v30, v30, v31
	v_cmp_eq_f32_e32 vcc, s49, v146
	v_cmp_lt_f32_e64 s[48:49], |v146|, s48
	v_add_f32_e32 v30, v34, v30
	s_or_b64 vcc, vcc, s[48:49]
	v_cndmask_b32_e32 v30, v30, v146, vcc
	v_add_f32_e32 v30, v27, v30
.LBB492_91:
	s_or_b64 exec, exec, s[46:47]
	v_bfe_u32 v27, v30, 16, 1
	s_movk_i32 s50, 0x7fff
	v_add3_u32 v27, v30, v27, s50
	v_and_b32_e32 v31, 0xffff0000, v27
	v_mov_b32_e32 v27, 0x7fc00000
	v_cmp_o_f32_e32 vcc, v30, v30
	v_cndmask_b32_e32 v30, v27, v31, vcc
	v_lshlrev_b32_sdwa v116, v26, v14 dst_sel:DWORD dst_unused:UNUSED_PAD src0_sel:DWORD src1_sel:WORD_0
	v_max_f32_e32 v26, v30, v30
	v_max_f32_e32 v130, v116, v116
	v_min_f32_e32 v31, v26, v130
	v_cmp_u_f32_e32 vcc, v30, v30
	v_max_f32_e32 v26, v26, v130
	v_cndmask_b32_e32 v31, v31, v30, vcc
	v_cmp_u_f32_e64 s[46:47], v116, v116
	v_cndmask_b32_e32 v26, v26, v30, vcc
	v_cndmask_b32_e64 v31, v31, v116, s[46:47]
	v_cndmask_b32_e64 v26, v26, v116, s[46:47]
	v_cmp_neq_f32_e32 vcc, v31, v26
	v_cmp_class_f32_e64 s[48:49], v31, s13
	s_or_b64 vcc, vcc, s[48:49]
	s_and_saveexec_b64 s[48:49], vcc
	s_cbranch_execz .LBB492_93
; %bb.92:
	v_sub_f32_e32 v30, v31, v26
	s_mov_b32 s13, 0x3fb8aa3b
	v_mul_f32_e32 v31, 0x3fb8aa3b, v30
	v_fma_f32 v32, v30, s13, -v31
	v_rndne_f32_e32 v33, v31
	v_fmac_f32_e32 v32, 0x32a5705f, v30
	v_sub_f32_e32 v31, v31, v33
	v_add_f32_e32 v31, v31, v32
	v_exp_f32_e32 v31, v31
	v_cvt_i32_f32_e32 v32, v33
	s_mov_b32 s13, 0xc2ce8ed0
	v_cmp_ngt_f32_e32 vcc, s13, v30
	s_mov_b32 s13, 0x42b17218
	v_ldexp_f32 v31, v31, v32
	v_cndmask_b32_e32 v31, 0, v31, vcc
	v_mov_b32_e32 v32, 0x7f800000
	v_cmp_nlt_f32_e32 vcc, s13, v30
	v_cndmask_b32_e32 v117, v32, v31, vcc
	v_add_f32_e32 v32, 1.0, v117
	v_add_f32_e32 v30, -1.0, v32
	v_sub_f32_e32 v31, v30, v32
	v_add_f32_e32 v31, 1.0, v31
	v_sub_f32_e32 v30, v117, v30
	v_add_f32_e32 v33, v30, v31
	v_frexp_mant_f32_e32 v34, v32
	s_mov_b32 s13, 0x3f2aaaab
	v_cvt_f64_f32_e32 v[30:31], v32
	v_frexp_exp_i32_f64_e32 v30, v[30:31]
	v_cmp_gt_f32_e32 vcc, s13, v34
	v_subbrev_co_u32_e32 v131, vcc, 0, v30, vcc
	v_sub_u32_e32 v30, 0, v131
	v_ldexp_f32 v31, v32, v30
	v_add_f32_e32 v32, -1.0, v31
	v_add_f32_e32 v34, 1.0, v31
	v_ldexp_f32 v30, v33, v30
	v_add_f32_e32 v33, 1.0, v32
	v_add_f32_e32 v35, -1.0, v34
	v_sub_f32_e32 v33, v31, v33
	v_sub_f32_e32 v31, v31, v35
	v_add_f32_e32 v33, v30, v33
	v_add_f32_e32 v30, v30, v31
	v_add_f32_e32 v132, v34, v30
	v_rcp_f32_e32 v144, v132
	v_sub_f32_e32 v31, v34, v132
	v_add_f32_e32 v133, v30, v31
	v_add_f32_e32 v31, v32, v33
	v_mul_f32_e32 v146, v31, v144
	v_sub_f32_e32 v30, v32, v31
	v_mul_f32_e32 v32, v132, v146
	v_fma_f32 v34, v146, v132, -v32
	v_fmac_f32_e32 v34, v146, v133
	v_add_f32_e32 v145, v33, v30
	v_add_f32_e32 v30, v32, v34
	v_sub_f32_e32 v33, v31, v30
	v_pk_add_f32 v[128:129], v[30:31], v[32:33] neg_lo:[0,1] neg_hi:[0,1]
	v_mov_b32_e32 v35, v30
	v_pk_add_f32 v[30:31], v[128:129], v[34:35] neg_lo:[0,1] neg_hi:[0,1]
	v_add_f32_e32 v31, v145, v31
	v_add_f32_e32 v30, v30, v31
	;; [unrolled: 1-line block ×3, first 2 shown]
	v_mul_f32_e32 v145, v144, v31
	v_mul_f32_e32 v32, v132, v145
	v_fma_f32 v34, v145, v132, -v32
	v_fmac_f32_e32 v34, v145, v133
	v_sub_f32_e32 v33, v33, v31
	v_add_f32_e32 v132, v30, v33
	v_add_f32_e32 v30, v32, v34
	v_sub_f32_e32 v33, v31, v30
	v_pk_add_f32 v[128:129], v[30:31], v[32:33] neg_lo:[0,1] neg_hi:[0,1]
	v_mov_b32_e32 v35, v30
	v_pk_add_f32 v[30:31], v[128:129], v[34:35] neg_lo:[0,1] neg_hi:[0,1]
	v_add_f32_e32 v31, v132, v31
	v_add_f32_e32 v30, v30, v31
	;; [unrolled: 1-line block ×4, first 2 shown]
	v_sub_f32_e32 v31, v33, v146
	v_mul_f32_e32 v30, v144, v30
	v_sub_f32_e32 v31, v145, v31
	v_add_f32_e32 v30, v31, v30
	v_add_f32_e32 v34, v33, v30
	v_mul_f32_e32 v128, v34, v34
	v_mov_b32_e32 v32, 0x3ecc95a3
	v_fmac_f32_e32 v32, 0x3e9b6dac, v128
	v_mov_b32_e32 v31, 0x3f2aaada
	v_fmac_f32_e32 v31, v128, v32
	v_cvt_f32_i32_e32 v32, v131
	v_sub_f32_e32 v33, v34, v33
	v_sub_f32_e32 v30, v30, v33
	v_ldexp_f32 v129, v30, 1
	v_mul_f32_e32 v33, v34, v128
	v_mov_b32_e32 v30, 0x3f317218
	s_mov_b32 s13, 0x3f317218
	v_pk_mul_f32 v[30:31], v[32:33], v[30:31]
	v_ldexp_f32 v35, v34, 1
	v_fma_f32 v34, v32, s13, -v30
	v_fmac_f32_e32 v34, 0xb102e308, v32
	v_pk_add_f32 v[32:33], v[30:31], v[34:35]
	v_sub_f32_e32 v35, v33, v35
	v_sub_f32_e32 v35, v31, v35
	v_add_f32_e32 v129, v129, v35
	v_mov_b32_e32 v128, v30
	v_pk_add_f32 v[30:31], v[32:33], v[30:31] neg_lo:[0,1] neg_hi:[0,1]
	v_pk_add_f32 v[132:133], v[32:33], v[128:129]
	v_mov_b32_e32 v31, v133
	v_mov_b32_e32 v35, v32
	v_pk_add_f32 v[144:145], v[34:35], v[30:31] neg_lo:[0,1] neg_hi:[0,1]
	v_pk_add_f32 v[30:31], v[34:35], v[30:31]
	v_mov_b32_e32 v34, v31
	v_pk_add_f32 v[146:147], v[34:35], v[32:33] neg_lo:[0,1] neg_hi:[0,1]
	v_mov_b32_e32 v35, v146
	v_pk_add_f32 v[148:149], v[132:133], v[34:35] neg_lo:[0,1] neg_hi:[0,1]
	v_mov_b32_e32 v30, v133
	v_mov_b32_e32 v132, v33
	;; [unrolled: 1-line block ×4, first 2 shown]
	v_pk_add_f32 v[30:31], v[30:31], v[132:133] neg_lo:[0,1] neg_hi:[0,1]
	v_mov_b32_e32 v128, v129
	v_mov_b32_e32 v129, v32
	v_pk_add_f32 v[30:31], v[128:129], v[30:31] neg_lo:[0,1] neg_hi:[0,1]
	v_mov_b32_e32 v148, v144
	v_pk_add_f32 v[32:33], v[148:149], v[30:31]
	v_mov_b32_e32 v128, v33
	v_pk_add_f32 v[128:129], v[32:33], v[128:129]
	v_pk_add_f32 v[34:35], v[34:35], v[128:129]
	v_mov_b32_e32 v33, v34
	v_pk_add_f32 v[132:133], v[32:33], v[144:145] neg_lo:[0,1] neg_hi:[0,1]
	v_mov_b32_e32 v31, v128
	v_sub_f32_e32 v32, v32, v132
	v_pk_add_f32 v[30:31], v[30:31], v[132:133] neg_lo:[0,1] neg_hi:[0,1]
	v_sub_f32_e32 v32, v144, v32
	s_mov_b32 s51, 0x7f800000
	v_add_f32_e32 v30, v30, v32
	s_mov_b32 s13, 0x33800000
	v_add_f32_e32 v30, v30, v31
	v_cmp_eq_f32_e32 vcc, s51, v117
	v_cmp_lt_f32_e64 s[52:53], |v117|, s13
	v_add_f32_e32 v30, v34, v30
	s_or_b64 vcc, vcc, s[52:53]
	v_cndmask_b32_e32 v30, v30, v117, vcc
	v_add_f32_e32 v30, v26, v30
.LBB492_93:
	s_or_b64 exec, exec, s[48:49]
	v_bfe_u32 v26, v30, 16, 1
	v_add3_u32 v26, v30, v26, s50
	v_and_b32_e32 v26, 0xffff0000, v26
	v_cmp_o_f32_e32 vcc, v30, v30
	v_cndmask_b32_e32 v30, v27, v26, vcc
	v_mov_b32_e32 v26, 16
	v_lshlrev_b32_sdwa v117, v26, v14 dst_sel:DWORD dst_unused:UNUSED_PAD src0_sel:DWORD src1_sel:WORD_1
	v_max_f32_e32 v27, v30, v30
	v_max_f32_e32 v131, v117, v117
	v_min_f32_e32 v31, v27, v131
	v_cmp_u_f32_e32 vcc, v30, v30
	v_max_f32_e32 v27, v27, v131
	v_cndmask_b32_e32 v31, v31, v30, vcc
	v_cmp_u_f32_e64 s[48:49], v117, v117
	v_cndmask_b32_e32 v27, v27, v30, vcc
	v_cndmask_b32_e64 v31, v31, v117, s[48:49]
	v_cndmask_b32_e64 v27, v27, v117, s[48:49]
	s_movk_i32 s13, 0x1f8
	v_cmp_neq_f32_e32 vcc, v31, v27
	v_cmp_class_f32_e64 s[50:51], v31, s13
	s_or_b64 vcc, vcc, s[50:51]
	s_and_saveexec_b64 s[50:51], vcc
	s_cbranch_execz .LBB492_95
; %bb.94:
	v_sub_f32_e32 v30, v31, v27
	s_mov_b32 s52, 0x3fb8aa3b
	v_mul_f32_e32 v31, 0x3fb8aa3b, v30
	v_fma_f32 v32, v30, s52, -v31
	v_rndne_f32_e32 v33, v31
	v_fmac_f32_e32 v32, 0x32a5705f, v30
	v_sub_f32_e32 v31, v31, v33
	v_add_f32_e32 v31, v31, v32
	v_exp_f32_e32 v31, v31
	v_cvt_i32_f32_e32 v32, v33
	s_mov_b32 s52, 0xc2ce8ed0
	v_cmp_ngt_f32_e32 vcc, s52, v30
	s_mov_b32 s52, 0x42b17218
	v_ldexp_f32 v31, v31, v32
	v_cndmask_b32_e32 v31, 0, v31, vcc
	v_mov_b32_e32 v32, 0x7f800000
	v_cmp_nlt_f32_e32 vcc, s52, v30
	v_cndmask_b32_e32 v150, v32, v31, vcc
	v_add_f32_e32 v32, 1.0, v150
	v_add_f32_e32 v30, -1.0, v32
	v_sub_f32_e32 v31, v30, v32
	v_add_f32_e32 v31, 1.0, v31
	v_sub_f32_e32 v30, v150, v30
	v_add_f32_e32 v33, v30, v31
	v_frexp_mant_f32_e32 v34, v32
	s_mov_b32 s52, 0x3f2aaaab
	v_cvt_f64_f32_e32 v[30:31], v32
	v_frexp_exp_i32_f64_e32 v30, v[30:31]
	v_cmp_gt_f32_e32 vcc, s52, v34
	v_subbrev_co_u32_e32 v132, vcc, 0, v30, vcc
	v_sub_u32_e32 v30, 0, v132
	v_ldexp_f32 v31, v32, v30
	v_add_f32_e32 v32, -1.0, v31
	v_add_f32_e32 v34, 1.0, v31
	v_ldexp_f32 v30, v33, v30
	v_add_f32_e32 v33, 1.0, v32
	v_add_f32_e32 v35, -1.0, v34
	v_sub_f32_e32 v33, v31, v33
	v_sub_f32_e32 v31, v31, v35
	v_add_f32_e32 v33, v30, v33
	v_add_f32_e32 v30, v30, v31
	;; [unrolled: 1-line block ×3, first 2 shown]
	v_rcp_f32_e32 v145, v133
	v_sub_f32_e32 v31, v34, v133
	v_add_f32_e32 v144, v30, v31
	v_add_f32_e32 v31, v32, v33
	v_mul_f32_e32 v147, v31, v145
	v_sub_f32_e32 v30, v32, v31
	v_mul_f32_e32 v32, v133, v147
	v_fma_f32 v34, v147, v133, -v32
	v_fmac_f32_e32 v34, v147, v144
	v_add_f32_e32 v146, v33, v30
	v_add_f32_e32 v30, v32, v34
	v_sub_f32_e32 v33, v31, v30
	v_pk_add_f32 v[128:129], v[30:31], v[32:33] neg_lo:[0,1] neg_hi:[0,1]
	v_mov_b32_e32 v35, v30
	v_pk_add_f32 v[30:31], v[128:129], v[34:35] neg_lo:[0,1] neg_hi:[0,1]
	v_add_f32_e32 v31, v146, v31
	v_add_f32_e32 v30, v30, v31
	;; [unrolled: 1-line block ×3, first 2 shown]
	v_mul_f32_e32 v146, v145, v31
	v_mul_f32_e32 v32, v133, v146
	v_fma_f32 v34, v146, v133, -v32
	v_fmac_f32_e32 v34, v146, v144
	v_sub_f32_e32 v33, v33, v31
	v_add_f32_e32 v133, v30, v33
	v_add_f32_e32 v30, v32, v34
	v_sub_f32_e32 v33, v31, v30
	v_pk_add_f32 v[128:129], v[30:31], v[32:33] neg_lo:[0,1] neg_hi:[0,1]
	v_mov_b32_e32 v35, v30
	v_pk_add_f32 v[30:31], v[128:129], v[34:35] neg_lo:[0,1] neg_hi:[0,1]
	v_add_f32_e32 v31, v133, v31
	v_add_f32_e32 v30, v30, v31
	;; [unrolled: 1-line block ×4, first 2 shown]
	v_sub_f32_e32 v31, v33, v147
	v_mul_f32_e32 v30, v145, v30
	v_sub_f32_e32 v31, v146, v31
	v_add_f32_e32 v30, v31, v30
	v_add_f32_e32 v34, v33, v30
	v_mul_f32_e32 v128, v34, v34
	v_mov_b32_e32 v32, 0x3ecc95a3
	v_fmac_f32_e32 v32, 0x3e9b6dac, v128
	v_mov_b32_e32 v31, 0x3f2aaada
	v_fmac_f32_e32 v31, v128, v32
	v_cvt_f32_i32_e32 v32, v132
	v_sub_f32_e32 v33, v34, v33
	v_sub_f32_e32 v30, v30, v33
	v_ldexp_f32 v129, v30, 1
	v_mul_f32_e32 v33, v34, v128
	v_mov_b32_e32 v30, 0x3f317218
	s_mov_b32 s52, 0x3f317218
	v_pk_mul_f32 v[30:31], v[32:33], v[30:31]
	v_ldexp_f32 v35, v34, 1
	v_fma_f32 v34, v32, s52, -v30
	v_fmac_f32_e32 v34, 0xb102e308, v32
	v_pk_add_f32 v[32:33], v[30:31], v[34:35]
	v_sub_f32_e32 v35, v33, v35
	v_sub_f32_e32 v35, v31, v35
	v_add_f32_e32 v129, v129, v35
	v_mov_b32_e32 v128, v30
	v_pk_add_f32 v[30:31], v[32:33], v[30:31] neg_lo:[0,1] neg_hi:[0,1]
	v_pk_add_f32 v[132:133], v[32:33], v[128:129]
	v_mov_b32_e32 v31, v133
	v_mov_b32_e32 v35, v32
	v_pk_add_f32 v[144:145], v[34:35], v[30:31] neg_lo:[0,1] neg_hi:[0,1]
	v_pk_add_f32 v[30:31], v[34:35], v[30:31]
	v_mov_b32_e32 v34, v31
	v_pk_add_f32 v[146:147], v[34:35], v[32:33] neg_lo:[0,1] neg_hi:[0,1]
	v_mov_b32_e32 v35, v146
	v_pk_add_f32 v[148:149], v[132:133], v[34:35] neg_lo:[0,1] neg_hi:[0,1]
	v_mov_b32_e32 v30, v133
	v_mov_b32_e32 v132, v33
	;; [unrolled: 1-line block ×4, first 2 shown]
	v_pk_add_f32 v[30:31], v[30:31], v[132:133] neg_lo:[0,1] neg_hi:[0,1]
	v_mov_b32_e32 v128, v129
	v_mov_b32_e32 v129, v32
	v_pk_add_f32 v[30:31], v[128:129], v[30:31] neg_lo:[0,1] neg_hi:[0,1]
	v_mov_b32_e32 v148, v144
	v_pk_add_f32 v[32:33], v[148:149], v[30:31]
	v_mov_b32_e32 v128, v33
	v_pk_add_f32 v[128:129], v[32:33], v[128:129]
	v_pk_add_f32 v[34:35], v[34:35], v[128:129]
	v_mov_b32_e32 v33, v34
	v_pk_add_f32 v[132:133], v[32:33], v[144:145] neg_lo:[0,1] neg_hi:[0,1]
	v_mov_b32_e32 v31, v128
	v_sub_f32_e32 v32, v32, v132
	v_pk_add_f32 v[30:31], v[30:31], v[132:133] neg_lo:[0,1] neg_hi:[0,1]
	v_sub_f32_e32 v32, v144, v32
	s_mov_b32 s53, 0x7f800000
	v_add_f32_e32 v30, v30, v32
	s_mov_b32 s52, 0x33800000
	v_add_f32_e32 v30, v30, v31
	v_cmp_eq_f32_e32 vcc, s53, v150
	v_cmp_lt_f32_e64 s[52:53], |v150|, s52
	v_add_f32_e32 v30, v34, v30
	s_or_b64 vcc, vcc, s[52:53]
	v_cndmask_b32_e32 v30, v30, v150, vcc
	v_add_f32_e32 v30, v27, v30
.LBB492_95:
	s_or_b64 exec, exec, s[50:51]
	v_bfe_u32 v27, v30, 16, 1
	s_movk_i32 s56, 0x7fff
	v_add3_u32 v27, v30, v27, s56
	v_and_b32_e32 v31, 0xffff0000, v27
	v_mov_b32_e32 v27, 0x7fc00000
	v_cmp_o_f32_e32 vcc, v30, v30
	v_cndmask_b32_e32 v30, v27, v31, vcc
	v_lshlrev_b32_sdwa v128, v26, v15 dst_sel:DWORD dst_unused:UNUSED_PAD src0_sel:DWORD src1_sel:WORD_0
	v_max_f32_e32 v26, v30, v30
	v_max_f32_e32 v132, v128, v128
	v_min_f32_e32 v31, v26, v132
	v_cmp_u_f32_e32 vcc, v30, v30
	v_max_f32_e32 v26, v26, v132
	v_cndmask_b32_e32 v31, v31, v30, vcc
	v_cmp_u_f32_e64 s[50:51], v128, v128
	v_cndmask_b32_e32 v26, v26, v30, vcc
	v_cndmask_b32_e64 v31, v31, v128, s[50:51]
	v_cndmask_b32_e64 v26, v26, v128, s[50:51]
	v_cmp_neq_f32_e32 vcc, v31, v26
	v_cmp_class_f32_e64 s[52:53], v31, s13
	s_or_b64 vcc, vcc, s[52:53]
	s_and_saveexec_b64 s[52:53], vcc
	s_cbranch_execz .LBB492_97
; %bb.96:
	v_sub_f32_e32 v30, v31, v26
	s_mov_b32 s13, 0x3fb8aa3b
	v_mul_f32_e32 v31, 0x3fb8aa3b, v30
	v_fma_f32 v32, v30, s13, -v31
	v_rndne_f32_e32 v33, v31
	v_fmac_f32_e32 v32, 0x32a5705f, v30
	v_sub_f32_e32 v31, v31, v33
	v_add_f32_e32 v31, v31, v32
	v_exp_f32_e32 v31, v31
	v_cvt_i32_f32_e32 v32, v33
	s_mov_b32 s13, 0xc2ce8ed0
	v_cmp_ngt_f32_e32 vcc, s13, v30
	s_mov_b32 s13, 0x42b17218
	v_ldexp_f32 v31, v31, v32
	v_cndmask_b32_e32 v31, 0, v31, vcc
	v_mov_b32_e32 v32, 0x7f800000
	v_cmp_nlt_f32_e32 vcc, s13, v30
	v_cndmask_b32_e32 v129, v32, v31, vcc
	v_add_f32_e32 v32, 1.0, v129
	v_add_f32_e32 v30, -1.0, v32
	v_sub_f32_e32 v31, v30, v32
	v_add_f32_e32 v31, 1.0, v31
	v_sub_f32_e32 v30, v129, v30
	v_add_f32_e32 v33, v30, v31
	v_frexp_mant_f32_e32 v34, v32
	s_mov_b32 s13, 0x3f2aaaab
	v_cvt_f64_f32_e32 v[30:31], v32
	v_frexp_exp_i32_f64_e32 v30, v[30:31]
	v_cmp_gt_f32_e32 vcc, s13, v34
	v_subbrev_co_u32_e32 v133, vcc, 0, v30, vcc
	v_sub_u32_e32 v30, 0, v133
	v_ldexp_f32 v31, v32, v30
	v_add_f32_e32 v32, -1.0, v31
	v_add_f32_e32 v34, 1.0, v31
	v_ldexp_f32 v30, v33, v30
	v_add_f32_e32 v33, 1.0, v32
	v_add_f32_e32 v35, -1.0, v34
	v_sub_f32_e32 v33, v31, v33
	v_sub_f32_e32 v31, v31, v35
	v_add_f32_e32 v33, v30, v33
	v_add_f32_e32 v30, v30, v31
	;; [unrolled: 1-line block ×3, first 2 shown]
	v_rcp_f32_e32 v148, v146
	v_sub_f32_e32 v31, v34, v146
	v_add_f32_e32 v147, v30, v31
	v_add_f32_e32 v31, v32, v33
	v_mul_f32_e32 v150, v31, v148
	v_sub_f32_e32 v30, v32, v31
	v_mul_f32_e32 v32, v146, v150
	v_fma_f32 v34, v150, v146, -v32
	v_fmac_f32_e32 v34, v150, v147
	v_add_f32_e32 v149, v33, v30
	v_add_f32_e32 v30, v32, v34
	v_sub_f32_e32 v33, v31, v30
	v_pk_add_f32 v[144:145], v[30:31], v[32:33] neg_lo:[0,1] neg_hi:[0,1]
	v_mov_b32_e32 v35, v30
	v_pk_add_f32 v[30:31], v[144:145], v[34:35] neg_lo:[0,1] neg_hi:[0,1]
	v_add_f32_e32 v31, v149, v31
	v_add_f32_e32 v30, v30, v31
	;; [unrolled: 1-line block ×3, first 2 shown]
	v_mul_f32_e32 v149, v148, v31
	v_mul_f32_e32 v32, v146, v149
	v_fma_f32 v34, v149, v146, -v32
	v_fmac_f32_e32 v34, v149, v147
	v_sub_f32_e32 v33, v33, v31
	v_add_f32_e32 v146, v30, v33
	v_add_f32_e32 v30, v32, v34
	v_sub_f32_e32 v33, v31, v30
	v_pk_add_f32 v[144:145], v[30:31], v[32:33] neg_lo:[0,1] neg_hi:[0,1]
	v_mov_b32_e32 v35, v30
	v_pk_add_f32 v[30:31], v[144:145], v[34:35] neg_lo:[0,1] neg_hi:[0,1]
	v_add_f32_e32 v31, v146, v31
	v_add_f32_e32 v30, v30, v31
	;; [unrolled: 1-line block ×4, first 2 shown]
	v_sub_f32_e32 v31, v33, v150
	v_mul_f32_e32 v30, v148, v30
	v_sub_f32_e32 v31, v149, v31
	v_add_f32_e32 v30, v31, v30
	v_add_f32_e32 v34, v33, v30
	v_mul_f32_e32 v144, v34, v34
	v_mov_b32_e32 v32, 0x3ecc95a3
	v_fmac_f32_e32 v32, 0x3e9b6dac, v144
	v_mov_b32_e32 v31, 0x3f2aaada
	v_fmac_f32_e32 v31, v144, v32
	v_cvt_f32_i32_e32 v32, v133
	v_sub_f32_e32 v33, v34, v33
	v_sub_f32_e32 v30, v30, v33
	v_ldexp_f32 v133, v30, 1
	v_mul_f32_e32 v33, v34, v144
	v_mov_b32_e32 v30, 0x3f317218
	s_mov_b32 s13, 0x3f317218
	v_pk_mul_f32 v[30:31], v[32:33], v[30:31]
	v_ldexp_f32 v35, v34, 1
	v_fma_f32 v34, v32, s13, -v30
	v_fmac_f32_e32 v34, 0xb102e308, v32
	v_pk_add_f32 v[32:33], v[30:31], v[34:35]
	v_sub_f32_e32 v35, v33, v35
	v_sub_f32_e32 v35, v31, v35
	v_add_f32_e32 v145, v133, v35
	v_mov_b32_e32 v144, v30
	v_pk_add_f32 v[30:31], v[32:33], v[30:31] neg_lo:[0,1] neg_hi:[0,1]
	v_pk_add_f32 v[146:147], v[32:33], v[144:145]
	v_mov_b32_e32 v31, v147
	v_mov_b32_e32 v35, v32
	v_pk_add_f32 v[148:149], v[34:35], v[30:31] neg_lo:[0,1] neg_hi:[0,1]
	v_pk_add_f32 v[30:31], v[34:35], v[30:31]
	v_mov_b32_e32 v34, v31
	v_pk_add_f32 v[150:151], v[34:35], v[32:33] neg_lo:[0,1] neg_hi:[0,1]
	v_mov_b32_e32 v35, v150
	v_pk_add_f32 v[160:161], v[146:147], v[34:35] neg_lo:[0,1] neg_hi:[0,1]
	v_mov_b32_e32 v30, v147
	v_mov_b32_e32 v146, v33
	;; [unrolled: 1-line block ×4, first 2 shown]
	v_pk_add_f32 v[30:31], v[30:31], v[146:147] neg_lo:[0,1] neg_hi:[0,1]
	v_mov_b32_e32 v144, v145
	v_mov_b32_e32 v145, v32
	v_pk_add_f32 v[30:31], v[144:145], v[30:31] neg_lo:[0,1] neg_hi:[0,1]
	v_mov_b32_e32 v160, v148
	v_pk_add_f32 v[32:33], v[160:161], v[30:31]
	v_mov_b32_e32 v144, v33
	v_pk_add_f32 v[144:145], v[32:33], v[144:145]
	v_pk_add_f32 v[34:35], v[34:35], v[144:145]
	v_mov_b32_e32 v33, v34
	v_pk_add_f32 v[146:147], v[32:33], v[148:149] neg_lo:[0,1] neg_hi:[0,1]
	v_mov_b32_e32 v31, v144
	v_sub_f32_e32 v32, v32, v146
	v_pk_add_f32 v[30:31], v[30:31], v[146:147] neg_lo:[0,1] neg_hi:[0,1]
	v_sub_f32_e32 v32, v148, v32
	s_mov_b32 s57, 0x7f800000
	v_add_f32_e32 v30, v30, v32
	s_mov_b32 s13, 0x33800000
	v_add_f32_e32 v30, v30, v31
	v_cmp_eq_f32_e32 vcc, s57, v129
	v_cmp_lt_f32_e64 s[60:61], |v129|, s13
	v_add_f32_e32 v30, v34, v30
	s_or_b64 vcc, vcc, s[60:61]
	v_cndmask_b32_e32 v30, v30, v129, vcc
	v_add_f32_e32 v30, v26, v30
.LBB492_97:
	s_or_b64 exec, exec, s[52:53]
	v_bfe_u32 v26, v30, 16, 1
	v_add3_u32 v26, v30, v26, s56
	v_and_b32_e32 v26, 0xffff0000, v26
	v_cmp_o_f32_e32 vcc, v30, v30
	v_cndmask_b32_e32 v27, v27, v26, vcc
	v_mov_b32_e32 v26, 16
	v_lshlrev_b32_sdwa v129, v26, v15 dst_sel:DWORD dst_unused:UNUSED_PAD src0_sel:DWORD src1_sel:WORD_1
	v_max_f32_e32 v26, v27, v27
	v_max_f32_e32 v133, v129, v129
	v_min_f32_e32 v30, v26, v133
	v_cmp_u_f32_e32 vcc, v27, v27
	v_max_f32_e32 v26, v26, v133
	v_cndmask_b32_e32 v30, v30, v27, vcc
	v_cmp_u_f32_e64 s[52:53], v129, v129
	v_cndmask_b32_e32 v26, v26, v27, vcc
	v_cndmask_b32_e64 v30, v30, v129, s[52:53]
	v_cndmask_b32_e64 v26, v26, v129, s[52:53]
	s_movk_i32 s13, 0x1f8
	v_cmp_neq_f32_e32 vcc, v30, v26
	v_cmp_class_f32_e64 s[56:57], v30, s13
	s_or_b64 vcc, vcc, s[56:57]
	s_and_saveexec_b64 s[56:57], vcc
	s_cbranch_execz .LBB492_99
; %bb.98:
	v_sub_f32_e32 v27, v30, v26
	s_mov_b32 s13, 0x3fb8aa3b
	v_mul_f32_e32 v30, 0x3fb8aa3b, v27
	v_fma_f32 v31, v27, s13, -v30
	v_rndne_f32_e32 v32, v30
	v_fmac_f32_e32 v31, 0x32a5705f, v27
	v_sub_f32_e32 v30, v30, v32
	v_add_f32_e32 v30, v30, v31
	v_exp_f32_e32 v30, v30
	v_cvt_i32_f32_e32 v31, v32
	s_mov_b32 s13, 0xc2ce8ed0
	v_cmp_ngt_f32_e32 vcc, s13, v27
	s_mov_b32 s13, 0x42b17218
	v_ldexp_f32 v30, v30, v31
	v_cndmask_b32_e32 v30, 0, v30, vcc
	v_mov_b32_e32 v31, 0x7f800000
	v_cmp_nlt_f32_e32 vcc, s13, v27
	v_cndmask_b32_e32 v162, v31, v30, vcc
	v_add_f32_e32 v27, 1.0, v162
	v_add_f32_e32 v30, -1.0, v27
	v_sub_f32_e32 v31, v30, v27
	v_add_f32_e32 v31, 1.0, v31
	v_sub_f32_e32 v30, v162, v30
	v_add_f32_e32 v32, v30, v31
	v_frexp_mant_f32_e32 v33, v27
	s_mov_b32 s13, 0x3f2aaaab
	v_cvt_f64_f32_e32 v[30:31], v27
	v_frexp_exp_i32_f64_e32 v30, v[30:31]
	v_cmp_gt_f32_e32 vcc, s13, v33
	v_subbrev_co_u32_e32 v146, vcc, 0, v30, vcc
	v_sub_u32_e32 v30, 0, v146
	v_ldexp_f32 v27, v27, v30
	v_ldexp_f32 v30, v32, v30
	v_add_f32_e32 v32, -1.0, v27
	v_add_f32_e32 v31, 1.0, v32
	v_sub_f32_e32 v31, v27, v31
	v_add_f32_e32 v33, v30, v31
	v_add_f32_e32 v31, 1.0, v27
	v_add_f32_e32 v34, -1.0, v31
	v_sub_f32_e32 v27, v27, v34
	v_add_f32_e32 v27, v30, v27
	v_add_f32_e32 v147, v31, v27
	v_rcp_f32_e32 v148, v147
	v_sub_f32_e32 v30, v31, v147
	v_add_f32_e32 v31, v32, v33
	v_add_f32_e32 v27, v27, v30
	v_mul_f32_e32 v150, v31, v148
	v_sub_f32_e32 v30, v32, v31
	v_mul_f32_e32 v32, v147, v150
	v_fma_f32 v34, v150, v147, -v32
	v_fmac_f32_e32 v34, v150, v27
	v_add_f32_e32 v149, v33, v30
	v_add_f32_e32 v30, v32, v34
	v_sub_f32_e32 v33, v31, v30
	v_pk_add_f32 v[144:145], v[30:31], v[32:33] neg_lo:[0,1] neg_hi:[0,1]
	v_mov_b32_e32 v35, v30
	v_pk_add_f32 v[30:31], v[144:145], v[34:35] neg_lo:[0,1] neg_hi:[0,1]
	v_add_f32_e32 v31, v149, v31
	v_add_f32_e32 v30, v30, v31
	v_add_f32_e32 v31, v33, v30
	v_mul_f32_e32 v149, v148, v31
	v_mul_f32_e32 v32, v147, v149
	v_fma_f32 v34, v149, v147, -v32
	v_fmac_f32_e32 v34, v149, v27
	v_sub_f32_e32 v27, v33, v31
	v_add_f32_e32 v27, v30, v27
	v_add_f32_e32 v30, v32, v34
	v_sub_f32_e32 v33, v31, v30
	v_pk_add_f32 v[144:145], v[30:31], v[32:33] neg_lo:[0,1] neg_hi:[0,1]
	v_mov_b32_e32 v35, v30
	v_pk_add_f32 v[30:31], v[144:145], v[34:35] neg_lo:[0,1] neg_hi:[0,1]
	v_add_f32_e32 v27, v27, v31
	v_add_f32_e32 v27, v30, v27
	;; [unrolled: 1-line block ×4, first 2 shown]
	v_sub_f32_e32 v31, v30, v150
	v_mul_f32_e32 v27, v148, v27
	v_sub_f32_e32 v31, v149, v31
	v_add_f32_e32 v27, v31, v27
	v_add_f32_e32 v33, v30, v27
	v_mul_f32_e32 v34, v33, v33
	v_mov_b32_e32 v32, 0x3ecc95a3
	v_fmac_f32_e32 v32, 0x3e9b6dac, v34
	v_mov_b32_e32 v31, 0x3f2aaada
	v_fmac_f32_e32 v31, v34, v32
	v_cvt_f32_i32_e32 v32, v146
	v_sub_f32_e32 v30, v33, v30
	v_sub_f32_e32 v27, v27, v30
	v_ldexp_f32 v35, v33, 1
	v_mul_f32_e32 v33, v33, v34
	v_mov_b32_e32 v30, 0x3f317218
	s_mov_b32 s13, 0x3f317218
	v_pk_mul_f32 v[30:31], v[32:33], v[30:31]
	v_fma_f32 v34, v32, s13, -v30
	v_fmac_f32_e32 v34, 0xb102e308, v32
	v_pk_add_f32 v[32:33], v[30:31], v[34:35]
	v_sub_f32_e32 v35, v33, v35
	v_ldexp_f32 v27, v27, 1
	v_sub_f32_e32 v35, v31, v35
	v_add_f32_e32 v145, v27, v35
	v_mov_b32_e32 v144, v30
	v_pk_add_f32 v[30:31], v[32:33], v[30:31] neg_lo:[0,1] neg_hi:[0,1]
	v_pk_add_f32 v[146:147], v[32:33], v[144:145]
	v_mov_b32_e32 v31, v147
	v_mov_b32_e32 v35, v32
	v_pk_add_f32 v[148:149], v[34:35], v[30:31] neg_lo:[0,1] neg_hi:[0,1]
	v_pk_add_f32 v[30:31], v[34:35], v[30:31]
	v_mov_b32_e32 v34, v31
	v_pk_add_f32 v[150:151], v[34:35], v[32:33] neg_lo:[0,1] neg_hi:[0,1]
	v_mov_b32_e32 v27, v150
	v_pk_add_f32 v[160:161], v[146:147], v[26:27] neg_lo:[0,1] neg_hi:[0,1]
	v_mov_b32_e32 v30, v147
	v_mov_b32_e32 v146, v33
	;; [unrolled: 1-line block ×4, first 2 shown]
	v_pk_add_f32 v[30:31], v[30:31], v[146:147] neg_lo:[0,1] neg_hi:[0,1]
	v_mov_b32_e32 v144, v145
	v_mov_b32_e32 v145, v32
	v_pk_add_f32 v[30:31], v[144:145], v[30:31] neg_lo:[0,1] neg_hi:[0,1]
	v_mov_b32_e32 v160, v148
	v_pk_add_f32 v[32:33], v[160:161], v[30:31]
	v_mov_b32_e32 v144, v33
	v_pk_add_f32 v[144:145], v[32:33], v[144:145]
	v_pk_add_f32 v[34:35], v[34:35], v[144:145]
	v_mov_b32_e32 v33, v34
	v_pk_add_f32 v[146:147], v[32:33], v[148:149] neg_lo:[0,1] neg_hi:[0,1]
	v_mov_b32_e32 v31, v144
	v_sub_f32_e32 v27, v32, v146
	v_pk_add_f32 v[30:31], v[30:31], v[146:147] neg_lo:[0,1] neg_hi:[0,1]
	v_sub_f32_e32 v27, v148, v27
	s_mov_b32 s60, 0x7f800000
	v_add_f32_e32 v27, v30, v27
	s_mov_b32 s13, 0x33800000
	v_add_f32_e32 v27, v27, v31
	v_cmp_eq_f32_e32 vcc, s60, v162
	v_cmp_lt_f32_e64 s[60:61], |v162|, s13
	v_add_f32_e32 v27, v34, v27
	s_or_b64 vcc, vcc, s[60:61]
	v_cndmask_b32_e32 v27, v27, v162, vcc
	v_add_f32_e32 v27, v26, v27
.LBB492_99:
	s_or_b64 exec, exec, s[56:57]
	v_bfe_u32 v26, v27, 16, 1
	s_movk_i32 s13, 0x7fff
	v_add3_u32 v26, v27, v26, s13
	v_lshrrev_b32_e32 v26, 16, v26
	v_mov_b32_e32 v30, 0x7fc0
	v_cmp_o_f32_e32 vcc, v27, v27
	v_cndmask_b32_e32 v30, v30, v26, vcc
	v_mbcnt_lo_u32_b32 v26, -1, 0
	v_mbcnt_hi_u32_b32 v27, -1, v26
	v_and_b32_e32 v26, 15, v27
	v_and_b32_e32 v31, 0xffff, v30
	v_cmp_ne_u32_e32 vcc, 0, v26
	s_nop 0
	v_mov_b32_dpp v32, v31 row_shr:1 row_mask:0xf bank_mask:0xf
	s_and_saveexec_b64 s[60:61], vcc
	s_cbranch_execz .LBB492_103
; %bb.100:
	v_lshlrev_b32_e32 v32, 16, v32
	v_lshlrev_b32_e32 v30, 16, v31
	v_max_f32_e32 v33, v30, v30
	v_max_f32_e32 v34, v32, v32
	v_min_f32_e32 v31, v34, v33
	v_cmp_u_f32_e32 vcc, v32, v32
	v_max_f32_e32 v33, v34, v33
	v_cndmask_b32_e32 v31, v31, v32, vcc
	v_cmp_u_f32_e64 s[56:57], v30, v30
	v_cndmask_b32_e32 v33, v33, v32, vcc
	v_cndmask_b32_e64 v31, v31, v30, s[56:57]
	v_cndmask_b32_e64 v30, v33, v30, s[56:57]
	s_movk_i32 s13, 0x1f8
	v_cmp_neq_f32_e32 vcc, v31, v30
	v_cmp_class_f32_e64 s[56:57], v31, s13
	s_or_b64 vcc, vcc, s[56:57]
	s_and_saveexec_b64 s[56:57], vcc
	s_cbranch_execz .LBB492_102
; %bb.101:
	v_sub_f32_e32 v31, v31, v30
	s_mov_b32 s13, 0x3fb8aa3b
	v_mul_f32_e32 v32, 0x3fb8aa3b, v31
	v_fma_f32 v33, v31, s13, -v32
	v_rndne_f32_e32 v34, v32
	v_fmac_f32_e32 v33, 0x32a5705f, v31
	v_sub_f32_e32 v32, v32, v34
	v_add_f32_e32 v32, v32, v33
	v_exp_f32_e32 v32, v32
	v_cvt_i32_f32_e32 v33, v34
	s_mov_b32 s13, 0xc2ce8ed0
	v_cmp_ngt_f32_e32 vcc, s13, v31
	s_mov_b32 s13, 0x42b17218
	v_ldexp_f32 v32, v32, v33
	v_cndmask_b32_e32 v32, 0, v32, vcc
	v_mov_b32_e32 v33, 0x7f800000
	v_cmp_nlt_f32_e32 vcc, s13, v31
	v_cndmask_b32_e32 v164, v33, v32, vcc
	v_add_f32_e32 v31, 1.0, v164
	v_add_f32_e32 v32, -1.0, v31
	v_sub_f32_e32 v33, v32, v31
	v_add_f32_e32 v33, 1.0, v33
	v_sub_f32_e32 v32, v164, v32
	v_add_f32_e32 v34, v32, v33
	v_frexp_mant_f32_e32 v35, v31
	s_mov_b32 s13, 0x3f2aaaab
	v_cvt_f64_f32_e32 v[32:33], v31
	v_frexp_exp_i32_f64_e32 v32, v[32:33]
	v_cmp_gt_f32_e32 vcc, s13, v35
	v_subbrev_co_u32_e32 v148, vcc, 0, v32, vcc
	v_sub_u32_e32 v32, 0, v148
	v_ldexp_f32 v31, v31, v32
	v_ldexp_f32 v32, v34, v32
	v_add_f32_e32 v34, -1.0, v31
	v_add_f32_e32 v33, 1.0, v34
	v_sub_f32_e32 v33, v31, v33
	v_add_f32_e32 v35, v32, v33
	v_add_f32_e32 v33, 1.0, v31
	v_add_f32_e32 v144, -1.0, v33
	v_sub_f32_e32 v31, v31, v144
	v_add_f32_e32 v31, v32, v31
	v_add_f32_e32 v149, v33, v31
	v_rcp_f32_e32 v150, v149
	v_sub_f32_e32 v32, v33, v149
	v_add_f32_e32 v33, v34, v35
	v_add_f32_e32 v31, v31, v32
	v_mul_f32_e32 v160, v33, v150
	v_sub_f32_e32 v32, v34, v33
	v_mul_f32_e32 v34, v149, v160
	v_fma_f32 v144, v160, v149, -v34
	v_fmac_f32_e32 v144, v160, v31
	v_add_f32_e32 v151, v35, v32
	v_add_f32_e32 v32, v34, v144
	v_sub_f32_e32 v35, v33, v32
	v_pk_add_f32 v[146:147], v[32:33], v[34:35] neg_lo:[0,1] neg_hi:[0,1]
	v_mov_b32_e32 v145, v32
	v_pk_add_f32 v[32:33], v[146:147], v[144:145] neg_lo:[0,1] neg_hi:[0,1]
	v_add_f32_e32 v33, v151, v33
	v_add_f32_e32 v32, v32, v33
	;; [unrolled: 1-line block ×3, first 2 shown]
	v_mul_f32_e32 v151, v150, v33
	v_mul_f32_e32 v34, v149, v151
	v_fma_f32 v144, v151, v149, -v34
	v_fmac_f32_e32 v144, v151, v31
	v_sub_f32_e32 v31, v35, v33
	v_add_f32_e32 v31, v32, v31
	v_add_f32_e32 v32, v34, v144
	v_sub_f32_e32 v35, v33, v32
	v_pk_add_f32 v[146:147], v[32:33], v[34:35] neg_lo:[0,1] neg_hi:[0,1]
	v_mov_b32_e32 v145, v32
	v_pk_add_f32 v[32:33], v[146:147], v[144:145] neg_lo:[0,1] neg_hi:[0,1]
	v_add_f32_e32 v31, v31, v33
	v_add_f32_e32 v31, v32, v31
	;; [unrolled: 1-line block ×4, first 2 shown]
	v_sub_f32_e32 v33, v32, v160
	v_mul_f32_e32 v31, v150, v31
	v_sub_f32_e32 v33, v151, v33
	v_add_f32_e32 v31, v33, v31
	v_add_f32_e32 v35, v32, v31
	v_mul_f32_e32 v144, v35, v35
	v_mov_b32_e32 v34, 0x3ecc95a3
	v_fmac_f32_e32 v34, 0x3e9b6dac, v144
	v_mov_b32_e32 v33, 0x3f2aaada
	v_fmac_f32_e32 v33, v144, v34
	v_cvt_f32_i32_e32 v34, v148
	v_sub_f32_e32 v32, v35, v32
	v_sub_f32_e32 v31, v31, v32
	v_ldexp_f32 v145, v35, 1
	v_mul_f32_e32 v35, v35, v144
	v_mov_b32_e32 v32, 0x3f317218
	s_mov_b32 s13, 0x3f317218
	v_pk_mul_f32 v[32:33], v[34:35], v[32:33]
	v_fma_f32 v144, v34, s13, -v32
	v_fmac_f32_e32 v144, 0xb102e308, v34
	v_pk_add_f32 v[34:35], v[32:33], v[144:145]
	v_sub_f32_e32 v145, v35, v145
	v_ldexp_f32 v31, v31, 1
	v_sub_f32_e32 v145, v33, v145
	v_add_f32_e32 v147, v31, v145
	v_mov_b32_e32 v146, v32
	v_pk_add_f32 v[32:33], v[34:35], v[32:33] neg_lo:[0,1] neg_hi:[0,1]
	v_pk_add_f32 v[148:149], v[34:35], v[146:147]
	v_mov_b32_e32 v33, v149
	v_mov_b32_e32 v145, v34
	v_pk_add_f32 v[150:151], v[144:145], v[32:33] neg_lo:[0,1] neg_hi:[0,1]
	v_pk_add_f32 v[32:33], v[144:145], v[32:33]
	v_mov_b32_e32 v144, v33
	v_pk_add_f32 v[160:161], v[144:145], v[34:35] neg_lo:[0,1] neg_hi:[0,1]
	v_mov_b32_e32 v31, v160
	v_pk_add_f32 v[162:163], v[148:149], v[30:31] neg_lo:[0,1] neg_hi:[0,1]
	v_mov_b32_e32 v32, v149
	v_mov_b32_e32 v148, v35
	;; [unrolled: 1-line block ×4, first 2 shown]
	v_pk_add_f32 v[32:33], v[32:33], v[148:149] neg_lo:[0,1] neg_hi:[0,1]
	v_mov_b32_e32 v146, v147
	v_mov_b32_e32 v147, v34
	v_pk_add_f32 v[32:33], v[146:147], v[32:33] neg_lo:[0,1] neg_hi:[0,1]
	v_mov_b32_e32 v162, v150
	v_pk_add_f32 v[34:35], v[162:163], v[32:33]
	v_mov_b32_e32 v146, v35
	v_pk_add_f32 v[146:147], v[34:35], v[146:147]
	v_pk_add_f32 v[144:145], v[144:145], v[146:147]
	v_mov_b32_e32 v35, v144
	v_pk_add_f32 v[148:149], v[34:35], v[150:151] neg_lo:[0,1] neg_hi:[0,1]
	v_mov_b32_e32 v33, v146
	v_sub_f32_e32 v31, v34, v148
	v_pk_add_f32 v[32:33], v[32:33], v[148:149] neg_lo:[0,1] neg_hi:[0,1]
	v_sub_f32_e32 v31, v150, v31
	s_mov_b32 s64, 0x7f800000
	v_add_f32_e32 v31, v32, v31
	s_mov_b32 s13, 0x33800000
	v_add_f32_e32 v31, v31, v33
	v_cmp_eq_f32_e32 vcc, s64, v164
	v_cmp_lt_f32_e64 s[64:65], |v164|, s13
	v_add_f32_e32 v31, v144, v31
	s_or_b64 vcc, vcc, s[64:65]
	v_cndmask_b32_e32 v31, v31, v164, vcc
	v_add_f32_e32 v32, v30, v31
.LBB492_102:
	s_or_b64 exec, exec, s[56:57]
	v_bfe_u32 v30, v32, 16, 1
	s_movk_i32 s13, 0x7fff
	v_add3_u32 v30, v32, v30, s13
	v_lshrrev_b32_e32 v30, 16, v30
	v_mov_b32_e32 v31, 0x7fc0
	v_cmp_o_f32_e32 vcc, v32, v32
	v_cndmask_b32_e32 v30, v31, v30, vcc
	v_and_b32_e32 v31, 0xffff, v30
.LBB492_103:
	s_or_b64 exec, exec, s[60:61]
	s_nop 0
	v_mov_b32_dpp v32, v31 row_shr:2 row_mask:0xf bank_mask:0xf
	v_cmp_lt_u32_e32 vcc, 1, v26
	s_and_saveexec_b64 s[60:61], vcc
	s_cbranch_execz .LBB492_107
; %bb.104:
	v_lshlrev_b32_e32 v32, 16, v32
	v_lshlrev_b32_e32 v30, 16, v31
	v_max_f32_e32 v33, v30, v30
	v_max_f32_e32 v34, v32, v32
	v_min_f32_e32 v31, v34, v33
	v_cmp_u_f32_e32 vcc, v32, v32
	v_max_f32_e32 v33, v34, v33
	v_cndmask_b32_e32 v31, v31, v32, vcc
	v_cmp_u_f32_e64 s[56:57], v30, v30
	v_cndmask_b32_e32 v33, v33, v32, vcc
	v_cndmask_b32_e64 v31, v31, v30, s[56:57]
	v_cndmask_b32_e64 v30, v33, v30, s[56:57]
	s_movk_i32 s13, 0x1f8
	v_cmp_neq_f32_e32 vcc, v31, v30
	v_cmp_class_f32_e64 s[56:57], v31, s13
	s_or_b64 vcc, vcc, s[56:57]
	s_and_saveexec_b64 s[56:57], vcc
	s_cbranch_execz .LBB492_106
; %bb.105:
	v_sub_f32_e32 v31, v31, v30
	s_mov_b32 s13, 0x3fb8aa3b
	v_mul_f32_e32 v32, 0x3fb8aa3b, v31
	v_fma_f32 v33, v31, s13, -v32
	v_rndne_f32_e32 v34, v32
	v_fmac_f32_e32 v33, 0x32a5705f, v31
	v_sub_f32_e32 v32, v32, v34
	v_add_f32_e32 v32, v32, v33
	v_exp_f32_e32 v32, v32
	v_cvt_i32_f32_e32 v33, v34
	s_mov_b32 s13, 0xc2ce8ed0
	v_cmp_ngt_f32_e32 vcc, s13, v31
	s_mov_b32 s13, 0x42b17218
	v_ldexp_f32 v32, v32, v33
	v_cndmask_b32_e32 v32, 0, v32, vcc
	v_mov_b32_e32 v33, 0x7f800000
	v_cmp_nlt_f32_e32 vcc, s13, v31
	v_cndmask_b32_e32 v164, v33, v32, vcc
	v_add_f32_e32 v31, 1.0, v164
	v_add_f32_e32 v32, -1.0, v31
	v_sub_f32_e32 v33, v32, v31
	v_add_f32_e32 v33, 1.0, v33
	v_sub_f32_e32 v32, v164, v32
	v_add_f32_e32 v34, v32, v33
	v_frexp_mant_f32_e32 v35, v31
	s_mov_b32 s13, 0x3f2aaaab
	v_cvt_f64_f32_e32 v[32:33], v31
	v_frexp_exp_i32_f64_e32 v32, v[32:33]
	v_cmp_gt_f32_e32 vcc, s13, v35
	v_subbrev_co_u32_e32 v148, vcc, 0, v32, vcc
	v_sub_u32_e32 v32, 0, v148
	v_ldexp_f32 v31, v31, v32
	v_ldexp_f32 v32, v34, v32
	v_add_f32_e32 v34, -1.0, v31
	v_add_f32_e32 v33, 1.0, v34
	v_sub_f32_e32 v33, v31, v33
	v_add_f32_e32 v35, v32, v33
	v_add_f32_e32 v33, 1.0, v31
	v_add_f32_e32 v144, -1.0, v33
	v_sub_f32_e32 v31, v31, v144
	v_add_f32_e32 v31, v32, v31
	v_add_f32_e32 v149, v33, v31
	v_rcp_f32_e32 v150, v149
	v_sub_f32_e32 v32, v33, v149
	v_add_f32_e32 v33, v34, v35
	v_add_f32_e32 v31, v31, v32
	v_mul_f32_e32 v160, v33, v150
	v_sub_f32_e32 v32, v34, v33
	v_mul_f32_e32 v34, v149, v160
	v_fma_f32 v144, v160, v149, -v34
	v_fmac_f32_e32 v144, v160, v31
	v_add_f32_e32 v151, v35, v32
	v_add_f32_e32 v32, v34, v144
	v_sub_f32_e32 v35, v33, v32
	v_pk_add_f32 v[146:147], v[32:33], v[34:35] neg_lo:[0,1] neg_hi:[0,1]
	v_mov_b32_e32 v145, v32
	v_pk_add_f32 v[32:33], v[146:147], v[144:145] neg_lo:[0,1] neg_hi:[0,1]
	v_add_f32_e32 v33, v151, v33
	v_add_f32_e32 v32, v32, v33
	;; [unrolled: 1-line block ×3, first 2 shown]
	v_mul_f32_e32 v151, v150, v33
	v_mul_f32_e32 v34, v149, v151
	v_fma_f32 v144, v151, v149, -v34
	v_fmac_f32_e32 v144, v151, v31
	v_sub_f32_e32 v31, v35, v33
	v_add_f32_e32 v31, v32, v31
	v_add_f32_e32 v32, v34, v144
	v_sub_f32_e32 v35, v33, v32
	v_pk_add_f32 v[146:147], v[32:33], v[34:35] neg_lo:[0,1] neg_hi:[0,1]
	v_mov_b32_e32 v145, v32
	v_pk_add_f32 v[32:33], v[146:147], v[144:145] neg_lo:[0,1] neg_hi:[0,1]
	v_add_f32_e32 v31, v31, v33
	v_add_f32_e32 v31, v32, v31
	;; [unrolled: 1-line block ×4, first 2 shown]
	v_sub_f32_e32 v33, v32, v160
	v_mul_f32_e32 v31, v150, v31
	v_sub_f32_e32 v33, v151, v33
	v_add_f32_e32 v31, v33, v31
	v_add_f32_e32 v35, v32, v31
	v_mul_f32_e32 v144, v35, v35
	v_mov_b32_e32 v34, 0x3ecc95a3
	v_fmac_f32_e32 v34, 0x3e9b6dac, v144
	v_mov_b32_e32 v33, 0x3f2aaada
	v_fmac_f32_e32 v33, v144, v34
	v_cvt_f32_i32_e32 v34, v148
	v_sub_f32_e32 v32, v35, v32
	v_sub_f32_e32 v31, v31, v32
	v_ldexp_f32 v145, v35, 1
	v_mul_f32_e32 v35, v35, v144
	v_mov_b32_e32 v32, 0x3f317218
	s_mov_b32 s13, 0x3f317218
	v_pk_mul_f32 v[32:33], v[34:35], v[32:33]
	v_fma_f32 v144, v34, s13, -v32
	v_fmac_f32_e32 v144, 0xb102e308, v34
	v_pk_add_f32 v[34:35], v[32:33], v[144:145]
	v_sub_f32_e32 v145, v35, v145
	v_ldexp_f32 v31, v31, 1
	v_sub_f32_e32 v145, v33, v145
	v_add_f32_e32 v147, v31, v145
	v_mov_b32_e32 v146, v32
	v_pk_add_f32 v[32:33], v[34:35], v[32:33] neg_lo:[0,1] neg_hi:[0,1]
	v_pk_add_f32 v[148:149], v[34:35], v[146:147]
	v_mov_b32_e32 v33, v149
	v_mov_b32_e32 v145, v34
	v_pk_add_f32 v[150:151], v[144:145], v[32:33] neg_lo:[0,1] neg_hi:[0,1]
	v_pk_add_f32 v[32:33], v[144:145], v[32:33]
	v_mov_b32_e32 v144, v33
	v_pk_add_f32 v[160:161], v[144:145], v[34:35] neg_lo:[0,1] neg_hi:[0,1]
	v_mov_b32_e32 v31, v160
	v_pk_add_f32 v[162:163], v[148:149], v[30:31] neg_lo:[0,1] neg_hi:[0,1]
	v_mov_b32_e32 v32, v149
	v_mov_b32_e32 v148, v35
	;; [unrolled: 1-line block ×4, first 2 shown]
	v_pk_add_f32 v[32:33], v[32:33], v[148:149] neg_lo:[0,1] neg_hi:[0,1]
	v_mov_b32_e32 v146, v147
	v_mov_b32_e32 v147, v34
	v_pk_add_f32 v[32:33], v[146:147], v[32:33] neg_lo:[0,1] neg_hi:[0,1]
	v_mov_b32_e32 v162, v150
	v_pk_add_f32 v[34:35], v[162:163], v[32:33]
	v_mov_b32_e32 v146, v35
	v_pk_add_f32 v[146:147], v[34:35], v[146:147]
	v_pk_add_f32 v[144:145], v[144:145], v[146:147]
	v_mov_b32_e32 v35, v144
	v_pk_add_f32 v[148:149], v[34:35], v[150:151] neg_lo:[0,1] neg_hi:[0,1]
	v_mov_b32_e32 v33, v146
	v_sub_f32_e32 v31, v34, v148
	v_pk_add_f32 v[32:33], v[32:33], v[148:149] neg_lo:[0,1] neg_hi:[0,1]
	v_sub_f32_e32 v31, v150, v31
	s_mov_b32 s64, 0x7f800000
	v_add_f32_e32 v31, v32, v31
	s_mov_b32 s13, 0x33800000
	v_add_f32_e32 v31, v31, v33
	v_cmp_eq_f32_e32 vcc, s64, v164
	v_cmp_lt_f32_e64 s[64:65], |v164|, s13
	v_add_f32_e32 v31, v144, v31
	s_or_b64 vcc, vcc, s[64:65]
	v_cndmask_b32_e32 v31, v31, v164, vcc
	v_add_f32_e32 v32, v30, v31
.LBB492_106:
	s_or_b64 exec, exec, s[56:57]
	v_bfe_u32 v30, v32, 16, 1
	s_movk_i32 s13, 0x7fff
	v_add3_u32 v30, v32, v30, s13
	v_lshrrev_b32_e32 v30, 16, v30
	v_mov_b32_e32 v31, 0x7fc0
	v_cmp_o_f32_e32 vcc, v32, v32
	v_cndmask_b32_e32 v30, v31, v30, vcc
	v_and_b32_e32 v31, 0xffff, v30
.LBB492_107:
	s_or_b64 exec, exec, s[60:61]
	s_nop 0
	v_mov_b32_dpp v32, v31 row_shr:4 row_mask:0xf bank_mask:0xf
	v_cmp_lt_u32_e32 vcc, 3, v26
	s_and_saveexec_b64 s[60:61], vcc
	s_cbranch_execz .LBB492_111
; %bb.108:
	v_lshlrev_b32_e32 v32, 16, v32
	v_lshlrev_b32_e32 v30, 16, v31
	v_max_f32_e32 v33, v30, v30
	v_max_f32_e32 v34, v32, v32
	v_min_f32_e32 v31, v34, v33
	v_cmp_u_f32_e32 vcc, v32, v32
	v_max_f32_e32 v33, v34, v33
	v_cndmask_b32_e32 v31, v31, v32, vcc
	v_cmp_u_f32_e64 s[56:57], v30, v30
	v_cndmask_b32_e32 v33, v33, v32, vcc
	v_cndmask_b32_e64 v31, v31, v30, s[56:57]
	v_cndmask_b32_e64 v30, v33, v30, s[56:57]
	s_movk_i32 s13, 0x1f8
	v_cmp_neq_f32_e32 vcc, v31, v30
	v_cmp_class_f32_e64 s[56:57], v31, s13
	s_or_b64 vcc, vcc, s[56:57]
	s_and_saveexec_b64 s[56:57], vcc
	s_cbranch_execz .LBB492_110
; %bb.109:
	v_sub_f32_e32 v31, v31, v30
	s_mov_b32 s13, 0x3fb8aa3b
	v_mul_f32_e32 v32, 0x3fb8aa3b, v31
	v_fma_f32 v33, v31, s13, -v32
	v_rndne_f32_e32 v34, v32
	v_fmac_f32_e32 v33, 0x32a5705f, v31
	v_sub_f32_e32 v32, v32, v34
	v_add_f32_e32 v32, v32, v33
	v_exp_f32_e32 v32, v32
	v_cvt_i32_f32_e32 v33, v34
	s_mov_b32 s13, 0xc2ce8ed0
	v_cmp_ngt_f32_e32 vcc, s13, v31
	s_mov_b32 s13, 0x42b17218
	v_ldexp_f32 v32, v32, v33
	v_cndmask_b32_e32 v32, 0, v32, vcc
	v_mov_b32_e32 v33, 0x7f800000
	v_cmp_nlt_f32_e32 vcc, s13, v31
	v_cndmask_b32_e32 v164, v33, v32, vcc
	v_add_f32_e32 v31, 1.0, v164
	v_add_f32_e32 v32, -1.0, v31
	v_sub_f32_e32 v33, v32, v31
	v_add_f32_e32 v33, 1.0, v33
	v_sub_f32_e32 v32, v164, v32
	v_add_f32_e32 v34, v32, v33
	v_frexp_mant_f32_e32 v35, v31
	s_mov_b32 s13, 0x3f2aaaab
	v_cvt_f64_f32_e32 v[32:33], v31
	v_frexp_exp_i32_f64_e32 v32, v[32:33]
	v_cmp_gt_f32_e32 vcc, s13, v35
	v_subbrev_co_u32_e32 v148, vcc, 0, v32, vcc
	v_sub_u32_e32 v32, 0, v148
	v_ldexp_f32 v31, v31, v32
	v_ldexp_f32 v32, v34, v32
	v_add_f32_e32 v34, -1.0, v31
	v_add_f32_e32 v33, 1.0, v34
	v_sub_f32_e32 v33, v31, v33
	v_add_f32_e32 v35, v32, v33
	v_add_f32_e32 v33, 1.0, v31
	v_add_f32_e32 v144, -1.0, v33
	v_sub_f32_e32 v31, v31, v144
	v_add_f32_e32 v31, v32, v31
	v_add_f32_e32 v149, v33, v31
	v_rcp_f32_e32 v150, v149
	v_sub_f32_e32 v32, v33, v149
	v_add_f32_e32 v33, v34, v35
	v_add_f32_e32 v31, v31, v32
	v_mul_f32_e32 v160, v33, v150
	v_sub_f32_e32 v32, v34, v33
	v_mul_f32_e32 v34, v149, v160
	v_fma_f32 v144, v160, v149, -v34
	v_fmac_f32_e32 v144, v160, v31
	v_add_f32_e32 v151, v35, v32
	v_add_f32_e32 v32, v34, v144
	v_sub_f32_e32 v35, v33, v32
	v_pk_add_f32 v[146:147], v[32:33], v[34:35] neg_lo:[0,1] neg_hi:[0,1]
	v_mov_b32_e32 v145, v32
	v_pk_add_f32 v[32:33], v[146:147], v[144:145] neg_lo:[0,1] neg_hi:[0,1]
	v_add_f32_e32 v33, v151, v33
	v_add_f32_e32 v32, v32, v33
	;; [unrolled: 1-line block ×3, first 2 shown]
	v_mul_f32_e32 v151, v150, v33
	v_mul_f32_e32 v34, v149, v151
	v_fma_f32 v144, v151, v149, -v34
	v_fmac_f32_e32 v144, v151, v31
	v_sub_f32_e32 v31, v35, v33
	v_add_f32_e32 v31, v32, v31
	v_add_f32_e32 v32, v34, v144
	v_sub_f32_e32 v35, v33, v32
	v_pk_add_f32 v[146:147], v[32:33], v[34:35] neg_lo:[0,1] neg_hi:[0,1]
	v_mov_b32_e32 v145, v32
	v_pk_add_f32 v[32:33], v[146:147], v[144:145] neg_lo:[0,1] neg_hi:[0,1]
	v_add_f32_e32 v31, v31, v33
	v_add_f32_e32 v31, v32, v31
	;; [unrolled: 1-line block ×4, first 2 shown]
	v_sub_f32_e32 v33, v32, v160
	v_mul_f32_e32 v31, v150, v31
	v_sub_f32_e32 v33, v151, v33
	v_add_f32_e32 v31, v33, v31
	v_add_f32_e32 v35, v32, v31
	v_mul_f32_e32 v144, v35, v35
	v_mov_b32_e32 v34, 0x3ecc95a3
	v_fmac_f32_e32 v34, 0x3e9b6dac, v144
	v_mov_b32_e32 v33, 0x3f2aaada
	v_fmac_f32_e32 v33, v144, v34
	v_cvt_f32_i32_e32 v34, v148
	v_sub_f32_e32 v32, v35, v32
	v_sub_f32_e32 v31, v31, v32
	v_ldexp_f32 v145, v35, 1
	v_mul_f32_e32 v35, v35, v144
	v_mov_b32_e32 v32, 0x3f317218
	s_mov_b32 s13, 0x3f317218
	v_pk_mul_f32 v[32:33], v[34:35], v[32:33]
	v_fma_f32 v144, v34, s13, -v32
	v_fmac_f32_e32 v144, 0xb102e308, v34
	v_pk_add_f32 v[34:35], v[32:33], v[144:145]
	v_sub_f32_e32 v145, v35, v145
	v_ldexp_f32 v31, v31, 1
	v_sub_f32_e32 v145, v33, v145
	v_add_f32_e32 v147, v31, v145
	v_mov_b32_e32 v146, v32
	v_pk_add_f32 v[32:33], v[34:35], v[32:33] neg_lo:[0,1] neg_hi:[0,1]
	v_pk_add_f32 v[148:149], v[34:35], v[146:147]
	v_mov_b32_e32 v33, v149
	v_mov_b32_e32 v145, v34
	v_pk_add_f32 v[150:151], v[144:145], v[32:33] neg_lo:[0,1] neg_hi:[0,1]
	v_pk_add_f32 v[32:33], v[144:145], v[32:33]
	v_mov_b32_e32 v144, v33
	v_pk_add_f32 v[160:161], v[144:145], v[34:35] neg_lo:[0,1] neg_hi:[0,1]
	v_mov_b32_e32 v31, v160
	v_pk_add_f32 v[162:163], v[148:149], v[30:31] neg_lo:[0,1] neg_hi:[0,1]
	v_mov_b32_e32 v32, v149
	v_mov_b32_e32 v148, v35
	;; [unrolled: 1-line block ×4, first 2 shown]
	v_pk_add_f32 v[32:33], v[32:33], v[148:149] neg_lo:[0,1] neg_hi:[0,1]
	v_mov_b32_e32 v146, v147
	v_mov_b32_e32 v147, v34
	v_pk_add_f32 v[32:33], v[146:147], v[32:33] neg_lo:[0,1] neg_hi:[0,1]
	v_mov_b32_e32 v162, v150
	v_pk_add_f32 v[34:35], v[162:163], v[32:33]
	v_mov_b32_e32 v146, v35
	v_pk_add_f32 v[146:147], v[34:35], v[146:147]
	v_pk_add_f32 v[144:145], v[144:145], v[146:147]
	v_mov_b32_e32 v35, v144
	v_pk_add_f32 v[148:149], v[34:35], v[150:151] neg_lo:[0,1] neg_hi:[0,1]
	v_mov_b32_e32 v33, v146
	v_sub_f32_e32 v31, v34, v148
	v_pk_add_f32 v[32:33], v[32:33], v[148:149] neg_lo:[0,1] neg_hi:[0,1]
	v_sub_f32_e32 v31, v150, v31
	s_mov_b32 s64, 0x7f800000
	v_add_f32_e32 v31, v32, v31
	s_mov_b32 s13, 0x33800000
	v_add_f32_e32 v31, v31, v33
	v_cmp_eq_f32_e32 vcc, s64, v164
	v_cmp_lt_f32_e64 s[64:65], |v164|, s13
	v_add_f32_e32 v31, v144, v31
	s_or_b64 vcc, vcc, s[64:65]
	v_cndmask_b32_e32 v31, v31, v164, vcc
	v_add_f32_e32 v32, v30, v31
.LBB492_110:
	s_or_b64 exec, exec, s[56:57]
	v_bfe_u32 v30, v32, 16, 1
	s_movk_i32 s13, 0x7fff
	v_add3_u32 v30, v32, v30, s13
	v_lshrrev_b32_e32 v30, 16, v30
	v_mov_b32_e32 v31, 0x7fc0
	v_cmp_o_f32_e32 vcc, v32, v32
	v_cndmask_b32_e32 v30, v31, v30, vcc
	v_and_b32_e32 v31, 0xffff, v30
.LBB492_111:
	s_or_b64 exec, exec, s[60:61]
	s_nop 0
	v_mov_b32_dpp v32, v31 row_shr:8 row_mask:0xf bank_mask:0xf
	v_cmp_lt_u32_e32 vcc, 7, v26
	s_and_saveexec_b64 s[60:61], vcc
	s_cbranch_execz .LBB492_115
; %bb.112:
	v_lshlrev_b32_e32 v30, 16, v32
	v_lshlrev_b32_e32 v26, 16, v31
	v_max_f32_e32 v32, v26, v26
	v_max_f32_e32 v33, v30, v30
	v_min_f32_e32 v31, v33, v32
	v_cmp_u_f32_e32 vcc, v30, v30
	v_max_f32_e32 v32, v33, v32
	v_cndmask_b32_e32 v31, v31, v30, vcc
	v_cmp_u_f32_e64 s[56:57], v26, v26
	v_cndmask_b32_e32 v32, v32, v30, vcc
	v_cndmask_b32_e64 v31, v31, v26, s[56:57]
	v_cndmask_b32_e64 v26, v32, v26, s[56:57]
	s_movk_i32 s13, 0x1f8
	v_cmp_neq_f32_e32 vcc, v31, v26
	v_cmp_class_f32_e64 s[56:57], v31, s13
	s_or_b64 vcc, vcc, s[56:57]
	s_and_saveexec_b64 s[56:57], vcc
	s_cbranch_execz .LBB492_114
; %bb.113:
	v_sub_f32_e32 v30, v31, v26
	s_mov_b32 s13, 0x3fb8aa3b
	v_mul_f32_e32 v31, 0x3fb8aa3b, v30
	v_fma_f32 v32, v30, s13, -v31
	v_rndne_f32_e32 v33, v31
	v_fmac_f32_e32 v32, 0x32a5705f, v30
	v_sub_f32_e32 v31, v31, v33
	v_add_f32_e32 v31, v31, v32
	v_exp_f32_e32 v31, v31
	v_cvt_i32_f32_e32 v32, v33
	s_mov_b32 s13, 0xc2ce8ed0
	v_cmp_ngt_f32_e32 vcc, s13, v30
	s_mov_b32 s13, 0x42b17218
	v_ldexp_f32 v31, v31, v32
	v_cndmask_b32_e32 v31, 0, v31, vcc
	v_mov_b32_e32 v32, 0x7f800000
	v_cmp_nlt_f32_e32 vcc, s13, v30
	v_cndmask_b32_e32 v162, v32, v31, vcc
	v_add_f32_e32 v32, 1.0, v162
	v_add_f32_e32 v30, -1.0, v32
	v_sub_f32_e32 v31, v30, v32
	v_add_f32_e32 v31, 1.0, v31
	v_sub_f32_e32 v30, v162, v30
	v_add_f32_e32 v33, v30, v31
	v_frexp_mant_f32_e32 v34, v32
	s_mov_b32 s13, 0x3f2aaaab
	v_cvt_f64_f32_e32 v[30:31], v32
	v_frexp_exp_i32_f64_e32 v30, v[30:31]
	v_cmp_gt_f32_e32 vcc, s13, v34
	v_subbrev_co_u32_e32 v146, vcc, 0, v30, vcc
	v_sub_u32_e32 v30, 0, v146
	v_ldexp_f32 v31, v32, v30
	v_add_f32_e32 v32, -1.0, v31
	v_add_f32_e32 v34, 1.0, v31
	v_ldexp_f32 v30, v33, v30
	v_add_f32_e32 v33, 1.0, v32
	v_add_f32_e32 v35, -1.0, v34
	v_sub_f32_e32 v33, v31, v33
	v_sub_f32_e32 v31, v31, v35
	v_add_f32_e32 v33, v30, v33
	v_add_f32_e32 v30, v30, v31
	;; [unrolled: 1-line block ×3, first 2 shown]
	v_rcp_f32_e32 v149, v147
	v_sub_f32_e32 v31, v34, v147
	v_add_f32_e32 v148, v30, v31
	v_add_f32_e32 v31, v32, v33
	v_mul_f32_e32 v151, v31, v149
	v_sub_f32_e32 v30, v32, v31
	v_mul_f32_e32 v32, v147, v151
	v_fma_f32 v34, v151, v147, -v32
	v_fmac_f32_e32 v34, v151, v148
	v_add_f32_e32 v150, v33, v30
	v_add_f32_e32 v30, v32, v34
	v_sub_f32_e32 v33, v31, v30
	v_pk_add_f32 v[144:145], v[30:31], v[32:33] neg_lo:[0,1] neg_hi:[0,1]
	v_mov_b32_e32 v35, v30
	v_pk_add_f32 v[30:31], v[144:145], v[34:35] neg_lo:[0,1] neg_hi:[0,1]
	v_add_f32_e32 v31, v150, v31
	v_add_f32_e32 v30, v30, v31
	;; [unrolled: 1-line block ×3, first 2 shown]
	v_mul_f32_e32 v150, v149, v31
	v_mul_f32_e32 v32, v147, v150
	v_fma_f32 v34, v150, v147, -v32
	v_fmac_f32_e32 v34, v150, v148
	v_sub_f32_e32 v33, v33, v31
	v_add_f32_e32 v147, v30, v33
	v_add_f32_e32 v30, v32, v34
	v_sub_f32_e32 v33, v31, v30
	v_pk_add_f32 v[144:145], v[30:31], v[32:33] neg_lo:[0,1] neg_hi:[0,1]
	v_mov_b32_e32 v35, v30
	v_pk_add_f32 v[30:31], v[144:145], v[34:35] neg_lo:[0,1] neg_hi:[0,1]
	v_add_f32_e32 v31, v147, v31
	v_add_f32_e32 v30, v30, v31
	;; [unrolled: 1-line block ×4, first 2 shown]
	v_sub_f32_e32 v31, v33, v151
	v_mul_f32_e32 v30, v149, v30
	v_sub_f32_e32 v31, v150, v31
	v_add_f32_e32 v30, v31, v30
	v_add_f32_e32 v34, v33, v30
	v_mul_f32_e32 v144, v34, v34
	v_mov_b32_e32 v32, 0x3ecc95a3
	v_fmac_f32_e32 v32, 0x3e9b6dac, v144
	v_mov_b32_e32 v31, 0x3f2aaada
	v_fmac_f32_e32 v31, v144, v32
	v_cvt_f32_i32_e32 v32, v146
	v_sub_f32_e32 v33, v34, v33
	v_sub_f32_e32 v30, v30, v33
	v_ldexp_f32 v145, v30, 1
	v_mul_f32_e32 v33, v34, v144
	v_mov_b32_e32 v30, 0x3f317218
	s_mov_b32 s13, 0x3f317218
	v_pk_mul_f32 v[30:31], v[32:33], v[30:31]
	v_ldexp_f32 v35, v34, 1
	v_fma_f32 v34, v32, s13, -v30
	v_fmac_f32_e32 v34, 0xb102e308, v32
	v_pk_add_f32 v[32:33], v[30:31], v[34:35]
	v_sub_f32_e32 v35, v33, v35
	v_sub_f32_e32 v35, v31, v35
	v_add_f32_e32 v145, v145, v35
	v_mov_b32_e32 v144, v30
	v_pk_add_f32 v[30:31], v[32:33], v[30:31] neg_lo:[0,1] neg_hi:[0,1]
	v_pk_add_f32 v[146:147], v[32:33], v[144:145]
	v_mov_b32_e32 v31, v147
	v_mov_b32_e32 v35, v32
	v_pk_add_f32 v[148:149], v[34:35], v[30:31] neg_lo:[0,1] neg_hi:[0,1]
	v_pk_add_f32 v[30:31], v[34:35], v[30:31]
	v_mov_b32_e32 v34, v31
	v_pk_add_f32 v[150:151], v[34:35], v[32:33] neg_lo:[0,1] neg_hi:[0,1]
	v_mov_b32_e32 v35, v150
	v_pk_add_f32 v[160:161], v[146:147], v[34:35] neg_lo:[0,1] neg_hi:[0,1]
	v_mov_b32_e32 v30, v147
	v_mov_b32_e32 v146, v33
	;; [unrolled: 1-line block ×4, first 2 shown]
	v_pk_add_f32 v[30:31], v[30:31], v[146:147] neg_lo:[0,1] neg_hi:[0,1]
	v_mov_b32_e32 v144, v145
	v_mov_b32_e32 v145, v32
	v_pk_add_f32 v[30:31], v[144:145], v[30:31] neg_lo:[0,1] neg_hi:[0,1]
	v_mov_b32_e32 v160, v148
	v_pk_add_f32 v[32:33], v[160:161], v[30:31]
	v_mov_b32_e32 v144, v33
	v_pk_add_f32 v[144:145], v[32:33], v[144:145]
	v_pk_add_f32 v[34:35], v[34:35], v[144:145]
	v_mov_b32_e32 v33, v34
	v_pk_add_f32 v[146:147], v[32:33], v[148:149] neg_lo:[0,1] neg_hi:[0,1]
	v_mov_b32_e32 v31, v144
	v_sub_f32_e32 v32, v32, v146
	v_pk_add_f32 v[30:31], v[30:31], v[146:147] neg_lo:[0,1] neg_hi:[0,1]
	v_sub_f32_e32 v32, v148, v32
	s_mov_b32 s64, 0x7f800000
	v_add_f32_e32 v30, v30, v32
	s_mov_b32 s13, 0x33800000
	v_add_f32_e32 v30, v30, v31
	v_cmp_eq_f32_e32 vcc, s64, v162
	v_cmp_lt_f32_e64 s[64:65], |v162|, s13
	v_add_f32_e32 v30, v34, v30
	s_or_b64 vcc, vcc, s[64:65]
	v_cndmask_b32_e32 v30, v30, v162, vcc
	v_add_f32_e32 v30, v26, v30
.LBB492_114:
	s_or_b64 exec, exec, s[56:57]
	v_bfe_u32 v26, v30, 16, 1
	s_movk_i32 s13, 0x7fff
	v_add3_u32 v26, v30, v26, s13
	v_lshrrev_b32_e32 v26, 16, v26
	v_mov_b32_e32 v31, 0x7fc0
	v_cmp_o_f32_e32 vcc, v30, v30
	v_cndmask_b32_e32 v30, v31, v26, vcc
	v_and_b32_e32 v31, 0xffff, v30
.LBB492_115:
	s_or_b64 exec, exec, s[60:61]
	v_and_b32_e32 v32, 16, v27
	v_mov_b32_dpp v26, v31 row_bcast:15 row_mask:0xf bank_mask:0xf
	v_cmp_ne_u32_e32 vcc, 0, v32
	s_and_saveexec_b64 s[60:61], vcc
	s_cbranch_execz .LBB492_119
; %bb.116:
	v_lshlrev_b32_e32 v30, 16, v26
	v_lshlrev_b32_e32 v26, 16, v31
	v_max_f32_e32 v32, v26, v26
	v_max_f32_e32 v33, v30, v30
	v_min_f32_e32 v31, v33, v32
	v_cmp_u_f32_e32 vcc, v30, v30
	v_max_f32_e32 v32, v33, v32
	v_cndmask_b32_e32 v31, v31, v30, vcc
	v_cmp_u_f32_e64 s[56:57], v26, v26
	v_cndmask_b32_e32 v32, v32, v30, vcc
	v_cndmask_b32_e64 v31, v31, v26, s[56:57]
	v_cndmask_b32_e64 v26, v32, v26, s[56:57]
	s_movk_i32 s13, 0x1f8
	v_cmp_neq_f32_e32 vcc, v31, v26
	v_cmp_class_f32_e64 s[56:57], v31, s13
	s_or_b64 vcc, vcc, s[56:57]
	s_and_saveexec_b64 s[56:57], vcc
	s_cbranch_execz .LBB492_118
; %bb.117:
	v_sub_f32_e32 v30, v31, v26
	s_mov_b32 s13, 0x3fb8aa3b
	v_mul_f32_e32 v31, 0x3fb8aa3b, v30
	v_fma_f32 v32, v30, s13, -v31
	v_rndne_f32_e32 v33, v31
	v_fmac_f32_e32 v32, 0x32a5705f, v30
	v_sub_f32_e32 v31, v31, v33
	v_add_f32_e32 v31, v31, v32
	v_exp_f32_e32 v31, v31
	v_cvt_i32_f32_e32 v32, v33
	s_mov_b32 s13, 0xc2ce8ed0
	v_cmp_ngt_f32_e32 vcc, s13, v30
	s_mov_b32 s13, 0x42b17218
	v_ldexp_f32 v31, v31, v32
	v_cndmask_b32_e32 v31, 0, v31, vcc
	v_mov_b32_e32 v32, 0x7f800000
	v_cmp_nlt_f32_e32 vcc, s13, v30
	v_cndmask_b32_e32 v162, v32, v31, vcc
	v_add_f32_e32 v32, 1.0, v162
	v_add_f32_e32 v30, -1.0, v32
	v_sub_f32_e32 v31, v30, v32
	v_add_f32_e32 v31, 1.0, v31
	v_sub_f32_e32 v30, v162, v30
	v_add_f32_e32 v33, v30, v31
	v_frexp_mant_f32_e32 v34, v32
	s_mov_b32 s13, 0x3f2aaaab
	v_cvt_f64_f32_e32 v[30:31], v32
	v_frexp_exp_i32_f64_e32 v30, v[30:31]
	v_cmp_gt_f32_e32 vcc, s13, v34
	v_subbrev_co_u32_e32 v146, vcc, 0, v30, vcc
	v_sub_u32_e32 v30, 0, v146
	v_ldexp_f32 v31, v32, v30
	v_add_f32_e32 v32, -1.0, v31
	v_add_f32_e32 v34, 1.0, v31
	v_ldexp_f32 v30, v33, v30
	v_add_f32_e32 v33, 1.0, v32
	v_add_f32_e32 v35, -1.0, v34
	v_sub_f32_e32 v33, v31, v33
	v_sub_f32_e32 v31, v31, v35
	v_add_f32_e32 v33, v30, v33
	v_add_f32_e32 v30, v30, v31
	;; [unrolled: 1-line block ×3, first 2 shown]
	v_rcp_f32_e32 v149, v147
	v_sub_f32_e32 v31, v34, v147
	v_add_f32_e32 v148, v30, v31
	v_add_f32_e32 v31, v32, v33
	v_mul_f32_e32 v151, v31, v149
	v_sub_f32_e32 v30, v32, v31
	v_mul_f32_e32 v32, v147, v151
	v_fma_f32 v34, v151, v147, -v32
	v_fmac_f32_e32 v34, v151, v148
	v_add_f32_e32 v150, v33, v30
	v_add_f32_e32 v30, v32, v34
	v_sub_f32_e32 v33, v31, v30
	v_pk_add_f32 v[144:145], v[30:31], v[32:33] neg_lo:[0,1] neg_hi:[0,1]
	v_mov_b32_e32 v35, v30
	v_pk_add_f32 v[30:31], v[144:145], v[34:35] neg_lo:[0,1] neg_hi:[0,1]
	v_add_f32_e32 v31, v150, v31
	v_add_f32_e32 v30, v30, v31
	;; [unrolled: 1-line block ×3, first 2 shown]
	v_mul_f32_e32 v150, v149, v31
	v_mul_f32_e32 v32, v147, v150
	v_fma_f32 v34, v150, v147, -v32
	v_fmac_f32_e32 v34, v150, v148
	v_sub_f32_e32 v33, v33, v31
	v_add_f32_e32 v147, v30, v33
	v_add_f32_e32 v30, v32, v34
	v_sub_f32_e32 v33, v31, v30
	v_pk_add_f32 v[144:145], v[30:31], v[32:33] neg_lo:[0,1] neg_hi:[0,1]
	v_mov_b32_e32 v35, v30
	v_pk_add_f32 v[30:31], v[144:145], v[34:35] neg_lo:[0,1] neg_hi:[0,1]
	v_add_f32_e32 v31, v147, v31
	v_add_f32_e32 v30, v30, v31
	;; [unrolled: 1-line block ×4, first 2 shown]
	v_sub_f32_e32 v31, v33, v151
	v_mul_f32_e32 v30, v149, v30
	v_sub_f32_e32 v31, v150, v31
	v_add_f32_e32 v30, v31, v30
	v_add_f32_e32 v34, v33, v30
	v_mul_f32_e32 v144, v34, v34
	v_mov_b32_e32 v32, 0x3ecc95a3
	v_fmac_f32_e32 v32, 0x3e9b6dac, v144
	v_mov_b32_e32 v31, 0x3f2aaada
	v_fmac_f32_e32 v31, v144, v32
	v_cvt_f32_i32_e32 v32, v146
	v_sub_f32_e32 v33, v34, v33
	v_sub_f32_e32 v30, v30, v33
	v_ldexp_f32 v145, v30, 1
	v_mul_f32_e32 v33, v34, v144
	v_mov_b32_e32 v30, 0x3f317218
	s_mov_b32 s13, 0x3f317218
	v_pk_mul_f32 v[30:31], v[32:33], v[30:31]
	v_ldexp_f32 v35, v34, 1
	v_fma_f32 v34, v32, s13, -v30
	v_fmac_f32_e32 v34, 0xb102e308, v32
	v_pk_add_f32 v[32:33], v[30:31], v[34:35]
	v_sub_f32_e32 v35, v33, v35
	v_sub_f32_e32 v35, v31, v35
	v_add_f32_e32 v145, v145, v35
	v_mov_b32_e32 v144, v30
	v_pk_add_f32 v[30:31], v[32:33], v[30:31] neg_lo:[0,1] neg_hi:[0,1]
	v_pk_add_f32 v[146:147], v[32:33], v[144:145]
	v_mov_b32_e32 v31, v147
	v_mov_b32_e32 v35, v32
	v_pk_add_f32 v[148:149], v[34:35], v[30:31] neg_lo:[0,1] neg_hi:[0,1]
	v_pk_add_f32 v[30:31], v[34:35], v[30:31]
	v_mov_b32_e32 v34, v31
	v_pk_add_f32 v[150:151], v[34:35], v[32:33] neg_lo:[0,1] neg_hi:[0,1]
	v_mov_b32_e32 v35, v150
	v_pk_add_f32 v[160:161], v[146:147], v[34:35] neg_lo:[0,1] neg_hi:[0,1]
	v_mov_b32_e32 v30, v147
	v_mov_b32_e32 v146, v33
	;; [unrolled: 1-line block ×4, first 2 shown]
	v_pk_add_f32 v[30:31], v[30:31], v[146:147] neg_lo:[0,1] neg_hi:[0,1]
	v_mov_b32_e32 v144, v145
	v_mov_b32_e32 v145, v32
	v_pk_add_f32 v[30:31], v[144:145], v[30:31] neg_lo:[0,1] neg_hi:[0,1]
	v_mov_b32_e32 v160, v148
	v_pk_add_f32 v[32:33], v[160:161], v[30:31]
	v_mov_b32_e32 v144, v33
	v_pk_add_f32 v[144:145], v[32:33], v[144:145]
	v_pk_add_f32 v[34:35], v[34:35], v[144:145]
	v_mov_b32_e32 v33, v34
	v_pk_add_f32 v[146:147], v[32:33], v[148:149] neg_lo:[0,1] neg_hi:[0,1]
	v_mov_b32_e32 v31, v144
	v_sub_f32_e32 v32, v32, v146
	v_pk_add_f32 v[30:31], v[30:31], v[146:147] neg_lo:[0,1] neg_hi:[0,1]
	v_sub_f32_e32 v32, v148, v32
	s_mov_b32 s64, 0x7f800000
	v_add_f32_e32 v30, v30, v32
	s_mov_b32 s13, 0x33800000
	v_add_f32_e32 v30, v30, v31
	v_cmp_eq_f32_e32 vcc, s64, v162
	v_cmp_lt_f32_e64 s[64:65], |v162|, s13
	v_add_f32_e32 v30, v34, v30
	s_or_b64 vcc, vcc, s[64:65]
	v_cndmask_b32_e32 v30, v30, v162, vcc
	v_add_f32_e32 v30, v26, v30
.LBB492_118:
	s_or_b64 exec, exec, s[56:57]
	v_bfe_u32 v26, v30, 16, 1
	s_movk_i32 s13, 0x7fff
	v_add3_u32 v26, v30, v26, s13
	v_lshrrev_b32_e32 v26, 16, v26
	v_mov_b32_e32 v31, 0x7fc0
	v_cmp_o_f32_e32 vcc, v30, v30
	v_cndmask_b32_e32 v30, v31, v26, vcc
	v_and_b32_e32 v31, 0xffff, v30
.LBB492_119:
	s_or_b64 exec, exec, s[60:61]
	s_nop 0
	v_mov_b32_dpp v26, v31 row_bcast:31 row_mask:0xf bank_mask:0xf
	v_cmp_lt_u32_e32 vcc, 31, v27
	s_and_saveexec_b64 s[60:61], vcc
	s_cbranch_execz .LBB492_123
; %bb.120:
	v_lshlrev_b32_e32 v30, 16, v26
	v_lshlrev_b32_e32 v26, 16, v31
	v_max_f32_e32 v32, v26, v26
	v_max_f32_e32 v33, v30, v30
	v_min_f32_e32 v31, v33, v32
	v_cmp_u_f32_e32 vcc, v30, v30
	v_max_f32_e32 v32, v33, v32
	v_cndmask_b32_e32 v31, v31, v30, vcc
	v_cmp_u_f32_e64 s[56:57], v26, v26
	v_cndmask_b32_e32 v32, v32, v30, vcc
	v_cndmask_b32_e64 v31, v31, v26, s[56:57]
	v_cndmask_b32_e64 v26, v32, v26, s[56:57]
	s_movk_i32 s13, 0x1f8
	v_cmp_neq_f32_e32 vcc, v31, v26
	v_cmp_class_f32_e64 s[56:57], v31, s13
	s_or_b64 vcc, vcc, s[56:57]
	s_and_saveexec_b64 s[56:57], vcc
	s_cbranch_execz .LBB492_122
; %bb.121:
	v_sub_f32_e32 v30, v31, v26
	s_mov_b32 s13, 0x3fb8aa3b
	v_mul_f32_e32 v31, 0x3fb8aa3b, v30
	v_fma_f32 v32, v30, s13, -v31
	v_rndne_f32_e32 v33, v31
	v_fmac_f32_e32 v32, 0x32a5705f, v30
	v_sub_f32_e32 v31, v31, v33
	v_add_f32_e32 v31, v31, v32
	v_exp_f32_e32 v31, v31
	v_cvt_i32_f32_e32 v32, v33
	s_mov_b32 s13, 0xc2ce8ed0
	v_cmp_ngt_f32_e32 vcc, s13, v30
	s_mov_b32 s13, 0x42b17218
	v_ldexp_f32 v31, v31, v32
	v_cndmask_b32_e32 v31, 0, v31, vcc
	v_mov_b32_e32 v32, 0x7f800000
	v_cmp_nlt_f32_e32 vcc, s13, v30
	v_cndmask_b32_e32 v162, v32, v31, vcc
	v_add_f32_e32 v32, 1.0, v162
	v_add_f32_e32 v30, -1.0, v32
	v_sub_f32_e32 v31, v30, v32
	v_add_f32_e32 v31, 1.0, v31
	v_sub_f32_e32 v30, v162, v30
	v_add_f32_e32 v33, v30, v31
	v_frexp_mant_f32_e32 v34, v32
	s_mov_b32 s13, 0x3f2aaaab
	v_cvt_f64_f32_e32 v[30:31], v32
	v_frexp_exp_i32_f64_e32 v30, v[30:31]
	v_cmp_gt_f32_e32 vcc, s13, v34
	v_subbrev_co_u32_e32 v146, vcc, 0, v30, vcc
	v_sub_u32_e32 v30, 0, v146
	v_ldexp_f32 v31, v32, v30
	v_add_f32_e32 v32, -1.0, v31
	v_add_f32_e32 v34, 1.0, v31
	v_ldexp_f32 v30, v33, v30
	v_add_f32_e32 v33, 1.0, v32
	v_add_f32_e32 v35, -1.0, v34
	v_sub_f32_e32 v33, v31, v33
	v_sub_f32_e32 v31, v31, v35
	v_add_f32_e32 v33, v30, v33
	v_add_f32_e32 v30, v30, v31
	;; [unrolled: 1-line block ×3, first 2 shown]
	v_rcp_f32_e32 v149, v147
	v_sub_f32_e32 v31, v34, v147
	v_add_f32_e32 v148, v30, v31
	v_add_f32_e32 v31, v32, v33
	v_mul_f32_e32 v151, v31, v149
	v_sub_f32_e32 v30, v32, v31
	v_mul_f32_e32 v32, v147, v151
	v_fma_f32 v34, v151, v147, -v32
	v_fmac_f32_e32 v34, v151, v148
	v_add_f32_e32 v150, v33, v30
	v_add_f32_e32 v30, v32, v34
	v_sub_f32_e32 v33, v31, v30
	v_pk_add_f32 v[144:145], v[30:31], v[32:33] neg_lo:[0,1] neg_hi:[0,1]
	v_mov_b32_e32 v35, v30
	v_pk_add_f32 v[30:31], v[144:145], v[34:35] neg_lo:[0,1] neg_hi:[0,1]
	v_add_f32_e32 v31, v150, v31
	v_add_f32_e32 v30, v30, v31
	;; [unrolled: 1-line block ×3, first 2 shown]
	v_mul_f32_e32 v150, v149, v31
	v_mul_f32_e32 v32, v147, v150
	v_fma_f32 v34, v150, v147, -v32
	v_fmac_f32_e32 v34, v150, v148
	v_sub_f32_e32 v33, v33, v31
	v_add_f32_e32 v147, v30, v33
	v_add_f32_e32 v30, v32, v34
	v_sub_f32_e32 v33, v31, v30
	v_pk_add_f32 v[144:145], v[30:31], v[32:33] neg_lo:[0,1] neg_hi:[0,1]
	v_mov_b32_e32 v35, v30
	v_pk_add_f32 v[30:31], v[144:145], v[34:35] neg_lo:[0,1] neg_hi:[0,1]
	v_add_f32_e32 v31, v147, v31
	v_add_f32_e32 v30, v30, v31
	;; [unrolled: 1-line block ×4, first 2 shown]
	v_sub_f32_e32 v31, v33, v151
	v_mul_f32_e32 v30, v149, v30
	v_sub_f32_e32 v31, v150, v31
	v_add_f32_e32 v30, v31, v30
	v_add_f32_e32 v34, v33, v30
	v_mul_f32_e32 v144, v34, v34
	v_mov_b32_e32 v32, 0x3ecc95a3
	v_fmac_f32_e32 v32, 0x3e9b6dac, v144
	v_mov_b32_e32 v31, 0x3f2aaada
	v_fmac_f32_e32 v31, v144, v32
	v_cvt_f32_i32_e32 v32, v146
	v_sub_f32_e32 v33, v34, v33
	v_sub_f32_e32 v30, v30, v33
	v_ldexp_f32 v145, v30, 1
	v_mul_f32_e32 v33, v34, v144
	v_mov_b32_e32 v30, 0x3f317218
	s_mov_b32 s13, 0x3f317218
	v_pk_mul_f32 v[30:31], v[32:33], v[30:31]
	v_ldexp_f32 v35, v34, 1
	v_fma_f32 v34, v32, s13, -v30
	v_fmac_f32_e32 v34, 0xb102e308, v32
	v_pk_add_f32 v[32:33], v[30:31], v[34:35]
	v_sub_f32_e32 v35, v33, v35
	v_sub_f32_e32 v35, v31, v35
	v_add_f32_e32 v145, v145, v35
	v_mov_b32_e32 v144, v30
	v_pk_add_f32 v[30:31], v[32:33], v[30:31] neg_lo:[0,1] neg_hi:[0,1]
	v_pk_add_f32 v[146:147], v[32:33], v[144:145]
	v_mov_b32_e32 v31, v147
	v_mov_b32_e32 v35, v32
	v_pk_add_f32 v[148:149], v[34:35], v[30:31] neg_lo:[0,1] neg_hi:[0,1]
	v_pk_add_f32 v[30:31], v[34:35], v[30:31]
	v_mov_b32_e32 v34, v31
	v_pk_add_f32 v[150:151], v[34:35], v[32:33] neg_lo:[0,1] neg_hi:[0,1]
	v_mov_b32_e32 v35, v150
	v_pk_add_f32 v[160:161], v[146:147], v[34:35] neg_lo:[0,1] neg_hi:[0,1]
	v_mov_b32_e32 v30, v147
	v_mov_b32_e32 v146, v33
	;; [unrolled: 1-line block ×4, first 2 shown]
	v_pk_add_f32 v[30:31], v[30:31], v[146:147] neg_lo:[0,1] neg_hi:[0,1]
	v_mov_b32_e32 v144, v145
	v_mov_b32_e32 v145, v32
	v_pk_add_f32 v[30:31], v[144:145], v[30:31] neg_lo:[0,1] neg_hi:[0,1]
	v_mov_b32_e32 v160, v148
	v_pk_add_f32 v[32:33], v[160:161], v[30:31]
	v_mov_b32_e32 v144, v33
	v_pk_add_f32 v[144:145], v[32:33], v[144:145]
	v_pk_add_f32 v[34:35], v[34:35], v[144:145]
	v_mov_b32_e32 v33, v34
	v_pk_add_f32 v[146:147], v[32:33], v[148:149] neg_lo:[0,1] neg_hi:[0,1]
	v_mov_b32_e32 v31, v144
	v_sub_f32_e32 v32, v32, v146
	v_pk_add_f32 v[30:31], v[30:31], v[146:147] neg_lo:[0,1] neg_hi:[0,1]
	v_sub_f32_e32 v32, v148, v32
	s_mov_b32 s64, 0x7f800000
	v_add_f32_e32 v30, v30, v32
	s_mov_b32 s13, 0x33800000
	v_add_f32_e32 v30, v30, v31
	v_cmp_eq_f32_e32 vcc, s64, v162
	v_cmp_lt_f32_e64 s[64:65], |v162|, s13
	v_add_f32_e32 v30, v34, v30
	s_or_b64 vcc, vcc, s[64:65]
	v_cndmask_b32_e32 v30, v30, v162, vcc
	v_add_f32_e32 v30, v26, v30
.LBB492_122:
	s_or_b64 exec, exec, s[56:57]
	v_bfe_u32 v26, v30, 16, 1
	s_movk_i32 s13, 0x7fff
	v_add3_u32 v26, v30, v26, s13
	v_lshrrev_b32_e32 v26, 16, v26
	v_mov_b32_e32 v31, 0x7fc0
	v_cmp_o_f32_e32 vcc, v30, v30
	v_cndmask_b32_e32 v30, v31, v26, vcc
.LBB492_123:
	s_or_b64 exec, exec, s[60:61]
	v_cmp_eq_u32_e32 vcc, 63, v0
	s_and_saveexec_b64 s[56:57], vcc
	s_cbranch_execz .LBB492_125
; %bb.124:
	v_mov_b32_e32 v26, 0
	ds_write_b16 v26, v30
.LBB492_125:
	s_or_b64 exec, exec, s[56:57]
	v_and_b32_e32 v26, 0xffff, v30
	v_add_u32_e32 v30, -1, v27
	v_and_b32_e32 v31, 64, v27
	v_cmp_lt_i32_e32 vcc, v30, v31
	v_cndmask_b32_e32 v30, v30, v27, vcc
	v_lshlrev_b32_e32 v30, 2, v30
	ds_bpermute_b32 v144, v30, v26
	v_cmp_gt_u32_e32 vcc, 64, v0
	s_waitcnt lgkmcnt(0)
	; wave barrier
	s_waitcnt lgkmcnt(0)
	s_and_saveexec_b64 s[64:65], vcc
	s_cbranch_execz .LBB492_200
; %bb.126:
	v_mov_b32_e32 v33, 0
	ds_read_u16 v145, v33
	s_mov_b32 vcc_hi, 0
	v_cmp_eq_u32_e64 s[56:57], 0, v27
	s_and_saveexec_b64 s[60:61], s[56:57]
	s_cbranch_execz .LBB492_128
; %bb.127:
	s_add_i32 vcc_lo, s12, 64
	s_lshl_b64 vcc, vcc, 2
	v_mov_b32_e32 v26, vcc_hi
	v_add_co_u32_e32 v30, vcc, vcc_lo, v24
	v_addc_co_u32_e32 v31, vcc, v25, v26, vcc
	s_waitcnt lgkmcnt(0)
	v_or_b32_e32 v26, 0x10000, v145
	flat_store_dword v[30:31], v26
.LBB492_128:
	s_or_b64 exec, exec, s[60:61]
	v_xad_u32 v26, v27, -1, s12
	v_add_u32_e32 v32, 64, v26
	v_lshlrev_b64 v[30:31], 2, v[32:33]
	v_add_co_u32_e32 v30, vcc, v24, v30
	v_addc_co_u32_e32 v31, vcc, v25, v31, vcc
	flat_load_dword v34, v[30:31] glc
	s_waitcnt vmcnt(0) lgkmcnt(0)
	v_lshrrev_b32_e32 v148, 16, v34
	v_cmp_eq_u16_sdwa s[60:61], v148, v33 src0_sel:BYTE_0 src1_sel:DWORD
	s_and_saveexec_b64 vcc, s[60:61]
	s_cbranch_execz .LBB492_134
; %bb.129:
	s_mov_b32 s13, 1
	s_mov_b64 s[60:61], 0
	v_mov_b32_e32 v32, 0
.LBB492_130:                            ; =>This Loop Header: Depth=1
                                        ;     Child Loop BB492_131 Depth 2
	s_max_u32 s66, s13, 1
.LBB492_131:                            ;   Parent Loop BB492_130 Depth=1
                                        ; =>  This Inner Loop Header: Depth=2
	s_add_i32 s66, s66, -1
	s_cmp_eq_u32 s66, 0
	s_sleep 1
	s_cbranch_scc0 .LBB492_131
; %bb.132:                              ;   in Loop: Header=BB492_130 Depth=1
	flat_load_dword v34, v[30:31] glc
	s_cmp_lt_u32 s13, 32
	s_cselect_b64 s[66:67], -1, 0
	s_cmp_lg_u64 s[66:67], 0
	s_addc_u32 s13, s13, 0
	s_waitcnt vmcnt(0) lgkmcnt(0)
	v_lshrrev_b32_e32 v148, 16, v34
	v_cmp_ne_u16_sdwa s[66:67], v148, v32 src0_sel:BYTE_0 src1_sel:DWORD
	s_or_b64 s[60:61], s[66:67], s[60:61]
	s_andn2_b64 exec, exec, s[60:61]
	s_cbranch_execnz .LBB492_130
; %bb.133:
	s_or_b64 exec, exec, s[60:61]
.LBB492_134:
	s_or_b64 exec, exec, vcc
	v_mov_b32_e32 v30, 2
	v_cmp_eq_u16_sdwa vcc, v148, v30 src0_sel:BYTE_0 src1_sel:DWORD
	v_lshlrev_b64 v[30:31], v27, -1
	v_and_b32_e32 v146, 63, v27
	v_and_b32_e32 v32, vcc_hi, v31
	v_and_b32_e32 v149, vcc_lo, v30
	v_cmp_ne_u32_e32 vcc, 63, v146
	v_addc_co_u32_e32 v35, vcc, 0, v27, vcc
	v_and_b32_e32 v33, 0xffff, v34
	v_lshlrev_b32_e32 v147, 2, v35
	v_or_b32_e32 v32, 0x80000000, v32
	ds_bpermute_b32 v35, v147, v33
	v_ffbl_b32_e32 v32, v32
	v_add_u32_e32 v32, 32, v32
	v_ffbl_b32_e32 v149, v149
	v_min_u32_e32 v32, v149, v32
	v_cmp_lt_u32_e32 vcc, v146, v32
	s_and_saveexec_b64 s[66:67], vcc
	s_cbranch_execz .LBB492_138
; %bb.135:
	s_waitcnt lgkmcnt(0)
	v_lshlrev_b32_e32 v34, 16, v35
	v_lshlrev_b32_e32 v33, 16, v33
	v_max_f32_e32 v149, v33, v33
	v_max_f32_e32 v150, v34, v34
	v_min_f32_e32 v35, v150, v149
	v_cmp_u_f32_e32 vcc, v34, v34
	v_max_f32_e32 v149, v150, v149
	v_cndmask_b32_e32 v35, v35, v34, vcc
	v_cmp_u_f32_e64 s[60:61], v33, v33
	v_cndmask_b32_e32 v149, v149, v34, vcc
	v_cndmask_b32_e64 v35, v35, v33, s[60:61]
	v_cndmask_b32_e64 v33, v149, v33, s[60:61]
	s_movk_i32 s13, 0x1f8
	v_cmp_neq_f32_e32 vcc, v35, v33
	v_cmp_class_f32_e64 s[60:61], v35, s13
	s_or_b64 vcc, vcc, s[60:61]
	s_and_saveexec_b64 s[60:61], vcc
	s_cbranch_execz .LBB492_137
; %bb.136:
	v_sub_f32_e32 v34, v35, v33
	s_mov_b32 s13, 0x3fb8aa3b
	v_mul_f32_e32 v35, 0x3fb8aa3b, v34
	v_fma_f32 v149, v34, s13, -v35
	v_rndne_f32_e32 v150, v35
	v_fmac_f32_e32 v149, 0x32a5705f, v34
	v_sub_f32_e32 v35, v35, v150
	v_add_f32_e32 v35, v35, v149
	v_exp_f32_e32 v35, v35
	v_cvt_i32_f32_e32 v149, v150
	s_mov_b32 s13, 0xc2ce8ed0
	v_cmp_ngt_f32_e32 vcc, s13, v34
	s_mov_b32 s13, 0x42b17218
	v_ldexp_f32 v35, v35, v149
	v_cndmask_b32_e32 v35, 0, v35, vcc
	v_mov_b32_e32 v149, 0x7f800000
	v_cmp_nlt_f32_e32 vcc, s13, v34
	v_cndmask_b32_e32 v180, v149, v35, vcc
	v_add_f32_e32 v149, 1.0, v180
	v_add_f32_e32 v34, -1.0, v149
	v_sub_f32_e32 v35, v34, v149
	v_add_f32_e32 v35, 1.0, v35
	v_sub_f32_e32 v34, v180, v34
	v_add_f32_e32 v150, v34, v35
	v_frexp_mant_f32_e32 v151, v149
	s_mov_b32 s13, 0x3f2aaaab
	v_cvt_f64_f32_e32 v[34:35], v149
	v_frexp_exp_i32_f64_e32 v34, v[34:35]
	v_cmp_gt_f32_e32 vcc, s13, v151
	v_subbrev_co_u32_e32 v164, vcc, 0, v34, vcc
	v_sub_u32_e32 v34, 0, v164
	v_ldexp_f32 v35, v149, v34
	v_add_f32_e32 v149, -1.0, v35
	v_add_f32_e32 v151, 1.0, v35
	v_ldexp_f32 v34, v150, v34
	v_add_f32_e32 v150, 1.0, v149
	v_add_f32_e32 v160, -1.0, v151
	v_sub_f32_e32 v150, v35, v150
	v_sub_f32_e32 v35, v35, v160
	v_add_f32_e32 v150, v34, v150
	v_add_f32_e32 v34, v34, v35
	;; [unrolled: 1-line block ×3, first 2 shown]
	v_rcp_f32_e32 v167, v165
	v_sub_f32_e32 v35, v151, v165
	v_add_f32_e32 v166, v34, v35
	v_add_f32_e32 v35, v149, v150
	v_sub_f32_e32 v34, v149, v35
	v_mul_f32_e32 v176, v35, v167
	v_add_f32_e32 v149, v150, v34
	v_mul_f32_e32 v150, v165, v176
	v_fma_f32 v160, v176, v165, -v150
	v_fmac_f32_e32 v160, v176, v166
	v_add_f32_e32 v34, v150, v160
	v_sub_f32_e32 v151, v35, v34
	v_pk_add_f32 v[162:163], v[34:35], v[150:151] neg_lo:[0,1] neg_hi:[0,1]
	v_mov_b32_e32 v161, v34
	v_pk_add_f32 v[34:35], v[162:163], v[160:161] neg_lo:[0,1] neg_hi:[0,1]
	v_add_f32_e32 v35, v149, v35
	v_add_f32_e32 v34, v34, v35
	;; [unrolled: 1-line block ×3, first 2 shown]
	v_mul_f32_e32 v149, v167, v35
	v_mul_f32_e32 v150, v165, v149
	v_fma_f32 v160, v149, v165, -v150
	v_fmac_f32_e32 v160, v149, v166
	v_sub_f32_e32 v151, v151, v35
	v_add_f32_e32 v165, v34, v151
	v_add_f32_e32 v34, v150, v160
	v_sub_f32_e32 v151, v35, v34
	v_pk_add_f32 v[162:163], v[34:35], v[150:151] neg_lo:[0,1] neg_hi:[0,1]
	v_mov_b32_e32 v161, v34
	v_pk_add_f32 v[34:35], v[162:163], v[160:161] neg_lo:[0,1] neg_hi:[0,1]
	v_add_f32_e32 v35, v165, v35
	v_add_f32_e32 v34, v34, v35
	;; [unrolled: 1-line block ×4, first 2 shown]
	v_sub_f32_e32 v35, v151, v176
	v_mul_f32_e32 v34, v167, v34
	v_sub_f32_e32 v35, v149, v35
	v_add_f32_e32 v34, v35, v34
	v_add_f32_e32 v149, v151, v34
	v_mul_f32_e32 v160, v149, v149
	v_mov_b32_e32 v150, 0x3ecc95a3
	v_fmac_f32_e32 v150, 0x3e9b6dac, v160
	v_mov_b32_e32 v35, 0x3f2aaada
	v_fmac_f32_e32 v35, v160, v150
	v_cvt_f32_i32_e32 v150, v164
	v_sub_f32_e32 v151, v149, v151
	v_sub_f32_e32 v34, v34, v151
	v_ldexp_f32 v162, v34, 1
	v_mul_f32_e32 v151, v149, v160
	v_mov_b32_e32 v34, 0x3f317218
	s_mov_b32 s13, 0x3f317218
	v_pk_mul_f32 v[34:35], v[150:151], v[34:35]
	v_fma_f32 v160, v150, s13, -v34
	v_ldexp_f32 v161, v149, 1
	v_fmac_f32_e32 v160, 0xb102e308, v150
	v_pk_add_f32 v[150:151], v[34:35], v[160:161]
	v_sub_f32_e32 v149, v151, v161
	v_sub_f32_e32 v149, v35, v149
	v_add_f32_e32 v163, v162, v149
	v_mov_b32_e32 v162, v34
	v_pk_add_f32 v[34:35], v[150:151], v[34:35] neg_lo:[0,1] neg_hi:[0,1]
	v_pk_add_f32 v[164:165], v[150:151], v[162:163]
	v_mov_b32_e32 v35, v165
	v_mov_b32_e32 v161, v150
	v_pk_add_f32 v[166:167], v[160:161], v[34:35] neg_lo:[0,1] neg_hi:[0,1]
	v_pk_add_f32 v[34:35], v[160:161], v[34:35]
	v_mov_b32_e32 v160, v35
	v_pk_add_f32 v[176:177], v[160:161], v[150:151] neg_lo:[0,1] neg_hi:[0,1]
	v_mov_b32_e32 v149, v176
	v_pk_add_f32 v[178:179], v[164:165], v[148:149] neg_lo:[0,1] neg_hi:[0,1]
	v_mov_b32_e32 v34, v165
	v_mov_b32_e32 v164, v151
	;; [unrolled: 1-line block ×4, first 2 shown]
	v_pk_add_f32 v[34:35], v[34:35], v[164:165] neg_lo:[0,1] neg_hi:[0,1]
	v_mov_b32_e32 v162, v163
	v_mov_b32_e32 v163, v150
	v_pk_add_f32 v[34:35], v[162:163], v[34:35] neg_lo:[0,1] neg_hi:[0,1]
	v_mov_b32_e32 v178, v166
	v_pk_add_f32 v[150:151], v[178:179], v[34:35]
	v_mov_b32_e32 v162, v151
	v_pk_add_f32 v[162:163], v[150:151], v[162:163]
	v_pk_add_f32 v[160:161], v[160:161], v[162:163]
	v_mov_b32_e32 v151, v160
	v_pk_add_f32 v[164:165], v[150:151], v[166:167] neg_lo:[0,1] neg_hi:[0,1]
	v_mov_b32_e32 v35, v162
	v_sub_f32_e32 v149, v150, v164
	v_pk_add_f32 v[34:35], v[34:35], v[164:165] neg_lo:[0,1] neg_hi:[0,1]
	v_sub_f32_e32 v149, v166, v149
	s_mov_b32 s68, 0x7f800000
	v_add_f32_e32 v34, v34, v149
	s_mov_b32 s13, 0x33800000
	v_add_f32_e32 v34, v34, v35
	v_cmp_eq_f32_e32 vcc, s68, v180
	v_cmp_lt_f32_e64 s[68:69], |v180|, s13
	v_add_f32_e32 v34, v160, v34
	s_or_b64 vcc, vcc, s[68:69]
	v_cndmask_b32_e32 v34, v34, v180, vcc
	v_add_f32_e32 v34, v33, v34
.LBB492_137:
	s_or_b64 exec, exec, s[60:61]
	v_bfe_u32 v33, v34, 16, 1
	s_movk_i32 s13, 0x7fff
	v_add3_u32 v33, v34, v33, s13
	v_lshrrev_b32_e32 v33, 16, v33
	v_mov_b32_e32 v35, 0x7fc0
	v_cmp_o_f32_e32 vcc, v34, v34
	v_cndmask_b32_e32 v34, v35, v33, vcc
	v_and_b32_e32 v33, 0xffff, v34
.LBB492_138:
	s_or_b64 exec, exec, s[66:67]
	v_cmp_gt_u32_e32 vcc, 62, v146
	s_waitcnt lgkmcnt(0)
	v_cndmask_b32_e64 v35, 0, 1, vcc
	v_lshlrev_b32_e32 v35, 1, v35
	v_add_lshl_u32 v149, v35, v27, 2
	ds_bpermute_b32 v35, v149, v33
	v_add_u32_e32 v150, 2, v146
	v_cmp_le_u32_e32 vcc, v150, v32
	s_and_saveexec_b64 s[66:67], vcc
	s_cbranch_execz .LBB492_142
; %bb.139:
	s_waitcnt lgkmcnt(0)
	v_lshlrev_b32_e32 v34, 16, v35
	v_lshlrev_b32_e32 v33, 16, v33
	v_max_f32_e32 v151, v33, v33
	v_max_f32_e32 v160, v34, v34
	v_min_f32_e32 v35, v160, v151
	v_cmp_u_f32_e32 vcc, v34, v34
	v_max_f32_e32 v151, v160, v151
	v_cndmask_b32_e32 v35, v35, v34, vcc
	v_cmp_u_f32_e64 s[60:61], v33, v33
	v_cndmask_b32_e32 v151, v151, v34, vcc
	v_cndmask_b32_e64 v35, v35, v33, s[60:61]
	v_cndmask_b32_e64 v33, v151, v33, s[60:61]
	s_movk_i32 s13, 0x1f8
	v_cmp_neq_f32_e32 vcc, v35, v33
	v_cmp_class_f32_e64 s[60:61], v35, s13
	s_or_b64 vcc, vcc, s[60:61]
	s_and_saveexec_b64 s[60:61], vcc
	s_cbranch_execz .LBB492_141
; %bb.140:
	v_sub_f32_e32 v34, v35, v33
	s_mov_b32 s13, 0x3fb8aa3b
	v_mul_f32_e32 v35, 0x3fb8aa3b, v34
	v_fma_f32 v151, v34, s13, -v35
	v_rndne_f32_e32 v160, v35
	v_fmac_f32_e32 v151, 0x32a5705f, v34
	v_sub_f32_e32 v35, v35, v160
	v_add_f32_e32 v35, v35, v151
	v_exp_f32_e32 v35, v35
	v_cvt_i32_f32_e32 v151, v160
	s_mov_b32 s13, 0xc2ce8ed0
	v_cmp_ngt_f32_e32 vcc, s13, v34
	s_mov_b32 s13, 0x42b17218
	v_ldexp_f32 v35, v35, v151
	v_cndmask_b32_e32 v35, 0, v35, vcc
	v_mov_b32_e32 v151, 0x7f800000
	v_cmp_nlt_f32_e32 vcc, s13, v34
	v_cndmask_b32_e32 v182, v151, v35, vcc
	v_add_f32_e32 v151, 1.0, v182
	v_add_f32_e32 v34, -1.0, v151
	v_sub_f32_e32 v35, v34, v151
	v_add_f32_e32 v35, 1.0, v35
	v_sub_f32_e32 v34, v182, v34
	v_add_f32_e32 v160, v34, v35
	v_frexp_mant_f32_e32 v161, v151
	s_mov_b32 s13, 0x3f2aaaab
	v_cvt_f64_f32_e32 v[34:35], v151
	v_frexp_exp_i32_f64_e32 v34, v[34:35]
	v_cmp_gt_f32_e32 vcc, s13, v161
	v_subbrev_co_u32_e32 v166, vcc, 0, v34, vcc
	v_sub_u32_e32 v34, 0, v166
	v_ldexp_f32 v35, v151, v34
	v_add_f32_e32 v151, -1.0, v35
	v_add_f32_e32 v161, 1.0, v35
	v_ldexp_f32 v34, v160, v34
	v_add_f32_e32 v160, 1.0, v151
	v_add_f32_e32 v162, -1.0, v161
	v_sub_f32_e32 v160, v35, v160
	v_sub_f32_e32 v35, v35, v162
	v_add_f32_e32 v160, v34, v160
	v_add_f32_e32 v34, v34, v35
	;; [unrolled: 1-line block ×3, first 2 shown]
	v_rcp_f32_e32 v177, v167
	v_sub_f32_e32 v35, v161, v167
	v_add_f32_e32 v176, v34, v35
	v_add_f32_e32 v35, v151, v160
	v_sub_f32_e32 v34, v151, v35
	v_mul_f32_e32 v178, v35, v177
	v_add_f32_e32 v151, v160, v34
	v_mul_f32_e32 v160, v167, v178
	v_fma_f32 v162, v178, v167, -v160
	v_fmac_f32_e32 v162, v178, v176
	v_add_f32_e32 v34, v160, v162
	v_sub_f32_e32 v161, v35, v34
	v_pk_add_f32 v[164:165], v[34:35], v[160:161] neg_lo:[0,1] neg_hi:[0,1]
	v_mov_b32_e32 v163, v34
	v_pk_add_f32 v[34:35], v[164:165], v[162:163] neg_lo:[0,1] neg_hi:[0,1]
	v_add_f32_e32 v35, v151, v35
	v_add_f32_e32 v34, v34, v35
	v_add_f32_e32 v35, v161, v34
	v_mul_f32_e32 v151, v177, v35
	v_mul_f32_e32 v160, v167, v151
	v_fma_f32 v162, v151, v167, -v160
	v_fmac_f32_e32 v162, v151, v176
	v_sub_f32_e32 v161, v161, v35
	v_add_f32_e32 v167, v34, v161
	v_add_f32_e32 v34, v160, v162
	v_sub_f32_e32 v161, v35, v34
	v_pk_add_f32 v[164:165], v[34:35], v[160:161] neg_lo:[0,1] neg_hi:[0,1]
	v_mov_b32_e32 v163, v34
	v_pk_add_f32 v[34:35], v[164:165], v[162:163] neg_lo:[0,1] neg_hi:[0,1]
	v_add_f32_e32 v35, v167, v35
	v_add_f32_e32 v34, v34, v35
	v_add_f32_e32 v34, v161, v34
	v_add_f32_e32 v161, v178, v151
	v_sub_f32_e32 v35, v161, v178
	v_mul_f32_e32 v34, v177, v34
	v_sub_f32_e32 v35, v151, v35
	v_add_f32_e32 v34, v35, v34
	v_add_f32_e32 v151, v161, v34
	v_mul_f32_e32 v162, v151, v151
	v_mov_b32_e32 v160, 0x3ecc95a3
	v_fmac_f32_e32 v160, 0x3e9b6dac, v162
	v_mov_b32_e32 v35, 0x3f2aaada
	v_fmac_f32_e32 v35, v162, v160
	v_cvt_f32_i32_e32 v160, v166
	v_sub_f32_e32 v161, v151, v161
	v_sub_f32_e32 v34, v34, v161
	v_ldexp_f32 v164, v34, 1
	v_mul_f32_e32 v161, v151, v162
	v_mov_b32_e32 v34, 0x3f317218
	s_mov_b32 s13, 0x3f317218
	v_pk_mul_f32 v[34:35], v[160:161], v[34:35]
	v_fma_f32 v162, v160, s13, -v34
	v_ldexp_f32 v163, v151, 1
	v_fmac_f32_e32 v162, 0xb102e308, v160
	v_pk_add_f32 v[160:161], v[34:35], v[162:163]
	v_sub_f32_e32 v151, v161, v163
	v_sub_f32_e32 v151, v35, v151
	v_add_f32_e32 v165, v164, v151
	v_mov_b32_e32 v164, v34
	v_pk_add_f32 v[34:35], v[160:161], v[34:35] neg_lo:[0,1] neg_hi:[0,1]
	v_pk_add_f32 v[166:167], v[160:161], v[164:165]
	v_mov_b32_e32 v35, v167
	v_mov_b32_e32 v163, v160
	v_pk_add_f32 v[176:177], v[162:163], v[34:35] neg_lo:[0,1] neg_hi:[0,1]
	v_pk_add_f32 v[34:35], v[162:163], v[34:35]
	v_mov_b32_e32 v162, v35
	v_pk_add_f32 v[178:179], v[162:163], v[160:161] neg_lo:[0,1] neg_hi:[0,1]
	v_mov_b32_e32 v151, v178
	v_pk_add_f32 v[180:181], v[166:167], v[150:151] neg_lo:[0,1] neg_hi:[0,1]
	v_mov_b32_e32 v34, v167
	v_mov_b32_e32 v166, v161
	v_mov_b32_e32 v167, v178
	v_mov_b32_e32 v177, v35
	v_pk_add_f32 v[34:35], v[34:35], v[166:167] neg_lo:[0,1] neg_hi:[0,1]
	v_mov_b32_e32 v164, v165
	v_mov_b32_e32 v165, v160
	v_pk_add_f32 v[34:35], v[164:165], v[34:35] neg_lo:[0,1] neg_hi:[0,1]
	v_mov_b32_e32 v180, v176
	v_pk_add_f32 v[160:161], v[180:181], v[34:35]
	v_mov_b32_e32 v164, v161
	v_pk_add_f32 v[164:165], v[160:161], v[164:165]
	v_pk_add_f32 v[162:163], v[162:163], v[164:165]
	v_mov_b32_e32 v161, v162
	v_pk_add_f32 v[166:167], v[160:161], v[176:177] neg_lo:[0,1] neg_hi:[0,1]
	v_mov_b32_e32 v35, v164
	v_sub_f32_e32 v151, v160, v166
	v_pk_add_f32 v[34:35], v[34:35], v[166:167] neg_lo:[0,1] neg_hi:[0,1]
	v_sub_f32_e32 v151, v176, v151
	s_mov_b32 s68, 0x7f800000
	v_add_f32_e32 v34, v34, v151
	s_mov_b32 s13, 0x33800000
	v_add_f32_e32 v34, v34, v35
	v_cmp_eq_f32_e32 vcc, s68, v182
	v_cmp_lt_f32_e64 s[68:69], |v182|, s13
	v_add_f32_e32 v34, v162, v34
	s_or_b64 vcc, vcc, s[68:69]
	v_cndmask_b32_e32 v34, v34, v182, vcc
	v_add_f32_e32 v34, v33, v34
.LBB492_141:
	s_or_b64 exec, exec, s[60:61]
	v_bfe_u32 v33, v34, 16, 1
	s_movk_i32 s13, 0x7fff
	v_add3_u32 v33, v34, v33, s13
	v_lshrrev_b32_e32 v33, 16, v33
	v_mov_b32_e32 v35, 0x7fc0
	v_cmp_o_f32_e32 vcc, v34, v34
	v_cndmask_b32_e32 v34, v35, v33, vcc
	v_and_b32_e32 v33, 0xffff, v34
.LBB492_142:
	s_or_b64 exec, exec, s[66:67]
	v_cmp_gt_u32_e32 vcc, 60, v146
	s_waitcnt lgkmcnt(0)
	v_cndmask_b32_e64 v35, 0, 1, vcc
	v_lshlrev_b32_e32 v35, 2, v35
	v_add_lshl_u32 v151, v35, v27, 2
	ds_bpermute_b32 v35, v151, v33
	v_add_u32_e32 v160, 4, v146
	v_cmp_le_u32_e32 vcc, v160, v32
	s_and_saveexec_b64 s[66:67], vcc
	s_cbranch_execz .LBB492_146
; %bb.143:
	s_waitcnt lgkmcnt(0)
	v_lshlrev_b32_e32 v34, 16, v35
	v_lshlrev_b32_e32 v33, 16, v33
	v_max_f32_e32 v161, v33, v33
	v_max_f32_e32 v162, v34, v34
	v_min_f32_e32 v35, v162, v161
	v_cmp_u_f32_e32 vcc, v34, v34
	v_max_f32_e32 v161, v162, v161
	v_cndmask_b32_e32 v35, v35, v34, vcc
	v_cmp_u_f32_e64 s[60:61], v33, v33
	v_cndmask_b32_e32 v161, v161, v34, vcc
	v_cndmask_b32_e64 v35, v35, v33, s[60:61]
	v_cndmask_b32_e64 v33, v161, v33, s[60:61]
	s_movk_i32 s13, 0x1f8
	v_cmp_neq_f32_e32 vcc, v35, v33
	v_cmp_class_f32_e64 s[60:61], v35, s13
	s_or_b64 vcc, vcc, s[60:61]
	s_and_saveexec_b64 s[60:61], vcc
	s_cbranch_execz .LBB492_145
; %bb.144:
	v_sub_f32_e32 v34, v35, v33
	s_mov_b32 s13, 0x3fb8aa3b
	v_mul_f32_e32 v35, 0x3fb8aa3b, v34
	v_fma_f32 v161, v34, s13, -v35
	v_rndne_f32_e32 v162, v35
	v_fmac_f32_e32 v161, 0x32a5705f, v34
	v_sub_f32_e32 v35, v35, v162
	v_add_f32_e32 v35, v35, v161
	v_exp_f32_e32 v35, v35
	v_cvt_i32_f32_e32 v161, v162
	s_mov_b32 s13, 0xc2ce8ed0
	v_cmp_ngt_f32_e32 vcc, s13, v34
	s_mov_b32 s13, 0x42b17218
	v_ldexp_f32 v35, v35, v161
	v_cndmask_b32_e32 v35, 0, v35, vcc
	v_mov_b32_e32 v161, 0x7f800000
	v_cmp_nlt_f32_e32 vcc, s13, v34
	v_cndmask_b32_e32 v192, v161, v35, vcc
	v_add_f32_e32 v161, 1.0, v192
	v_add_f32_e32 v34, -1.0, v161
	v_sub_f32_e32 v35, v34, v161
	v_add_f32_e32 v35, 1.0, v35
	v_sub_f32_e32 v34, v192, v34
	v_add_f32_e32 v162, v34, v35
	v_frexp_mant_f32_e32 v163, v161
	s_mov_b32 s13, 0x3f2aaaab
	v_cvt_f64_f32_e32 v[34:35], v161
	v_frexp_exp_i32_f64_e32 v34, v[34:35]
	v_cmp_gt_f32_e32 vcc, s13, v163
	v_subbrev_co_u32_e32 v176, vcc, 0, v34, vcc
	v_sub_u32_e32 v34, 0, v176
	v_ldexp_f32 v35, v161, v34
	v_add_f32_e32 v161, -1.0, v35
	v_add_f32_e32 v163, 1.0, v35
	v_ldexp_f32 v34, v162, v34
	v_add_f32_e32 v162, 1.0, v161
	v_add_f32_e32 v164, -1.0, v163
	v_sub_f32_e32 v162, v35, v162
	v_sub_f32_e32 v35, v35, v164
	v_add_f32_e32 v162, v34, v162
	v_add_f32_e32 v34, v34, v35
	v_add_f32_e32 v177, v163, v34
	v_rcp_f32_e32 v179, v177
	v_sub_f32_e32 v35, v163, v177
	v_add_f32_e32 v178, v34, v35
	v_add_f32_e32 v35, v161, v162
	v_sub_f32_e32 v34, v161, v35
	v_mul_f32_e32 v180, v35, v179
	v_add_f32_e32 v161, v162, v34
	v_mul_f32_e32 v162, v177, v180
	v_fma_f32 v164, v180, v177, -v162
	v_fmac_f32_e32 v164, v180, v178
	v_add_f32_e32 v34, v162, v164
	v_sub_f32_e32 v163, v35, v34
	v_pk_add_f32 v[166:167], v[34:35], v[162:163] neg_lo:[0,1] neg_hi:[0,1]
	v_mov_b32_e32 v165, v34
	v_pk_add_f32 v[34:35], v[166:167], v[164:165] neg_lo:[0,1] neg_hi:[0,1]
	v_add_f32_e32 v35, v161, v35
	v_add_f32_e32 v34, v34, v35
	;; [unrolled: 1-line block ×3, first 2 shown]
	v_mul_f32_e32 v161, v179, v35
	v_mul_f32_e32 v162, v177, v161
	v_fma_f32 v164, v161, v177, -v162
	v_fmac_f32_e32 v164, v161, v178
	v_sub_f32_e32 v163, v163, v35
	v_add_f32_e32 v177, v34, v163
	v_add_f32_e32 v34, v162, v164
	v_sub_f32_e32 v163, v35, v34
	v_pk_add_f32 v[166:167], v[34:35], v[162:163] neg_lo:[0,1] neg_hi:[0,1]
	v_mov_b32_e32 v165, v34
	v_pk_add_f32 v[34:35], v[166:167], v[164:165] neg_lo:[0,1] neg_hi:[0,1]
	v_add_f32_e32 v35, v177, v35
	v_add_f32_e32 v34, v34, v35
	;; [unrolled: 1-line block ×4, first 2 shown]
	v_sub_f32_e32 v35, v163, v180
	v_mul_f32_e32 v34, v179, v34
	v_sub_f32_e32 v35, v161, v35
	v_add_f32_e32 v34, v35, v34
	v_add_f32_e32 v161, v163, v34
	v_mul_f32_e32 v164, v161, v161
	v_mov_b32_e32 v162, 0x3ecc95a3
	v_fmac_f32_e32 v162, 0x3e9b6dac, v164
	v_mov_b32_e32 v35, 0x3f2aaada
	v_fmac_f32_e32 v35, v164, v162
	v_cvt_f32_i32_e32 v162, v176
	v_sub_f32_e32 v163, v161, v163
	v_sub_f32_e32 v34, v34, v163
	v_ldexp_f32 v166, v34, 1
	v_mul_f32_e32 v163, v161, v164
	v_mov_b32_e32 v34, 0x3f317218
	s_mov_b32 s13, 0x3f317218
	v_pk_mul_f32 v[34:35], v[162:163], v[34:35]
	v_fma_f32 v164, v162, s13, -v34
	v_ldexp_f32 v165, v161, 1
	v_fmac_f32_e32 v164, 0xb102e308, v162
	v_pk_add_f32 v[162:163], v[34:35], v[164:165]
	v_sub_f32_e32 v161, v163, v165
	v_sub_f32_e32 v161, v35, v161
	v_add_f32_e32 v167, v166, v161
	v_mov_b32_e32 v166, v34
	v_pk_add_f32 v[34:35], v[162:163], v[34:35] neg_lo:[0,1] neg_hi:[0,1]
	v_pk_add_f32 v[176:177], v[162:163], v[166:167]
	v_mov_b32_e32 v35, v177
	v_mov_b32_e32 v165, v162
	v_pk_add_f32 v[178:179], v[164:165], v[34:35] neg_lo:[0,1] neg_hi:[0,1]
	v_pk_add_f32 v[34:35], v[164:165], v[34:35]
	v_mov_b32_e32 v164, v35
	v_pk_add_f32 v[180:181], v[164:165], v[162:163] neg_lo:[0,1] neg_hi:[0,1]
	v_mov_b32_e32 v161, v180
	v_pk_add_f32 v[182:183], v[176:177], v[160:161] neg_lo:[0,1] neg_hi:[0,1]
	v_mov_b32_e32 v34, v177
	v_mov_b32_e32 v176, v163
	;; [unrolled: 1-line block ×4, first 2 shown]
	v_pk_add_f32 v[34:35], v[34:35], v[176:177] neg_lo:[0,1] neg_hi:[0,1]
	v_mov_b32_e32 v166, v167
	v_mov_b32_e32 v167, v162
	v_pk_add_f32 v[34:35], v[166:167], v[34:35] neg_lo:[0,1] neg_hi:[0,1]
	v_mov_b32_e32 v182, v178
	v_pk_add_f32 v[162:163], v[182:183], v[34:35]
	v_mov_b32_e32 v166, v163
	v_pk_add_f32 v[166:167], v[162:163], v[166:167]
	v_pk_add_f32 v[164:165], v[164:165], v[166:167]
	v_mov_b32_e32 v163, v164
	v_pk_add_f32 v[176:177], v[162:163], v[178:179] neg_lo:[0,1] neg_hi:[0,1]
	v_mov_b32_e32 v35, v166
	v_sub_f32_e32 v161, v162, v176
	v_pk_add_f32 v[34:35], v[34:35], v[176:177] neg_lo:[0,1] neg_hi:[0,1]
	v_sub_f32_e32 v161, v178, v161
	s_mov_b32 s68, 0x7f800000
	v_add_f32_e32 v34, v34, v161
	s_mov_b32 s13, 0x33800000
	v_add_f32_e32 v34, v34, v35
	v_cmp_eq_f32_e32 vcc, s68, v192
	v_cmp_lt_f32_e64 s[68:69], |v192|, s13
	v_add_f32_e32 v34, v164, v34
	s_or_b64 vcc, vcc, s[68:69]
	v_cndmask_b32_e32 v34, v34, v192, vcc
	v_add_f32_e32 v34, v33, v34
.LBB492_145:
	s_or_b64 exec, exec, s[60:61]
	v_bfe_u32 v33, v34, 16, 1
	s_movk_i32 s13, 0x7fff
	v_add3_u32 v33, v34, v33, s13
	v_lshrrev_b32_e32 v33, 16, v33
	v_mov_b32_e32 v35, 0x7fc0
	v_cmp_o_f32_e32 vcc, v34, v34
	v_cndmask_b32_e32 v34, v35, v33, vcc
	v_and_b32_e32 v33, 0xffff, v34
.LBB492_146:
	s_or_b64 exec, exec, s[66:67]
	v_cmp_gt_u32_e32 vcc, 56, v146
	s_waitcnt lgkmcnt(0)
	v_cndmask_b32_e64 v35, 0, 1, vcc
	v_lshlrev_b32_e32 v35, 3, v35
	v_add_lshl_u32 v161, v35, v27, 2
	ds_bpermute_b32 v35, v161, v33
	v_add_u32_e32 v162, 8, v146
	v_cmp_le_u32_e32 vcc, v162, v32
	s_and_saveexec_b64 s[66:67], vcc
	s_cbranch_execz .LBB492_150
; %bb.147:
	s_waitcnt lgkmcnt(0)
	v_lshlrev_b32_e32 v34, 16, v35
	v_lshlrev_b32_e32 v33, 16, v33
	v_max_f32_e32 v163, v33, v33
	v_max_f32_e32 v164, v34, v34
	v_min_f32_e32 v35, v164, v163
	v_cmp_u_f32_e32 vcc, v34, v34
	v_max_f32_e32 v163, v164, v163
	v_cndmask_b32_e32 v35, v35, v34, vcc
	v_cmp_u_f32_e64 s[60:61], v33, v33
	v_cndmask_b32_e32 v163, v163, v34, vcc
	v_cndmask_b32_e64 v35, v35, v33, s[60:61]
	v_cndmask_b32_e64 v33, v163, v33, s[60:61]
	s_movk_i32 s13, 0x1f8
	v_cmp_neq_f32_e32 vcc, v35, v33
	v_cmp_class_f32_e64 s[60:61], v35, s13
	s_or_b64 vcc, vcc, s[60:61]
	s_and_saveexec_b64 s[60:61], vcc
	s_cbranch_execz .LBB492_149
; %bb.148:
	v_sub_f32_e32 v34, v35, v33
	s_mov_b32 s13, 0x3fb8aa3b
	v_mul_f32_e32 v35, 0x3fb8aa3b, v34
	v_fma_f32 v163, v34, s13, -v35
	v_rndne_f32_e32 v164, v35
	v_fmac_f32_e32 v163, 0x32a5705f, v34
	v_sub_f32_e32 v35, v35, v164
	v_add_f32_e32 v35, v35, v163
	v_exp_f32_e32 v35, v35
	v_cvt_i32_f32_e32 v163, v164
	s_mov_b32 s13, 0xc2ce8ed0
	v_cmp_ngt_f32_e32 vcc, s13, v34
	s_mov_b32 s13, 0x42b17218
	v_ldexp_f32 v35, v35, v163
	v_cndmask_b32_e32 v35, 0, v35, vcc
	v_mov_b32_e32 v163, 0x7f800000
	v_cmp_nlt_f32_e32 vcc, s13, v34
	v_cndmask_b32_e32 v194, v163, v35, vcc
	v_add_f32_e32 v163, 1.0, v194
	v_add_f32_e32 v34, -1.0, v163
	v_sub_f32_e32 v35, v34, v163
	v_add_f32_e32 v35, 1.0, v35
	v_sub_f32_e32 v34, v194, v34
	v_add_f32_e32 v164, v34, v35
	v_frexp_mant_f32_e32 v165, v163
	s_mov_b32 s13, 0x3f2aaaab
	v_cvt_f64_f32_e32 v[34:35], v163
	v_frexp_exp_i32_f64_e32 v34, v[34:35]
	v_cmp_gt_f32_e32 vcc, s13, v165
	v_subbrev_co_u32_e32 v178, vcc, 0, v34, vcc
	v_sub_u32_e32 v34, 0, v178
	v_ldexp_f32 v35, v163, v34
	v_add_f32_e32 v163, -1.0, v35
	v_add_f32_e32 v165, 1.0, v35
	v_ldexp_f32 v34, v164, v34
	v_add_f32_e32 v164, 1.0, v163
	v_add_f32_e32 v166, -1.0, v165
	v_sub_f32_e32 v164, v35, v164
	v_sub_f32_e32 v35, v35, v166
	v_add_f32_e32 v164, v34, v164
	v_add_f32_e32 v34, v34, v35
	;; [unrolled: 1-line block ×3, first 2 shown]
	v_rcp_f32_e32 v181, v179
	v_sub_f32_e32 v35, v165, v179
	v_add_f32_e32 v180, v34, v35
	v_add_f32_e32 v35, v163, v164
	v_sub_f32_e32 v34, v163, v35
	v_mul_f32_e32 v182, v35, v181
	v_add_f32_e32 v163, v164, v34
	v_mul_f32_e32 v164, v179, v182
	v_fma_f32 v166, v182, v179, -v164
	v_fmac_f32_e32 v166, v182, v180
	v_add_f32_e32 v34, v164, v166
	v_sub_f32_e32 v165, v35, v34
	v_pk_add_f32 v[176:177], v[34:35], v[164:165] neg_lo:[0,1] neg_hi:[0,1]
	v_mov_b32_e32 v167, v34
	v_pk_add_f32 v[34:35], v[176:177], v[166:167] neg_lo:[0,1] neg_hi:[0,1]
	v_add_f32_e32 v35, v163, v35
	v_add_f32_e32 v34, v34, v35
	;; [unrolled: 1-line block ×3, first 2 shown]
	v_mul_f32_e32 v163, v181, v35
	v_mul_f32_e32 v164, v179, v163
	v_fma_f32 v166, v163, v179, -v164
	v_fmac_f32_e32 v166, v163, v180
	v_sub_f32_e32 v165, v165, v35
	v_add_f32_e32 v179, v34, v165
	v_add_f32_e32 v34, v164, v166
	v_sub_f32_e32 v165, v35, v34
	v_pk_add_f32 v[176:177], v[34:35], v[164:165] neg_lo:[0,1] neg_hi:[0,1]
	v_mov_b32_e32 v167, v34
	v_pk_add_f32 v[34:35], v[176:177], v[166:167] neg_lo:[0,1] neg_hi:[0,1]
	v_add_f32_e32 v35, v179, v35
	v_add_f32_e32 v34, v34, v35
	;; [unrolled: 1-line block ×4, first 2 shown]
	v_sub_f32_e32 v35, v165, v182
	v_mul_f32_e32 v34, v181, v34
	v_sub_f32_e32 v35, v163, v35
	v_add_f32_e32 v34, v35, v34
	v_add_f32_e32 v163, v165, v34
	v_mul_f32_e32 v166, v163, v163
	v_mov_b32_e32 v164, 0x3ecc95a3
	v_fmac_f32_e32 v164, 0x3e9b6dac, v166
	v_mov_b32_e32 v35, 0x3f2aaada
	v_fmac_f32_e32 v35, v166, v164
	v_cvt_f32_i32_e32 v164, v178
	v_sub_f32_e32 v165, v163, v165
	v_sub_f32_e32 v34, v34, v165
	v_ldexp_f32 v176, v34, 1
	v_mul_f32_e32 v165, v163, v166
	v_mov_b32_e32 v34, 0x3f317218
	s_mov_b32 s13, 0x3f317218
	v_pk_mul_f32 v[34:35], v[164:165], v[34:35]
	v_fma_f32 v166, v164, s13, -v34
	v_ldexp_f32 v167, v163, 1
	v_fmac_f32_e32 v166, 0xb102e308, v164
	v_pk_add_f32 v[164:165], v[34:35], v[166:167]
	v_sub_f32_e32 v163, v165, v167
	v_sub_f32_e32 v163, v35, v163
	v_add_f32_e32 v177, v176, v163
	v_mov_b32_e32 v176, v34
	v_pk_add_f32 v[34:35], v[164:165], v[34:35] neg_lo:[0,1] neg_hi:[0,1]
	v_pk_add_f32 v[178:179], v[164:165], v[176:177]
	v_mov_b32_e32 v35, v179
	v_mov_b32_e32 v167, v164
	v_pk_add_f32 v[180:181], v[166:167], v[34:35] neg_lo:[0,1] neg_hi:[0,1]
	v_pk_add_f32 v[34:35], v[166:167], v[34:35]
	v_mov_b32_e32 v166, v35
	v_pk_add_f32 v[182:183], v[166:167], v[164:165] neg_lo:[0,1] neg_hi:[0,1]
	v_mov_b32_e32 v163, v182
	v_pk_add_f32 v[192:193], v[178:179], v[162:163] neg_lo:[0,1] neg_hi:[0,1]
	v_mov_b32_e32 v34, v179
	v_mov_b32_e32 v178, v165
	;; [unrolled: 1-line block ×4, first 2 shown]
	v_pk_add_f32 v[34:35], v[34:35], v[178:179] neg_lo:[0,1] neg_hi:[0,1]
	v_mov_b32_e32 v176, v177
	v_mov_b32_e32 v177, v164
	v_pk_add_f32 v[34:35], v[176:177], v[34:35] neg_lo:[0,1] neg_hi:[0,1]
	v_mov_b32_e32 v192, v180
	v_pk_add_f32 v[164:165], v[192:193], v[34:35]
	v_mov_b32_e32 v176, v165
	v_pk_add_f32 v[176:177], v[164:165], v[176:177]
	v_pk_add_f32 v[166:167], v[166:167], v[176:177]
	v_mov_b32_e32 v165, v166
	v_pk_add_f32 v[178:179], v[164:165], v[180:181] neg_lo:[0,1] neg_hi:[0,1]
	v_mov_b32_e32 v35, v176
	v_sub_f32_e32 v163, v164, v178
	v_pk_add_f32 v[34:35], v[34:35], v[178:179] neg_lo:[0,1] neg_hi:[0,1]
	v_sub_f32_e32 v163, v180, v163
	s_mov_b32 s68, 0x7f800000
	v_add_f32_e32 v34, v34, v163
	s_mov_b32 s13, 0x33800000
	v_add_f32_e32 v34, v34, v35
	v_cmp_eq_f32_e32 vcc, s68, v194
	v_cmp_lt_f32_e64 s[68:69], |v194|, s13
	v_add_f32_e32 v34, v166, v34
	s_or_b64 vcc, vcc, s[68:69]
	v_cndmask_b32_e32 v34, v34, v194, vcc
	v_add_f32_e32 v34, v33, v34
.LBB492_149:
	s_or_b64 exec, exec, s[60:61]
	v_bfe_u32 v33, v34, 16, 1
	s_movk_i32 s13, 0x7fff
	v_add3_u32 v33, v34, v33, s13
	v_lshrrev_b32_e32 v33, 16, v33
	v_mov_b32_e32 v35, 0x7fc0
	v_cmp_o_f32_e32 vcc, v34, v34
	v_cndmask_b32_e32 v34, v35, v33, vcc
	v_and_b32_e32 v33, 0xffff, v34
.LBB492_150:
	s_or_b64 exec, exec, s[66:67]
	v_cmp_gt_u32_e32 vcc, 48, v146
	s_waitcnt lgkmcnt(0)
	v_cndmask_b32_e64 v35, 0, 1, vcc
	v_lshlrev_b32_e32 v35, 4, v35
	v_add_lshl_u32 v163, v35, v27, 2
	ds_bpermute_b32 v35, v163, v33
	v_add_u32_e32 v164, 16, v146
	v_cmp_le_u32_e32 vcc, v164, v32
	s_and_saveexec_b64 s[66:67], vcc
	s_cbranch_execz .LBB492_154
; %bb.151:
	s_waitcnt lgkmcnt(0)
	v_lshlrev_b32_e32 v34, 16, v35
	v_lshlrev_b32_e32 v33, 16, v33
	v_max_f32_e32 v165, v33, v33
	v_max_f32_e32 v166, v34, v34
	v_min_f32_e32 v35, v166, v165
	v_cmp_u_f32_e32 vcc, v34, v34
	v_max_f32_e32 v165, v166, v165
	v_cndmask_b32_e32 v35, v35, v34, vcc
	v_cmp_u_f32_e64 s[60:61], v33, v33
	v_cndmask_b32_e32 v165, v165, v34, vcc
	v_cndmask_b32_e64 v35, v35, v33, s[60:61]
	v_cndmask_b32_e64 v33, v165, v33, s[60:61]
	s_movk_i32 s13, 0x1f8
	v_cmp_neq_f32_e32 vcc, v35, v33
	v_cmp_class_f32_e64 s[60:61], v35, s13
	s_or_b64 vcc, vcc, s[60:61]
	s_and_saveexec_b64 s[60:61], vcc
	s_cbranch_execz .LBB492_153
; %bb.152:
	v_sub_f32_e32 v34, v35, v33
	s_mov_b32 s13, 0x3fb8aa3b
	v_mul_f32_e32 v35, 0x3fb8aa3b, v34
	v_fma_f32 v165, v34, s13, -v35
	v_rndne_f32_e32 v166, v35
	v_fmac_f32_e32 v165, 0x32a5705f, v34
	v_sub_f32_e32 v35, v35, v166
	v_add_f32_e32 v35, v35, v165
	v_exp_f32_e32 v35, v35
	v_cvt_i32_f32_e32 v165, v166
	s_mov_b32 s13, 0xc2ce8ed0
	v_cmp_ngt_f32_e32 vcc, s13, v34
	s_mov_b32 s13, 0x42b17218
	v_ldexp_f32 v35, v35, v165
	v_cndmask_b32_e32 v35, 0, v35, vcc
	v_mov_b32_e32 v165, 0x7f800000
	v_cmp_nlt_f32_e32 vcc, s13, v34
	v_cndmask_b32_e32 v196, v165, v35, vcc
	v_add_f32_e32 v165, 1.0, v196
	v_add_f32_e32 v34, -1.0, v165
	v_sub_f32_e32 v35, v34, v165
	v_add_f32_e32 v35, 1.0, v35
	v_sub_f32_e32 v34, v196, v34
	v_add_f32_e32 v166, v34, v35
	v_frexp_mant_f32_e32 v167, v165
	s_mov_b32 s13, 0x3f2aaaab
	v_cvt_f64_f32_e32 v[34:35], v165
	v_frexp_exp_i32_f64_e32 v34, v[34:35]
	v_cmp_gt_f32_e32 vcc, s13, v167
	v_subbrev_co_u32_e32 v180, vcc, 0, v34, vcc
	v_sub_u32_e32 v34, 0, v180
	v_ldexp_f32 v35, v165, v34
	v_add_f32_e32 v165, -1.0, v35
	v_add_f32_e32 v167, 1.0, v35
	v_ldexp_f32 v34, v166, v34
	v_add_f32_e32 v166, 1.0, v165
	v_add_f32_e32 v176, -1.0, v167
	v_sub_f32_e32 v166, v35, v166
	v_sub_f32_e32 v35, v35, v176
	v_add_f32_e32 v166, v34, v166
	v_add_f32_e32 v34, v34, v35
	;; [unrolled: 1-line block ×3, first 2 shown]
	v_rcp_f32_e32 v183, v181
	v_sub_f32_e32 v35, v167, v181
	v_add_f32_e32 v182, v34, v35
	v_add_f32_e32 v35, v165, v166
	v_sub_f32_e32 v34, v165, v35
	v_mul_f32_e32 v192, v35, v183
	v_add_f32_e32 v165, v166, v34
	v_mul_f32_e32 v166, v181, v192
	v_fma_f32 v176, v192, v181, -v166
	v_fmac_f32_e32 v176, v192, v182
	v_add_f32_e32 v34, v166, v176
	v_sub_f32_e32 v167, v35, v34
	v_pk_add_f32 v[178:179], v[34:35], v[166:167] neg_lo:[0,1] neg_hi:[0,1]
	v_mov_b32_e32 v177, v34
	v_pk_add_f32 v[34:35], v[178:179], v[176:177] neg_lo:[0,1] neg_hi:[0,1]
	v_add_f32_e32 v35, v165, v35
	v_add_f32_e32 v34, v34, v35
	;; [unrolled: 1-line block ×3, first 2 shown]
	v_mul_f32_e32 v165, v183, v35
	v_mul_f32_e32 v166, v181, v165
	v_fma_f32 v176, v165, v181, -v166
	v_fmac_f32_e32 v176, v165, v182
	v_sub_f32_e32 v167, v167, v35
	v_add_f32_e32 v181, v34, v167
	v_add_f32_e32 v34, v166, v176
	v_sub_f32_e32 v167, v35, v34
	v_pk_add_f32 v[178:179], v[34:35], v[166:167] neg_lo:[0,1] neg_hi:[0,1]
	v_mov_b32_e32 v177, v34
	v_pk_add_f32 v[34:35], v[178:179], v[176:177] neg_lo:[0,1] neg_hi:[0,1]
	v_add_f32_e32 v35, v181, v35
	v_add_f32_e32 v34, v34, v35
	;; [unrolled: 1-line block ×4, first 2 shown]
	v_sub_f32_e32 v35, v167, v192
	v_mul_f32_e32 v34, v183, v34
	v_sub_f32_e32 v35, v165, v35
	v_add_f32_e32 v34, v35, v34
	v_add_f32_e32 v165, v167, v34
	v_mul_f32_e32 v176, v165, v165
	v_mov_b32_e32 v166, 0x3ecc95a3
	v_fmac_f32_e32 v166, 0x3e9b6dac, v176
	v_mov_b32_e32 v35, 0x3f2aaada
	v_fmac_f32_e32 v35, v176, v166
	v_cvt_f32_i32_e32 v166, v180
	v_sub_f32_e32 v167, v165, v167
	v_sub_f32_e32 v34, v34, v167
	v_ldexp_f32 v178, v34, 1
	v_mul_f32_e32 v167, v165, v176
	v_mov_b32_e32 v34, 0x3f317218
	s_mov_b32 s13, 0x3f317218
	v_pk_mul_f32 v[34:35], v[166:167], v[34:35]
	v_fma_f32 v176, v166, s13, -v34
	v_ldexp_f32 v177, v165, 1
	v_fmac_f32_e32 v176, 0xb102e308, v166
	v_pk_add_f32 v[166:167], v[34:35], v[176:177]
	v_sub_f32_e32 v165, v167, v177
	v_sub_f32_e32 v165, v35, v165
	v_add_f32_e32 v179, v178, v165
	v_mov_b32_e32 v178, v34
	v_pk_add_f32 v[34:35], v[166:167], v[34:35] neg_lo:[0,1] neg_hi:[0,1]
	v_pk_add_f32 v[180:181], v[166:167], v[178:179]
	v_mov_b32_e32 v35, v181
	v_mov_b32_e32 v177, v166
	v_pk_add_f32 v[182:183], v[176:177], v[34:35] neg_lo:[0,1] neg_hi:[0,1]
	v_pk_add_f32 v[34:35], v[176:177], v[34:35]
	v_mov_b32_e32 v176, v35
	v_pk_add_f32 v[192:193], v[176:177], v[166:167] neg_lo:[0,1] neg_hi:[0,1]
	v_mov_b32_e32 v165, v192
	v_pk_add_f32 v[194:195], v[180:181], v[164:165] neg_lo:[0,1] neg_hi:[0,1]
	v_mov_b32_e32 v34, v181
	v_mov_b32_e32 v180, v167
	;; [unrolled: 1-line block ×4, first 2 shown]
	v_pk_add_f32 v[34:35], v[34:35], v[180:181] neg_lo:[0,1] neg_hi:[0,1]
	v_mov_b32_e32 v178, v179
	v_mov_b32_e32 v179, v166
	v_pk_add_f32 v[34:35], v[178:179], v[34:35] neg_lo:[0,1] neg_hi:[0,1]
	v_mov_b32_e32 v194, v182
	v_pk_add_f32 v[166:167], v[194:195], v[34:35]
	v_mov_b32_e32 v178, v167
	v_pk_add_f32 v[178:179], v[166:167], v[178:179]
	v_pk_add_f32 v[176:177], v[176:177], v[178:179]
	v_mov_b32_e32 v167, v176
	v_pk_add_f32 v[180:181], v[166:167], v[182:183] neg_lo:[0,1] neg_hi:[0,1]
	v_mov_b32_e32 v35, v178
	v_sub_f32_e32 v165, v166, v180
	v_pk_add_f32 v[34:35], v[34:35], v[180:181] neg_lo:[0,1] neg_hi:[0,1]
	v_sub_f32_e32 v165, v182, v165
	s_mov_b32 s68, 0x7f800000
	v_add_f32_e32 v34, v34, v165
	s_mov_b32 s13, 0x33800000
	v_add_f32_e32 v34, v34, v35
	v_cmp_eq_f32_e32 vcc, s68, v196
	v_cmp_lt_f32_e64 s[68:69], |v196|, s13
	v_add_f32_e32 v34, v176, v34
	s_or_b64 vcc, vcc, s[68:69]
	v_cndmask_b32_e32 v34, v34, v196, vcc
	v_add_f32_e32 v34, v33, v34
.LBB492_153:
	s_or_b64 exec, exec, s[60:61]
	v_bfe_u32 v33, v34, 16, 1
	s_movk_i32 s13, 0x7fff
	v_add3_u32 v33, v34, v33, s13
	v_lshrrev_b32_e32 v33, 16, v33
	v_mov_b32_e32 v35, 0x7fc0
	v_cmp_o_f32_e32 vcc, v34, v34
	v_cndmask_b32_e32 v34, v35, v33, vcc
	v_and_b32_e32 v33, 0xffff, v34
.LBB492_154:
	s_or_b64 exec, exec, s[66:67]
	v_cmp_gt_u32_e32 vcc, 32, v146
	s_waitcnt lgkmcnt(0)
	v_cndmask_b32_e64 v35, 0, 1, vcc
	v_lshlrev_b32_e32 v35, 5, v35
	v_add_lshl_u32 v165, v35, v27, 2
	ds_bpermute_b32 v27, v165, v33
	v_add_u32_e32 v166, 32, v146
	v_cmp_le_u32_e32 vcc, v166, v32
	s_and_saveexec_b64 s[66:67], vcc
	s_cbranch_execz .LBB492_158
; %bb.155:
	s_waitcnt lgkmcnt(0)
	v_lshlrev_b32_e32 v32, 16, v27
	v_lshlrev_b32_e32 v27, 16, v33
	v_max_f32_e32 v34, v27, v27
	v_max_f32_e32 v35, v32, v32
	v_min_f32_e32 v33, v35, v34
	v_cmp_u_f32_e32 vcc, v32, v32
	v_max_f32_e32 v34, v35, v34
	v_cndmask_b32_e32 v33, v33, v32, vcc
	v_cmp_u_f32_e64 s[60:61], v27, v27
	v_cndmask_b32_e32 v34, v34, v32, vcc
	v_cndmask_b32_e64 v33, v33, v27, s[60:61]
	v_cndmask_b32_e64 v27, v34, v27, s[60:61]
	s_movk_i32 s13, 0x1f8
	v_cmp_neq_f32_e32 vcc, v33, v27
	v_cmp_class_f32_e64 s[60:61], v33, s13
	s_or_b64 vcc, vcc, s[60:61]
	s_and_saveexec_b64 s[60:61], vcc
	s_cbranch_execz .LBB492_157
; %bb.156:
	v_sub_f32_e32 v32, v33, v27
	s_mov_b32 s13, 0x3fb8aa3b
	v_mul_f32_e32 v33, 0x3fb8aa3b, v32
	v_fma_f32 v34, v32, s13, -v33
	v_rndne_f32_e32 v35, v33
	v_fmac_f32_e32 v34, 0x32a5705f, v32
	v_sub_f32_e32 v33, v33, v35
	v_add_f32_e32 v33, v33, v34
	v_exp_f32_e32 v33, v33
	v_cvt_i32_f32_e32 v34, v35
	s_mov_b32 s13, 0xc2ce8ed0
	v_cmp_ngt_f32_e32 vcc, s13, v32
	s_mov_b32 s13, 0x42b17218
	v_ldexp_f32 v33, v33, v34
	v_cndmask_b32_e32 v33, 0, v33, vcc
	v_mov_b32_e32 v34, 0x7f800000
	v_cmp_nlt_f32_e32 vcc, s13, v32
	v_cndmask_b32_e32 v196, v34, v33, vcc
	v_add_f32_e32 v34, 1.0, v196
	v_add_f32_e32 v32, -1.0, v34
	v_sub_f32_e32 v33, v32, v34
	v_add_f32_e32 v33, 1.0, v33
	v_sub_f32_e32 v32, v196, v32
	v_add_f32_e32 v35, v32, v33
	v_frexp_mant_f32_e32 v167, v34
	s_mov_b32 s13, 0x3f2aaaab
	v_cvt_f64_f32_e32 v[32:33], v34
	v_frexp_exp_i32_f64_e32 v32, v[32:33]
	v_cmp_gt_f32_e32 vcc, s13, v167
	v_subbrev_co_u32_e32 v167, vcc, 0, v32, vcc
	v_sub_u32_e32 v32, 0, v167
	v_ldexp_f32 v33, v34, v32
	v_add_f32_e32 v34, -1.0, v33
	v_add_f32_e32 v176, 1.0, v33
	v_ldexp_f32 v32, v35, v32
	v_add_f32_e32 v35, 1.0, v34
	v_add_f32_e32 v177, -1.0, v176
	v_sub_f32_e32 v35, v33, v35
	v_sub_f32_e32 v33, v33, v177
	v_add_f32_e32 v35, v32, v35
	v_add_f32_e32 v32, v32, v33
	;; [unrolled: 1-line block ×3, first 2 shown]
	v_rcp_f32_e32 v182, v180
	v_sub_f32_e32 v33, v176, v180
	v_add_f32_e32 v181, v32, v33
	v_add_f32_e32 v33, v34, v35
	v_mul_f32_e32 v192, v33, v182
	v_sub_f32_e32 v32, v34, v33
	v_mul_f32_e32 v34, v180, v192
	v_fma_f32 v176, v192, v180, -v34
	v_fmac_f32_e32 v176, v192, v181
	v_add_f32_e32 v183, v35, v32
	v_add_f32_e32 v32, v34, v176
	v_sub_f32_e32 v35, v33, v32
	v_pk_add_f32 v[178:179], v[32:33], v[34:35] neg_lo:[0,1] neg_hi:[0,1]
	v_mov_b32_e32 v177, v32
	v_pk_add_f32 v[32:33], v[178:179], v[176:177] neg_lo:[0,1] neg_hi:[0,1]
	v_add_f32_e32 v33, v183, v33
	v_add_f32_e32 v32, v32, v33
	;; [unrolled: 1-line block ×3, first 2 shown]
	v_mul_f32_e32 v183, v182, v33
	v_mul_f32_e32 v34, v180, v183
	v_fma_f32 v176, v183, v180, -v34
	v_fmac_f32_e32 v176, v183, v181
	v_sub_f32_e32 v35, v35, v33
	v_add_f32_e32 v180, v32, v35
	v_add_f32_e32 v32, v34, v176
	v_sub_f32_e32 v35, v33, v32
	v_pk_add_f32 v[178:179], v[32:33], v[34:35] neg_lo:[0,1] neg_hi:[0,1]
	v_mov_b32_e32 v177, v32
	v_pk_add_f32 v[32:33], v[178:179], v[176:177] neg_lo:[0,1] neg_hi:[0,1]
	v_add_f32_e32 v33, v180, v33
	v_add_f32_e32 v32, v32, v33
	;; [unrolled: 1-line block ×4, first 2 shown]
	v_sub_f32_e32 v33, v35, v192
	v_mul_f32_e32 v32, v182, v32
	v_sub_f32_e32 v33, v183, v33
	v_add_f32_e32 v32, v33, v32
	v_add_f32_e32 v176, v35, v32
	v_mul_f32_e32 v178, v176, v176
	v_mov_b32_e32 v34, 0x3ecc95a3
	v_fmac_f32_e32 v34, 0x3e9b6dac, v178
	v_mov_b32_e32 v33, 0x3f2aaada
	v_fmac_f32_e32 v33, v178, v34
	v_cvt_f32_i32_e32 v34, v167
	v_sub_f32_e32 v35, v176, v35
	v_sub_f32_e32 v32, v32, v35
	v_ldexp_f32 v167, v32, 1
	v_mul_f32_e32 v35, v176, v178
	v_mov_b32_e32 v32, 0x3f317218
	s_mov_b32 s13, 0x3f317218
	v_pk_mul_f32 v[32:33], v[34:35], v[32:33]
	v_ldexp_f32 v177, v176, 1
	v_fma_f32 v176, v34, s13, -v32
	v_fmac_f32_e32 v176, 0xb102e308, v34
	v_pk_add_f32 v[34:35], v[32:33], v[176:177]
	v_sub_f32_e32 v177, v35, v177
	v_sub_f32_e32 v177, v33, v177
	v_add_f32_e32 v179, v167, v177
	v_mov_b32_e32 v178, v32
	v_pk_add_f32 v[32:33], v[34:35], v[32:33] neg_lo:[0,1] neg_hi:[0,1]
	v_pk_add_f32 v[180:181], v[34:35], v[178:179]
	v_mov_b32_e32 v33, v181
	v_mov_b32_e32 v177, v34
	v_pk_add_f32 v[182:183], v[176:177], v[32:33] neg_lo:[0,1] neg_hi:[0,1]
	v_pk_add_f32 v[32:33], v[176:177], v[32:33]
	v_mov_b32_e32 v176, v33
	v_pk_add_f32 v[192:193], v[176:177], v[34:35] neg_lo:[0,1] neg_hi:[0,1]
	v_mov_b32_e32 v167, v192
	v_pk_add_f32 v[194:195], v[180:181], v[166:167] neg_lo:[0,1] neg_hi:[0,1]
	v_mov_b32_e32 v32, v181
	v_mov_b32_e32 v180, v35
	;; [unrolled: 1-line block ×4, first 2 shown]
	v_pk_add_f32 v[32:33], v[32:33], v[180:181] neg_lo:[0,1] neg_hi:[0,1]
	v_mov_b32_e32 v178, v179
	v_mov_b32_e32 v179, v34
	v_pk_add_f32 v[32:33], v[178:179], v[32:33] neg_lo:[0,1] neg_hi:[0,1]
	v_mov_b32_e32 v194, v182
	v_pk_add_f32 v[34:35], v[194:195], v[32:33]
	v_mov_b32_e32 v178, v35
	v_pk_add_f32 v[178:179], v[34:35], v[178:179]
	v_pk_add_f32 v[176:177], v[176:177], v[178:179]
	v_mov_b32_e32 v35, v176
	v_pk_add_f32 v[180:181], v[34:35], v[182:183] neg_lo:[0,1] neg_hi:[0,1]
	v_mov_b32_e32 v33, v178
	v_sub_f32_e32 v34, v34, v180
	v_pk_add_f32 v[32:33], v[32:33], v[180:181] neg_lo:[0,1] neg_hi:[0,1]
	v_sub_f32_e32 v34, v182, v34
	s_mov_b32 s68, 0x7f800000
	v_add_f32_e32 v32, v32, v34
	s_mov_b32 s13, 0x33800000
	v_add_f32_e32 v32, v32, v33
	v_cmp_eq_f32_e32 vcc, s68, v196
	v_cmp_lt_f32_e64 s[68:69], |v196|, s13
	v_add_f32_e32 v32, v176, v32
	s_or_b64 vcc, vcc, s[68:69]
	v_cndmask_b32_e32 v32, v32, v196, vcc
	v_add_f32_e32 v32, v27, v32
.LBB492_157:
	s_or_b64 exec, exec, s[60:61]
	v_bfe_u32 v27, v32, 16, 1
	s_movk_i32 s13, 0x7fff
	v_add3_u32 v27, v32, v27, s13
	v_lshrrev_b32_e32 v27, 16, v27
	v_mov_b32_e32 v33, 0x7fc0
	v_cmp_o_f32_e32 vcc, v32, v32
	v_cndmask_b32_e32 v34, v33, v27, vcc
.LBB492_158:
	s_or_b64 exec, exec, s[66:67]
	s_waitcnt lgkmcnt(0)
	v_mov_b32_e32 v27, 0
	s_movk_i32 s13, 0x1f8
	s_mov_b32 s68, 0x3fb8aa3b
	s_mov_b32 s69, 0xc2ce8ed0
	;; [unrolled: 1-line block ×5, first 2 shown]
	v_mov_b32_e32 v176, 0x3f2aaada
	s_mov_b32 s73, 0x3f317218
	s_mov_b32 s74, 0x33800000
	s_movk_i32 s75, 0x7fff
	v_mov_b32_e32 v177, 2
	v_mov_b32_e32 v178, 0x7f800000
	;; [unrolled: 1-line block ×4, first 2 shown]
	s_branch .LBB492_160
.LBB492_159:                            ;   in Loop: Header=BB492_160 Depth=1
                                        ; implicit-def: $vgpr34
                                        ; implicit-def: $vgpr148
	s_cbranch_execnz .LBB492_194
.LBB492_160:                            ; =>This Loop Header: Depth=1
                                        ;     Child Loop BB492_163 Depth 2
                                        ;       Child Loop BB492_164 Depth 3
	v_cmp_ne_u16_sdwa vcc, v148, v177 src0_sel:BYTE_0 src1_sel:DWORD
	v_cndmask_b32_e64 v33, 0, 1, vcc
	;;#ASMSTART
	;;#ASMEND
	v_cmp_ne_u32_e32 vcc, 0, v33
	s_cmp_lg_u64 vcc, exec
	v_mov_b32_e32 v167, v34
	s_cbranch_scc1 .LBB492_159
; %bb.161:                              ;   in Loop: Header=BB492_160 Depth=1
	v_lshlrev_b64 v[34:35], 2, v[26:27]
	v_add_co_u32_e32 v34, vcc, v24, v34
	v_addc_co_u32_e32 v35, vcc, v25, v35, vcc
	flat_load_dword v33, v[34:35] glc
	s_waitcnt vmcnt(0) lgkmcnt(0)
	v_lshrrev_b32_e32 v148, 16, v33
	v_cmp_eq_u16_sdwa s[60:61], v148, v27 src0_sel:BYTE_0 src1_sel:DWORD
	s_and_saveexec_b64 vcc, s[60:61]
	s_cbranch_execz .LBB492_167
; %bb.162:                              ;   in Loop: Header=BB492_160 Depth=1
	s_mov_b32 s66, 1
	s_mov_b64 s[60:61], 0
.LBB492_163:                            ;   Parent Loop BB492_160 Depth=1
                                        ; =>  This Loop Header: Depth=2
                                        ;       Child Loop BB492_164 Depth 3
	s_max_u32 s67, s66, 1
.LBB492_164:                            ;   Parent Loop BB492_160 Depth=1
                                        ;     Parent Loop BB492_163 Depth=2
                                        ; =>    This Inner Loop Header: Depth=3
	s_add_i32 s67, s67, -1
	s_cmp_eq_u32 s67, 0
	s_sleep 1
	s_cbranch_scc0 .LBB492_164
; %bb.165:                              ;   in Loop: Header=BB492_163 Depth=2
	flat_load_dword v33, v[34:35] glc
	s_cmp_lt_u32 s66, 32
	s_cselect_b64 s[76:77], -1, 0
	s_cmp_lg_u64 s[76:77], 0
	s_addc_u32 s66, s66, 0
	s_waitcnt vmcnt(0) lgkmcnt(0)
	v_lshrrev_b32_e32 v148, 16, v33
	v_cmp_ne_u16_sdwa s[76:77], v148, v27 src0_sel:BYTE_0 src1_sel:DWORD
	s_or_b64 s[60:61], s[76:77], s[60:61]
	s_andn2_b64 exec, exec, s[60:61]
	s_cbranch_execnz .LBB492_163
; %bb.166:                              ;   in Loop: Header=BB492_160 Depth=1
	s_or_b64 exec, exec, s[60:61]
.LBB492_167:                            ;   in Loop: Header=BB492_160 Depth=1
	s_or_b64 exec, exec, vcc
	v_cmp_eq_u16_sdwa vcc, v148, v177 src0_sel:BYTE_0 src1_sel:DWORD
	v_and_b32_e32 v34, vcc_hi, v31
	v_and_b32_e32 v35, 0xffff, v33
	v_or_b32_e32 v34, 0x80000000, v34
	ds_bpermute_b32 v180, v147, v35
	v_and_b32_e32 v181, vcc_lo, v30
	v_ffbl_b32_e32 v34, v34
	v_add_u32_e32 v34, 32, v34
	v_ffbl_b32_e32 v181, v181
	v_min_u32_e32 v34, v181, v34
	v_cmp_lt_u32_e32 vcc, v146, v34
	s_and_saveexec_b64 s[66:67], vcc
	s_cbranch_execz .LBB492_171
; %bb.168:                              ;   in Loop: Header=BB492_160 Depth=1
	s_waitcnt lgkmcnt(0)
	v_lshlrev_b32_e32 v33, 16, v180
	v_lshlrev_b32_e32 v35, 16, v35
	v_max_f32_e32 v181, v35, v35
	v_max_f32_e32 v182, v33, v33
	v_min_f32_e32 v180, v182, v181
	v_cmp_u_f32_e32 vcc, v33, v33
	v_max_f32_e32 v181, v182, v181
	v_cndmask_b32_e32 v180, v180, v33, vcc
	v_cmp_u_f32_e64 s[60:61], v35, v35
	v_cndmask_b32_e32 v181, v181, v33, vcc
	v_cndmask_b32_e64 v180, v180, v35, s[60:61]
	v_cndmask_b32_e64 v35, v181, v35, s[60:61]
	v_cmp_neq_f32_e32 vcc, v180, v35
	v_cmp_class_f32_e64 s[60:61], v180, s13
	s_or_b64 vcc, vcc, s[60:61]
	s_and_saveexec_b64 s[60:61], vcc
	s_cbranch_execz .LBB492_170
; %bb.169:                              ;   in Loop: Header=BB492_160 Depth=1
	v_sub_f32_e32 v33, v180, v35
	v_mul_f32_e32 v180, 0x3fb8aa3b, v33
	v_fma_f32 v181, v33, s68, -v180
	v_rndne_f32_e32 v182, v180
	v_fmac_f32_e32 v181, 0x32a5705f, v33
	v_sub_f32_e32 v180, v180, v182
	v_add_f32_e32 v180, v180, v181
	v_cvt_i32_f32_e32 v181, v182
	v_exp_f32_e32 v180, v180
	v_cmp_ngt_f32_e32 vcc, s69, v33
	v_ldexp_f32 v180, v180, v181
	v_cndmask_b32_e32 v180, 0, v180, vcc
	v_cmp_nlt_f32_e32 vcc, s70, v33
	v_cndmask_b32_e32 v212, v178, v180, vcc
	v_add_f32_e32 v33, 1.0, v212
	v_add_f32_e32 v180, -1.0, v33
	v_sub_f32_e32 v181, v180, v33
	v_add_f32_e32 v181, 1.0, v181
	v_sub_f32_e32 v180, v212, v180
	v_add_f32_e32 v182, v180, v181
	v_frexp_mant_f32_e32 v183, v33
	v_cvt_f64_f32_e32 v[180:181], v33
	v_frexp_exp_i32_f64_e32 v180, v[180:181]
	v_cmp_gt_f32_e32 vcc, s72, v183
	v_subbrev_co_u32_e32 v196, vcc, 0, v180, vcc
	v_sub_u32_e32 v180, 0, v196
	v_ldexp_f32 v33, v33, v180
	v_ldexp_f32 v180, v182, v180
	v_add_f32_e32 v182, -1.0, v33
	v_add_f32_e32 v181, 1.0, v182
	v_sub_f32_e32 v181, v33, v181
	v_add_f32_e32 v183, v180, v181
	v_add_f32_e32 v181, 1.0, v33
	v_add_f32_e32 v192, -1.0, v181
	v_sub_f32_e32 v33, v33, v192
	v_add_f32_e32 v33, v180, v33
	v_add_f32_e32 v197, v181, v33
	v_rcp_f32_e32 v198, v197
	v_sub_f32_e32 v180, v181, v197
	v_add_f32_e32 v181, v182, v183
	v_add_f32_e32 v33, v33, v180
	v_mul_f32_e32 v208, v181, v198
	v_sub_f32_e32 v180, v182, v181
	v_mul_f32_e32 v182, v197, v208
	v_fma_f32 v192, v208, v197, -v182
	v_fmac_f32_e32 v192, v208, v33
	v_add_f32_e32 v199, v183, v180
	v_add_f32_e32 v180, v182, v192
	v_sub_f32_e32 v183, v181, v180
	v_pk_add_f32 v[194:195], v[180:181], v[182:183] neg_lo:[0,1] neg_hi:[0,1]
	v_mov_b32_e32 v193, v180
	v_pk_add_f32 v[180:181], v[194:195], v[192:193] neg_lo:[0,1] neg_hi:[0,1]
	v_add_f32_e32 v181, v199, v181
	v_add_f32_e32 v180, v180, v181
	;; [unrolled: 1-line block ×3, first 2 shown]
	v_mul_f32_e32 v199, v198, v181
	v_mul_f32_e32 v182, v197, v199
	v_fma_f32 v192, v199, v197, -v182
	v_fmac_f32_e32 v192, v199, v33
	v_sub_f32_e32 v33, v183, v181
	v_add_f32_e32 v33, v180, v33
	v_add_f32_e32 v180, v182, v192
	v_sub_f32_e32 v183, v181, v180
	v_pk_add_f32 v[194:195], v[180:181], v[182:183] neg_lo:[0,1] neg_hi:[0,1]
	v_mov_b32_e32 v193, v180
	v_pk_add_f32 v[180:181], v[194:195], v[192:193] neg_lo:[0,1] neg_hi:[0,1]
	v_add_f32_e32 v33, v33, v181
	v_add_f32_e32 v33, v180, v33
	;; [unrolled: 1-line block ×4, first 2 shown]
	v_sub_f32_e32 v180, v181, v208
	v_mul_f32_e32 v33, v198, v33
	v_sub_f32_e32 v180, v199, v180
	v_add_f32_e32 v182, v180, v33
	v_add_f32_e32 v192, v181, v182
	v_cvt_f32_i32_e32 v180, v196
	v_mul_f32_e32 v193, v192, v192
	v_mov_b32_e32 v33, 0x3ecc95a3
	v_sub_f32_e32 v181, v192, v181
	v_fmac_f32_e32 v33, 0x3e9b6dac, v193
	v_sub_f32_e32 v181, v182, v181
	v_fma_f32 v33, v193, v33, v176
	v_ldexp_f32 v194, v181, 1
	v_mul_f32_e32 v181, v192, v193
	v_ldexp_f32 v183, v192, 1
	v_pk_mul_f32 v[192:193], v[180:181], v[32:33]
	v_fma_f32 v182, v180, s73, -v192
	v_fmac_f32_e32 v182, 0xb102e308, v180
	v_pk_add_f32 v[180:181], v[192:193], v[182:183]
	v_sub_f32_e32 v33, v181, v183
	v_sub_f32_e32 v33, v193, v33
	v_add_f32_e32 v195, v194, v33
	v_mov_b32_e32 v194, v192
	v_pk_add_f32 v[192:193], v[180:181], v[192:193] neg_lo:[0,1] neg_hi:[0,1]
	v_pk_add_f32 v[196:197], v[180:181], v[194:195]
	v_mov_b32_e32 v193, v197
	v_mov_b32_e32 v183, v180
	v_pk_add_f32 v[198:199], v[182:183], v[192:193] neg_lo:[0,1] neg_hi:[0,1]
	v_pk_add_f32 v[182:183], v[182:183], v[192:193]
	v_mov_b32_e32 v192, v183
	v_pk_add_f32 v[208:209], v[192:193], v[180:181] neg_lo:[0,1] neg_hi:[0,1]
	v_mov_b32_e32 v33, v208
	v_pk_add_f32 v[210:211], v[196:197], v[32:33] neg_lo:[0,1] neg_hi:[0,1]
	v_mov_b32_e32 v182, v197
	v_mov_b32_e32 v196, v181
	;; [unrolled: 1-line block ×4, first 2 shown]
	v_pk_add_f32 v[182:183], v[182:183], v[196:197] neg_lo:[0,1] neg_hi:[0,1]
	v_mov_b32_e32 v194, v195
	v_mov_b32_e32 v195, v180
	v_pk_add_f32 v[180:181], v[194:195], v[182:183] neg_lo:[0,1] neg_hi:[0,1]
	v_mov_b32_e32 v210, v198
	v_pk_add_f32 v[182:183], v[210:211], v[180:181]
	v_mov_b32_e32 v194, v183
	v_pk_add_f32 v[194:195], v[182:183], v[194:195]
	v_pk_add_f32 v[192:193], v[192:193], v[194:195]
	v_mov_b32_e32 v183, v192
	v_pk_add_f32 v[196:197], v[182:183], v[198:199] neg_lo:[0,1] neg_hi:[0,1]
	v_mov_b32_e32 v181, v194
	v_sub_f32_e32 v33, v182, v196
	v_pk_add_f32 v[180:181], v[180:181], v[196:197] neg_lo:[0,1] neg_hi:[0,1]
	v_sub_f32_e32 v33, v198, v33
	v_add_f32_e32 v33, v180, v33
	v_add_f32_e32 v33, v33, v181
	v_cmp_eq_f32_e32 vcc, s71, v212
	v_cmp_lt_f32_e64 s[76:77], |v212|, s74
	v_add_f32_e32 v33, v192, v33
	s_or_b64 vcc, vcc, s[76:77]
	v_cndmask_b32_e32 v33, v33, v212, vcc
	v_add_f32_e32 v33, v35, v33
.LBB492_170:                            ;   in Loop: Header=BB492_160 Depth=1
	s_or_b64 exec, exec, s[60:61]
	v_bfe_u32 v35, v33, 16, 1
	v_add3_u32 v35, v33, v35, s75
	v_lshrrev_b32_e32 v35, 16, v35
	v_cmp_o_f32_e32 vcc, v33, v33
	v_cndmask_b32_e32 v33, v179, v35, vcc
	v_and_b32_e32 v35, 0xffff, v33
.LBB492_171:                            ;   in Loop: Header=BB492_160 Depth=1
	s_or_b64 exec, exec, s[66:67]
	s_waitcnt lgkmcnt(0)
	ds_bpermute_b32 v180, v149, v35
	v_cmp_le_u32_e32 vcc, v150, v34
	s_and_saveexec_b64 s[66:67], vcc
	s_cbranch_execz .LBB492_175
; %bb.172:                              ;   in Loop: Header=BB492_160 Depth=1
	s_waitcnt lgkmcnt(0)
	v_lshlrev_b32_e32 v33, 16, v180
	v_lshlrev_b32_e32 v35, 16, v35
	v_max_f32_e32 v181, v35, v35
	v_max_f32_e32 v182, v33, v33
	v_min_f32_e32 v180, v182, v181
	v_cmp_u_f32_e32 vcc, v33, v33
	v_max_f32_e32 v181, v182, v181
	v_cndmask_b32_e32 v180, v180, v33, vcc
	v_cmp_u_f32_e64 s[60:61], v35, v35
	v_cndmask_b32_e32 v181, v181, v33, vcc
	v_cndmask_b32_e64 v180, v180, v35, s[60:61]
	v_cndmask_b32_e64 v35, v181, v35, s[60:61]
	v_cmp_neq_f32_e32 vcc, v180, v35
	v_cmp_class_f32_e64 s[60:61], v180, s13
	s_or_b64 vcc, vcc, s[60:61]
	s_and_saveexec_b64 s[60:61], vcc
	s_cbranch_execz .LBB492_174
; %bb.173:                              ;   in Loop: Header=BB492_160 Depth=1
	v_sub_f32_e32 v33, v180, v35
	v_mul_f32_e32 v180, 0x3fb8aa3b, v33
	v_fma_f32 v181, v33, s68, -v180
	v_rndne_f32_e32 v182, v180
	v_fmac_f32_e32 v181, 0x32a5705f, v33
	v_sub_f32_e32 v180, v180, v182
	v_add_f32_e32 v180, v180, v181
	v_cvt_i32_f32_e32 v181, v182
	v_exp_f32_e32 v180, v180
	v_cmp_ngt_f32_e32 vcc, s69, v33
	v_ldexp_f32 v180, v180, v181
	v_cndmask_b32_e32 v180, 0, v180, vcc
	v_cmp_nlt_f32_e32 vcc, s70, v33
	v_cndmask_b32_e32 v212, v178, v180, vcc
	v_add_f32_e32 v33, 1.0, v212
	v_add_f32_e32 v180, -1.0, v33
	v_sub_f32_e32 v181, v180, v33
	v_add_f32_e32 v181, 1.0, v181
	v_sub_f32_e32 v180, v212, v180
	v_add_f32_e32 v182, v180, v181
	v_frexp_mant_f32_e32 v183, v33
	v_cvt_f64_f32_e32 v[180:181], v33
	v_frexp_exp_i32_f64_e32 v180, v[180:181]
	v_cmp_gt_f32_e32 vcc, s72, v183
	v_subbrev_co_u32_e32 v196, vcc, 0, v180, vcc
	v_sub_u32_e32 v180, 0, v196
	v_ldexp_f32 v33, v33, v180
	v_ldexp_f32 v180, v182, v180
	v_add_f32_e32 v182, -1.0, v33
	v_add_f32_e32 v181, 1.0, v182
	v_sub_f32_e32 v181, v33, v181
	v_add_f32_e32 v183, v180, v181
	v_add_f32_e32 v181, 1.0, v33
	v_add_f32_e32 v192, -1.0, v181
	v_sub_f32_e32 v33, v33, v192
	v_add_f32_e32 v33, v180, v33
	v_add_f32_e32 v197, v181, v33
	v_rcp_f32_e32 v198, v197
	v_sub_f32_e32 v180, v181, v197
	v_add_f32_e32 v181, v182, v183
	v_add_f32_e32 v33, v33, v180
	v_mul_f32_e32 v208, v181, v198
	v_sub_f32_e32 v180, v182, v181
	v_mul_f32_e32 v182, v197, v208
	v_fma_f32 v192, v208, v197, -v182
	v_fmac_f32_e32 v192, v208, v33
	v_add_f32_e32 v199, v183, v180
	v_add_f32_e32 v180, v182, v192
	v_sub_f32_e32 v183, v181, v180
	v_pk_add_f32 v[194:195], v[180:181], v[182:183] neg_lo:[0,1] neg_hi:[0,1]
	v_mov_b32_e32 v193, v180
	v_pk_add_f32 v[180:181], v[194:195], v[192:193] neg_lo:[0,1] neg_hi:[0,1]
	v_add_f32_e32 v181, v199, v181
	v_add_f32_e32 v180, v180, v181
	;; [unrolled: 1-line block ×3, first 2 shown]
	v_mul_f32_e32 v199, v198, v181
	v_mul_f32_e32 v182, v197, v199
	v_fma_f32 v192, v199, v197, -v182
	v_fmac_f32_e32 v192, v199, v33
	v_sub_f32_e32 v33, v183, v181
	v_add_f32_e32 v33, v180, v33
	v_add_f32_e32 v180, v182, v192
	v_sub_f32_e32 v183, v181, v180
	v_pk_add_f32 v[194:195], v[180:181], v[182:183] neg_lo:[0,1] neg_hi:[0,1]
	v_mov_b32_e32 v193, v180
	v_pk_add_f32 v[180:181], v[194:195], v[192:193] neg_lo:[0,1] neg_hi:[0,1]
	v_add_f32_e32 v33, v33, v181
	v_add_f32_e32 v33, v180, v33
	;; [unrolled: 1-line block ×4, first 2 shown]
	v_sub_f32_e32 v180, v181, v208
	v_mul_f32_e32 v33, v198, v33
	v_sub_f32_e32 v180, v199, v180
	v_add_f32_e32 v182, v180, v33
	v_add_f32_e32 v192, v181, v182
	v_cvt_f32_i32_e32 v180, v196
	v_mul_f32_e32 v193, v192, v192
	v_mov_b32_e32 v33, 0x3ecc95a3
	v_sub_f32_e32 v181, v192, v181
	v_fmac_f32_e32 v33, 0x3e9b6dac, v193
	v_sub_f32_e32 v181, v182, v181
	v_fma_f32 v33, v193, v33, v176
	v_ldexp_f32 v194, v181, 1
	v_mul_f32_e32 v181, v192, v193
	v_ldexp_f32 v183, v192, 1
	v_pk_mul_f32 v[192:193], v[180:181], v[32:33]
	v_fma_f32 v182, v180, s73, -v192
	v_fmac_f32_e32 v182, 0xb102e308, v180
	v_pk_add_f32 v[180:181], v[192:193], v[182:183]
	v_sub_f32_e32 v33, v181, v183
	v_sub_f32_e32 v33, v193, v33
	v_add_f32_e32 v195, v194, v33
	v_mov_b32_e32 v194, v192
	v_pk_add_f32 v[192:193], v[180:181], v[192:193] neg_lo:[0,1] neg_hi:[0,1]
	v_pk_add_f32 v[196:197], v[180:181], v[194:195]
	v_mov_b32_e32 v193, v197
	v_mov_b32_e32 v183, v180
	v_pk_add_f32 v[198:199], v[182:183], v[192:193] neg_lo:[0,1] neg_hi:[0,1]
	v_pk_add_f32 v[182:183], v[182:183], v[192:193]
	v_mov_b32_e32 v192, v183
	v_pk_add_f32 v[208:209], v[192:193], v[180:181] neg_lo:[0,1] neg_hi:[0,1]
	v_mov_b32_e32 v33, v208
	v_pk_add_f32 v[210:211], v[196:197], v[32:33] neg_lo:[0,1] neg_hi:[0,1]
	v_mov_b32_e32 v182, v197
	v_mov_b32_e32 v196, v181
	;; [unrolled: 1-line block ×4, first 2 shown]
	v_pk_add_f32 v[182:183], v[182:183], v[196:197] neg_lo:[0,1] neg_hi:[0,1]
	v_mov_b32_e32 v194, v195
	v_mov_b32_e32 v195, v180
	v_pk_add_f32 v[180:181], v[194:195], v[182:183] neg_lo:[0,1] neg_hi:[0,1]
	v_mov_b32_e32 v210, v198
	v_pk_add_f32 v[182:183], v[210:211], v[180:181]
	v_mov_b32_e32 v194, v183
	v_pk_add_f32 v[194:195], v[182:183], v[194:195]
	v_pk_add_f32 v[192:193], v[192:193], v[194:195]
	v_mov_b32_e32 v183, v192
	v_pk_add_f32 v[196:197], v[182:183], v[198:199] neg_lo:[0,1] neg_hi:[0,1]
	v_mov_b32_e32 v181, v194
	v_sub_f32_e32 v33, v182, v196
	v_pk_add_f32 v[180:181], v[180:181], v[196:197] neg_lo:[0,1] neg_hi:[0,1]
	v_sub_f32_e32 v33, v198, v33
	v_add_f32_e32 v33, v180, v33
	v_add_f32_e32 v33, v33, v181
	v_cmp_eq_f32_e32 vcc, s71, v212
	v_cmp_lt_f32_e64 s[76:77], |v212|, s74
	v_add_f32_e32 v33, v192, v33
	s_or_b64 vcc, vcc, s[76:77]
	v_cndmask_b32_e32 v33, v33, v212, vcc
	v_add_f32_e32 v33, v35, v33
.LBB492_174:                            ;   in Loop: Header=BB492_160 Depth=1
	s_or_b64 exec, exec, s[60:61]
	v_bfe_u32 v35, v33, 16, 1
	v_add3_u32 v35, v33, v35, s75
	v_lshrrev_b32_e32 v35, 16, v35
	v_cmp_o_f32_e32 vcc, v33, v33
	v_cndmask_b32_e32 v33, v179, v35, vcc
	v_and_b32_e32 v35, 0xffff, v33
.LBB492_175:                            ;   in Loop: Header=BB492_160 Depth=1
	s_or_b64 exec, exec, s[66:67]
	s_waitcnt lgkmcnt(0)
	ds_bpermute_b32 v180, v151, v35
	v_cmp_le_u32_e32 vcc, v160, v34
	s_and_saveexec_b64 s[66:67], vcc
	s_cbranch_execz .LBB492_179
; %bb.176:                              ;   in Loop: Header=BB492_160 Depth=1
	s_waitcnt lgkmcnt(0)
	v_lshlrev_b32_e32 v33, 16, v180
	v_lshlrev_b32_e32 v35, 16, v35
	v_max_f32_e32 v181, v35, v35
	v_max_f32_e32 v182, v33, v33
	v_min_f32_e32 v180, v182, v181
	v_cmp_u_f32_e32 vcc, v33, v33
	v_max_f32_e32 v181, v182, v181
	v_cndmask_b32_e32 v180, v180, v33, vcc
	v_cmp_u_f32_e64 s[60:61], v35, v35
	v_cndmask_b32_e32 v181, v181, v33, vcc
	v_cndmask_b32_e64 v180, v180, v35, s[60:61]
	v_cndmask_b32_e64 v35, v181, v35, s[60:61]
	v_cmp_neq_f32_e32 vcc, v180, v35
	v_cmp_class_f32_e64 s[60:61], v180, s13
	s_or_b64 vcc, vcc, s[60:61]
	s_and_saveexec_b64 s[60:61], vcc
	s_cbranch_execz .LBB492_178
; %bb.177:                              ;   in Loop: Header=BB492_160 Depth=1
	v_sub_f32_e32 v33, v180, v35
	v_mul_f32_e32 v180, 0x3fb8aa3b, v33
	v_fma_f32 v181, v33, s68, -v180
	v_rndne_f32_e32 v182, v180
	v_fmac_f32_e32 v181, 0x32a5705f, v33
	v_sub_f32_e32 v180, v180, v182
	v_add_f32_e32 v180, v180, v181
	v_cvt_i32_f32_e32 v181, v182
	v_exp_f32_e32 v180, v180
	v_cmp_ngt_f32_e32 vcc, s69, v33
	v_ldexp_f32 v180, v180, v181
	v_cndmask_b32_e32 v180, 0, v180, vcc
	v_cmp_nlt_f32_e32 vcc, s70, v33
	v_cndmask_b32_e32 v212, v178, v180, vcc
	v_add_f32_e32 v33, 1.0, v212
	v_add_f32_e32 v180, -1.0, v33
	v_sub_f32_e32 v181, v180, v33
	v_add_f32_e32 v181, 1.0, v181
	v_sub_f32_e32 v180, v212, v180
	v_add_f32_e32 v182, v180, v181
	v_frexp_mant_f32_e32 v183, v33
	v_cvt_f64_f32_e32 v[180:181], v33
	v_frexp_exp_i32_f64_e32 v180, v[180:181]
	v_cmp_gt_f32_e32 vcc, s72, v183
	v_subbrev_co_u32_e32 v196, vcc, 0, v180, vcc
	v_sub_u32_e32 v180, 0, v196
	v_ldexp_f32 v33, v33, v180
	v_ldexp_f32 v180, v182, v180
	v_add_f32_e32 v182, -1.0, v33
	v_add_f32_e32 v181, 1.0, v182
	v_sub_f32_e32 v181, v33, v181
	v_add_f32_e32 v183, v180, v181
	v_add_f32_e32 v181, 1.0, v33
	v_add_f32_e32 v192, -1.0, v181
	v_sub_f32_e32 v33, v33, v192
	v_add_f32_e32 v33, v180, v33
	v_add_f32_e32 v197, v181, v33
	v_rcp_f32_e32 v198, v197
	v_sub_f32_e32 v180, v181, v197
	v_add_f32_e32 v181, v182, v183
	v_add_f32_e32 v33, v33, v180
	v_mul_f32_e32 v208, v181, v198
	v_sub_f32_e32 v180, v182, v181
	v_mul_f32_e32 v182, v197, v208
	v_fma_f32 v192, v208, v197, -v182
	v_fmac_f32_e32 v192, v208, v33
	v_add_f32_e32 v199, v183, v180
	v_add_f32_e32 v180, v182, v192
	v_sub_f32_e32 v183, v181, v180
	v_pk_add_f32 v[194:195], v[180:181], v[182:183] neg_lo:[0,1] neg_hi:[0,1]
	v_mov_b32_e32 v193, v180
	v_pk_add_f32 v[180:181], v[194:195], v[192:193] neg_lo:[0,1] neg_hi:[0,1]
	v_add_f32_e32 v181, v199, v181
	v_add_f32_e32 v180, v180, v181
	;; [unrolled: 1-line block ×3, first 2 shown]
	v_mul_f32_e32 v199, v198, v181
	v_mul_f32_e32 v182, v197, v199
	v_fma_f32 v192, v199, v197, -v182
	v_fmac_f32_e32 v192, v199, v33
	v_sub_f32_e32 v33, v183, v181
	v_add_f32_e32 v33, v180, v33
	v_add_f32_e32 v180, v182, v192
	v_sub_f32_e32 v183, v181, v180
	v_pk_add_f32 v[194:195], v[180:181], v[182:183] neg_lo:[0,1] neg_hi:[0,1]
	v_mov_b32_e32 v193, v180
	v_pk_add_f32 v[180:181], v[194:195], v[192:193] neg_lo:[0,1] neg_hi:[0,1]
	v_add_f32_e32 v33, v33, v181
	v_add_f32_e32 v33, v180, v33
	;; [unrolled: 1-line block ×4, first 2 shown]
	v_sub_f32_e32 v180, v181, v208
	v_mul_f32_e32 v33, v198, v33
	v_sub_f32_e32 v180, v199, v180
	v_add_f32_e32 v182, v180, v33
	v_add_f32_e32 v192, v181, v182
	v_cvt_f32_i32_e32 v180, v196
	v_mul_f32_e32 v193, v192, v192
	v_mov_b32_e32 v33, 0x3ecc95a3
	v_sub_f32_e32 v181, v192, v181
	v_fmac_f32_e32 v33, 0x3e9b6dac, v193
	v_sub_f32_e32 v181, v182, v181
	v_fma_f32 v33, v193, v33, v176
	v_ldexp_f32 v194, v181, 1
	v_mul_f32_e32 v181, v192, v193
	v_ldexp_f32 v183, v192, 1
	v_pk_mul_f32 v[192:193], v[180:181], v[32:33]
	v_fma_f32 v182, v180, s73, -v192
	v_fmac_f32_e32 v182, 0xb102e308, v180
	v_pk_add_f32 v[180:181], v[192:193], v[182:183]
	v_sub_f32_e32 v33, v181, v183
	v_sub_f32_e32 v33, v193, v33
	v_add_f32_e32 v195, v194, v33
	v_mov_b32_e32 v194, v192
	v_pk_add_f32 v[192:193], v[180:181], v[192:193] neg_lo:[0,1] neg_hi:[0,1]
	v_pk_add_f32 v[196:197], v[180:181], v[194:195]
	v_mov_b32_e32 v193, v197
	v_mov_b32_e32 v183, v180
	v_pk_add_f32 v[198:199], v[182:183], v[192:193] neg_lo:[0,1] neg_hi:[0,1]
	v_pk_add_f32 v[182:183], v[182:183], v[192:193]
	v_mov_b32_e32 v192, v183
	v_pk_add_f32 v[208:209], v[192:193], v[180:181] neg_lo:[0,1] neg_hi:[0,1]
	v_mov_b32_e32 v33, v208
	v_pk_add_f32 v[210:211], v[196:197], v[32:33] neg_lo:[0,1] neg_hi:[0,1]
	v_mov_b32_e32 v182, v197
	v_mov_b32_e32 v196, v181
	;; [unrolled: 1-line block ×4, first 2 shown]
	v_pk_add_f32 v[182:183], v[182:183], v[196:197] neg_lo:[0,1] neg_hi:[0,1]
	v_mov_b32_e32 v194, v195
	v_mov_b32_e32 v195, v180
	v_pk_add_f32 v[180:181], v[194:195], v[182:183] neg_lo:[0,1] neg_hi:[0,1]
	v_mov_b32_e32 v210, v198
	v_pk_add_f32 v[182:183], v[210:211], v[180:181]
	v_mov_b32_e32 v194, v183
	v_pk_add_f32 v[194:195], v[182:183], v[194:195]
	v_pk_add_f32 v[192:193], v[192:193], v[194:195]
	v_mov_b32_e32 v183, v192
	v_pk_add_f32 v[196:197], v[182:183], v[198:199] neg_lo:[0,1] neg_hi:[0,1]
	v_mov_b32_e32 v181, v194
	v_sub_f32_e32 v33, v182, v196
	v_pk_add_f32 v[180:181], v[180:181], v[196:197] neg_lo:[0,1] neg_hi:[0,1]
	v_sub_f32_e32 v33, v198, v33
	v_add_f32_e32 v33, v180, v33
	v_add_f32_e32 v33, v33, v181
	v_cmp_eq_f32_e32 vcc, s71, v212
	v_cmp_lt_f32_e64 s[76:77], |v212|, s74
	v_add_f32_e32 v33, v192, v33
	s_or_b64 vcc, vcc, s[76:77]
	v_cndmask_b32_e32 v33, v33, v212, vcc
	v_add_f32_e32 v33, v35, v33
.LBB492_178:                            ;   in Loop: Header=BB492_160 Depth=1
	s_or_b64 exec, exec, s[60:61]
	v_bfe_u32 v35, v33, 16, 1
	v_add3_u32 v35, v33, v35, s75
	v_lshrrev_b32_e32 v35, 16, v35
	v_cmp_o_f32_e32 vcc, v33, v33
	v_cndmask_b32_e32 v33, v179, v35, vcc
	v_and_b32_e32 v35, 0xffff, v33
.LBB492_179:                            ;   in Loop: Header=BB492_160 Depth=1
	s_or_b64 exec, exec, s[66:67]
	s_waitcnt lgkmcnt(0)
	ds_bpermute_b32 v180, v161, v35
	v_cmp_le_u32_e32 vcc, v162, v34
	s_and_saveexec_b64 s[66:67], vcc
	s_cbranch_execz .LBB492_183
; %bb.180:                              ;   in Loop: Header=BB492_160 Depth=1
	s_waitcnt lgkmcnt(0)
	v_lshlrev_b32_e32 v33, 16, v180
	v_lshlrev_b32_e32 v35, 16, v35
	v_max_f32_e32 v181, v35, v35
	v_max_f32_e32 v182, v33, v33
	v_min_f32_e32 v180, v182, v181
	v_cmp_u_f32_e32 vcc, v33, v33
	v_max_f32_e32 v181, v182, v181
	v_cndmask_b32_e32 v180, v180, v33, vcc
	v_cmp_u_f32_e64 s[60:61], v35, v35
	v_cndmask_b32_e32 v181, v181, v33, vcc
	v_cndmask_b32_e64 v180, v180, v35, s[60:61]
	v_cndmask_b32_e64 v35, v181, v35, s[60:61]
	v_cmp_neq_f32_e32 vcc, v180, v35
	v_cmp_class_f32_e64 s[60:61], v180, s13
	s_or_b64 vcc, vcc, s[60:61]
	s_and_saveexec_b64 s[60:61], vcc
	s_cbranch_execz .LBB492_182
; %bb.181:                              ;   in Loop: Header=BB492_160 Depth=1
	v_sub_f32_e32 v33, v180, v35
	v_mul_f32_e32 v180, 0x3fb8aa3b, v33
	v_fma_f32 v181, v33, s68, -v180
	v_rndne_f32_e32 v182, v180
	v_fmac_f32_e32 v181, 0x32a5705f, v33
	v_sub_f32_e32 v180, v180, v182
	v_add_f32_e32 v180, v180, v181
	v_cvt_i32_f32_e32 v181, v182
	v_exp_f32_e32 v180, v180
	v_cmp_ngt_f32_e32 vcc, s69, v33
	v_ldexp_f32 v180, v180, v181
	v_cndmask_b32_e32 v180, 0, v180, vcc
	v_cmp_nlt_f32_e32 vcc, s70, v33
	v_cndmask_b32_e32 v212, v178, v180, vcc
	v_add_f32_e32 v33, 1.0, v212
	v_add_f32_e32 v180, -1.0, v33
	v_sub_f32_e32 v181, v180, v33
	v_add_f32_e32 v181, 1.0, v181
	v_sub_f32_e32 v180, v212, v180
	v_add_f32_e32 v182, v180, v181
	v_frexp_mant_f32_e32 v183, v33
	v_cvt_f64_f32_e32 v[180:181], v33
	v_frexp_exp_i32_f64_e32 v180, v[180:181]
	v_cmp_gt_f32_e32 vcc, s72, v183
	v_subbrev_co_u32_e32 v196, vcc, 0, v180, vcc
	v_sub_u32_e32 v180, 0, v196
	v_ldexp_f32 v33, v33, v180
	v_ldexp_f32 v180, v182, v180
	v_add_f32_e32 v182, -1.0, v33
	v_add_f32_e32 v181, 1.0, v182
	v_sub_f32_e32 v181, v33, v181
	v_add_f32_e32 v183, v180, v181
	v_add_f32_e32 v181, 1.0, v33
	v_add_f32_e32 v192, -1.0, v181
	v_sub_f32_e32 v33, v33, v192
	v_add_f32_e32 v33, v180, v33
	v_add_f32_e32 v197, v181, v33
	v_rcp_f32_e32 v198, v197
	v_sub_f32_e32 v180, v181, v197
	v_add_f32_e32 v181, v182, v183
	v_add_f32_e32 v33, v33, v180
	v_mul_f32_e32 v208, v181, v198
	v_sub_f32_e32 v180, v182, v181
	v_mul_f32_e32 v182, v197, v208
	v_fma_f32 v192, v208, v197, -v182
	v_fmac_f32_e32 v192, v208, v33
	v_add_f32_e32 v199, v183, v180
	v_add_f32_e32 v180, v182, v192
	v_sub_f32_e32 v183, v181, v180
	v_pk_add_f32 v[194:195], v[180:181], v[182:183] neg_lo:[0,1] neg_hi:[0,1]
	v_mov_b32_e32 v193, v180
	v_pk_add_f32 v[180:181], v[194:195], v[192:193] neg_lo:[0,1] neg_hi:[0,1]
	v_add_f32_e32 v181, v199, v181
	v_add_f32_e32 v180, v180, v181
	;; [unrolled: 1-line block ×3, first 2 shown]
	v_mul_f32_e32 v199, v198, v181
	v_mul_f32_e32 v182, v197, v199
	v_fma_f32 v192, v199, v197, -v182
	v_fmac_f32_e32 v192, v199, v33
	v_sub_f32_e32 v33, v183, v181
	v_add_f32_e32 v33, v180, v33
	v_add_f32_e32 v180, v182, v192
	v_sub_f32_e32 v183, v181, v180
	v_pk_add_f32 v[194:195], v[180:181], v[182:183] neg_lo:[0,1] neg_hi:[0,1]
	v_mov_b32_e32 v193, v180
	v_pk_add_f32 v[180:181], v[194:195], v[192:193] neg_lo:[0,1] neg_hi:[0,1]
	v_add_f32_e32 v33, v33, v181
	v_add_f32_e32 v33, v180, v33
	;; [unrolled: 1-line block ×4, first 2 shown]
	v_sub_f32_e32 v180, v181, v208
	v_mul_f32_e32 v33, v198, v33
	v_sub_f32_e32 v180, v199, v180
	v_add_f32_e32 v182, v180, v33
	v_add_f32_e32 v192, v181, v182
	v_cvt_f32_i32_e32 v180, v196
	v_mul_f32_e32 v193, v192, v192
	v_mov_b32_e32 v33, 0x3ecc95a3
	v_sub_f32_e32 v181, v192, v181
	v_fmac_f32_e32 v33, 0x3e9b6dac, v193
	v_sub_f32_e32 v181, v182, v181
	v_fma_f32 v33, v193, v33, v176
	v_ldexp_f32 v194, v181, 1
	v_mul_f32_e32 v181, v192, v193
	v_ldexp_f32 v183, v192, 1
	v_pk_mul_f32 v[192:193], v[180:181], v[32:33]
	v_fma_f32 v182, v180, s73, -v192
	v_fmac_f32_e32 v182, 0xb102e308, v180
	v_pk_add_f32 v[180:181], v[192:193], v[182:183]
	v_sub_f32_e32 v33, v181, v183
	v_sub_f32_e32 v33, v193, v33
	v_add_f32_e32 v195, v194, v33
	v_mov_b32_e32 v194, v192
	v_pk_add_f32 v[192:193], v[180:181], v[192:193] neg_lo:[0,1] neg_hi:[0,1]
	v_pk_add_f32 v[196:197], v[180:181], v[194:195]
	v_mov_b32_e32 v193, v197
	v_mov_b32_e32 v183, v180
	v_pk_add_f32 v[198:199], v[182:183], v[192:193] neg_lo:[0,1] neg_hi:[0,1]
	v_pk_add_f32 v[182:183], v[182:183], v[192:193]
	v_mov_b32_e32 v192, v183
	v_pk_add_f32 v[208:209], v[192:193], v[180:181] neg_lo:[0,1] neg_hi:[0,1]
	v_mov_b32_e32 v33, v208
	v_pk_add_f32 v[210:211], v[196:197], v[32:33] neg_lo:[0,1] neg_hi:[0,1]
	v_mov_b32_e32 v182, v197
	v_mov_b32_e32 v196, v181
	;; [unrolled: 1-line block ×4, first 2 shown]
	v_pk_add_f32 v[182:183], v[182:183], v[196:197] neg_lo:[0,1] neg_hi:[0,1]
	v_mov_b32_e32 v194, v195
	v_mov_b32_e32 v195, v180
	v_pk_add_f32 v[180:181], v[194:195], v[182:183] neg_lo:[0,1] neg_hi:[0,1]
	v_mov_b32_e32 v210, v198
	v_pk_add_f32 v[182:183], v[210:211], v[180:181]
	v_mov_b32_e32 v194, v183
	v_pk_add_f32 v[194:195], v[182:183], v[194:195]
	v_pk_add_f32 v[192:193], v[192:193], v[194:195]
	v_mov_b32_e32 v183, v192
	v_pk_add_f32 v[196:197], v[182:183], v[198:199] neg_lo:[0,1] neg_hi:[0,1]
	v_mov_b32_e32 v181, v194
	v_sub_f32_e32 v33, v182, v196
	v_pk_add_f32 v[180:181], v[180:181], v[196:197] neg_lo:[0,1] neg_hi:[0,1]
	v_sub_f32_e32 v33, v198, v33
	v_add_f32_e32 v33, v180, v33
	v_add_f32_e32 v33, v33, v181
	v_cmp_eq_f32_e32 vcc, s71, v212
	v_cmp_lt_f32_e64 s[76:77], |v212|, s74
	v_add_f32_e32 v33, v192, v33
	s_or_b64 vcc, vcc, s[76:77]
	v_cndmask_b32_e32 v33, v33, v212, vcc
	v_add_f32_e32 v33, v35, v33
.LBB492_182:                            ;   in Loop: Header=BB492_160 Depth=1
	s_or_b64 exec, exec, s[60:61]
	v_bfe_u32 v35, v33, 16, 1
	v_add3_u32 v35, v33, v35, s75
	v_lshrrev_b32_e32 v35, 16, v35
	v_cmp_o_f32_e32 vcc, v33, v33
	v_cndmask_b32_e32 v33, v179, v35, vcc
	v_and_b32_e32 v35, 0xffff, v33
.LBB492_183:                            ;   in Loop: Header=BB492_160 Depth=1
	s_or_b64 exec, exec, s[66:67]
	s_waitcnt lgkmcnt(0)
	ds_bpermute_b32 v180, v163, v35
	v_cmp_le_u32_e32 vcc, v164, v34
	s_and_saveexec_b64 s[66:67], vcc
	s_cbranch_execz .LBB492_187
; %bb.184:                              ;   in Loop: Header=BB492_160 Depth=1
	s_waitcnt lgkmcnt(0)
	v_lshlrev_b32_e32 v33, 16, v180
	v_lshlrev_b32_e32 v35, 16, v35
	v_max_f32_e32 v181, v35, v35
	v_max_f32_e32 v182, v33, v33
	v_min_f32_e32 v180, v182, v181
	v_cmp_u_f32_e32 vcc, v33, v33
	v_max_f32_e32 v181, v182, v181
	v_cndmask_b32_e32 v180, v180, v33, vcc
	v_cmp_u_f32_e64 s[60:61], v35, v35
	v_cndmask_b32_e32 v181, v181, v33, vcc
	v_cndmask_b32_e64 v180, v180, v35, s[60:61]
	v_cndmask_b32_e64 v35, v181, v35, s[60:61]
	v_cmp_neq_f32_e32 vcc, v180, v35
	v_cmp_class_f32_e64 s[60:61], v180, s13
	s_or_b64 vcc, vcc, s[60:61]
	s_and_saveexec_b64 s[60:61], vcc
	s_cbranch_execz .LBB492_186
; %bb.185:                              ;   in Loop: Header=BB492_160 Depth=1
	v_sub_f32_e32 v33, v180, v35
	v_mul_f32_e32 v180, 0x3fb8aa3b, v33
	v_fma_f32 v181, v33, s68, -v180
	v_rndne_f32_e32 v182, v180
	v_fmac_f32_e32 v181, 0x32a5705f, v33
	v_sub_f32_e32 v180, v180, v182
	v_add_f32_e32 v180, v180, v181
	v_cvt_i32_f32_e32 v181, v182
	v_exp_f32_e32 v180, v180
	v_cmp_ngt_f32_e32 vcc, s69, v33
	v_ldexp_f32 v180, v180, v181
	v_cndmask_b32_e32 v180, 0, v180, vcc
	v_cmp_nlt_f32_e32 vcc, s70, v33
	v_cndmask_b32_e32 v212, v178, v180, vcc
	v_add_f32_e32 v33, 1.0, v212
	v_add_f32_e32 v180, -1.0, v33
	v_sub_f32_e32 v181, v180, v33
	v_add_f32_e32 v181, 1.0, v181
	v_sub_f32_e32 v180, v212, v180
	v_add_f32_e32 v182, v180, v181
	v_frexp_mant_f32_e32 v183, v33
	v_cvt_f64_f32_e32 v[180:181], v33
	v_frexp_exp_i32_f64_e32 v180, v[180:181]
	v_cmp_gt_f32_e32 vcc, s72, v183
	v_subbrev_co_u32_e32 v196, vcc, 0, v180, vcc
	v_sub_u32_e32 v180, 0, v196
	v_ldexp_f32 v33, v33, v180
	v_ldexp_f32 v180, v182, v180
	v_add_f32_e32 v182, -1.0, v33
	v_add_f32_e32 v181, 1.0, v182
	v_sub_f32_e32 v181, v33, v181
	v_add_f32_e32 v183, v180, v181
	v_add_f32_e32 v181, 1.0, v33
	v_add_f32_e32 v192, -1.0, v181
	v_sub_f32_e32 v33, v33, v192
	v_add_f32_e32 v33, v180, v33
	v_add_f32_e32 v197, v181, v33
	v_rcp_f32_e32 v198, v197
	v_sub_f32_e32 v180, v181, v197
	v_add_f32_e32 v181, v182, v183
	v_add_f32_e32 v33, v33, v180
	v_mul_f32_e32 v208, v181, v198
	v_sub_f32_e32 v180, v182, v181
	v_mul_f32_e32 v182, v197, v208
	v_fma_f32 v192, v208, v197, -v182
	v_fmac_f32_e32 v192, v208, v33
	v_add_f32_e32 v199, v183, v180
	v_add_f32_e32 v180, v182, v192
	v_sub_f32_e32 v183, v181, v180
	v_pk_add_f32 v[194:195], v[180:181], v[182:183] neg_lo:[0,1] neg_hi:[0,1]
	v_mov_b32_e32 v193, v180
	v_pk_add_f32 v[180:181], v[194:195], v[192:193] neg_lo:[0,1] neg_hi:[0,1]
	v_add_f32_e32 v181, v199, v181
	v_add_f32_e32 v180, v180, v181
	v_add_f32_e32 v181, v183, v180
	v_mul_f32_e32 v199, v198, v181
	v_mul_f32_e32 v182, v197, v199
	v_fma_f32 v192, v199, v197, -v182
	v_fmac_f32_e32 v192, v199, v33
	v_sub_f32_e32 v33, v183, v181
	v_add_f32_e32 v33, v180, v33
	v_add_f32_e32 v180, v182, v192
	v_sub_f32_e32 v183, v181, v180
	v_pk_add_f32 v[194:195], v[180:181], v[182:183] neg_lo:[0,1] neg_hi:[0,1]
	v_mov_b32_e32 v193, v180
	v_pk_add_f32 v[180:181], v[194:195], v[192:193] neg_lo:[0,1] neg_hi:[0,1]
	v_add_f32_e32 v33, v33, v181
	v_add_f32_e32 v33, v180, v33
	;; [unrolled: 1-line block ×4, first 2 shown]
	v_sub_f32_e32 v180, v181, v208
	v_mul_f32_e32 v33, v198, v33
	v_sub_f32_e32 v180, v199, v180
	v_add_f32_e32 v182, v180, v33
	v_add_f32_e32 v192, v181, v182
	v_cvt_f32_i32_e32 v180, v196
	v_mul_f32_e32 v193, v192, v192
	v_mov_b32_e32 v33, 0x3ecc95a3
	v_sub_f32_e32 v181, v192, v181
	v_fmac_f32_e32 v33, 0x3e9b6dac, v193
	v_sub_f32_e32 v181, v182, v181
	v_fma_f32 v33, v193, v33, v176
	v_ldexp_f32 v194, v181, 1
	v_mul_f32_e32 v181, v192, v193
	v_ldexp_f32 v183, v192, 1
	v_pk_mul_f32 v[192:193], v[180:181], v[32:33]
	v_fma_f32 v182, v180, s73, -v192
	v_fmac_f32_e32 v182, 0xb102e308, v180
	v_pk_add_f32 v[180:181], v[192:193], v[182:183]
	v_sub_f32_e32 v33, v181, v183
	v_sub_f32_e32 v33, v193, v33
	v_add_f32_e32 v195, v194, v33
	v_mov_b32_e32 v194, v192
	v_pk_add_f32 v[192:193], v[180:181], v[192:193] neg_lo:[0,1] neg_hi:[0,1]
	v_pk_add_f32 v[196:197], v[180:181], v[194:195]
	v_mov_b32_e32 v193, v197
	v_mov_b32_e32 v183, v180
	v_pk_add_f32 v[198:199], v[182:183], v[192:193] neg_lo:[0,1] neg_hi:[0,1]
	v_pk_add_f32 v[182:183], v[182:183], v[192:193]
	v_mov_b32_e32 v192, v183
	v_pk_add_f32 v[208:209], v[192:193], v[180:181] neg_lo:[0,1] neg_hi:[0,1]
	v_mov_b32_e32 v33, v208
	v_pk_add_f32 v[210:211], v[196:197], v[32:33] neg_lo:[0,1] neg_hi:[0,1]
	v_mov_b32_e32 v182, v197
	v_mov_b32_e32 v196, v181
	;; [unrolled: 1-line block ×4, first 2 shown]
	v_pk_add_f32 v[182:183], v[182:183], v[196:197] neg_lo:[0,1] neg_hi:[0,1]
	v_mov_b32_e32 v194, v195
	v_mov_b32_e32 v195, v180
	v_pk_add_f32 v[180:181], v[194:195], v[182:183] neg_lo:[0,1] neg_hi:[0,1]
	v_mov_b32_e32 v210, v198
	v_pk_add_f32 v[182:183], v[210:211], v[180:181]
	v_mov_b32_e32 v194, v183
	v_pk_add_f32 v[194:195], v[182:183], v[194:195]
	v_pk_add_f32 v[192:193], v[192:193], v[194:195]
	v_mov_b32_e32 v183, v192
	v_pk_add_f32 v[196:197], v[182:183], v[198:199] neg_lo:[0,1] neg_hi:[0,1]
	v_mov_b32_e32 v181, v194
	v_sub_f32_e32 v33, v182, v196
	v_pk_add_f32 v[180:181], v[180:181], v[196:197] neg_lo:[0,1] neg_hi:[0,1]
	v_sub_f32_e32 v33, v198, v33
	v_add_f32_e32 v33, v180, v33
	v_add_f32_e32 v33, v33, v181
	v_cmp_eq_f32_e32 vcc, s71, v212
	v_cmp_lt_f32_e64 s[76:77], |v212|, s74
	v_add_f32_e32 v33, v192, v33
	s_or_b64 vcc, vcc, s[76:77]
	v_cndmask_b32_e32 v33, v33, v212, vcc
	v_add_f32_e32 v33, v35, v33
.LBB492_186:                            ;   in Loop: Header=BB492_160 Depth=1
	s_or_b64 exec, exec, s[60:61]
	v_bfe_u32 v35, v33, 16, 1
	v_add3_u32 v35, v33, v35, s75
	v_lshrrev_b32_e32 v35, 16, v35
	v_cmp_o_f32_e32 vcc, v33, v33
	v_cndmask_b32_e32 v33, v179, v35, vcc
	v_and_b32_e32 v35, 0xffff, v33
.LBB492_187:                            ;   in Loop: Header=BB492_160 Depth=1
	s_or_b64 exec, exec, s[66:67]
	s_waitcnt lgkmcnt(0)
	ds_bpermute_b32 v180, v165, v35
	v_cmp_le_u32_e32 vcc, v166, v34
	s_and_saveexec_b64 s[66:67], vcc
	s_cbranch_execz .LBB492_191
; %bb.188:                              ;   in Loop: Header=BB492_160 Depth=1
	s_waitcnt lgkmcnt(0)
	v_lshlrev_b32_e32 v33, 16, v180
	v_lshlrev_b32_e32 v34, 16, v35
	v_max_f32_e32 v180, v34, v34
	v_max_f32_e32 v181, v33, v33
	v_min_f32_e32 v35, v181, v180
	v_cmp_u_f32_e32 vcc, v33, v33
	v_max_f32_e32 v180, v181, v180
	v_cndmask_b32_e32 v35, v35, v33, vcc
	v_cmp_u_f32_e64 s[60:61], v34, v34
	v_cndmask_b32_e32 v180, v180, v33, vcc
	v_cndmask_b32_e64 v35, v35, v34, s[60:61]
	v_cndmask_b32_e64 v34, v180, v34, s[60:61]
	v_cmp_neq_f32_e32 vcc, v35, v34
	v_cmp_class_f32_e64 s[60:61], v35, s13
	s_or_b64 vcc, vcc, s[60:61]
	s_and_saveexec_b64 s[60:61], vcc
	s_cbranch_execz .LBB492_190
; %bb.189:                              ;   in Loop: Header=BB492_160 Depth=1
	v_sub_f32_e32 v33, v35, v34
	v_mul_f32_e32 v35, 0x3fb8aa3b, v33
	v_fma_f32 v180, v33, s68, -v35
	v_rndne_f32_e32 v181, v35
	v_fmac_f32_e32 v180, 0x32a5705f, v33
	v_sub_f32_e32 v35, v35, v181
	v_add_f32_e32 v35, v35, v180
	v_cvt_i32_f32_e32 v180, v181
	v_exp_f32_e32 v35, v35
	v_cmp_ngt_f32_e32 vcc, s69, v33
	v_ldexp_f32 v35, v35, v180
	v_cndmask_b32_e32 v35, 0, v35, vcc
	v_cmp_nlt_f32_e32 vcc, s70, v33
	v_cndmask_b32_e32 v35, v178, v35, vcc
	v_add_f32_e32 v33, 1.0, v35
	v_add_f32_e32 v180, -1.0, v33
	v_sub_f32_e32 v181, v180, v33
	v_add_f32_e32 v181, 1.0, v181
	v_sub_f32_e32 v180, v35, v180
	v_add_f32_e32 v182, v180, v181
	v_frexp_mant_f32_e32 v183, v33
	v_cvt_f64_f32_e32 v[180:181], v33
	v_frexp_exp_i32_f64_e32 v180, v[180:181]
	v_cmp_gt_f32_e32 vcc, s72, v183
	v_subbrev_co_u32_e32 v196, vcc, 0, v180, vcc
	v_sub_u32_e32 v180, 0, v196
	v_ldexp_f32 v33, v33, v180
	v_ldexp_f32 v180, v182, v180
	v_add_f32_e32 v182, -1.0, v33
	v_add_f32_e32 v181, 1.0, v182
	v_sub_f32_e32 v181, v33, v181
	v_add_f32_e32 v183, v180, v181
	v_add_f32_e32 v181, 1.0, v33
	v_add_f32_e32 v192, -1.0, v181
	v_sub_f32_e32 v33, v33, v192
	v_add_f32_e32 v33, v180, v33
	v_add_f32_e32 v197, v181, v33
	v_rcp_f32_e32 v198, v197
	v_sub_f32_e32 v180, v181, v197
	v_add_f32_e32 v181, v182, v183
	v_add_f32_e32 v33, v33, v180
	v_mul_f32_e32 v208, v181, v198
	v_sub_f32_e32 v180, v182, v181
	v_mul_f32_e32 v182, v197, v208
	v_fma_f32 v192, v208, v197, -v182
	v_fmac_f32_e32 v192, v208, v33
	v_add_f32_e32 v199, v183, v180
	v_add_f32_e32 v180, v182, v192
	v_sub_f32_e32 v183, v181, v180
	v_pk_add_f32 v[194:195], v[180:181], v[182:183] neg_lo:[0,1] neg_hi:[0,1]
	v_mov_b32_e32 v193, v180
	v_pk_add_f32 v[180:181], v[194:195], v[192:193] neg_lo:[0,1] neg_hi:[0,1]
	v_add_f32_e32 v181, v199, v181
	v_add_f32_e32 v180, v180, v181
	;; [unrolled: 1-line block ×3, first 2 shown]
	v_mul_f32_e32 v199, v198, v181
	v_mul_f32_e32 v182, v197, v199
	v_fma_f32 v192, v199, v197, -v182
	v_fmac_f32_e32 v192, v199, v33
	v_sub_f32_e32 v33, v183, v181
	v_add_f32_e32 v33, v180, v33
	v_add_f32_e32 v180, v182, v192
	v_sub_f32_e32 v183, v181, v180
	v_pk_add_f32 v[194:195], v[180:181], v[182:183] neg_lo:[0,1] neg_hi:[0,1]
	v_mov_b32_e32 v193, v180
	v_pk_add_f32 v[180:181], v[194:195], v[192:193] neg_lo:[0,1] neg_hi:[0,1]
	v_add_f32_e32 v33, v33, v181
	v_add_f32_e32 v33, v180, v33
	;; [unrolled: 1-line block ×4, first 2 shown]
	v_sub_f32_e32 v180, v181, v208
	v_mul_f32_e32 v33, v198, v33
	v_sub_f32_e32 v180, v199, v180
	v_add_f32_e32 v182, v180, v33
	v_add_f32_e32 v192, v181, v182
	v_cvt_f32_i32_e32 v180, v196
	v_mul_f32_e32 v193, v192, v192
	v_mov_b32_e32 v33, 0x3ecc95a3
	v_sub_f32_e32 v181, v192, v181
	v_fmac_f32_e32 v33, 0x3e9b6dac, v193
	v_sub_f32_e32 v181, v182, v181
	v_fma_f32 v33, v193, v33, v176
	v_ldexp_f32 v194, v181, 1
	v_mul_f32_e32 v181, v192, v193
	v_ldexp_f32 v183, v192, 1
	v_pk_mul_f32 v[192:193], v[180:181], v[32:33]
	v_fma_f32 v182, v180, s73, -v192
	v_fmac_f32_e32 v182, 0xb102e308, v180
	v_pk_add_f32 v[180:181], v[192:193], v[182:183]
	v_sub_f32_e32 v33, v181, v183
	v_sub_f32_e32 v33, v193, v33
	v_add_f32_e32 v195, v194, v33
	v_mov_b32_e32 v194, v192
	v_pk_add_f32 v[192:193], v[180:181], v[192:193] neg_lo:[0,1] neg_hi:[0,1]
	v_pk_add_f32 v[196:197], v[180:181], v[194:195]
	v_mov_b32_e32 v193, v197
	v_mov_b32_e32 v183, v180
	v_pk_add_f32 v[198:199], v[182:183], v[192:193] neg_lo:[0,1] neg_hi:[0,1]
	v_pk_add_f32 v[182:183], v[182:183], v[192:193]
	v_mov_b32_e32 v192, v183
	v_pk_add_f32 v[208:209], v[192:193], v[180:181] neg_lo:[0,1] neg_hi:[0,1]
	v_mov_b32_e32 v33, v208
	v_pk_add_f32 v[210:211], v[196:197], v[32:33] neg_lo:[0,1] neg_hi:[0,1]
	v_mov_b32_e32 v182, v197
	v_mov_b32_e32 v196, v181
	;; [unrolled: 1-line block ×4, first 2 shown]
	v_pk_add_f32 v[182:183], v[182:183], v[196:197] neg_lo:[0,1] neg_hi:[0,1]
	v_mov_b32_e32 v194, v195
	v_mov_b32_e32 v195, v180
	v_pk_add_f32 v[180:181], v[194:195], v[182:183] neg_lo:[0,1] neg_hi:[0,1]
	v_mov_b32_e32 v210, v198
	v_pk_add_f32 v[182:183], v[210:211], v[180:181]
	v_mov_b32_e32 v194, v183
	v_pk_add_f32 v[194:195], v[182:183], v[194:195]
	v_pk_add_f32 v[192:193], v[192:193], v[194:195]
	v_mov_b32_e32 v183, v192
	v_pk_add_f32 v[196:197], v[182:183], v[198:199] neg_lo:[0,1] neg_hi:[0,1]
	v_mov_b32_e32 v181, v194
	v_sub_f32_e32 v33, v182, v196
	v_pk_add_f32 v[180:181], v[180:181], v[196:197] neg_lo:[0,1] neg_hi:[0,1]
	v_sub_f32_e32 v33, v198, v33
	v_add_f32_e32 v33, v180, v33
	v_add_f32_e32 v33, v33, v181
	v_cmp_eq_f32_e32 vcc, s71, v35
	v_cmp_lt_f32_e64 s[76:77], |v35|, s74
	v_add_f32_e32 v33, v192, v33
	s_or_b64 vcc, vcc, s[76:77]
	v_cndmask_b32_e32 v33, v33, v35, vcc
	v_add_f32_e32 v33, v34, v33
.LBB492_190:                            ;   in Loop: Header=BB492_160 Depth=1
	s_or_b64 exec, exec, s[60:61]
	v_bfe_u32 v34, v33, 16, 1
	v_add3_u32 v34, v33, v34, s75
	v_lshrrev_b32_e32 v34, 16, v34
	v_cmp_o_f32_e32 vcc, v33, v33
	v_cndmask_b32_e32 v33, v179, v34, vcc
.LBB492_191:                            ;   in Loop: Header=BB492_160 Depth=1
	s_or_b64 exec, exec, s[66:67]
	v_lshlrev_b32_e32 v33, 16, v33
	v_lshlrev_b32_e32 v34, 16, v167
	s_waitcnt lgkmcnt(0)
	v_max_f32_e32 v180, v34, v34
	v_max_f32_e32 v181, v33, v33
	v_min_f32_e32 v35, v181, v180
	v_cmp_u_f32_e32 vcc, v33, v33
	v_max_f32_e32 v180, v181, v180
	v_cndmask_b32_e32 v35, v35, v33, vcc
	v_cmp_u_f32_e64 s[60:61], v34, v34
	v_cndmask_b32_e32 v180, v180, v33, vcc
	v_cndmask_b32_e64 v35, v35, v34, s[60:61]
	v_cndmask_b32_e64 v34, v180, v34, s[60:61]
	v_cmp_neq_f32_e32 vcc, v35, v34
	v_cmp_class_f32_e64 s[60:61], v35, s13
	s_or_b64 vcc, vcc, s[60:61]
	s_and_saveexec_b64 s[60:61], vcc
	s_cbranch_execz .LBB492_193
; %bb.192:                              ;   in Loop: Header=BB492_160 Depth=1
	v_sub_f32_e32 v33, v35, v34
	v_mul_f32_e32 v35, 0x3fb8aa3b, v33
	v_fma_f32 v180, v33, s68, -v35
	v_rndne_f32_e32 v181, v35
	v_fmac_f32_e32 v180, 0x32a5705f, v33
	v_sub_f32_e32 v35, v35, v181
	v_add_f32_e32 v35, v35, v180
	v_cvt_i32_f32_e32 v180, v181
	v_exp_f32_e32 v35, v35
	v_cmp_ngt_f32_e32 vcc, s69, v33
	v_ldexp_f32 v35, v35, v180
	v_cndmask_b32_e32 v35, 0, v35, vcc
	v_cmp_nlt_f32_e32 vcc, s70, v33
	v_cndmask_b32_e32 v35, v178, v35, vcc
	v_add_f32_e32 v33, 1.0, v35
	v_add_f32_e32 v180, -1.0, v33
	v_sub_f32_e32 v181, v180, v33
	v_add_f32_e32 v181, 1.0, v181
	v_sub_f32_e32 v180, v35, v180
	v_add_f32_e32 v182, v180, v181
	v_frexp_mant_f32_e32 v183, v33
	v_cvt_f64_f32_e32 v[180:181], v33
	v_frexp_exp_i32_f64_e32 v180, v[180:181]
	v_cmp_gt_f32_e32 vcc, s72, v183
	v_subbrev_co_u32_e32 v196, vcc, 0, v180, vcc
	v_sub_u32_e32 v180, 0, v196
	v_ldexp_f32 v33, v33, v180
	v_ldexp_f32 v180, v182, v180
	v_add_f32_e32 v182, -1.0, v33
	v_add_f32_e32 v181, 1.0, v182
	v_sub_f32_e32 v181, v33, v181
	v_add_f32_e32 v183, v180, v181
	v_add_f32_e32 v181, 1.0, v33
	v_add_f32_e32 v192, -1.0, v181
	v_sub_f32_e32 v33, v33, v192
	v_add_f32_e32 v33, v180, v33
	v_add_f32_e32 v197, v181, v33
	v_rcp_f32_e32 v198, v197
	v_sub_f32_e32 v180, v181, v197
	v_add_f32_e32 v181, v182, v183
	v_add_f32_e32 v33, v33, v180
	v_mul_f32_e32 v208, v181, v198
	v_sub_f32_e32 v180, v182, v181
	v_mul_f32_e32 v182, v197, v208
	v_fma_f32 v192, v208, v197, -v182
	v_fmac_f32_e32 v192, v208, v33
	v_add_f32_e32 v199, v183, v180
	v_add_f32_e32 v180, v182, v192
	v_sub_f32_e32 v183, v181, v180
	v_pk_add_f32 v[194:195], v[180:181], v[182:183] neg_lo:[0,1] neg_hi:[0,1]
	v_mov_b32_e32 v193, v180
	v_pk_add_f32 v[180:181], v[194:195], v[192:193] neg_lo:[0,1] neg_hi:[0,1]
	v_add_f32_e32 v181, v199, v181
	v_add_f32_e32 v180, v180, v181
	;; [unrolled: 1-line block ×3, first 2 shown]
	v_mul_f32_e32 v199, v198, v181
	v_mul_f32_e32 v182, v197, v199
	v_fma_f32 v192, v199, v197, -v182
	v_fmac_f32_e32 v192, v199, v33
	v_sub_f32_e32 v33, v183, v181
	v_add_f32_e32 v33, v180, v33
	v_add_f32_e32 v180, v182, v192
	v_sub_f32_e32 v183, v181, v180
	v_pk_add_f32 v[194:195], v[180:181], v[182:183] neg_lo:[0,1] neg_hi:[0,1]
	v_mov_b32_e32 v193, v180
	v_pk_add_f32 v[180:181], v[194:195], v[192:193] neg_lo:[0,1] neg_hi:[0,1]
	v_add_f32_e32 v33, v33, v181
	v_add_f32_e32 v33, v180, v33
	;; [unrolled: 1-line block ×4, first 2 shown]
	v_sub_f32_e32 v180, v181, v208
	v_mul_f32_e32 v33, v198, v33
	v_sub_f32_e32 v180, v199, v180
	v_add_f32_e32 v182, v180, v33
	v_add_f32_e32 v192, v181, v182
	v_cvt_f32_i32_e32 v180, v196
	v_mul_f32_e32 v193, v192, v192
	v_mov_b32_e32 v33, 0x3ecc95a3
	v_sub_f32_e32 v181, v192, v181
	v_fmac_f32_e32 v33, 0x3e9b6dac, v193
	v_sub_f32_e32 v181, v182, v181
	v_fma_f32 v33, v193, v33, v176
	v_ldexp_f32 v194, v181, 1
	v_mul_f32_e32 v181, v192, v193
	v_ldexp_f32 v183, v192, 1
	v_pk_mul_f32 v[192:193], v[180:181], v[32:33]
	v_fma_f32 v182, v180, s73, -v192
	v_fmac_f32_e32 v182, 0xb102e308, v180
	v_pk_add_f32 v[180:181], v[192:193], v[182:183]
	v_sub_f32_e32 v33, v181, v183
	v_sub_f32_e32 v33, v193, v33
	v_add_f32_e32 v195, v194, v33
	v_mov_b32_e32 v194, v192
	v_pk_add_f32 v[192:193], v[180:181], v[192:193] neg_lo:[0,1] neg_hi:[0,1]
	v_pk_add_f32 v[196:197], v[180:181], v[194:195]
	v_mov_b32_e32 v193, v197
	v_mov_b32_e32 v183, v180
	v_pk_add_f32 v[198:199], v[182:183], v[192:193] neg_lo:[0,1] neg_hi:[0,1]
	v_pk_add_f32 v[182:183], v[182:183], v[192:193]
	v_mov_b32_e32 v192, v183
	v_pk_add_f32 v[208:209], v[192:193], v[180:181] neg_lo:[0,1] neg_hi:[0,1]
	v_mov_b32_e32 v33, v208
	v_pk_add_f32 v[210:211], v[196:197], v[32:33] neg_lo:[0,1] neg_hi:[0,1]
	v_mov_b32_e32 v182, v197
	v_mov_b32_e32 v196, v181
	;; [unrolled: 1-line block ×4, first 2 shown]
	v_pk_add_f32 v[182:183], v[182:183], v[196:197] neg_lo:[0,1] neg_hi:[0,1]
	v_mov_b32_e32 v194, v195
	v_mov_b32_e32 v195, v180
	v_pk_add_f32 v[180:181], v[194:195], v[182:183] neg_lo:[0,1] neg_hi:[0,1]
	v_mov_b32_e32 v210, v198
	v_pk_add_f32 v[182:183], v[210:211], v[180:181]
	v_mov_b32_e32 v194, v183
	v_pk_add_f32 v[194:195], v[182:183], v[194:195]
	v_pk_add_f32 v[192:193], v[192:193], v[194:195]
	v_mov_b32_e32 v183, v192
	v_pk_add_f32 v[196:197], v[182:183], v[198:199] neg_lo:[0,1] neg_hi:[0,1]
	v_mov_b32_e32 v181, v194
	v_sub_f32_e32 v33, v182, v196
	v_pk_add_f32 v[180:181], v[180:181], v[196:197] neg_lo:[0,1] neg_hi:[0,1]
	v_sub_f32_e32 v33, v198, v33
	v_add_f32_e32 v33, v180, v33
	v_add_f32_e32 v33, v33, v181
	v_cmp_eq_f32_e32 vcc, s71, v35
	v_cmp_lt_f32_e64 s[66:67], |v35|, s74
	v_add_f32_e32 v33, v192, v33
	s_or_b64 vcc, vcc, s[66:67]
	v_cndmask_b32_e32 v33, v33, v35, vcc
	v_add_f32_e32 v33, v34, v33
.LBB492_193:                            ;   in Loop: Header=BB492_160 Depth=1
	s_or_b64 exec, exec, s[60:61]
	v_bfe_u32 v34, v33, 16, 1
	v_add3_u32 v34, v33, v34, s75
	v_lshrrev_b32_e32 v34, 16, v34
	v_cmp_o_f32_e32 vcc, v33, v33
	v_subrev_u32_e32 v26, 64, v26
	v_cndmask_b32_e32 v34, v179, v34, vcc
	s_branch .LBB492_160
.LBB492_194:
	s_and_saveexec_b64 s[60:61], s[56:57]
	s_cbranch_execz .LBB492_198
; %bb.195:
	v_lshlrev_b32_e32 v27, 16, v167
	v_lshlrev_b32_e32 v26, 16, v145
	v_max_f32_e32 v31, v26, v26
	v_max_f32_e32 v32, v27, v27
	v_min_f32_e32 v30, v32, v31
	v_cmp_u_f32_e32 vcc, v27, v27
	v_max_f32_e32 v31, v32, v31
	v_cndmask_b32_e32 v30, v30, v27, vcc
	v_cmp_u_f32_e64 s[56:57], v26, v26
	v_cndmask_b32_e32 v31, v31, v27, vcc
	v_cndmask_b32_e64 v30, v30, v26, s[56:57]
	v_cndmask_b32_e64 v26, v31, v26, s[56:57]
	s_movk_i32 s13, 0x1f8
	v_cmp_neq_f32_e32 vcc, v30, v26
	v_cmp_class_f32_e64 s[56:57], v30, s13
	s_or_b64 vcc, vcc, s[56:57]
	s_and_saveexec_b64 s[56:57], vcc
	s_cbranch_execz .LBB492_197
; %bb.196:
	v_sub_f32_e32 v27, v30, v26
	s_mov_b32 s13, 0x3fb8aa3b
	v_mul_f32_e32 v30, 0x3fb8aa3b, v27
	v_fma_f32 v31, v27, s13, -v30
	v_rndne_f32_e32 v32, v30
	v_fmac_f32_e32 v31, 0x32a5705f, v27
	v_sub_f32_e32 v30, v30, v32
	v_add_f32_e32 v30, v30, v31
	v_exp_f32_e32 v30, v30
	v_cvt_i32_f32_e32 v31, v32
	s_mov_b32 s13, 0xc2ce8ed0
	v_cmp_ngt_f32_e32 vcc, s13, v27
	s_mov_b32 s13, 0x42b17218
	v_ldexp_f32 v30, v30, v31
	v_cndmask_b32_e32 v30, 0, v30, vcc
	v_mov_b32_e32 v31, 0x7f800000
	v_cmp_nlt_f32_e32 vcc, s13, v27
	v_cndmask_b32_e32 v145, v31, v30, vcc
	v_add_f32_e32 v27, 1.0, v145
	v_add_f32_e32 v30, -1.0, v27
	v_sub_f32_e32 v31, v30, v27
	v_add_f32_e32 v31, 1.0, v31
	v_sub_f32_e32 v30, v145, v30
	v_add_f32_e32 v32, v30, v31
	v_frexp_mant_f32_e32 v33, v27
	s_mov_b32 s13, 0x3f2aaaab
	v_cvt_f64_f32_e32 v[30:31], v27
	v_frexp_exp_i32_f64_e32 v30, v[30:31]
	v_cmp_gt_f32_e32 vcc, s13, v33
	v_subbrev_co_u32_e32 v148, vcc, 0, v30, vcc
	v_sub_u32_e32 v30, 0, v148
	v_ldexp_f32 v27, v27, v30
	v_ldexp_f32 v30, v32, v30
	v_add_f32_e32 v32, -1.0, v27
	v_add_f32_e32 v31, 1.0, v32
	v_sub_f32_e32 v31, v27, v31
	v_add_f32_e32 v33, v30, v31
	v_add_f32_e32 v31, 1.0, v27
	v_add_f32_e32 v34, -1.0, v31
	v_sub_f32_e32 v27, v27, v34
	v_add_f32_e32 v27, v30, v27
	v_add_f32_e32 v149, v31, v27
	v_rcp_f32_e32 v150, v149
	v_sub_f32_e32 v30, v31, v149
	v_add_f32_e32 v31, v32, v33
	v_add_f32_e32 v27, v27, v30
	v_mul_f32_e32 v160, v31, v150
	v_sub_f32_e32 v30, v32, v31
	v_mul_f32_e32 v32, v149, v160
	v_fma_f32 v34, v160, v149, -v32
	v_fmac_f32_e32 v34, v160, v27
	v_add_f32_e32 v151, v33, v30
	v_add_f32_e32 v30, v32, v34
	v_sub_f32_e32 v33, v31, v30
	v_pk_add_f32 v[146:147], v[30:31], v[32:33] neg_lo:[0,1] neg_hi:[0,1]
	v_mov_b32_e32 v35, v30
	v_pk_add_f32 v[30:31], v[146:147], v[34:35] neg_lo:[0,1] neg_hi:[0,1]
	v_add_f32_e32 v31, v151, v31
	v_add_f32_e32 v30, v30, v31
	;; [unrolled: 1-line block ×3, first 2 shown]
	v_mul_f32_e32 v151, v150, v31
	v_mul_f32_e32 v32, v149, v151
	v_fma_f32 v34, v151, v149, -v32
	v_fmac_f32_e32 v34, v151, v27
	v_sub_f32_e32 v27, v33, v31
	v_add_f32_e32 v27, v30, v27
	v_add_f32_e32 v30, v32, v34
	v_sub_f32_e32 v33, v31, v30
	v_pk_add_f32 v[146:147], v[30:31], v[32:33] neg_lo:[0,1] neg_hi:[0,1]
	v_mov_b32_e32 v35, v30
	v_pk_add_f32 v[30:31], v[146:147], v[34:35] neg_lo:[0,1] neg_hi:[0,1]
	v_add_f32_e32 v27, v27, v31
	v_add_f32_e32 v27, v30, v27
	;; [unrolled: 1-line block ×4, first 2 shown]
	v_sub_f32_e32 v31, v30, v160
	v_mul_f32_e32 v27, v150, v27
	v_sub_f32_e32 v31, v151, v31
	v_add_f32_e32 v27, v31, v27
	v_add_f32_e32 v33, v30, v27
	v_mul_f32_e32 v34, v33, v33
	v_mov_b32_e32 v32, 0x3ecc95a3
	v_fmac_f32_e32 v32, 0x3e9b6dac, v34
	v_mov_b32_e32 v31, 0x3f2aaada
	v_fmac_f32_e32 v31, v34, v32
	v_cvt_f32_i32_e32 v32, v148
	v_sub_f32_e32 v30, v33, v30
	v_sub_f32_e32 v27, v27, v30
	v_ldexp_f32 v35, v33, 1
	v_mul_f32_e32 v33, v33, v34
	v_mov_b32_e32 v30, 0x3f317218
	s_mov_b32 s13, 0x3f317218
	v_pk_mul_f32 v[30:31], v[32:33], v[30:31]
	v_fma_f32 v34, v32, s13, -v30
	v_fmac_f32_e32 v34, 0xb102e308, v32
	v_pk_add_f32 v[32:33], v[30:31], v[34:35]
	v_sub_f32_e32 v35, v33, v35
	v_ldexp_f32 v27, v27, 1
	v_sub_f32_e32 v35, v31, v35
	v_add_f32_e32 v147, v27, v35
	v_mov_b32_e32 v146, v30
	v_pk_add_f32 v[30:31], v[32:33], v[30:31] neg_lo:[0,1] neg_hi:[0,1]
	v_pk_add_f32 v[148:149], v[32:33], v[146:147]
	v_mov_b32_e32 v31, v149
	v_mov_b32_e32 v35, v32
	v_pk_add_f32 v[150:151], v[34:35], v[30:31] neg_lo:[0,1] neg_hi:[0,1]
	v_pk_add_f32 v[30:31], v[34:35], v[30:31]
	v_mov_b32_e32 v34, v31
	v_pk_add_f32 v[160:161], v[34:35], v[32:33] neg_lo:[0,1] neg_hi:[0,1]
	v_mov_b32_e32 v27, v160
	v_pk_add_f32 v[162:163], v[148:149], v[26:27] neg_lo:[0,1] neg_hi:[0,1]
	v_mov_b32_e32 v30, v149
	v_mov_b32_e32 v148, v33
	;; [unrolled: 1-line block ×4, first 2 shown]
	v_pk_add_f32 v[30:31], v[30:31], v[148:149] neg_lo:[0,1] neg_hi:[0,1]
	v_mov_b32_e32 v146, v147
	v_mov_b32_e32 v147, v32
	v_pk_add_f32 v[30:31], v[146:147], v[30:31] neg_lo:[0,1] neg_hi:[0,1]
	v_mov_b32_e32 v162, v150
	v_pk_add_f32 v[32:33], v[162:163], v[30:31]
	v_mov_b32_e32 v146, v33
	v_pk_add_f32 v[146:147], v[32:33], v[146:147]
	v_pk_add_f32 v[34:35], v[34:35], v[146:147]
	v_mov_b32_e32 v33, v34
	v_pk_add_f32 v[148:149], v[32:33], v[150:151] neg_lo:[0,1] neg_hi:[0,1]
	v_mov_b32_e32 v31, v146
	v_sub_f32_e32 v27, v32, v148
	v_pk_add_f32 v[30:31], v[30:31], v[148:149] neg_lo:[0,1] neg_hi:[0,1]
	v_sub_f32_e32 v27, v150, v27
	s_mov_b32 s66, 0x7f800000
	v_add_f32_e32 v27, v30, v27
	s_mov_b32 s13, 0x33800000
	v_add_f32_e32 v27, v27, v31
	v_cmp_eq_f32_e32 vcc, s66, v145
	v_cmp_lt_f32_e64 s[66:67], |v145|, s13
	v_add_f32_e32 v27, v34, v27
	s_or_b64 vcc, vcc, s[66:67]
	v_cndmask_b32_e32 v27, v27, v145, vcc
	v_add_f32_e32 v27, v26, v27
.LBB492_197:
	s_or_b64 exec, exec, s[56:57]
	v_bfe_u32 v26, v27, 16, 1
	s_movk_i32 s13, 0x7fff
	v_add3_u32 v26, v27, v26, s13
	s_add_i32 s12, s12, 64
	s_mov_b32 s13, 0
	s_lshl_b64 s[12:13], s[12:13], 2
	v_mov_b32_e32 v31, s13
	v_add_co_u32_e32 v30, vcc, s12, v24
	v_addc_co_u32_e32 v31, vcc, v25, v31, vcc
	s_mov_b32 s12, 0x20000
	v_or_b32_sdwa v26, v26, s12 dst_sel:DWORD dst_unused:UNUSED_PAD src0_sel:WORD_1 src1_sel:DWORD
	v_mov_b32_e32 v32, 0x27fc0
	v_cmp_o_f32_e32 vcc, v27, v27
	v_cndmask_b32_e32 v26, v32, v26, vcc
	flat_store_dword v[30:31], v26
.LBB492_198:
	s_or_b64 exec, exec, s[60:61]
	v_cmp_eq_u32_e32 vcc, 0, v0
	s_and_b64 exec, exec, vcc
	s_cbranch_execz .LBB492_200
; %bb.199:
	v_mov_b32_e32 v26, 0
	ds_write_b16 v26, v167
.LBB492_200:
	s_or_b64 exec, exec, s[64:65]
	v_mov_b32_e32 v26, 0
	s_waitcnt lgkmcnt(0)
	; wave barrier
	s_waitcnt lgkmcnt(0)
	ds_read_u16 v26, v26
	v_cmp_ne_u32_e32 vcc, 0, v0
	s_and_saveexec_b64 s[12:13], vcc
	s_cbranch_execz .LBB492_204
; %bb.201:
	v_lshlrev_b32_e32 v30, 16, v144
	v_max_f32_e32 v27, v30, v30
	v_min_f32_e32 v31, v27, v135
	v_cmp_u_f32_e32 vcc, v30, v30
	v_max_f32_e32 v27, v27, v135
	v_cndmask_b32_e32 v31, v31, v30, vcc
	v_cndmask_b32_e32 v27, v27, v30, vcc
	v_cndmask_b32_e64 v31, v31, v134, s[54:55]
	v_cndmask_b32_e64 v27, v27, v134, s[54:55]
	s_movk_i32 s54, 0x1f8
	v_cmp_neq_f32_e32 vcc, v31, v27
	v_cmp_class_f32_e64 s[54:55], v31, s54
	s_or_b64 vcc, vcc, s[54:55]
	s_and_saveexec_b64 s[54:55], vcc
	s_cbranch_execz .LBB492_203
; %bb.202:
	v_sub_f32_e32 v30, v31, v27
	s_mov_b32 s56, 0x3fb8aa3b
	v_mul_f32_e32 v31, 0x3fb8aa3b, v30
	v_fma_f32 v32, v30, s56, -v31
	v_rndne_f32_e32 v33, v31
	v_fmac_f32_e32 v32, 0x32a5705f, v30
	v_sub_f32_e32 v31, v31, v33
	v_add_f32_e32 v31, v31, v32
	v_exp_f32_e32 v31, v31
	v_cvt_i32_f32_e32 v32, v33
	s_mov_b32 s56, 0xc2ce8ed0
	v_cmp_ngt_f32_e32 vcc, s56, v30
	s_mov_b32 s56, 0x42b17218
	v_ldexp_f32 v31, v31, v32
	v_cndmask_b32_e32 v31, 0, v31, vcc
	v_mov_b32_e32 v32, 0x7f800000
	v_cmp_nlt_f32_e32 vcc, s56, v30
	v_cndmask_b32_e32 v160, v32, v31, vcc
	v_add_f32_e32 v32, 1.0, v160
	v_add_f32_e32 v30, -1.0, v32
	v_sub_f32_e32 v31, v30, v32
	v_add_f32_e32 v31, 1.0, v31
	v_sub_f32_e32 v30, v160, v30
	v_add_f32_e32 v33, v30, v31
	v_frexp_mant_f32_e32 v34, v32
	s_mov_b32 s56, 0x3f2aaaab
	v_cvt_f64_f32_e32 v[30:31], v32
	v_frexp_exp_i32_f64_e32 v30, v[30:31]
	v_cmp_gt_f32_e32 vcc, s56, v34
	v_subbrev_co_u32_e32 v144, vcc, 0, v30, vcc
	v_sub_u32_e32 v30, 0, v144
	v_ldexp_f32 v31, v32, v30
	v_add_f32_e32 v32, -1.0, v31
	v_add_f32_e32 v34, 1.0, v31
	v_ldexp_f32 v30, v33, v30
	v_add_f32_e32 v33, 1.0, v32
	v_add_f32_e32 v35, -1.0, v34
	v_sub_f32_e32 v33, v31, v33
	v_sub_f32_e32 v31, v31, v35
	v_add_f32_e32 v33, v30, v33
	v_add_f32_e32 v30, v30, v31
	;; [unrolled: 1-line block ×3, first 2 shown]
	v_rcp_f32_e32 v147, v145
	v_sub_f32_e32 v31, v34, v145
	v_add_f32_e32 v146, v30, v31
	v_add_f32_e32 v31, v32, v33
	v_mul_f32_e32 v149, v31, v147
	v_sub_f32_e32 v30, v32, v31
	v_mul_f32_e32 v32, v145, v149
	v_fma_f32 v34, v149, v145, -v32
	v_fmac_f32_e32 v34, v149, v146
	v_add_f32_e32 v148, v33, v30
	v_add_f32_e32 v30, v32, v34
	v_sub_f32_e32 v33, v31, v30
	v_pk_add_f32 v[134:135], v[30:31], v[32:33] neg_lo:[0,1] neg_hi:[0,1]
	v_mov_b32_e32 v35, v30
	v_pk_add_f32 v[30:31], v[134:135], v[34:35] neg_lo:[0,1] neg_hi:[0,1]
	v_add_f32_e32 v31, v148, v31
	v_add_f32_e32 v30, v30, v31
	;; [unrolled: 1-line block ×3, first 2 shown]
	v_mul_f32_e32 v148, v147, v31
	v_mul_f32_e32 v32, v145, v148
	v_fma_f32 v34, v148, v145, -v32
	v_fmac_f32_e32 v34, v148, v146
	v_sub_f32_e32 v33, v33, v31
	v_add_f32_e32 v145, v30, v33
	v_add_f32_e32 v30, v32, v34
	v_sub_f32_e32 v33, v31, v30
	v_pk_add_f32 v[134:135], v[30:31], v[32:33] neg_lo:[0,1] neg_hi:[0,1]
	v_mov_b32_e32 v35, v30
	v_pk_add_f32 v[30:31], v[134:135], v[34:35] neg_lo:[0,1] neg_hi:[0,1]
	v_add_f32_e32 v31, v145, v31
	v_add_f32_e32 v30, v30, v31
	;; [unrolled: 1-line block ×4, first 2 shown]
	v_sub_f32_e32 v31, v33, v149
	v_mul_f32_e32 v30, v147, v30
	v_sub_f32_e32 v31, v148, v31
	v_add_f32_e32 v30, v31, v30
	v_add_f32_e32 v34, v33, v30
	v_mul_f32_e32 v134, v34, v34
	v_mov_b32_e32 v32, 0x3ecc95a3
	v_fmac_f32_e32 v32, 0x3e9b6dac, v134
	v_mov_b32_e32 v31, 0x3f2aaada
	v_fmac_f32_e32 v31, v134, v32
	v_cvt_f32_i32_e32 v32, v144
	v_sub_f32_e32 v33, v34, v33
	v_sub_f32_e32 v30, v30, v33
	v_ldexp_f32 v135, v30, 1
	v_mul_f32_e32 v33, v34, v134
	v_mov_b32_e32 v30, 0x3f317218
	s_mov_b32 s56, 0x3f317218
	v_pk_mul_f32 v[30:31], v[32:33], v[30:31]
	v_ldexp_f32 v35, v34, 1
	v_fma_f32 v34, v32, s56, -v30
	v_fmac_f32_e32 v34, 0xb102e308, v32
	v_pk_add_f32 v[32:33], v[30:31], v[34:35]
	v_sub_f32_e32 v35, v33, v35
	v_sub_f32_e32 v35, v31, v35
	v_add_f32_e32 v135, v135, v35
	v_mov_b32_e32 v134, v30
	v_pk_add_f32 v[30:31], v[32:33], v[30:31] neg_lo:[0,1] neg_hi:[0,1]
	v_pk_add_f32 v[144:145], v[32:33], v[134:135]
	v_mov_b32_e32 v31, v145
	v_mov_b32_e32 v35, v32
	v_pk_add_f32 v[146:147], v[34:35], v[30:31] neg_lo:[0,1] neg_hi:[0,1]
	v_pk_add_f32 v[30:31], v[34:35], v[30:31]
	v_mov_b32_e32 v34, v31
	v_pk_add_f32 v[148:149], v[34:35], v[32:33] neg_lo:[0,1] neg_hi:[0,1]
	v_mov_b32_e32 v35, v148
	v_pk_add_f32 v[150:151], v[144:145], v[34:35] neg_lo:[0,1] neg_hi:[0,1]
	v_mov_b32_e32 v30, v145
	v_mov_b32_e32 v144, v33
	;; [unrolled: 1-line block ×4, first 2 shown]
	v_pk_add_f32 v[30:31], v[30:31], v[144:145] neg_lo:[0,1] neg_hi:[0,1]
	v_mov_b32_e32 v134, v135
	v_mov_b32_e32 v135, v32
	v_pk_add_f32 v[30:31], v[134:135], v[30:31] neg_lo:[0,1] neg_hi:[0,1]
	v_mov_b32_e32 v150, v146
	v_pk_add_f32 v[32:33], v[150:151], v[30:31]
	v_mov_b32_e32 v134, v33
	v_pk_add_f32 v[134:135], v[32:33], v[134:135]
	v_pk_add_f32 v[34:35], v[34:35], v[134:135]
	v_mov_b32_e32 v33, v34
	v_pk_add_f32 v[144:145], v[32:33], v[146:147] neg_lo:[0,1] neg_hi:[0,1]
	v_mov_b32_e32 v31, v134
	v_sub_f32_e32 v32, v32, v144
	v_pk_add_f32 v[30:31], v[30:31], v[144:145] neg_lo:[0,1] neg_hi:[0,1]
	v_sub_f32_e32 v32, v146, v32
	s_mov_b32 s57, 0x7f800000
	v_add_f32_e32 v30, v30, v32
	s_mov_b32 s56, 0x33800000
	v_add_f32_e32 v30, v30, v31
	v_cmp_eq_f32_e32 vcc, s57, v160
	v_cmp_lt_f32_e64 s[56:57], |v160|, s56
	v_add_f32_e32 v30, v34, v30
	s_or_b64 vcc, vcc, s[56:57]
	v_cndmask_b32_e32 v30, v30, v160, vcc
	v_add_f32_e32 v30, v27, v30
.LBB492_203:
	s_or_b64 exec, exec, s[54:55]
	v_bfe_u32 v27, v30, 16, 1
	s_movk_i32 vcc_lo, 0x7fff
	v_add3_u32 v27, v30, v27, vcc_lo
	v_and_b32_e32 v27, 0xffff0000, v27
	v_mov_b32_e32 v31, 0x7fc00000
	v_cmp_o_f32_e32 vcc, v30, v30
	v_cndmask_b32_e32 v134, v31, v27, vcc
.LBB492_204:
	s_or_b64 exec, exec, s[12:13]
	s_waitcnt lgkmcnt(0)
	v_lshlrev_b32_e32 v30, 16, v26
	v_max_f32_e32 v26, v134, v134
	v_max_f32_e32 v31, v30, v30
	v_min_f32_e32 v27, v31, v26
	v_cmp_u_f32_e32 vcc, v30, v30
	v_max_f32_e32 v26, v31, v26
	v_cndmask_b32_e32 v27, v27, v30, vcc
	v_cmp_u_f32_e64 s[12:13], v134, v134
	v_cndmask_b32_e32 v26, v26, v30, vcc
	v_cndmask_b32_e64 v27, v27, v134, s[12:13]
	v_cndmask_b32_e64 v26, v26, v134, s[12:13]
	s_movk_i32 s54, 0x1f8
	v_cmp_neq_f32_e32 vcc, v27, v26
	v_cmp_class_f32_e64 s[12:13], v27, s54
	s_or_b64 vcc, vcc, s[12:13]
	s_and_saveexec_b64 s[12:13], vcc
	s_cbranch_execz .LBB492_206
; %bb.205:
	v_sub_f32_e32 v27, v27, v26
	s_mov_b32 s55, 0x3fb8aa3b
	v_mul_f32_e32 v30, 0x3fb8aa3b, v27
	v_fma_f32 v31, v27, s55, -v30
	v_rndne_f32_e32 v32, v30
	v_fmac_f32_e32 v31, 0x32a5705f, v27
	v_sub_f32_e32 v30, v30, v32
	v_add_f32_e32 v30, v30, v31
	v_exp_f32_e32 v30, v30
	v_cvt_i32_f32_e32 v31, v32
	s_mov_b32 s55, 0xc2ce8ed0
	v_cmp_ngt_f32_e32 vcc, s55, v27
	s_mov_b32 s55, 0x42b17218
	v_ldexp_f32 v30, v30, v31
	v_cndmask_b32_e32 v30, 0, v30, vcc
	v_mov_b32_e32 v31, 0x7f800000
	v_cmp_nlt_f32_e32 vcc, s55, v27
	v_cndmask_b32_e32 v160, v31, v30, vcc
	v_add_f32_e32 v27, 1.0, v160
	v_add_f32_e32 v30, -1.0, v27
	v_sub_f32_e32 v31, v30, v27
	v_add_f32_e32 v31, 1.0, v31
	v_sub_f32_e32 v30, v160, v30
	v_add_f32_e32 v32, v30, v31
	v_frexp_mant_f32_e32 v33, v27
	s_mov_b32 s55, 0x3f2aaaab
	v_cvt_f64_f32_e32 v[30:31], v27
	v_frexp_exp_i32_f64_e32 v30, v[30:31]
	v_cmp_gt_f32_e32 vcc, s55, v33
	v_subbrev_co_u32_e32 v144, vcc, 0, v30, vcc
	v_sub_u32_e32 v30, 0, v144
	v_ldexp_f32 v27, v27, v30
	v_ldexp_f32 v30, v32, v30
	v_add_f32_e32 v32, -1.0, v27
	v_add_f32_e32 v31, 1.0, v32
	v_sub_f32_e32 v31, v27, v31
	v_add_f32_e32 v33, v30, v31
	v_add_f32_e32 v31, 1.0, v27
	v_add_f32_e32 v34, -1.0, v31
	v_sub_f32_e32 v27, v27, v34
	v_add_f32_e32 v27, v30, v27
	v_add_f32_e32 v145, v31, v27
	v_rcp_f32_e32 v146, v145
	v_sub_f32_e32 v30, v31, v145
	v_add_f32_e32 v31, v32, v33
	v_add_f32_e32 v27, v27, v30
	v_mul_f32_e32 v148, v31, v146
	v_sub_f32_e32 v30, v32, v31
	v_mul_f32_e32 v32, v145, v148
	v_fma_f32 v34, v148, v145, -v32
	v_fmac_f32_e32 v34, v148, v27
	v_add_f32_e32 v147, v33, v30
	v_add_f32_e32 v30, v32, v34
	v_sub_f32_e32 v33, v31, v30
	v_pk_add_f32 v[134:135], v[30:31], v[32:33] neg_lo:[0,1] neg_hi:[0,1]
	v_mov_b32_e32 v35, v30
	v_pk_add_f32 v[30:31], v[134:135], v[34:35] neg_lo:[0,1] neg_hi:[0,1]
	v_add_f32_e32 v31, v147, v31
	v_add_f32_e32 v30, v30, v31
	;; [unrolled: 1-line block ×3, first 2 shown]
	v_mul_f32_e32 v147, v146, v31
	v_mul_f32_e32 v32, v145, v147
	v_fma_f32 v34, v147, v145, -v32
	v_fmac_f32_e32 v34, v147, v27
	v_sub_f32_e32 v27, v33, v31
	v_add_f32_e32 v27, v30, v27
	v_add_f32_e32 v30, v32, v34
	v_sub_f32_e32 v33, v31, v30
	v_pk_add_f32 v[134:135], v[30:31], v[32:33] neg_lo:[0,1] neg_hi:[0,1]
	v_mov_b32_e32 v35, v30
	v_pk_add_f32 v[30:31], v[134:135], v[34:35] neg_lo:[0,1] neg_hi:[0,1]
	v_add_f32_e32 v27, v27, v31
	v_add_f32_e32 v27, v30, v27
	;; [unrolled: 1-line block ×4, first 2 shown]
	v_sub_f32_e32 v31, v30, v148
	v_mul_f32_e32 v27, v146, v27
	v_sub_f32_e32 v31, v147, v31
	v_add_f32_e32 v27, v31, v27
	v_add_f32_e32 v33, v30, v27
	v_mul_f32_e32 v34, v33, v33
	v_mov_b32_e32 v32, 0x3ecc95a3
	v_fmac_f32_e32 v32, 0x3e9b6dac, v34
	v_mov_b32_e32 v31, 0x3f2aaada
	v_fmac_f32_e32 v31, v34, v32
	v_cvt_f32_i32_e32 v32, v144
	v_sub_f32_e32 v30, v33, v30
	v_sub_f32_e32 v27, v27, v30
	v_ldexp_f32 v35, v33, 1
	v_mul_f32_e32 v33, v33, v34
	v_mov_b32_e32 v30, 0x3f317218
	s_mov_b32 s55, 0x3f317218
	v_pk_mul_f32 v[30:31], v[32:33], v[30:31]
	v_fma_f32 v34, v32, s55, -v30
	v_fmac_f32_e32 v34, 0xb102e308, v32
	v_pk_add_f32 v[32:33], v[30:31], v[34:35]
	v_sub_f32_e32 v35, v33, v35
	v_ldexp_f32 v27, v27, 1
	v_sub_f32_e32 v35, v31, v35
	v_add_f32_e32 v135, v27, v35
	v_mov_b32_e32 v134, v30
	v_pk_add_f32 v[30:31], v[32:33], v[30:31] neg_lo:[0,1] neg_hi:[0,1]
	v_pk_add_f32 v[144:145], v[32:33], v[134:135]
	v_mov_b32_e32 v31, v145
	v_mov_b32_e32 v35, v32
	v_pk_add_f32 v[146:147], v[34:35], v[30:31] neg_lo:[0,1] neg_hi:[0,1]
	v_pk_add_f32 v[30:31], v[34:35], v[30:31]
	v_mov_b32_e32 v34, v31
	v_pk_add_f32 v[148:149], v[34:35], v[32:33] neg_lo:[0,1] neg_hi:[0,1]
	v_mov_b32_e32 v27, v148
	v_pk_add_f32 v[150:151], v[144:145], v[26:27] neg_lo:[0,1] neg_hi:[0,1]
	v_mov_b32_e32 v30, v145
	v_mov_b32_e32 v144, v33
	;; [unrolled: 1-line block ×4, first 2 shown]
	v_pk_add_f32 v[30:31], v[30:31], v[144:145] neg_lo:[0,1] neg_hi:[0,1]
	v_mov_b32_e32 v134, v135
	v_mov_b32_e32 v135, v32
	v_pk_add_f32 v[30:31], v[134:135], v[30:31] neg_lo:[0,1] neg_hi:[0,1]
	v_mov_b32_e32 v150, v146
	v_pk_add_f32 v[32:33], v[150:151], v[30:31]
	v_mov_b32_e32 v134, v33
	v_pk_add_f32 v[134:135], v[32:33], v[134:135]
	v_pk_add_f32 v[34:35], v[34:35], v[134:135]
	v_mov_b32_e32 v33, v34
	v_pk_add_f32 v[144:145], v[32:33], v[146:147] neg_lo:[0,1] neg_hi:[0,1]
	v_mov_b32_e32 v31, v134
	v_sub_f32_e32 v27, v32, v144
	v_pk_add_f32 v[30:31], v[30:31], v[144:145] neg_lo:[0,1] neg_hi:[0,1]
	v_sub_f32_e32 v27, v146, v27
	s_mov_b32 s56, 0x7f800000
	v_add_f32_e32 v27, v30, v27
	s_mov_b32 s55, 0x33800000
	v_add_f32_e32 v27, v27, v31
	v_cmp_eq_f32_e32 vcc, s56, v160
	v_cmp_lt_f32_e64 s[56:57], |v160|, s55
	v_add_f32_e32 v27, v34, v27
	s_or_b64 vcc, vcc, s[56:57]
	v_cndmask_b32_e32 v27, v27, v160, vcc
	v_add_f32_e32 v30, v26, v27
.LBB492_206:
	s_or_b64 exec, exec, s[12:13]
	v_bfe_u32 v26, v30, 16, 1
	s_movk_i32 s12, 0x7fff
	v_add3_u32 v26, v30, v26, s12
	v_lshrrev_b32_e32 v26, 16, v26
	v_mov_b32_e32 v27, 0x7fc0
	v_cmp_o_f32_e32 vcc, v30, v30
	v_cndmask_b32_e32 v26, v27, v26, vcc
	v_lshlrev_b32_e32 v31, 16, v26
	v_max_f32_e32 v30, v31, v31
	v_min_f32_e32 v32, v30, v49
	v_cmp_u_f32_e32 vcc, v31, v31
	v_max_f32_e32 v30, v30, v49
	v_cndmask_b32_e32 v32, v32, v31, vcc
	v_cndmask_b32_e32 v30, v30, v31, vcc
	v_cndmask_b32_e64 v32, v32, v48, s[6:7]
	v_cndmask_b32_e64 v30, v30, v48, s[6:7]
	v_cmp_neq_f32_e32 vcc, v32, v30
	v_cmp_class_f32_e64 s[6:7], v32, s54
	s_or_b64 vcc, vcc, s[6:7]
	s_and_saveexec_b64 s[6:7], vcc
	s_cbranch_execz .LBB492_208
; %bb.207:
	v_sub_f32_e32 v31, v32, v30
	s_mov_b32 s13, 0x3fb8aa3b
	v_mul_f32_e32 v32, 0x3fb8aa3b, v31
	v_fma_f32 v33, v31, s13, -v32
	v_rndne_f32_e32 v34, v32
	v_fmac_f32_e32 v33, 0x32a5705f, v31
	v_sub_f32_e32 v32, v32, v34
	v_add_f32_e32 v32, v32, v33
	v_exp_f32_e32 v32, v32
	v_cvt_i32_f32_e32 v33, v34
	s_mov_b32 s13, 0xc2ce8ed0
	v_cmp_ngt_f32_e32 vcc, s13, v31
	s_mov_b32 s13, 0x42b17218
	v_ldexp_f32 v32, v32, v33
	v_cndmask_b32_e32 v32, 0, v32, vcc
	v_mov_b32_e32 v33, 0x7f800000
	v_cmp_nlt_f32_e32 vcc, s13, v31
	v_cndmask_b32_e32 v160, v33, v32, vcc
	v_add_f32_e32 v31, 1.0, v160
	v_add_f32_e32 v32, -1.0, v31
	v_sub_f32_e32 v33, v32, v31
	v_add_f32_e32 v33, 1.0, v33
	v_sub_f32_e32 v32, v160, v32
	v_add_f32_e32 v34, v32, v33
	v_frexp_mant_f32_e32 v35, v31
	s_mov_b32 s13, 0x3f2aaaab
	v_cvt_f64_f32_e32 v[32:33], v31
	v_frexp_exp_i32_f64_e32 v32, v[32:33]
	v_cmp_gt_f32_e32 vcc, s13, v35
	v_subbrev_co_u32_e32 v144, vcc, 0, v32, vcc
	v_sub_u32_e32 v32, 0, v144
	v_ldexp_f32 v31, v31, v32
	v_ldexp_f32 v32, v34, v32
	v_add_f32_e32 v34, -1.0, v31
	v_add_f32_e32 v33, 1.0, v34
	v_sub_f32_e32 v33, v31, v33
	v_add_f32_e32 v35, v32, v33
	v_add_f32_e32 v33, 1.0, v31
	v_add_f32_e32 v48, -1.0, v33
	v_sub_f32_e32 v31, v31, v48
	v_add_f32_e32 v31, v32, v31
	v_add_f32_e32 v145, v33, v31
	v_rcp_f32_e32 v146, v145
	v_sub_f32_e32 v32, v33, v145
	v_add_f32_e32 v33, v34, v35
	v_add_f32_e32 v31, v31, v32
	v_mul_f32_e32 v148, v33, v146
	v_sub_f32_e32 v32, v34, v33
	v_mul_f32_e32 v34, v145, v148
	v_fma_f32 v48, v148, v145, -v34
	v_fmac_f32_e32 v48, v148, v31
	v_add_f32_e32 v147, v35, v32
	v_add_f32_e32 v32, v34, v48
	v_sub_f32_e32 v35, v33, v32
	v_pk_add_f32 v[134:135], v[32:33], v[34:35] neg_lo:[0,1] neg_hi:[0,1]
	v_mov_b32_e32 v49, v32
	v_pk_add_f32 v[32:33], v[134:135], v[48:49] neg_lo:[0,1] neg_hi:[0,1]
	v_add_f32_e32 v33, v147, v33
	v_add_f32_e32 v32, v32, v33
	;; [unrolled: 1-line block ×3, first 2 shown]
	v_mul_f32_e32 v147, v146, v33
	v_mul_f32_e32 v34, v145, v147
	v_fma_f32 v48, v147, v145, -v34
	v_fmac_f32_e32 v48, v147, v31
	v_sub_f32_e32 v31, v35, v33
	v_add_f32_e32 v31, v32, v31
	v_add_f32_e32 v32, v34, v48
	v_sub_f32_e32 v35, v33, v32
	v_pk_add_f32 v[134:135], v[32:33], v[34:35] neg_lo:[0,1] neg_hi:[0,1]
	v_mov_b32_e32 v49, v32
	v_pk_add_f32 v[32:33], v[134:135], v[48:49] neg_lo:[0,1] neg_hi:[0,1]
	v_add_f32_e32 v31, v31, v33
	v_add_f32_e32 v31, v32, v31
	;; [unrolled: 1-line block ×4, first 2 shown]
	v_sub_f32_e32 v33, v32, v148
	v_mul_f32_e32 v31, v146, v31
	v_sub_f32_e32 v33, v147, v33
	v_add_f32_e32 v31, v33, v31
	v_add_f32_e32 v35, v32, v31
	v_mul_f32_e32 v48, v35, v35
	v_mov_b32_e32 v34, 0x3ecc95a3
	v_fmac_f32_e32 v34, 0x3e9b6dac, v48
	v_mov_b32_e32 v33, 0x3f2aaada
	v_fmac_f32_e32 v33, v48, v34
	v_cvt_f32_i32_e32 v34, v144
	v_sub_f32_e32 v32, v35, v32
	v_sub_f32_e32 v31, v31, v32
	v_ldexp_f32 v49, v35, 1
	v_mul_f32_e32 v35, v35, v48
	v_mov_b32_e32 v32, 0x3f317218
	s_mov_b32 s13, 0x3f317218
	v_pk_mul_f32 v[32:33], v[34:35], v[32:33]
	v_fma_f32 v48, v34, s13, -v32
	v_fmac_f32_e32 v48, 0xb102e308, v34
	v_pk_add_f32 v[34:35], v[32:33], v[48:49]
	v_sub_f32_e32 v49, v35, v49
	v_ldexp_f32 v31, v31, 1
	v_sub_f32_e32 v49, v33, v49
	v_add_f32_e32 v135, v31, v49
	v_mov_b32_e32 v134, v32
	v_pk_add_f32 v[32:33], v[34:35], v[32:33] neg_lo:[0,1] neg_hi:[0,1]
	v_pk_add_f32 v[144:145], v[34:35], v[134:135]
	v_mov_b32_e32 v33, v145
	v_mov_b32_e32 v49, v34
	v_pk_add_f32 v[146:147], v[48:49], v[32:33] neg_lo:[0,1] neg_hi:[0,1]
	v_pk_add_f32 v[32:33], v[48:49], v[32:33]
	v_mov_b32_e32 v48, v33
	v_pk_add_f32 v[148:149], v[48:49], v[34:35] neg_lo:[0,1] neg_hi:[0,1]
	v_mov_b32_e32 v31, v148
	v_pk_add_f32 v[150:151], v[144:145], v[30:31] neg_lo:[0,1] neg_hi:[0,1]
	v_mov_b32_e32 v32, v145
	v_mov_b32_e32 v144, v35
	;; [unrolled: 1-line block ×4, first 2 shown]
	v_pk_add_f32 v[32:33], v[32:33], v[144:145] neg_lo:[0,1] neg_hi:[0,1]
	v_mov_b32_e32 v134, v135
	v_mov_b32_e32 v135, v34
	v_pk_add_f32 v[32:33], v[134:135], v[32:33] neg_lo:[0,1] neg_hi:[0,1]
	v_mov_b32_e32 v150, v146
	v_pk_add_f32 v[34:35], v[150:151], v[32:33]
	v_mov_b32_e32 v134, v35
	v_pk_add_f32 v[134:135], v[34:35], v[134:135]
	v_pk_add_f32 v[48:49], v[48:49], v[134:135]
	v_mov_b32_e32 v35, v48
	v_pk_add_f32 v[144:145], v[34:35], v[146:147] neg_lo:[0,1] neg_hi:[0,1]
	v_mov_b32_e32 v33, v134
	v_sub_f32_e32 v31, v34, v144
	v_pk_add_f32 v[32:33], v[32:33], v[144:145] neg_lo:[0,1] neg_hi:[0,1]
	v_sub_f32_e32 v31, v146, v31
	s_mov_b32 s54, 0x7f800000
	v_add_f32_e32 v31, v32, v31
	s_mov_b32 s13, 0x33800000
	v_add_f32_e32 v31, v31, v33
	v_cmp_eq_f32_e32 vcc, s54, v160
	v_cmp_lt_f32_e64 s[54:55], |v160|, s13
	v_add_f32_e32 v31, v48, v31
	s_or_b64 vcc, vcc, s[54:55]
	v_cndmask_b32_e32 v31, v31, v160, vcc
	v_add_f32_e32 v31, v30, v31
.LBB492_208:
	s_or_b64 exec, exec, s[6:7]
	v_bfe_u32 v30, v31, 16, 1
	v_add3_u32 v30, v31, v30, s12
	v_lshrrev_b32_e32 v30, 16, v30
	v_cmp_o_f32_e32 vcc, v31, v31
	v_cndmask_b32_e32 v27, v27, v30, vcc
	v_lshlrev_b32_e32 v32, 16, v27
	v_max_f32_e32 v30, v32, v32
	v_min_f32_e32 v31, v30, v54
	v_cmp_u_f32_e32 vcc, v32, v32
	v_max_f32_e32 v30, v30, v54
	v_cndmask_b32_e32 v31, v31, v32, vcc
	v_cndmask_b32_e32 v30, v30, v32, vcc
	v_cndmask_b32_e64 v31, v31, v50, s[8:9]
	v_cndmask_b32_e64 v30, v30, v50, s[8:9]
	s_movk_i32 s8, 0x1f8
	v_cmp_neq_f32_e32 vcc, v31, v30
	v_cmp_class_f32_e64 s[6:7], v31, s8
	s_or_b64 s[12:13], vcc, s[6:7]
	s_and_saveexec_b64 s[6:7], s[12:13]
	s_cbranch_execz .LBB492_210
; %bb.209:
	v_sub_f32_e32 v31, v31, v30
	s_mov_b32 s9, 0x3fb8aa3b
	v_mul_f32_e32 v32, 0x3fb8aa3b, v31
	v_fma_f32 v33, v31, s9, -v32
	v_rndne_f32_e32 v34, v32
	v_fmac_f32_e32 v33, 0x32a5705f, v31
	v_sub_f32_e32 v32, v32, v34
	v_add_f32_e32 v32, v32, v33
	v_exp_f32_e32 v32, v32
	v_cvt_i32_f32_e32 v33, v34
	s_mov_b32 s9, 0xc2ce8ed0
	v_cmp_ngt_f32_e32 vcc, s9, v31
	s_mov_b32 s9, 0x42b17218
	v_ldexp_f32 v32, v32, v33
	v_cndmask_b32_e32 v32, 0, v32, vcc
	v_mov_b32_e32 v33, 0x7f800000
	v_cmp_nlt_f32_e32 vcc, s9, v31
	v_cndmask_b32_e32 v54, v33, v32, vcc
	v_add_f32_e32 v31, 1.0, v54
	v_add_f32_e32 v32, -1.0, v31
	v_sub_f32_e32 v33, v32, v31
	v_add_f32_e32 v33, 1.0, v33
	v_sub_f32_e32 v32, v54, v32
	v_add_f32_e32 v34, v32, v33
	v_frexp_mant_f32_e32 v35, v31
	s_mov_b32 s9, 0x3f2aaaab
	v_cvt_f64_f32_e32 v[32:33], v31
	v_frexp_exp_i32_f64_e32 v32, v[32:33]
	v_cmp_gt_f32_e32 vcc, s9, v35
	v_subbrev_co_u32_e32 v50, vcc, 0, v32, vcc
	v_sub_u32_e32 v32, 0, v50
	v_ldexp_f32 v31, v31, v32
	v_ldexp_f32 v32, v34, v32
	v_add_f32_e32 v34, -1.0, v31
	v_add_f32_e32 v33, 1.0, v34
	v_sub_f32_e32 v33, v31, v33
	v_add_f32_e32 v35, v32, v33
	v_add_f32_e32 v33, 1.0, v31
	v_add_f32_e32 v48, -1.0, v33
	v_sub_f32_e32 v31, v31, v48
	v_add_f32_e32 v31, v32, v31
	v_add_f32_e32 v144, v33, v31
	v_rcp_f32_e32 v145, v144
	v_sub_f32_e32 v32, v33, v144
	v_add_f32_e32 v33, v34, v35
	v_add_f32_e32 v31, v31, v32
	v_mul_f32_e32 v147, v33, v145
	v_sub_f32_e32 v32, v34, v33
	v_mul_f32_e32 v34, v144, v147
	v_fma_f32 v48, v147, v144, -v34
	v_fmac_f32_e32 v48, v147, v31
	v_add_f32_e32 v146, v35, v32
	v_add_f32_e32 v32, v34, v48
	v_sub_f32_e32 v35, v33, v32
	v_pk_add_f32 v[134:135], v[32:33], v[34:35] neg_lo:[0,1] neg_hi:[0,1]
	v_mov_b32_e32 v49, v32
	v_pk_add_f32 v[32:33], v[134:135], v[48:49] neg_lo:[0,1] neg_hi:[0,1]
	v_add_f32_e32 v33, v146, v33
	v_add_f32_e32 v32, v32, v33
	v_add_f32_e32 v33, v35, v32
	v_mul_f32_e32 v146, v145, v33
	v_mul_f32_e32 v34, v144, v146
	v_fma_f32 v48, v146, v144, -v34
	v_fmac_f32_e32 v48, v146, v31
	v_sub_f32_e32 v31, v35, v33
	v_add_f32_e32 v31, v32, v31
	v_add_f32_e32 v32, v34, v48
	v_sub_f32_e32 v35, v33, v32
	v_pk_add_f32 v[134:135], v[32:33], v[34:35] neg_lo:[0,1] neg_hi:[0,1]
	v_mov_b32_e32 v49, v32
	v_pk_add_f32 v[32:33], v[134:135], v[48:49] neg_lo:[0,1] neg_hi:[0,1]
	v_add_f32_e32 v31, v31, v33
	v_add_f32_e32 v31, v32, v31
	;; [unrolled: 1-line block ×4, first 2 shown]
	v_sub_f32_e32 v33, v32, v147
	v_mul_f32_e32 v31, v145, v31
	v_sub_f32_e32 v33, v146, v33
	v_add_f32_e32 v31, v33, v31
	v_add_f32_e32 v35, v32, v31
	v_mul_f32_e32 v48, v35, v35
	v_mov_b32_e32 v34, 0x3ecc95a3
	v_fmac_f32_e32 v34, 0x3e9b6dac, v48
	v_mov_b32_e32 v33, 0x3f2aaada
	v_fmac_f32_e32 v33, v48, v34
	v_cvt_f32_i32_e32 v34, v50
	v_sub_f32_e32 v32, v35, v32
	v_sub_f32_e32 v31, v31, v32
	v_ldexp_f32 v49, v35, 1
	v_mul_f32_e32 v35, v35, v48
	v_mov_b32_e32 v32, 0x3f317218
	s_mov_b32 s9, 0x3f317218
	v_pk_mul_f32 v[32:33], v[34:35], v[32:33]
	v_fma_f32 v48, v34, s9, -v32
	v_fmac_f32_e32 v48, 0xb102e308, v34
	v_pk_add_f32 v[34:35], v[32:33], v[48:49]
	v_sub_f32_e32 v49, v35, v49
	v_ldexp_f32 v31, v31, 1
	v_sub_f32_e32 v49, v33, v49
	v_add_f32_e32 v135, v31, v49
	v_mov_b32_e32 v134, v32
	v_pk_add_f32 v[32:33], v[34:35], v[32:33] neg_lo:[0,1] neg_hi:[0,1]
	v_pk_add_f32 v[144:145], v[34:35], v[134:135]
	v_mov_b32_e32 v33, v145
	v_mov_b32_e32 v49, v34
	v_pk_add_f32 v[146:147], v[48:49], v[32:33] neg_lo:[0,1] neg_hi:[0,1]
	v_pk_add_f32 v[32:33], v[48:49], v[32:33]
	v_mov_b32_e32 v48, v33
	v_pk_add_f32 v[148:149], v[48:49], v[34:35] neg_lo:[0,1] neg_hi:[0,1]
	v_mov_b32_e32 v31, v148
	v_pk_add_f32 v[150:151], v[144:145], v[30:31] neg_lo:[0,1] neg_hi:[0,1]
	v_mov_b32_e32 v32, v145
	v_mov_b32_e32 v144, v35
	;; [unrolled: 1-line block ×4, first 2 shown]
	v_pk_add_f32 v[32:33], v[32:33], v[144:145] neg_lo:[0,1] neg_hi:[0,1]
	v_mov_b32_e32 v134, v135
	v_mov_b32_e32 v135, v34
	v_pk_add_f32 v[32:33], v[134:135], v[32:33] neg_lo:[0,1] neg_hi:[0,1]
	v_mov_b32_e32 v150, v146
	v_pk_add_f32 v[34:35], v[150:151], v[32:33]
	v_mov_b32_e32 v50, v35
	v_pk_add_f32 v[134:135], v[34:35], v[50:51]
	v_pk_add_f32 v[48:49], v[48:49], v[134:135]
	v_mov_b32_e32 v35, v48
	v_pk_add_f32 v[144:145], v[34:35], v[146:147] neg_lo:[0,1] neg_hi:[0,1]
	v_mov_b32_e32 v33, v134
	v_sub_f32_e32 v31, v34, v144
	v_pk_add_f32 v[32:33], v[32:33], v[144:145] neg_lo:[0,1] neg_hi:[0,1]
	v_sub_f32_e32 v31, v146, v31
	s_mov_b32 s12, 0x7f800000
	v_add_f32_e32 v31, v32, v31
	s_mov_b32 s9, 0x33800000
	v_add_f32_e32 v31, v31, v33
	v_cmp_eq_f32_e32 vcc, s12, v54
	v_cmp_lt_f32_e64 s[12:13], |v54|, s9
	v_add_f32_e32 v31, v48, v31
	s_or_b64 vcc, vcc, s[12:13]
	v_cndmask_b32_e32 v31, v31, v54, vcc
	v_add_f32_e32 v32, v30, v31
.LBB492_210:
	s_or_b64 exec, exec, s[6:7]
	v_bfe_u32 v30, v32, 16, 1
	s_movk_i32 s9, 0x7fff
	v_add3_u32 v30, v32, v30, s9
	v_lshrrev_b32_e32 v30, 16, v30
	v_mov_b32_e32 v31, 0x7fc0
	v_cmp_o_f32_e32 vcc, v32, v32
	v_cndmask_b32_e32 v30, v31, v30, vcc
	v_lshlrev_b32_e32 v33, 16, v30
	v_max_f32_e32 v32, v33, v33
	v_min_f32_e32 v34, v32, v55
	v_cmp_u_f32_e32 vcc, v33, v33
	v_max_f32_e32 v32, v32, v55
	v_cndmask_b32_e32 v34, v34, v33, vcc
	v_cndmask_b32_e32 v32, v32, v33, vcc
	v_cndmask_b32_e64 v34, v34, v51, s[10:11]
	v_cndmask_b32_e64 v32, v32, v51, s[10:11]
	v_cmp_neq_f32_e32 vcc, v34, v32
	v_cmp_class_f32_e64 s[6:7], v34, s8
	s_or_b64 s[10:11], vcc, s[6:7]
	s_and_saveexec_b64 s[6:7], s[10:11]
	s_cbranch_execz .LBB492_212
; %bb.211:
	v_sub_f32_e32 v33, v34, v32
	s_mov_b32 s8, 0x3fb8aa3b
	v_mul_f32_e32 v34, 0x3fb8aa3b, v33
	v_fma_f32 v35, v33, s8, -v34
	v_rndne_f32_e32 v48, v34
	v_fmac_f32_e32 v35, 0x32a5705f, v33
	v_sub_f32_e32 v34, v34, v48
	v_add_f32_e32 v34, v34, v35
	v_exp_f32_e32 v34, v34
	v_cvt_i32_f32_e32 v35, v48
	s_mov_b32 s8, 0xc2ce8ed0
	v_cmp_ngt_f32_e32 vcc, s8, v33
	s_mov_b32 s8, 0x42b17218
	v_ldexp_f32 v34, v34, v35
	v_cndmask_b32_e32 v34, 0, v34, vcc
	v_mov_b32_e32 v35, 0x7f800000
	v_cmp_nlt_f32_e32 vcc, s8, v33
	v_cndmask_b32_e32 v150, v35, v34, vcc
	v_add_f32_e32 v33, 1.0, v150
	v_add_f32_e32 v34, -1.0, v33
	v_sub_f32_e32 v35, v34, v33
	v_add_f32_e32 v35, 1.0, v35
	v_sub_f32_e32 v34, v150, v34
	v_add_f32_e32 v48, v34, v35
	v_frexp_mant_f32_e32 v49, v33
	s_mov_b32 s8, 0x3f2aaaab
	v_cvt_f64_f32_e32 v[34:35], v33
	v_frexp_exp_i32_f64_e32 v34, v[34:35]
	v_cmp_gt_f32_e32 vcc, s8, v49
	v_subbrev_co_u32_e32 v134, vcc, 0, v34, vcc
	v_sub_u32_e32 v34, 0, v134
	v_ldexp_f32 v33, v33, v34
	v_ldexp_f32 v34, v48, v34
	v_add_f32_e32 v48, -1.0, v33
	v_add_f32_e32 v35, 1.0, v48
	v_sub_f32_e32 v35, v33, v35
	v_add_f32_e32 v49, v34, v35
	v_add_f32_e32 v35, 1.0, v33
	v_add_f32_e32 v50, -1.0, v35
	v_sub_f32_e32 v33, v33, v50
	v_add_f32_e32 v33, v34, v33
	v_add_f32_e32 v135, v35, v33
	v_rcp_f32_e32 v144, v135
	v_sub_f32_e32 v34, v35, v135
	v_add_f32_e32 v35, v48, v49
	v_add_f32_e32 v33, v33, v34
	v_mul_f32_e32 v146, v35, v144
	v_sub_f32_e32 v34, v48, v35
	v_mul_f32_e32 v48, v135, v146
	v_fma_f32 v50, v146, v135, -v48
	v_fmac_f32_e32 v50, v146, v33
	v_add_f32_e32 v145, v49, v34
	v_add_f32_e32 v34, v48, v50
	v_sub_f32_e32 v49, v35, v34
	v_pk_add_f32 v[54:55], v[34:35], v[48:49] neg_lo:[0,1] neg_hi:[0,1]
	v_mov_b32_e32 v51, v34
	v_pk_add_f32 v[34:35], v[54:55], v[50:51] neg_lo:[0,1] neg_hi:[0,1]
	v_add_f32_e32 v35, v145, v35
	v_add_f32_e32 v34, v34, v35
	;; [unrolled: 1-line block ×3, first 2 shown]
	v_mul_f32_e32 v145, v144, v35
	v_mul_f32_e32 v48, v135, v145
	v_fma_f32 v50, v145, v135, -v48
	v_fmac_f32_e32 v50, v145, v33
	v_sub_f32_e32 v33, v49, v35
	v_add_f32_e32 v33, v34, v33
	v_add_f32_e32 v34, v48, v50
	v_sub_f32_e32 v49, v35, v34
	v_pk_add_f32 v[54:55], v[34:35], v[48:49] neg_lo:[0,1] neg_hi:[0,1]
	v_mov_b32_e32 v51, v34
	v_pk_add_f32 v[34:35], v[54:55], v[50:51] neg_lo:[0,1] neg_hi:[0,1]
	v_add_f32_e32 v33, v33, v35
	v_add_f32_e32 v33, v34, v33
	;; [unrolled: 1-line block ×4, first 2 shown]
	v_sub_f32_e32 v35, v34, v146
	v_mul_f32_e32 v33, v144, v33
	v_sub_f32_e32 v35, v145, v35
	v_add_f32_e32 v33, v35, v33
	v_add_f32_e32 v49, v34, v33
	v_mul_f32_e32 v50, v49, v49
	v_mov_b32_e32 v48, 0x3ecc95a3
	v_fmac_f32_e32 v48, 0x3e9b6dac, v50
	v_mov_b32_e32 v35, 0x3f2aaada
	v_fmac_f32_e32 v35, v50, v48
	v_cvt_f32_i32_e32 v48, v134
	v_sub_f32_e32 v34, v49, v34
	v_sub_f32_e32 v33, v33, v34
	v_ldexp_f32 v51, v49, 1
	v_mul_f32_e32 v49, v49, v50
	v_mov_b32_e32 v34, 0x3f317218
	s_mov_b32 s8, 0x3f317218
	v_pk_mul_f32 v[34:35], v[48:49], v[34:35]
	v_fma_f32 v50, v48, s8, -v34
	v_fmac_f32_e32 v50, 0xb102e308, v48
	v_pk_add_f32 v[48:49], v[34:35], v[50:51]
	v_sub_f32_e32 v51, v49, v51
	v_ldexp_f32 v33, v33, 1
	v_sub_f32_e32 v51, v35, v51
	v_add_f32_e32 v55, v33, v51
	v_mov_b32_e32 v54, v34
	v_pk_add_f32 v[34:35], v[48:49], v[34:35] neg_lo:[0,1] neg_hi:[0,1]
	v_pk_add_f32 v[134:135], v[48:49], v[54:55]
	v_mov_b32_e32 v35, v135
	v_mov_b32_e32 v51, v48
	v_pk_add_f32 v[144:145], v[50:51], v[34:35] neg_lo:[0,1] neg_hi:[0,1]
	v_pk_add_f32 v[34:35], v[50:51], v[34:35]
	v_mov_b32_e32 v50, v35
	v_pk_add_f32 v[146:147], v[50:51], v[48:49] neg_lo:[0,1] neg_hi:[0,1]
	v_mov_b32_e32 v33, v146
	v_pk_add_f32 v[148:149], v[134:135], v[32:33] neg_lo:[0,1] neg_hi:[0,1]
	v_mov_b32_e32 v34, v135
	v_mov_b32_e32 v134, v49
	;; [unrolled: 1-line block ×4, first 2 shown]
	v_pk_add_f32 v[34:35], v[34:35], v[134:135] neg_lo:[0,1] neg_hi:[0,1]
	v_mov_b32_e32 v54, v55
	v_mov_b32_e32 v55, v48
	v_pk_add_f32 v[34:35], v[54:55], v[34:35] neg_lo:[0,1] neg_hi:[0,1]
	v_mov_b32_e32 v148, v144
	v_pk_add_f32 v[48:49], v[148:149], v[34:35]
	v_mov_b32_e32 v54, v49
	v_pk_add_f32 v[54:55], v[48:49], v[54:55]
	v_pk_add_f32 v[50:51], v[50:51], v[54:55]
	v_mov_b32_e32 v49, v50
	v_pk_add_f32 v[134:135], v[48:49], v[144:145] neg_lo:[0,1] neg_hi:[0,1]
	v_mov_b32_e32 v35, v54
	v_sub_f32_e32 v33, v48, v134
	v_pk_add_f32 v[34:35], v[34:35], v[134:135] neg_lo:[0,1] neg_hi:[0,1]
	v_sub_f32_e32 v33, v144, v33
	s_mov_b32 s10, 0x7f800000
	v_add_f32_e32 v33, v34, v33
	s_mov_b32 s8, 0x33800000
	v_add_f32_e32 v33, v33, v35
	v_cmp_eq_f32_e32 vcc, s10, v150
	v_cmp_lt_f32_e64 s[10:11], |v150|, s8
	v_add_f32_e32 v33, v50, v33
	s_or_b64 vcc, vcc, s[10:11]
	v_cndmask_b32_e32 v33, v33, v150, vcc
	v_add_f32_e32 v33, v32, v33
.LBB492_212:
	s_or_b64 exec, exec, s[6:7]
	v_bfe_u32 v32, v33, 16, 1
	v_add3_u32 v32, v33, v32, s9
	v_lshrrev_b32_e32 v32, 16, v32
	v_cmp_o_f32_e32 vcc, v33, v33
	v_cndmask_b32_e32 v31, v31, v32, vcc
	v_lshlrev_b32_e32 v34, 16, v31
	v_max_f32_e32 v32, v34, v34
	v_min_f32_e32 v33, v32, v66
	v_cmp_u_f32_e32 vcc, v34, v34
	v_max_f32_e32 v32, v32, v66
	v_cndmask_b32_e32 v33, v33, v34, vcc
	v_cndmask_b32_e32 v32, v32, v34, vcc
	v_cndmask_b32_e64 v33, v33, v52, s[58:59]
	v_cndmask_b32_e64 v32, v32, v52, s[58:59]
	s_movk_i32 s8, 0x1f8
	v_cmp_neq_f32_e32 vcc, v33, v32
	v_cmp_class_f32_e64 s[6:7], v33, s8
	s_or_b64 s[10:11], vcc, s[6:7]
	s_and_saveexec_b64 s[6:7], s[10:11]
	s_cbranch_execz .LBB492_214
; %bb.213:
	v_sub_f32_e32 v33, v33, v32
	s_mov_b32 s9, 0x3fb8aa3b
	v_mul_f32_e32 v34, 0x3fb8aa3b, v33
	v_fma_f32 v35, v33, s9, -v34
	v_rndne_f32_e32 v48, v34
	v_fmac_f32_e32 v35, 0x32a5705f, v33
	v_sub_f32_e32 v34, v34, v48
	v_add_f32_e32 v34, v34, v35
	v_exp_f32_e32 v34, v34
	v_cvt_i32_f32_e32 v35, v48
	s_mov_b32 s9, 0xc2ce8ed0
	v_cmp_ngt_f32_e32 vcc, s9, v33
	s_mov_b32 s9, 0x42b17218
	v_ldexp_f32 v34, v34, v35
	v_cndmask_b32_e32 v34, 0, v34, vcc
	v_mov_b32_e32 v35, 0x7f800000
	v_cmp_nlt_f32_e32 vcc, s9, v33
	v_cndmask_b32_e32 v66, v35, v34, vcc
	v_add_f32_e32 v33, 1.0, v66
	v_add_f32_e32 v34, -1.0, v33
	v_sub_f32_e32 v35, v34, v33
	v_add_f32_e32 v35, 1.0, v35
	v_sub_f32_e32 v34, v66, v34
	v_add_f32_e32 v48, v34, v35
	v_frexp_mant_f32_e32 v49, v33
	s_mov_b32 s9, 0x3f2aaaab
	v_cvt_f64_f32_e32 v[34:35], v33
	v_frexp_exp_i32_f64_e32 v34, v[34:35]
	v_cmp_gt_f32_e32 vcc, s9, v49
	v_subbrev_co_u32_e32 v52, vcc, 0, v34, vcc
	v_sub_u32_e32 v34, 0, v52
	v_ldexp_f32 v33, v33, v34
	v_ldexp_f32 v34, v48, v34
	v_add_f32_e32 v48, -1.0, v33
	v_add_f32_e32 v35, 1.0, v48
	v_sub_f32_e32 v35, v33, v35
	v_add_f32_e32 v49, v34, v35
	v_add_f32_e32 v35, 1.0, v33
	v_add_f32_e32 v50, -1.0, v35
	v_sub_f32_e32 v33, v33, v50
	v_add_f32_e32 v33, v34, v33
	v_add_f32_e32 v134, v35, v33
	v_rcp_f32_e32 v135, v134
	v_sub_f32_e32 v34, v35, v134
	v_add_f32_e32 v35, v48, v49
	v_add_f32_e32 v33, v33, v34
	v_mul_f32_e32 v145, v35, v135
	v_sub_f32_e32 v34, v48, v35
	v_mul_f32_e32 v48, v134, v145
	v_fma_f32 v50, v145, v134, -v48
	v_fmac_f32_e32 v50, v145, v33
	v_add_f32_e32 v144, v49, v34
	v_add_f32_e32 v34, v48, v50
	v_sub_f32_e32 v49, v35, v34
	v_pk_add_f32 v[54:55], v[34:35], v[48:49] neg_lo:[0,1] neg_hi:[0,1]
	v_mov_b32_e32 v51, v34
	v_pk_add_f32 v[34:35], v[54:55], v[50:51] neg_lo:[0,1] neg_hi:[0,1]
	v_add_f32_e32 v35, v144, v35
	v_add_f32_e32 v34, v34, v35
	;; [unrolled: 1-line block ×3, first 2 shown]
	v_mul_f32_e32 v144, v135, v35
	v_mul_f32_e32 v48, v134, v144
	v_fma_f32 v50, v144, v134, -v48
	v_fmac_f32_e32 v50, v144, v33
	v_sub_f32_e32 v33, v49, v35
	v_add_f32_e32 v33, v34, v33
	v_add_f32_e32 v34, v48, v50
	v_sub_f32_e32 v49, v35, v34
	v_pk_add_f32 v[54:55], v[34:35], v[48:49] neg_lo:[0,1] neg_hi:[0,1]
	v_mov_b32_e32 v51, v34
	v_pk_add_f32 v[34:35], v[54:55], v[50:51] neg_lo:[0,1] neg_hi:[0,1]
	v_add_f32_e32 v33, v33, v35
	v_add_f32_e32 v33, v34, v33
	;; [unrolled: 1-line block ×4, first 2 shown]
	v_sub_f32_e32 v35, v34, v145
	v_mul_f32_e32 v33, v135, v33
	v_sub_f32_e32 v35, v144, v35
	v_add_f32_e32 v33, v35, v33
	v_add_f32_e32 v49, v34, v33
	v_mul_f32_e32 v50, v49, v49
	v_mov_b32_e32 v48, 0x3ecc95a3
	v_fmac_f32_e32 v48, 0x3e9b6dac, v50
	v_mov_b32_e32 v35, 0x3f2aaada
	v_fmac_f32_e32 v35, v50, v48
	v_cvt_f32_i32_e32 v48, v52
	v_sub_f32_e32 v34, v49, v34
	v_sub_f32_e32 v33, v33, v34
	v_ldexp_f32 v51, v49, 1
	v_mul_f32_e32 v49, v49, v50
	v_mov_b32_e32 v34, 0x3f317218
	s_mov_b32 s9, 0x3f317218
	v_pk_mul_f32 v[34:35], v[48:49], v[34:35]
	v_fma_f32 v50, v48, s9, -v34
	v_fmac_f32_e32 v50, 0xb102e308, v48
	v_pk_add_f32 v[48:49], v[34:35], v[50:51]
	v_sub_f32_e32 v51, v49, v51
	v_ldexp_f32 v33, v33, 1
	v_sub_f32_e32 v51, v35, v51
	v_add_f32_e32 v55, v33, v51
	v_mov_b32_e32 v54, v34
	v_pk_add_f32 v[34:35], v[48:49], v[34:35] neg_lo:[0,1] neg_hi:[0,1]
	v_pk_add_f32 v[134:135], v[48:49], v[54:55]
	v_mov_b32_e32 v35, v135
	v_mov_b32_e32 v51, v48
	v_pk_add_f32 v[144:145], v[50:51], v[34:35] neg_lo:[0,1] neg_hi:[0,1]
	v_pk_add_f32 v[34:35], v[50:51], v[34:35]
	v_mov_b32_e32 v50, v35
	v_pk_add_f32 v[146:147], v[50:51], v[48:49] neg_lo:[0,1] neg_hi:[0,1]
	v_mov_b32_e32 v33, v146
	v_pk_add_f32 v[148:149], v[134:135], v[32:33] neg_lo:[0,1] neg_hi:[0,1]
	v_mov_b32_e32 v34, v135
	v_mov_b32_e32 v134, v49
	;; [unrolled: 1-line block ×4, first 2 shown]
	v_pk_add_f32 v[34:35], v[34:35], v[134:135] neg_lo:[0,1] neg_hi:[0,1]
	v_mov_b32_e32 v54, v55
	v_mov_b32_e32 v55, v48
	v_pk_add_f32 v[34:35], v[54:55], v[34:35] neg_lo:[0,1] neg_hi:[0,1]
	v_mov_b32_e32 v148, v144
	v_pk_add_f32 v[48:49], v[148:149], v[34:35]
	v_mov_b32_e32 v52, v49
	v_pk_add_f32 v[54:55], v[48:49], v[52:53]
	v_pk_add_f32 v[50:51], v[50:51], v[54:55]
	v_mov_b32_e32 v49, v50
	v_pk_add_f32 v[134:135], v[48:49], v[144:145] neg_lo:[0,1] neg_hi:[0,1]
	v_mov_b32_e32 v35, v54
	v_sub_f32_e32 v33, v48, v134
	v_pk_add_f32 v[34:35], v[34:35], v[134:135] neg_lo:[0,1] neg_hi:[0,1]
	v_sub_f32_e32 v33, v144, v33
	s_mov_b32 s10, 0x7f800000
	v_add_f32_e32 v33, v34, v33
	s_mov_b32 s9, 0x33800000
	v_add_f32_e32 v33, v33, v35
	v_cmp_eq_f32_e32 vcc, s10, v66
	v_cmp_lt_f32_e64 s[10:11], |v66|, s9
	v_add_f32_e32 v33, v50, v33
	s_or_b64 vcc, vcc, s[10:11]
	v_cndmask_b32_e32 v33, v33, v66, vcc
	v_add_f32_e32 v34, v32, v33
.LBB492_214:
	s_or_b64 exec, exec, s[6:7]
	v_bfe_u32 v32, v34, 16, 1
	s_movk_i32 s9, 0x7fff
	v_add3_u32 v32, v34, v32, s9
	v_lshrrev_b32_e32 v32, 16, v32
	v_mov_b32_e32 v33, 0x7fc0
	v_cmp_o_f32_e32 vcc, v34, v34
	v_cndmask_b32_e32 v32, v33, v32, vcc
	v_lshlrev_b32_e32 v35, 16, v32
	v_max_f32_e32 v34, v35, v35
	v_min_f32_e32 v48, v34, v67
	v_cmp_u_f32_e32 vcc, v35, v35
	v_max_f32_e32 v34, v34, v67
	v_cndmask_b32_e32 v48, v48, v35, vcc
	v_cndmask_b32_e32 v34, v34, v35, vcc
	v_cndmask_b32_e64 v48, v48, v53, s[14:15]
	v_cndmask_b32_e64 v34, v34, v53, s[14:15]
	v_cmp_neq_f32_e32 vcc, v48, v34
	v_cmp_class_f32_e64 s[6:7], v48, s8
	s_or_b64 s[10:11], vcc, s[6:7]
	s_and_saveexec_b64 s[6:7], s[10:11]
	s_cbranch_execz .LBB492_216
; %bb.215:
	v_sub_f32_e32 v35, v48, v34
	s_mov_b32 s8, 0x3fb8aa3b
	v_mul_f32_e32 v48, 0x3fb8aa3b, v35
	v_fma_f32 v49, v35, s8, -v48
	v_rndne_f32_e32 v50, v48
	v_fmac_f32_e32 v49, 0x32a5705f, v35
	v_sub_f32_e32 v48, v48, v50
	v_add_f32_e32 v48, v48, v49
	v_exp_f32_e32 v48, v48
	v_cvt_i32_f32_e32 v49, v50
	s_mov_b32 s8, 0xc2ce8ed0
	v_cmp_ngt_f32_e32 vcc, s8, v35
	s_mov_b32 s8, 0x42b17218
	v_ldexp_f32 v48, v48, v49
	v_cndmask_b32_e32 v48, 0, v48, vcc
	v_mov_b32_e32 v49, 0x7f800000
	v_cmp_nlt_f32_e32 vcc, s8, v35
	v_cndmask_b32_e32 v148, v49, v48, vcc
	v_add_f32_e32 v35, 1.0, v148
	v_add_f32_e32 v48, -1.0, v35
	v_sub_f32_e32 v49, v48, v35
	v_add_f32_e32 v49, 1.0, v49
	v_sub_f32_e32 v48, v148, v48
	v_add_f32_e32 v50, v48, v49
	v_frexp_mant_f32_e32 v51, v35
	s_mov_b32 s8, 0x3f2aaaab
	v_cvt_f64_f32_e32 v[48:49], v35
	v_frexp_exp_i32_f64_e32 v48, v[48:49]
	v_cmp_gt_f32_e32 vcc, s8, v51
	v_subbrev_co_u32_e32 v66, vcc, 0, v48, vcc
	v_sub_u32_e32 v48, 0, v66
	v_ldexp_f32 v35, v35, v48
	v_ldexp_f32 v48, v50, v48
	v_add_f32_e32 v50, -1.0, v35
	v_add_f32_e32 v49, 1.0, v50
	v_sub_f32_e32 v49, v35, v49
	v_add_f32_e32 v51, v48, v49
	v_add_f32_e32 v49, 1.0, v35
	v_add_f32_e32 v52, -1.0, v49
	v_sub_f32_e32 v35, v35, v52
	v_add_f32_e32 v35, v48, v35
	v_add_f32_e32 v67, v49, v35
	v_rcp_f32_e32 v134, v67
	v_sub_f32_e32 v48, v49, v67
	v_add_f32_e32 v49, v50, v51
	v_add_f32_e32 v35, v35, v48
	v_mul_f32_e32 v144, v49, v134
	v_sub_f32_e32 v48, v50, v49
	v_mul_f32_e32 v50, v67, v144
	v_fma_f32 v52, v144, v67, -v50
	v_fmac_f32_e32 v52, v144, v35
	v_add_f32_e32 v135, v51, v48
	v_add_f32_e32 v48, v50, v52
	v_sub_f32_e32 v51, v49, v48
	v_pk_add_f32 v[54:55], v[48:49], v[50:51] neg_lo:[0,1] neg_hi:[0,1]
	v_mov_b32_e32 v53, v48
	v_pk_add_f32 v[48:49], v[54:55], v[52:53] neg_lo:[0,1] neg_hi:[0,1]
	v_add_f32_e32 v49, v135, v49
	v_add_f32_e32 v48, v48, v49
	;; [unrolled: 1-line block ×3, first 2 shown]
	v_mul_f32_e32 v135, v134, v49
	v_mul_f32_e32 v50, v67, v135
	v_fma_f32 v52, v135, v67, -v50
	v_fmac_f32_e32 v52, v135, v35
	v_sub_f32_e32 v35, v51, v49
	v_add_f32_e32 v35, v48, v35
	v_add_f32_e32 v48, v50, v52
	v_sub_f32_e32 v51, v49, v48
	v_pk_add_f32 v[54:55], v[48:49], v[50:51] neg_lo:[0,1] neg_hi:[0,1]
	v_mov_b32_e32 v53, v48
	v_pk_add_f32 v[48:49], v[54:55], v[52:53] neg_lo:[0,1] neg_hi:[0,1]
	v_add_f32_e32 v35, v35, v49
	v_add_f32_e32 v35, v48, v35
	;; [unrolled: 1-line block ×4, first 2 shown]
	v_sub_f32_e32 v49, v48, v144
	v_mul_f32_e32 v35, v134, v35
	v_sub_f32_e32 v49, v135, v49
	v_add_f32_e32 v35, v49, v35
	v_add_f32_e32 v51, v48, v35
	v_mul_f32_e32 v52, v51, v51
	v_mov_b32_e32 v50, 0x3ecc95a3
	v_fmac_f32_e32 v50, 0x3e9b6dac, v52
	v_mov_b32_e32 v49, 0x3f2aaada
	v_fmac_f32_e32 v49, v52, v50
	v_cvt_f32_i32_e32 v50, v66
	v_sub_f32_e32 v48, v51, v48
	v_sub_f32_e32 v35, v35, v48
	v_ldexp_f32 v53, v51, 1
	v_mul_f32_e32 v51, v51, v52
	v_mov_b32_e32 v48, 0x3f317218
	s_mov_b32 s8, 0x3f317218
	v_pk_mul_f32 v[48:49], v[50:51], v[48:49]
	v_fma_f32 v52, v50, s8, -v48
	v_fmac_f32_e32 v52, 0xb102e308, v50
	v_pk_add_f32 v[50:51], v[48:49], v[52:53]
	v_sub_f32_e32 v53, v51, v53
	v_ldexp_f32 v35, v35, 1
	v_sub_f32_e32 v53, v49, v53
	v_add_f32_e32 v55, v35, v53
	v_mov_b32_e32 v54, v48
	v_pk_add_f32 v[48:49], v[50:51], v[48:49] neg_lo:[0,1] neg_hi:[0,1]
	v_pk_add_f32 v[66:67], v[50:51], v[54:55]
	v_mov_b32_e32 v49, v67
	v_mov_b32_e32 v53, v50
	v_pk_add_f32 v[134:135], v[52:53], v[48:49] neg_lo:[0,1] neg_hi:[0,1]
	v_pk_add_f32 v[48:49], v[52:53], v[48:49]
	v_mov_b32_e32 v52, v49
	v_pk_add_f32 v[144:145], v[52:53], v[50:51] neg_lo:[0,1] neg_hi:[0,1]
	v_mov_b32_e32 v35, v144
	v_pk_add_f32 v[146:147], v[66:67], v[34:35] neg_lo:[0,1] neg_hi:[0,1]
	v_mov_b32_e32 v48, v67
	v_mov_b32_e32 v66, v51
	;; [unrolled: 1-line block ×4, first 2 shown]
	v_pk_add_f32 v[48:49], v[48:49], v[66:67] neg_lo:[0,1] neg_hi:[0,1]
	v_mov_b32_e32 v54, v55
	v_mov_b32_e32 v55, v50
	v_pk_add_f32 v[48:49], v[54:55], v[48:49] neg_lo:[0,1] neg_hi:[0,1]
	v_mov_b32_e32 v146, v134
	v_pk_add_f32 v[50:51], v[146:147], v[48:49]
	v_mov_b32_e32 v54, v51
	v_pk_add_f32 v[54:55], v[50:51], v[54:55]
	v_pk_add_f32 v[52:53], v[52:53], v[54:55]
	v_mov_b32_e32 v51, v52
	v_pk_add_f32 v[66:67], v[50:51], v[134:135] neg_lo:[0,1] neg_hi:[0,1]
	v_mov_b32_e32 v49, v54
	v_sub_f32_e32 v35, v50, v66
	v_pk_add_f32 v[48:49], v[48:49], v[66:67] neg_lo:[0,1] neg_hi:[0,1]
	v_sub_f32_e32 v35, v134, v35
	s_mov_b32 s10, 0x7f800000
	v_add_f32_e32 v35, v48, v35
	s_mov_b32 s8, 0x33800000
	v_add_f32_e32 v35, v35, v49
	v_cmp_eq_f32_e32 vcc, s10, v148
	v_cmp_lt_f32_e64 s[10:11], |v148|, s8
	v_add_f32_e32 v35, v52, v35
	s_or_b64 vcc, vcc, s[10:11]
	v_cndmask_b32_e32 v35, v35, v148, vcc
	v_add_f32_e32 v35, v34, v35
.LBB492_216:
	s_or_b64 exec, exec, s[6:7]
	v_bfe_u32 v34, v35, 16, 1
	v_add3_u32 v34, v35, v34, s9
	v_lshrrev_b32_e32 v34, 16, v34
	v_cmp_o_f32_e32 vcc, v35, v35
	v_cndmask_b32_e32 v33, v33, v34, vcc
	v_lshlrev_b32_e32 v48, 16, v33
	v_max_f32_e32 v34, v48, v48
	v_min_f32_e32 v35, v34, v70
	v_cmp_u_f32_e32 vcc, v48, v48
	v_max_f32_e32 v34, v34, v70
	v_cndmask_b32_e32 v35, v35, v48, vcc
	v_cndmask_b32_e32 v34, v34, v48, vcc
	v_cndmask_b32_e64 v35, v35, v64, s[16:17]
	v_cndmask_b32_e64 v34, v34, v64, s[16:17]
	s_movk_i32 s8, 0x1f8
	v_cmp_neq_f32_e32 vcc, v35, v34
	v_cmp_class_f32_e64 s[6:7], v35, s8
	s_or_b64 s[10:11], vcc, s[6:7]
	s_and_saveexec_b64 s[6:7], s[10:11]
	s_cbranch_execz .LBB492_218
; %bb.217:
	v_sub_f32_e32 v35, v35, v34
	s_mov_b32 s9, 0x3fb8aa3b
	v_mul_f32_e32 v48, 0x3fb8aa3b, v35
	v_fma_f32 v49, v35, s9, -v48
	v_rndne_f32_e32 v50, v48
	v_fmac_f32_e32 v49, 0x32a5705f, v35
	v_sub_f32_e32 v48, v48, v50
	v_add_f32_e32 v48, v48, v49
	v_exp_f32_e32 v48, v48
	v_cvt_i32_f32_e32 v49, v50
	s_mov_b32 s9, 0xc2ce8ed0
	v_cmp_ngt_f32_e32 vcc, s9, v35
	s_mov_b32 s9, 0x42b17218
	v_ldexp_f32 v48, v48, v49
	v_cndmask_b32_e32 v48, 0, v48, vcc
	v_mov_b32_e32 v49, 0x7f800000
	v_cmp_nlt_f32_e32 vcc, s9, v35
	v_cndmask_b32_e32 v64, v49, v48, vcc
	v_add_f32_e32 v35, 1.0, v64
	v_add_f32_e32 v48, -1.0, v35
	v_sub_f32_e32 v49, v48, v35
	v_add_f32_e32 v49, 1.0, v49
	v_sub_f32_e32 v48, v64, v48
	v_add_f32_e32 v50, v48, v49
	v_frexp_mant_f32_e32 v51, v35
	s_mov_b32 s9, 0x3f2aaaab
	v_cvt_f64_f32_e32 v[48:49], v35
	v_frexp_exp_i32_f64_e32 v48, v[48:49]
	v_cmp_gt_f32_e32 vcc, s9, v51
	v_subbrev_co_u32_e32 v66, vcc, 0, v48, vcc
	v_sub_u32_e32 v48, 0, v66
	v_ldexp_f32 v35, v35, v48
	v_ldexp_f32 v48, v50, v48
	v_add_f32_e32 v50, -1.0, v35
	v_add_f32_e32 v49, 1.0, v50
	v_sub_f32_e32 v49, v35, v49
	v_add_f32_e32 v51, v48, v49
	v_add_f32_e32 v49, 1.0, v35
	v_add_f32_e32 v52, -1.0, v49
	v_sub_f32_e32 v35, v35, v52
	v_add_f32_e32 v35, v48, v35
	v_add_f32_e32 v67, v49, v35
	v_rcp_f32_e32 v70, v67
	v_sub_f32_e32 v48, v49, v67
	v_add_f32_e32 v49, v50, v51
	v_add_f32_e32 v35, v35, v48
	v_mul_f32_e32 v135, v49, v70
	v_sub_f32_e32 v48, v50, v49
	v_mul_f32_e32 v50, v67, v135
	v_fma_f32 v52, v135, v67, -v50
	v_fmac_f32_e32 v52, v135, v35
	v_add_f32_e32 v134, v51, v48
	v_add_f32_e32 v48, v50, v52
	v_sub_f32_e32 v51, v49, v48
	v_pk_add_f32 v[54:55], v[48:49], v[50:51] neg_lo:[0,1] neg_hi:[0,1]
	v_mov_b32_e32 v53, v48
	v_pk_add_f32 v[48:49], v[54:55], v[52:53] neg_lo:[0,1] neg_hi:[0,1]
	v_add_f32_e32 v49, v134, v49
	v_add_f32_e32 v48, v48, v49
	;; [unrolled: 1-line block ×3, first 2 shown]
	v_mul_f32_e32 v134, v70, v49
	v_mul_f32_e32 v50, v67, v134
	v_fma_f32 v52, v134, v67, -v50
	v_fmac_f32_e32 v52, v134, v35
	v_sub_f32_e32 v35, v51, v49
	v_add_f32_e32 v35, v48, v35
	v_add_f32_e32 v48, v50, v52
	v_sub_f32_e32 v51, v49, v48
	v_pk_add_f32 v[54:55], v[48:49], v[50:51] neg_lo:[0,1] neg_hi:[0,1]
	v_mov_b32_e32 v53, v48
	v_pk_add_f32 v[48:49], v[54:55], v[52:53] neg_lo:[0,1] neg_hi:[0,1]
	v_add_f32_e32 v35, v35, v49
	v_add_f32_e32 v35, v48, v35
	;; [unrolled: 1-line block ×4, first 2 shown]
	v_sub_f32_e32 v49, v48, v135
	v_mul_f32_e32 v35, v70, v35
	v_sub_f32_e32 v49, v134, v49
	v_add_f32_e32 v35, v49, v35
	v_add_f32_e32 v51, v48, v35
	v_mul_f32_e32 v52, v51, v51
	v_mov_b32_e32 v50, 0x3ecc95a3
	v_fmac_f32_e32 v50, 0x3e9b6dac, v52
	v_mov_b32_e32 v49, 0x3f2aaada
	v_fmac_f32_e32 v49, v52, v50
	v_cvt_f32_i32_e32 v50, v66
	v_sub_f32_e32 v48, v51, v48
	v_sub_f32_e32 v35, v35, v48
	v_ldexp_f32 v53, v51, 1
	v_mul_f32_e32 v51, v51, v52
	v_mov_b32_e32 v48, 0x3f317218
	s_mov_b32 s9, 0x3f317218
	v_pk_mul_f32 v[48:49], v[50:51], v[48:49]
	v_fma_f32 v52, v50, s9, -v48
	v_fmac_f32_e32 v52, 0xb102e308, v50
	v_pk_add_f32 v[50:51], v[48:49], v[52:53]
	v_sub_f32_e32 v53, v51, v53
	v_ldexp_f32 v35, v35, 1
	v_sub_f32_e32 v53, v49, v53
	v_add_f32_e32 v55, v35, v53
	v_mov_b32_e32 v54, v48
	v_pk_add_f32 v[48:49], v[50:51], v[48:49] neg_lo:[0,1] neg_hi:[0,1]
	v_pk_add_f32 v[66:67], v[50:51], v[54:55]
	v_mov_b32_e32 v49, v67
	v_mov_b32_e32 v53, v50
	v_pk_add_f32 v[134:135], v[52:53], v[48:49] neg_lo:[0,1] neg_hi:[0,1]
	v_pk_add_f32 v[48:49], v[52:53], v[48:49]
	v_mov_b32_e32 v52, v49
	v_pk_add_f32 v[144:145], v[52:53], v[50:51] neg_lo:[0,1] neg_hi:[0,1]
	v_mov_b32_e32 v35, v144
	v_pk_add_f32 v[146:147], v[66:67], v[34:35] neg_lo:[0,1] neg_hi:[0,1]
	v_mov_b32_e32 v48, v67
	v_mov_b32_e32 v66, v51
	;; [unrolled: 1-line block ×4, first 2 shown]
	v_pk_add_f32 v[48:49], v[48:49], v[66:67] neg_lo:[0,1] neg_hi:[0,1]
	v_mov_b32_e32 v54, v55
	v_mov_b32_e32 v55, v50
	v_pk_add_f32 v[48:49], v[54:55], v[48:49] neg_lo:[0,1] neg_hi:[0,1]
	v_mov_b32_e32 v146, v134
	v_pk_add_f32 v[50:51], v[146:147], v[48:49]
	v_mov_b32_e32 v54, v51
	v_pk_add_f32 v[54:55], v[50:51], v[54:55]
	v_pk_add_f32 v[52:53], v[52:53], v[54:55]
	v_mov_b32_e32 v51, v52
	v_pk_add_f32 v[66:67], v[50:51], v[134:135] neg_lo:[0,1] neg_hi:[0,1]
	v_mov_b32_e32 v49, v54
	v_sub_f32_e32 v35, v50, v66
	v_pk_add_f32 v[48:49], v[48:49], v[66:67] neg_lo:[0,1] neg_hi:[0,1]
	v_sub_f32_e32 v35, v134, v35
	s_mov_b32 s10, 0x7f800000
	v_add_f32_e32 v35, v48, v35
	s_mov_b32 s9, 0x33800000
	v_add_f32_e32 v35, v35, v49
	v_cmp_eq_f32_e32 vcc, s10, v64
	v_cmp_lt_f32_e64 s[10:11], |v64|, s9
	v_add_f32_e32 v35, v52, v35
	s_or_b64 vcc, vcc, s[10:11]
	v_cndmask_b32_e32 v35, v35, v64, vcc
	v_add_f32_e32 v48, v34, v35
.LBB492_218:
	s_or_b64 exec, exec, s[6:7]
	v_bfe_u32 v34, v48, 16, 1
	s_movk_i32 s9, 0x7fff
	v_add3_u32 v34, v48, v34, s9
	v_lshrrev_b32_e32 v34, 16, v34
	v_mov_b32_e32 v35, 0x7fc0
	v_cmp_o_f32_e32 vcc, v48, v48
	v_cndmask_b32_e32 v34, v35, v34, vcc
	v_lshlrev_b32_e32 v49, 16, v34
	v_max_f32_e32 v48, v49, v49
	v_min_f32_e32 v50, v48, v71
	v_cmp_u_f32_e32 vcc, v49, v49
	v_max_f32_e32 v48, v48, v71
	v_cndmask_b32_e32 v50, v50, v49, vcc
	v_cndmask_b32_e32 v48, v48, v49, vcc
	v_cndmask_b32_e64 v50, v50, v65, s[18:19]
	v_cndmask_b32_e64 v48, v48, v65, s[18:19]
	v_cmp_neq_f32_e32 vcc, v50, v48
	v_cmp_class_f32_e64 s[6:7], v50, s8
	s_or_b64 s[10:11], vcc, s[6:7]
	s_and_saveexec_b64 s[6:7], s[10:11]
	s_cbranch_execz .LBB492_220
; %bb.219:
	v_sub_f32_e32 v49, v50, v48
	s_mov_b32 s8, 0x3fb8aa3b
	v_mul_f32_e32 v50, 0x3fb8aa3b, v49
	v_fma_f32 v51, v49, s8, -v50
	v_rndne_f32_e32 v52, v50
	v_fmac_f32_e32 v51, 0x32a5705f, v49
	v_sub_f32_e32 v50, v50, v52
	v_add_f32_e32 v50, v50, v51
	v_exp_f32_e32 v50, v50
	v_cvt_i32_f32_e32 v51, v52
	s_mov_b32 s8, 0xc2ce8ed0
	v_cmp_ngt_f32_e32 vcc, s8, v49
	s_mov_b32 s8, 0x42b17218
	v_ldexp_f32 v50, v50, v51
	v_cndmask_b32_e32 v50, 0, v50, vcc
	v_mov_b32_e32 v51, 0x7f800000
	v_cmp_nlt_f32_e32 vcc, s8, v49
	v_cndmask_b32_e32 v146, v51, v50, vcc
	v_add_f32_e32 v49, 1.0, v146
	v_add_f32_e32 v50, -1.0, v49
	v_sub_f32_e32 v51, v50, v49
	v_add_f32_e32 v51, 1.0, v51
	v_sub_f32_e32 v50, v146, v50
	v_add_f32_e32 v52, v50, v51
	v_frexp_mant_f32_e32 v53, v49
	s_mov_b32 s8, 0x3f2aaaab
	v_cvt_f64_f32_e32 v[50:51], v49
	v_frexp_exp_i32_f64_e32 v50, v[50:51]
	v_cmp_gt_f32_e32 vcc, s8, v53
	v_subbrev_co_u32_e32 v66, vcc, 0, v50, vcc
	v_sub_u32_e32 v50, 0, v66
	v_ldexp_f32 v49, v49, v50
	v_ldexp_f32 v50, v52, v50
	v_add_f32_e32 v52, -1.0, v49
	v_add_f32_e32 v51, 1.0, v52
	v_sub_f32_e32 v51, v49, v51
	v_add_f32_e32 v53, v50, v51
	v_add_f32_e32 v51, 1.0, v49
	v_add_f32_e32 v54, -1.0, v51
	v_sub_f32_e32 v49, v49, v54
	v_add_f32_e32 v49, v50, v49
	v_add_f32_e32 v67, v51, v49
	v_rcp_f32_e32 v70, v67
	v_sub_f32_e32 v50, v51, v67
	v_add_f32_e32 v51, v52, v53
	v_add_f32_e32 v49, v49, v50
	v_mul_f32_e32 v134, v51, v70
	v_sub_f32_e32 v50, v52, v51
	v_mul_f32_e32 v52, v67, v134
	v_fma_f32 v54, v134, v67, -v52
	v_fmac_f32_e32 v54, v134, v49
	v_add_f32_e32 v71, v53, v50
	v_add_f32_e32 v50, v52, v54
	v_sub_f32_e32 v53, v51, v50
	v_pk_add_f32 v[64:65], v[50:51], v[52:53] neg_lo:[0,1] neg_hi:[0,1]
	v_mov_b32_e32 v55, v50
	v_pk_add_f32 v[50:51], v[64:65], v[54:55] neg_lo:[0,1] neg_hi:[0,1]
	v_add_f32_e32 v51, v71, v51
	v_add_f32_e32 v50, v50, v51
	;; [unrolled: 1-line block ×3, first 2 shown]
	v_mul_f32_e32 v71, v70, v51
	v_mul_f32_e32 v52, v67, v71
	v_fma_f32 v54, v71, v67, -v52
	v_fmac_f32_e32 v54, v71, v49
	v_sub_f32_e32 v49, v53, v51
	v_add_f32_e32 v49, v50, v49
	v_add_f32_e32 v50, v52, v54
	v_sub_f32_e32 v53, v51, v50
	v_pk_add_f32 v[64:65], v[50:51], v[52:53] neg_lo:[0,1] neg_hi:[0,1]
	v_mov_b32_e32 v55, v50
	v_pk_add_f32 v[50:51], v[64:65], v[54:55] neg_lo:[0,1] neg_hi:[0,1]
	v_add_f32_e32 v49, v49, v51
	v_add_f32_e32 v49, v50, v49
	;; [unrolled: 1-line block ×4, first 2 shown]
	v_sub_f32_e32 v51, v50, v134
	v_mul_f32_e32 v49, v70, v49
	v_sub_f32_e32 v51, v71, v51
	v_add_f32_e32 v49, v51, v49
	v_add_f32_e32 v53, v50, v49
	v_mul_f32_e32 v54, v53, v53
	v_mov_b32_e32 v52, 0x3ecc95a3
	v_fmac_f32_e32 v52, 0x3e9b6dac, v54
	v_mov_b32_e32 v51, 0x3f2aaada
	v_fmac_f32_e32 v51, v54, v52
	v_cvt_f32_i32_e32 v52, v66
	v_sub_f32_e32 v50, v53, v50
	v_sub_f32_e32 v49, v49, v50
	v_ldexp_f32 v55, v53, 1
	v_mul_f32_e32 v53, v53, v54
	v_mov_b32_e32 v50, 0x3f317218
	s_mov_b32 s8, 0x3f317218
	v_pk_mul_f32 v[50:51], v[52:53], v[50:51]
	v_fma_f32 v54, v52, s8, -v50
	v_fmac_f32_e32 v54, 0xb102e308, v52
	v_pk_add_f32 v[52:53], v[50:51], v[54:55]
	v_sub_f32_e32 v55, v53, v55
	v_ldexp_f32 v49, v49, 1
	v_sub_f32_e32 v55, v51, v55
	v_add_f32_e32 v65, v49, v55
	v_mov_b32_e32 v64, v50
	v_pk_add_f32 v[50:51], v[52:53], v[50:51] neg_lo:[0,1] neg_hi:[0,1]
	v_pk_add_f32 v[66:67], v[52:53], v[64:65]
	v_mov_b32_e32 v51, v67
	v_mov_b32_e32 v55, v52
	v_pk_add_f32 v[70:71], v[54:55], v[50:51] neg_lo:[0,1] neg_hi:[0,1]
	v_pk_add_f32 v[50:51], v[54:55], v[50:51]
	v_mov_b32_e32 v54, v51
	v_pk_add_f32 v[134:135], v[54:55], v[52:53] neg_lo:[0,1] neg_hi:[0,1]
	v_mov_b32_e32 v49, v134
	v_pk_add_f32 v[144:145], v[66:67], v[48:49] neg_lo:[0,1] neg_hi:[0,1]
	v_mov_b32_e32 v50, v67
	v_mov_b32_e32 v66, v53
	v_mov_b32_e32 v67, v134
	v_mov_b32_e32 v71, v51
	v_pk_add_f32 v[50:51], v[50:51], v[66:67] neg_lo:[0,1] neg_hi:[0,1]
	v_mov_b32_e32 v64, v65
	v_mov_b32_e32 v65, v52
	v_pk_add_f32 v[50:51], v[64:65], v[50:51] neg_lo:[0,1] neg_hi:[0,1]
	v_mov_b32_e32 v144, v70
	v_pk_add_f32 v[52:53], v[144:145], v[50:51]
	v_mov_b32_e32 v64, v53
	v_pk_add_f32 v[64:65], v[52:53], v[64:65]
	v_pk_add_f32 v[54:55], v[54:55], v[64:65]
	v_mov_b32_e32 v53, v54
	v_pk_add_f32 v[66:67], v[52:53], v[70:71] neg_lo:[0,1] neg_hi:[0,1]
	v_mov_b32_e32 v51, v64
	v_sub_f32_e32 v49, v52, v66
	v_pk_add_f32 v[50:51], v[50:51], v[66:67] neg_lo:[0,1] neg_hi:[0,1]
	v_sub_f32_e32 v49, v70, v49
	s_mov_b32 s10, 0x7f800000
	v_add_f32_e32 v49, v50, v49
	s_mov_b32 s8, 0x33800000
	v_add_f32_e32 v49, v49, v51
	v_cmp_eq_f32_e32 vcc, s10, v146
	v_cmp_lt_f32_e64 s[10:11], |v146|, s8
	v_add_f32_e32 v49, v54, v49
	s_or_b64 vcc, vcc, s[10:11]
	v_cndmask_b32_e32 v49, v49, v146, vcc
	v_add_f32_e32 v49, v48, v49
.LBB492_220:
	s_or_b64 exec, exec, s[6:7]
	v_bfe_u32 v48, v49, 16, 1
	v_add3_u32 v48, v49, v48, s9
	v_lshrrev_b32_e32 v48, 16, v48
	v_cmp_o_f32_e32 vcc, v49, v49
	v_cndmask_b32_e32 v35, v35, v48, vcc
	v_lshlrev_b32_e32 v50, 16, v35
	v_max_f32_e32 v48, v50, v50
	v_min_f32_e32 v49, v48, v82
	v_cmp_u_f32_e32 vcc, v50, v50
	v_max_f32_e32 v48, v48, v82
	v_cndmask_b32_e32 v49, v49, v50, vcc
	v_cndmask_b32_e32 v48, v48, v50, vcc
	v_cndmask_b32_e64 v49, v49, v68, s[20:21]
	v_cndmask_b32_e64 v48, v48, v68, s[20:21]
	s_movk_i32 s8, 0x1f8
	v_cmp_neq_f32_e32 vcc, v49, v48
	v_cmp_class_f32_e64 s[6:7], v49, s8
	s_or_b64 s[10:11], vcc, s[6:7]
	s_and_saveexec_b64 s[6:7], s[10:11]
	s_cbranch_execz .LBB492_222
; %bb.221:
	v_sub_f32_e32 v49, v49, v48
	s_mov_b32 s9, 0x3fb8aa3b
	v_mul_f32_e32 v50, 0x3fb8aa3b, v49
	v_fma_f32 v51, v49, s9, -v50
	v_rndne_f32_e32 v52, v50
	v_fmac_f32_e32 v51, 0x32a5705f, v49
	v_sub_f32_e32 v50, v50, v52
	v_add_f32_e32 v50, v50, v51
	v_exp_f32_e32 v50, v50
	v_cvt_i32_f32_e32 v51, v52
	s_mov_b32 s9, 0xc2ce8ed0
	v_cmp_ngt_f32_e32 vcc, s9, v49
	s_mov_b32 s9, 0x42b17218
	v_ldexp_f32 v50, v50, v51
	v_cndmask_b32_e32 v50, 0, v50, vcc
	v_mov_b32_e32 v51, 0x7f800000
	v_cmp_nlt_f32_e32 vcc, s9, v49
	v_cndmask_b32_e32 v68, v51, v50, vcc
	v_add_f32_e32 v49, 1.0, v68
	v_add_f32_e32 v50, -1.0, v49
	v_sub_f32_e32 v51, v50, v49
	v_add_f32_e32 v51, 1.0, v51
	v_sub_f32_e32 v50, v68, v50
	v_add_f32_e32 v52, v50, v51
	v_frexp_mant_f32_e32 v53, v49
	s_mov_b32 s9, 0x3f2aaaab
	v_cvt_f64_f32_e32 v[50:51], v49
	v_frexp_exp_i32_f64_e32 v50, v[50:51]
	v_cmp_gt_f32_e32 vcc, s9, v53
	v_subbrev_co_u32_e32 v66, vcc, 0, v50, vcc
	v_sub_u32_e32 v50, 0, v66
	v_ldexp_f32 v49, v49, v50
	v_ldexp_f32 v50, v52, v50
	v_add_f32_e32 v52, -1.0, v49
	v_add_f32_e32 v51, 1.0, v52
	v_sub_f32_e32 v51, v49, v51
	v_add_f32_e32 v53, v50, v51
	v_add_f32_e32 v51, 1.0, v49
	v_add_f32_e32 v54, -1.0, v51
	v_sub_f32_e32 v49, v49, v54
	v_add_f32_e32 v49, v50, v49
	v_add_f32_e32 v67, v51, v49
	v_rcp_f32_e32 v70, v67
	v_sub_f32_e32 v50, v51, v67
	v_add_f32_e32 v51, v52, v53
	v_add_f32_e32 v49, v49, v50
	v_mul_f32_e32 v82, v51, v70
	v_sub_f32_e32 v50, v52, v51
	v_mul_f32_e32 v52, v67, v82
	v_fma_f32 v54, v82, v67, -v52
	v_fmac_f32_e32 v54, v82, v49
	v_add_f32_e32 v71, v53, v50
	v_add_f32_e32 v50, v52, v54
	v_sub_f32_e32 v53, v51, v50
	v_pk_add_f32 v[64:65], v[50:51], v[52:53] neg_lo:[0,1] neg_hi:[0,1]
	v_mov_b32_e32 v55, v50
	v_pk_add_f32 v[50:51], v[64:65], v[54:55] neg_lo:[0,1] neg_hi:[0,1]
	v_add_f32_e32 v51, v71, v51
	v_add_f32_e32 v50, v50, v51
	;; [unrolled: 1-line block ×3, first 2 shown]
	v_mul_f32_e32 v71, v70, v51
	v_mul_f32_e32 v52, v67, v71
	v_fma_f32 v54, v71, v67, -v52
	v_fmac_f32_e32 v54, v71, v49
	v_sub_f32_e32 v49, v53, v51
	v_add_f32_e32 v49, v50, v49
	v_add_f32_e32 v50, v52, v54
	v_sub_f32_e32 v53, v51, v50
	v_pk_add_f32 v[64:65], v[50:51], v[52:53] neg_lo:[0,1] neg_hi:[0,1]
	v_mov_b32_e32 v55, v50
	v_pk_add_f32 v[50:51], v[64:65], v[54:55] neg_lo:[0,1] neg_hi:[0,1]
	v_add_f32_e32 v49, v49, v51
	v_add_f32_e32 v49, v50, v49
	;; [unrolled: 1-line block ×4, first 2 shown]
	v_sub_f32_e32 v51, v50, v82
	v_mul_f32_e32 v49, v70, v49
	v_sub_f32_e32 v51, v71, v51
	v_add_f32_e32 v49, v51, v49
	v_add_f32_e32 v53, v50, v49
	v_mul_f32_e32 v54, v53, v53
	v_mov_b32_e32 v52, 0x3ecc95a3
	v_fmac_f32_e32 v52, 0x3e9b6dac, v54
	v_mov_b32_e32 v51, 0x3f2aaada
	v_fmac_f32_e32 v51, v54, v52
	v_cvt_f32_i32_e32 v52, v66
	v_sub_f32_e32 v50, v53, v50
	v_sub_f32_e32 v49, v49, v50
	v_ldexp_f32 v55, v53, 1
	v_mul_f32_e32 v53, v53, v54
	v_mov_b32_e32 v50, 0x3f317218
	s_mov_b32 s9, 0x3f317218
	v_pk_mul_f32 v[50:51], v[52:53], v[50:51]
	v_fma_f32 v54, v52, s9, -v50
	v_fmac_f32_e32 v54, 0xb102e308, v52
	v_pk_add_f32 v[52:53], v[50:51], v[54:55]
	v_sub_f32_e32 v55, v53, v55
	v_ldexp_f32 v49, v49, 1
	v_sub_f32_e32 v55, v51, v55
	v_add_f32_e32 v65, v49, v55
	v_mov_b32_e32 v64, v50
	v_pk_add_f32 v[50:51], v[52:53], v[50:51] neg_lo:[0,1] neg_hi:[0,1]
	v_pk_add_f32 v[66:67], v[52:53], v[64:65]
	v_mov_b32_e32 v51, v67
	v_mov_b32_e32 v55, v52
	v_pk_add_f32 v[70:71], v[54:55], v[50:51] neg_lo:[0,1] neg_hi:[0,1]
	v_pk_add_f32 v[50:51], v[54:55], v[50:51]
	v_mov_b32_e32 v54, v51
	v_pk_add_f32 v[134:135], v[54:55], v[52:53] neg_lo:[0,1] neg_hi:[0,1]
	v_mov_b32_e32 v49, v134
	v_pk_add_f32 v[144:145], v[66:67], v[48:49] neg_lo:[0,1] neg_hi:[0,1]
	v_mov_b32_e32 v50, v67
	v_mov_b32_e32 v66, v53
	;; [unrolled: 1-line block ×4, first 2 shown]
	v_pk_add_f32 v[50:51], v[50:51], v[66:67] neg_lo:[0,1] neg_hi:[0,1]
	v_mov_b32_e32 v64, v65
	v_mov_b32_e32 v65, v52
	v_pk_add_f32 v[50:51], v[64:65], v[50:51] neg_lo:[0,1] neg_hi:[0,1]
	v_mov_b32_e32 v144, v70
	v_pk_add_f32 v[52:53], v[144:145], v[50:51]
	v_mov_b32_e32 v64, v53
	v_pk_add_f32 v[64:65], v[52:53], v[64:65]
	v_pk_add_f32 v[54:55], v[54:55], v[64:65]
	v_mov_b32_e32 v53, v54
	v_pk_add_f32 v[66:67], v[52:53], v[70:71] neg_lo:[0,1] neg_hi:[0,1]
	v_mov_b32_e32 v51, v64
	v_sub_f32_e32 v49, v52, v66
	v_pk_add_f32 v[50:51], v[50:51], v[66:67] neg_lo:[0,1] neg_hi:[0,1]
	v_sub_f32_e32 v49, v70, v49
	s_mov_b32 s10, 0x7f800000
	v_add_f32_e32 v49, v50, v49
	s_mov_b32 s9, 0x33800000
	v_add_f32_e32 v49, v49, v51
	v_cmp_eq_f32_e32 vcc, s10, v68
	v_cmp_lt_f32_e64 s[10:11], |v68|, s9
	v_add_f32_e32 v49, v54, v49
	s_or_b64 vcc, vcc, s[10:11]
	v_cndmask_b32_e32 v49, v49, v68, vcc
	v_add_f32_e32 v50, v48, v49
.LBB492_222:
	s_or_b64 exec, exec, s[6:7]
	v_bfe_u32 v48, v50, 16, 1
	s_movk_i32 s9, 0x7fff
	v_add3_u32 v48, v50, v48, s9
	v_lshrrev_b32_e32 v48, 16, v48
	v_mov_b32_e32 v49, 0x7fc0
	v_cmp_o_f32_e32 vcc, v50, v50
	v_cndmask_b32_e32 v48, v49, v48, vcc
	v_lshlrev_b32_e32 v51, 16, v48
	v_max_f32_e32 v50, v51, v51
	v_min_f32_e32 v52, v50, v83
	v_cmp_u_f32_e32 vcc, v51, v51
	v_max_f32_e32 v50, v50, v83
	v_cndmask_b32_e32 v52, v52, v51, vcc
	v_cndmask_b32_e32 v50, v50, v51, vcc
	v_cndmask_b32_e64 v52, v52, v69, s[22:23]
	v_cndmask_b32_e64 v50, v50, v69, s[22:23]
	v_cmp_neq_f32_e32 vcc, v52, v50
	v_cmp_class_f32_e64 s[6:7], v52, s8
	s_or_b64 s[10:11], vcc, s[6:7]
	s_and_saveexec_b64 s[6:7], s[10:11]
	s_cbranch_execz .LBB492_224
; %bb.223:
	v_sub_f32_e32 v51, v52, v50
	s_mov_b32 s8, 0x3fb8aa3b
	v_mul_f32_e32 v52, 0x3fb8aa3b, v51
	v_fma_f32 v53, v51, s8, -v52
	v_rndne_f32_e32 v54, v52
	v_fmac_f32_e32 v53, 0x32a5705f, v51
	v_sub_f32_e32 v52, v52, v54
	v_add_f32_e32 v52, v52, v53
	v_exp_f32_e32 v52, v52
	v_cvt_i32_f32_e32 v53, v54
	s_mov_b32 s8, 0xc2ce8ed0
	v_cmp_ngt_f32_e32 vcc, s8, v51
	s_mov_b32 s8, 0x42b17218
	v_ldexp_f32 v52, v52, v53
	v_cndmask_b32_e32 v52, 0, v52, vcc
	v_mov_b32_e32 v53, 0x7f800000
	v_cmp_nlt_f32_e32 vcc, s8, v51
	v_cndmask_b32_e32 v144, v53, v52, vcc
	v_add_f32_e32 v51, 1.0, v144
	v_add_f32_e32 v52, -1.0, v51
	v_sub_f32_e32 v53, v52, v51
	v_add_f32_e32 v53, 1.0, v53
	v_sub_f32_e32 v52, v144, v52
	v_add_f32_e32 v54, v52, v53
	v_frexp_mant_f32_e32 v55, v51
	s_mov_b32 s8, 0x3f2aaaab
	v_cvt_f64_f32_e32 v[52:53], v51
	v_frexp_exp_i32_f64_e32 v52, v[52:53]
	v_cmp_gt_f32_e32 vcc, s8, v55
	v_subbrev_co_u32_e32 v68, vcc, 0, v52, vcc
	v_sub_u32_e32 v52, 0, v68
	v_ldexp_f32 v51, v51, v52
	v_ldexp_f32 v52, v54, v52
	v_add_f32_e32 v54, -1.0, v51
	v_add_f32_e32 v53, 1.0, v54
	v_sub_f32_e32 v53, v51, v53
	v_add_f32_e32 v55, v52, v53
	v_add_f32_e32 v53, 1.0, v51
	v_add_f32_e32 v64, -1.0, v53
	v_sub_f32_e32 v51, v51, v64
	v_add_f32_e32 v51, v52, v51
	v_add_f32_e32 v69, v53, v51
	v_rcp_f32_e32 v70, v69
	v_sub_f32_e32 v52, v53, v69
	v_add_f32_e32 v53, v54, v55
	v_add_f32_e32 v51, v51, v52
	v_mul_f32_e32 v82, v53, v70
	v_sub_f32_e32 v52, v54, v53
	v_mul_f32_e32 v54, v69, v82
	v_fma_f32 v64, v82, v69, -v54
	v_fmac_f32_e32 v64, v82, v51
	v_add_f32_e32 v71, v55, v52
	v_add_f32_e32 v52, v54, v64
	v_sub_f32_e32 v55, v53, v52
	v_pk_add_f32 v[66:67], v[52:53], v[54:55] neg_lo:[0,1] neg_hi:[0,1]
	v_mov_b32_e32 v65, v52
	v_pk_add_f32 v[52:53], v[66:67], v[64:65] neg_lo:[0,1] neg_hi:[0,1]
	v_add_f32_e32 v53, v71, v53
	v_add_f32_e32 v52, v52, v53
	v_add_f32_e32 v53, v55, v52
	v_mul_f32_e32 v71, v70, v53
	v_mul_f32_e32 v54, v69, v71
	v_fma_f32 v64, v71, v69, -v54
	v_fmac_f32_e32 v64, v71, v51
	v_sub_f32_e32 v51, v55, v53
	v_add_f32_e32 v51, v52, v51
	v_add_f32_e32 v52, v54, v64
	v_sub_f32_e32 v55, v53, v52
	v_pk_add_f32 v[66:67], v[52:53], v[54:55] neg_lo:[0,1] neg_hi:[0,1]
	v_mov_b32_e32 v65, v52
	v_pk_add_f32 v[52:53], v[66:67], v[64:65] neg_lo:[0,1] neg_hi:[0,1]
	v_add_f32_e32 v51, v51, v53
	v_add_f32_e32 v51, v52, v51
	;; [unrolled: 1-line block ×4, first 2 shown]
	v_sub_f32_e32 v53, v52, v82
	v_mul_f32_e32 v51, v70, v51
	v_sub_f32_e32 v53, v71, v53
	v_add_f32_e32 v51, v53, v51
	v_add_f32_e32 v55, v52, v51
	v_mul_f32_e32 v64, v55, v55
	v_mov_b32_e32 v54, 0x3ecc95a3
	v_fmac_f32_e32 v54, 0x3e9b6dac, v64
	v_mov_b32_e32 v53, 0x3f2aaada
	v_fmac_f32_e32 v53, v64, v54
	v_cvt_f32_i32_e32 v54, v68
	v_sub_f32_e32 v52, v55, v52
	v_sub_f32_e32 v51, v51, v52
	v_ldexp_f32 v65, v55, 1
	v_mul_f32_e32 v55, v55, v64
	v_mov_b32_e32 v52, 0x3f317218
	s_mov_b32 s8, 0x3f317218
	v_pk_mul_f32 v[52:53], v[54:55], v[52:53]
	v_fma_f32 v64, v54, s8, -v52
	v_fmac_f32_e32 v64, 0xb102e308, v54
	v_pk_add_f32 v[54:55], v[52:53], v[64:65]
	v_sub_f32_e32 v65, v55, v65
	v_ldexp_f32 v51, v51, 1
	v_sub_f32_e32 v65, v53, v65
	v_add_f32_e32 v67, v51, v65
	v_mov_b32_e32 v66, v52
	v_pk_add_f32 v[52:53], v[54:55], v[52:53] neg_lo:[0,1] neg_hi:[0,1]
	v_pk_add_f32 v[68:69], v[54:55], v[66:67]
	v_mov_b32_e32 v53, v69
	v_mov_b32_e32 v65, v54
	v_pk_add_f32 v[70:71], v[64:65], v[52:53] neg_lo:[0,1] neg_hi:[0,1]
	v_pk_add_f32 v[52:53], v[64:65], v[52:53]
	v_mov_b32_e32 v64, v53
	v_pk_add_f32 v[82:83], v[64:65], v[54:55] neg_lo:[0,1] neg_hi:[0,1]
	v_mov_b32_e32 v51, v82
	v_pk_add_f32 v[134:135], v[68:69], v[50:51] neg_lo:[0,1] neg_hi:[0,1]
	v_mov_b32_e32 v52, v69
	v_mov_b32_e32 v68, v55
	v_mov_b32_e32 v69, v82
	v_mov_b32_e32 v71, v53
	v_pk_add_f32 v[52:53], v[52:53], v[68:69] neg_lo:[0,1] neg_hi:[0,1]
	v_mov_b32_e32 v66, v67
	v_mov_b32_e32 v67, v54
	v_pk_add_f32 v[52:53], v[66:67], v[52:53] neg_lo:[0,1] neg_hi:[0,1]
	v_mov_b32_e32 v134, v70
	v_pk_add_f32 v[54:55], v[134:135], v[52:53]
	v_mov_b32_e32 v66, v55
	v_pk_add_f32 v[66:67], v[54:55], v[66:67]
	v_pk_add_f32 v[64:65], v[64:65], v[66:67]
	v_mov_b32_e32 v55, v64
	v_pk_add_f32 v[68:69], v[54:55], v[70:71] neg_lo:[0,1] neg_hi:[0,1]
	v_mov_b32_e32 v53, v66
	v_sub_f32_e32 v51, v54, v68
	v_pk_add_f32 v[52:53], v[52:53], v[68:69] neg_lo:[0,1] neg_hi:[0,1]
	v_sub_f32_e32 v51, v70, v51
	s_mov_b32 s10, 0x7f800000
	v_add_f32_e32 v51, v52, v51
	s_mov_b32 s8, 0x33800000
	v_add_f32_e32 v51, v51, v53
	v_cmp_eq_f32_e32 vcc, s10, v144
	v_cmp_lt_f32_e64 s[10:11], |v144|, s8
	v_add_f32_e32 v51, v64, v51
	s_or_b64 vcc, vcc, s[10:11]
	v_cndmask_b32_e32 v51, v51, v144, vcc
	v_add_f32_e32 v51, v50, v51
.LBB492_224:
	s_or_b64 exec, exec, s[6:7]
	v_bfe_u32 v50, v51, 16, 1
	v_add3_u32 v50, v51, v50, s9
	v_lshrrev_b32_e32 v50, 16, v50
	v_cmp_o_f32_e32 vcc, v51, v51
	v_cndmask_b32_e32 v50, v49, v50, vcc
	v_lshlrev_b32_e32 v52, 16, v50
	v_max_f32_e32 v49, v52, v52
	v_min_f32_e32 v51, v49, v86
	v_cmp_u_f32_e32 vcc, v52, v52
	v_max_f32_e32 v49, v49, v86
	v_cndmask_b32_e32 v51, v51, v52, vcc
	v_cndmask_b32_e32 v49, v49, v52, vcc
	v_cndmask_b32_e64 v51, v51, v80, s[24:25]
	v_cndmask_b32_e64 v49, v49, v80, s[24:25]
	s_movk_i32 s8, 0x1f8
	v_cmp_neq_f32_e32 vcc, v51, v49
	v_cmp_class_f32_e64 s[6:7], v51, s8
	s_or_b64 s[10:11], vcc, s[6:7]
	s_and_saveexec_b64 s[6:7], s[10:11]
	s_cbranch_execz .LBB492_226
; %bb.225:
	v_sub_f32_e32 v51, v51, v49
	s_mov_b32 s9, 0x3fb8aa3b
	v_mul_f32_e32 v52, 0x3fb8aa3b, v51
	v_fma_f32 v53, v51, s9, -v52
	v_rndne_f32_e32 v54, v52
	v_fmac_f32_e32 v53, 0x32a5705f, v51
	v_sub_f32_e32 v52, v52, v54
	v_add_f32_e32 v52, v52, v53
	v_exp_f32_e32 v52, v52
	v_cvt_i32_f32_e32 v53, v54
	s_mov_b32 s9, 0xc2ce8ed0
	v_cmp_ngt_f32_e32 vcc, s9, v51
	s_mov_b32 s9, 0x42b17218
	v_ldexp_f32 v52, v52, v53
	v_cndmask_b32_e32 v52, 0, v52, vcc
	v_mov_b32_e32 v53, 0x7f800000
	v_cmp_nlt_f32_e32 vcc, s9, v51
	v_cndmask_b32_e32 v80, v53, v52, vcc
	v_add_f32_e32 v51, 1.0, v80
	v_add_f32_e32 v52, -1.0, v51
	v_sub_f32_e32 v53, v52, v51
	v_add_f32_e32 v53, 1.0, v53
	v_sub_f32_e32 v52, v80, v52
	v_add_f32_e32 v54, v52, v53
	v_frexp_mant_f32_e32 v55, v51
	s_mov_b32 s9, 0x3f2aaaab
	v_cvt_f64_f32_e32 v[52:53], v51
	v_frexp_exp_i32_f64_e32 v52, v[52:53]
	v_cmp_gt_f32_e32 vcc, s9, v55
	v_subbrev_co_u32_e32 v68, vcc, 0, v52, vcc
	v_sub_u32_e32 v52, 0, v68
	v_ldexp_f32 v51, v51, v52
	v_ldexp_f32 v52, v54, v52
	v_add_f32_e32 v54, -1.0, v51
	v_add_f32_e32 v53, 1.0, v54
	v_sub_f32_e32 v53, v51, v53
	v_add_f32_e32 v55, v52, v53
	v_add_f32_e32 v53, 1.0, v51
	v_add_f32_e32 v64, -1.0, v53
	v_sub_f32_e32 v51, v51, v64
	v_add_f32_e32 v51, v52, v51
	v_add_f32_e32 v69, v53, v51
	v_rcp_f32_e32 v70, v69
	v_sub_f32_e32 v52, v53, v69
	v_add_f32_e32 v53, v54, v55
	v_add_f32_e32 v51, v51, v52
	v_mul_f32_e32 v82, v53, v70
	v_sub_f32_e32 v52, v54, v53
	v_mul_f32_e32 v54, v69, v82
	v_fma_f32 v64, v82, v69, -v54
	v_fmac_f32_e32 v64, v82, v51
	v_add_f32_e32 v71, v55, v52
	v_add_f32_e32 v52, v54, v64
	v_sub_f32_e32 v55, v53, v52
	v_pk_add_f32 v[66:67], v[52:53], v[54:55] neg_lo:[0,1] neg_hi:[0,1]
	v_mov_b32_e32 v65, v52
	v_pk_add_f32 v[52:53], v[66:67], v[64:65] neg_lo:[0,1] neg_hi:[0,1]
	v_add_f32_e32 v53, v71, v53
	v_add_f32_e32 v52, v52, v53
	;; [unrolled: 1-line block ×3, first 2 shown]
	v_mul_f32_e32 v71, v70, v53
	v_mul_f32_e32 v54, v69, v71
	v_fma_f32 v64, v71, v69, -v54
	v_fmac_f32_e32 v64, v71, v51
	v_sub_f32_e32 v51, v55, v53
	v_add_f32_e32 v51, v52, v51
	v_add_f32_e32 v52, v54, v64
	v_sub_f32_e32 v55, v53, v52
	v_pk_add_f32 v[66:67], v[52:53], v[54:55] neg_lo:[0,1] neg_hi:[0,1]
	v_mov_b32_e32 v65, v52
	v_pk_add_f32 v[52:53], v[66:67], v[64:65] neg_lo:[0,1] neg_hi:[0,1]
	v_add_f32_e32 v51, v51, v53
	v_add_f32_e32 v51, v52, v51
	;; [unrolled: 1-line block ×4, first 2 shown]
	v_sub_f32_e32 v53, v52, v82
	v_mul_f32_e32 v51, v70, v51
	v_sub_f32_e32 v53, v71, v53
	v_add_f32_e32 v51, v53, v51
	v_add_f32_e32 v55, v52, v51
	v_mul_f32_e32 v64, v55, v55
	v_mov_b32_e32 v54, 0x3ecc95a3
	v_fmac_f32_e32 v54, 0x3e9b6dac, v64
	v_mov_b32_e32 v53, 0x3f2aaada
	v_fmac_f32_e32 v53, v64, v54
	v_cvt_f32_i32_e32 v54, v68
	v_sub_f32_e32 v52, v55, v52
	v_sub_f32_e32 v51, v51, v52
	v_ldexp_f32 v65, v55, 1
	v_mul_f32_e32 v55, v55, v64
	v_mov_b32_e32 v52, 0x3f317218
	s_mov_b32 s9, 0x3f317218
	v_pk_mul_f32 v[52:53], v[54:55], v[52:53]
	v_fma_f32 v64, v54, s9, -v52
	v_fmac_f32_e32 v64, 0xb102e308, v54
	v_pk_add_f32 v[54:55], v[52:53], v[64:65]
	v_sub_f32_e32 v65, v55, v65
	v_ldexp_f32 v51, v51, 1
	v_sub_f32_e32 v65, v53, v65
	v_add_f32_e32 v67, v51, v65
	v_mov_b32_e32 v66, v52
	v_pk_add_f32 v[52:53], v[54:55], v[52:53] neg_lo:[0,1] neg_hi:[0,1]
	v_pk_add_f32 v[68:69], v[54:55], v[66:67]
	v_mov_b32_e32 v53, v69
	v_mov_b32_e32 v65, v54
	v_pk_add_f32 v[70:71], v[64:65], v[52:53] neg_lo:[0,1] neg_hi:[0,1]
	v_pk_add_f32 v[52:53], v[64:65], v[52:53]
	v_mov_b32_e32 v64, v53
	v_pk_add_f32 v[82:83], v[64:65], v[54:55] neg_lo:[0,1] neg_hi:[0,1]
	v_mov_b32_e32 v51, v82
	v_pk_add_f32 v[134:135], v[68:69], v[50:51] neg_lo:[0,1] neg_hi:[0,1]
	v_mov_b32_e32 v52, v69
	v_mov_b32_e32 v68, v55
	;; [unrolled: 1-line block ×4, first 2 shown]
	v_pk_add_f32 v[52:53], v[52:53], v[68:69] neg_lo:[0,1] neg_hi:[0,1]
	v_mov_b32_e32 v66, v67
	v_mov_b32_e32 v67, v54
	v_pk_add_f32 v[52:53], v[66:67], v[52:53] neg_lo:[0,1] neg_hi:[0,1]
	v_mov_b32_e32 v134, v70
	v_pk_add_f32 v[54:55], v[134:135], v[52:53]
	v_mov_b32_e32 v66, v55
	v_pk_add_f32 v[66:67], v[54:55], v[66:67]
	v_pk_add_f32 v[64:65], v[64:65], v[66:67]
	v_mov_b32_e32 v55, v64
	v_pk_add_f32 v[68:69], v[54:55], v[70:71] neg_lo:[0,1] neg_hi:[0,1]
	v_mov_b32_e32 v53, v66
	v_sub_f32_e32 v51, v54, v68
	v_pk_add_f32 v[52:53], v[52:53], v[68:69] neg_lo:[0,1] neg_hi:[0,1]
	v_sub_f32_e32 v51, v70, v51
	s_mov_b32 s10, 0x7f800000
	v_add_f32_e32 v51, v52, v51
	s_mov_b32 s9, 0x33800000
	v_add_f32_e32 v51, v51, v53
	v_cmp_eq_f32_e32 vcc, s10, v80
	v_cmp_lt_f32_e64 s[10:11], |v80|, s9
	v_add_f32_e32 v51, v64, v51
	s_or_b64 vcc, vcc, s[10:11]
	v_cndmask_b32_e32 v51, v51, v80, vcc
	v_add_f32_e32 v52, v49, v51
.LBB492_226:
	s_or_b64 exec, exec, s[6:7]
	v_bfe_u32 v49, v52, 16, 1
	s_movk_i32 s9, 0x7fff
	v_add3_u32 v49, v52, v49, s9
	v_lshrrev_b32_e32 v49, 16, v49
	v_mov_b32_e32 v51, 0x7fc0
	v_cmp_o_f32_e32 vcc, v52, v52
	v_cndmask_b32_e32 v49, v51, v49, vcc
	v_lshlrev_b32_e32 v53, 16, v49
	v_max_f32_e32 v52, v53, v53
	v_min_f32_e32 v54, v52, v87
	v_cmp_u_f32_e32 vcc, v53, v53
	v_max_f32_e32 v52, v52, v87
	v_cndmask_b32_e32 v54, v54, v53, vcc
	v_cndmask_b32_e32 v52, v52, v53, vcc
	v_cndmask_b32_e64 v54, v54, v81, s[26:27]
	v_cndmask_b32_e64 v52, v52, v81, s[26:27]
	v_cmp_neq_f32_e32 vcc, v54, v52
	v_cmp_class_f32_e64 s[6:7], v54, s8
	s_or_b64 s[10:11], vcc, s[6:7]
	s_and_saveexec_b64 s[6:7], s[10:11]
	s_cbranch_execz .LBB492_228
; %bb.227:
	v_sub_f32_e32 v53, v54, v52
	s_mov_b32 s8, 0x3fb8aa3b
	v_mul_f32_e32 v54, 0x3fb8aa3b, v53
	v_fma_f32 v55, v53, s8, -v54
	v_rndne_f32_e32 v64, v54
	v_fmac_f32_e32 v55, 0x32a5705f, v53
	v_sub_f32_e32 v54, v54, v64
	v_add_f32_e32 v54, v54, v55
	v_exp_f32_e32 v54, v54
	v_cvt_i32_f32_e32 v55, v64
	s_mov_b32 s8, 0xc2ce8ed0
	v_cmp_ngt_f32_e32 vcc, s8, v53
	s_mov_b32 s8, 0x42b17218
	v_ldexp_f32 v54, v54, v55
	v_cndmask_b32_e32 v54, 0, v54, vcc
	v_mov_b32_e32 v55, 0x7f800000
	v_cmp_nlt_f32_e32 vcc, s8, v53
	v_cndmask_b32_e32 v134, v55, v54, vcc
	v_add_f32_e32 v53, 1.0, v134
	v_add_f32_e32 v54, -1.0, v53
	v_sub_f32_e32 v55, v54, v53
	v_add_f32_e32 v55, 1.0, v55
	v_sub_f32_e32 v54, v134, v54
	v_add_f32_e32 v64, v54, v55
	v_frexp_mant_f32_e32 v65, v53
	s_mov_b32 s8, 0x3f2aaaab
	v_cvt_f64_f32_e32 v[54:55], v53
	v_frexp_exp_i32_f64_e32 v54, v[54:55]
	v_cmp_gt_f32_e32 vcc, s8, v65
	v_subbrev_co_u32_e32 v70, vcc, 0, v54, vcc
	v_sub_u32_e32 v54, 0, v70
	v_ldexp_f32 v53, v53, v54
	v_ldexp_f32 v54, v64, v54
	v_add_f32_e32 v64, -1.0, v53
	v_add_f32_e32 v55, 1.0, v64
	v_sub_f32_e32 v55, v53, v55
	v_add_f32_e32 v65, v54, v55
	v_add_f32_e32 v55, 1.0, v53
	v_add_f32_e32 v66, -1.0, v55
	v_sub_f32_e32 v53, v53, v66
	v_add_f32_e32 v53, v54, v53
	v_add_f32_e32 v71, v55, v53
	v_rcp_f32_e32 v80, v71
	v_sub_f32_e32 v54, v55, v71
	v_add_f32_e32 v55, v64, v65
	v_add_f32_e32 v53, v53, v54
	v_mul_f32_e32 v82, v55, v80
	v_sub_f32_e32 v54, v64, v55
	v_mul_f32_e32 v64, v71, v82
	v_fma_f32 v66, v82, v71, -v64
	v_fmac_f32_e32 v66, v82, v53
	v_add_f32_e32 v81, v65, v54
	v_add_f32_e32 v54, v64, v66
	v_sub_f32_e32 v65, v55, v54
	v_pk_add_f32 v[68:69], v[54:55], v[64:65] neg_lo:[0,1] neg_hi:[0,1]
	v_mov_b32_e32 v67, v54
	v_pk_add_f32 v[54:55], v[68:69], v[66:67] neg_lo:[0,1] neg_hi:[0,1]
	v_add_f32_e32 v55, v81, v55
	v_add_f32_e32 v54, v54, v55
	;; [unrolled: 1-line block ×3, first 2 shown]
	v_mul_f32_e32 v81, v80, v55
	v_mul_f32_e32 v64, v71, v81
	v_fma_f32 v66, v81, v71, -v64
	v_fmac_f32_e32 v66, v81, v53
	v_sub_f32_e32 v53, v65, v55
	v_add_f32_e32 v53, v54, v53
	v_add_f32_e32 v54, v64, v66
	v_sub_f32_e32 v65, v55, v54
	v_pk_add_f32 v[68:69], v[54:55], v[64:65] neg_lo:[0,1] neg_hi:[0,1]
	v_mov_b32_e32 v67, v54
	v_pk_add_f32 v[54:55], v[68:69], v[66:67] neg_lo:[0,1] neg_hi:[0,1]
	v_add_f32_e32 v53, v53, v55
	v_add_f32_e32 v53, v54, v53
	;; [unrolled: 1-line block ×4, first 2 shown]
	v_sub_f32_e32 v55, v54, v82
	v_mul_f32_e32 v53, v80, v53
	v_sub_f32_e32 v55, v81, v55
	v_add_f32_e32 v53, v55, v53
	v_add_f32_e32 v65, v54, v53
	v_mul_f32_e32 v66, v65, v65
	v_mov_b32_e32 v64, 0x3ecc95a3
	v_fmac_f32_e32 v64, 0x3e9b6dac, v66
	v_mov_b32_e32 v55, 0x3f2aaada
	v_fmac_f32_e32 v55, v66, v64
	v_cvt_f32_i32_e32 v64, v70
	v_sub_f32_e32 v54, v65, v54
	v_sub_f32_e32 v53, v53, v54
	v_ldexp_f32 v67, v65, 1
	v_mul_f32_e32 v65, v65, v66
	v_mov_b32_e32 v54, 0x3f317218
	s_mov_b32 s8, 0x3f317218
	v_pk_mul_f32 v[54:55], v[64:65], v[54:55]
	v_fma_f32 v66, v64, s8, -v54
	v_fmac_f32_e32 v66, 0xb102e308, v64
	v_pk_add_f32 v[64:65], v[54:55], v[66:67]
	v_sub_f32_e32 v67, v65, v67
	v_ldexp_f32 v53, v53, 1
	v_sub_f32_e32 v67, v55, v67
	v_add_f32_e32 v69, v53, v67
	v_mov_b32_e32 v68, v54
	v_pk_add_f32 v[54:55], v[64:65], v[54:55] neg_lo:[0,1] neg_hi:[0,1]
	v_pk_add_f32 v[70:71], v[64:65], v[68:69]
	v_mov_b32_e32 v55, v71
	v_mov_b32_e32 v67, v64
	v_pk_add_f32 v[80:81], v[66:67], v[54:55] neg_lo:[0,1] neg_hi:[0,1]
	v_pk_add_f32 v[54:55], v[66:67], v[54:55]
	v_mov_b32_e32 v66, v55
	v_pk_add_f32 v[82:83], v[66:67], v[64:65] neg_lo:[0,1] neg_hi:[0,1]
	v_mov_b32_e32 v53, v82
	v_pk_add_f32 v[86:87], v[70:71], v[52:53] neg_lo:[0,1] neg_hi:[0,1]
	v_mov_b32_e32 v54, v71
	v_mov_b32_e32 v70, v65
	;; [unrolled: 1-line block ×4, first 2 shown]
	v_pk_add_f32 v[54:55], v[54:55], v[70:71] neg_lo:[0,1] neg_hi:[0,1]
	v_mov_b32_e32 v68, v69
	v_mov_b32_e32 v69, v64
	v_pk_add_f32 v[54:55], v[68:69], v[54:55] neg_lo:[0,1] neg_hi:[0,1]
	v_mov_b32_e32 v86, v80
	v_pk_add_f32 v[64:65], v[86:87], v[54:55]
	v_mov_b32_e32 v68, v65
	v_pk_add_f32 v[68:69], v[64:65], v[68:69]
	v_pk_add_f32 v[66:67], v[66:67], v[68:69]
	v_mov_b32_e32 v65, v66
	v_pk_add_f32 v[70:71], v[64:65], v[80:81] neg_lo:[0,1] neg_hi:[0,1]
	v_mov_b32_e32 v55, v68
	v_sub_f32_e32 v53, v64, v70
	v_pk_add_f32 v[54:55], v[54:55], v[70:71] neg_lo:[0,1] neg_hi:[0,1]
	v_sub_f32_e32 v53, v80, v53
	s_mov_b32 s10, 0x7f800000
	v_add_f32_e32 v53, v54, v53
	s_mov_b32 s8, 0x33800000
	v_add_f32_e32 v53, v53, v55
	v_cmp_eq_f32_e32 vcc, s10, v134
	v_cmp_lt_f32_e64 s[10:11], |v134|, s8
	v_add_f32_e32 v53, v66, v53
	s_or_b64 vcc, vcc, s[10:11]
	v_cndmask_b32_e32 v53, v53, v134, vcc
	v_add_f32_e32 v53, v52, v53
.LBB492_228:
	s_or_b64 exec, exec, s[6:7]
	v_bfe_u32 v52, v53, 16, 1
	v_add3_u32 v52, v53, v52, s9
	v_lshrrev_b32_e32 v52, 16, v52
	v_cmp_o_f32_e32 vcc, v53, v53
	v_cndmask_b32_e32 v51, v51, v52, vcc
	v_lshlrev_b32_e32 v54, 16, v51
	v_max_f32_e32 v52, v54, v54
	v_min_f32_e32 v53, v52, v98
	v_cmp_u_f32_e32 vcc, v54, v54
	v_max_f32_e32 v52, v52, v98
	v_cndmask_b32_e32 v53, v53, v54, vcc
	v_cndmask_b32_e32 v52, v52, v54, vcc
	v_cndmask_b32_e64 v53, v53, v84, s[28:29]
	v_cndmask_b32_e64 v52, v52, v84, s[28:29]
	s_movk_i32 s8, 0x1f8
	v_cmp_neq_f32_e32 vcc, v53, v52
	v_cmp_class_f32_e64 s[6:7], v53, s8
	s_or_b64 s[10:11], vcc, s[6:7]
	s_and_saveexec_b64 s[6:7], s[10:11]
	s_cbranch_execz .LBB492_230
; %bb.229:
	v_sub_f32_e32 v53, v53, v52
	s_mov_b32 s9, 0x3fb8aa3b
	v_mul_f32_e32 v54, 0x3fb8aa3b, v53
	v_fma_f32 v55, v53, s9, -v54
	v_rndne_f32_e32 v64, v54
	v_fmac_f32_e32 v55, 0x32a5705f, v53
	v_sub_f32_e32 v54, v54, v64
	v_add_f32_e32 v54, v54, v55
	v_exp_f32_e32 v54, v54
	v_cvt_i32_f32_e32 v55, v64
	s_mov_b32 s9, 0xc2ce8ed0
	v_cmp_ngt_f32_e32 vcc, s9, v53
	s_mov_b32 s9, 0x42b17218
	v_ldexp_f32 v54, v54, v55
	v_cndmask_b32_e32 v54, 0, v54, vcc
	v_mov_b32_e32 v55, 0x7f800000
	v_cmp_nlt_f32_e32 vcc, s9, v53
	v_cndmask_b32_e32 v84, v55, v54, vcc
	v_add_f32_e32 v53, 1.0, v84
	v_add_f32_e32 v54, -1.0, v53
	v_sub_f32_e32 v55, v54, v53
	v_add_f32_e32 v55, 1.0, v55
	v_sub_f32_e32 v54, v84, v54
	v_add_f32_e32 v64, v54, v55
	v_frexp_mant_f32_e32 v65, v53
	s_mov_b32 s9, 0x3f2aaaab
	v_cvt_f64_f32_e32 v[54:55], v53
	v_frexp_exp_i32_f64_e32 v54, v[54:55]
	v_cmp_gt_f32_e32 vcc, s9, v65
	v_subbrev_co_u32_e32 v70, vcc, 0, v54, vcc
	v_sub_u32_e32 v54, 0, v70
	v_ldexp_f32 v53, v53, v54
	v_ldexp_f32 v54, v64, v54
	v_add_f32_e32 v64, -1.0, v53
	v_add_f32_e32 v55, 1.0, v64
	v_sub_f32_e32 v55, v53, v55
	v_add_f32_e32 v65, v54, v55
	v_add_f32_e32 v55, 1.0, v53
	v_add_f32_e32 v66, -1.0, v55
	v_sub_f32_e32 v53, v53, v66
	v_add_f32_e32 v53, v54, v53
	v_add_f32_e32 v71, v55, v53
	v_rcp_f32_e32 v80, v71
	v_sub_f32_e32 v54, v55, v71
	v_add_f32_e32 v55, v64, v65
	v_add_f32_e32 v53, v53, v54
	v_mul_f32_e32 v82, v55, v80
	v_sub_f32_e32 v54, v64, v55
	v_mul_f32_e32 v64, v71, v82
	v_fma_f32 v66, v82, v71, -v64
	v_fmac_f32_e32 v66, v82, v53
	v_add_f32_e32 v81, v65, v54
	v_add_f32_e32 v54, v64, v66
	v_sub_f32_e32 v65, v55, v54
	v_pk_add_f32 v[68:69], v[54:55], v[64:65] neg_lo:[0,1] neg_hi:[0,1]
	v_mov_b32_e32 v67, v54
	v_pk_add_f32 v[54:55], v[68:69], v[66:67] neg_lo:[0,1] neg_hi:[0,1]
	v_add_f32_e32 v55, v81, v55
	v_add_f32_e32 v54, v54, v55
	;; [unrolled: 1-line block ×3, first 2 shown]
	v_mul_f32_e32 v81, v80, v55
	v_mul_f32_e32 v64, v71, v81
	v_fma_f32 v66, v81, v71, -v64
	v_fmac_f32_e32 v66, v81, v53
	v_sub_f32_e32 v53, v65, v55
	v_add_f32_e32 v53, v54, v53
	v_add_f32_e32 v54, v64, v66
	v_sub_f32_e32 v65, v55, v54
	v_pk_add_f32 v[68:69], v[54:55], v[64:65] neg_lo:[0,1] neg_hi:[0,1]
	v_mov_b32_e32 v67, v54
	v_pk_add_f32 v[54:55], v[68:69], v[66:67] neg_lo:[0,1] neg_hi:[0,1]
	v_add_f32_e32 v53, v53, v55
	v_add_f32_e32 v53, v54, v53
	;; [unrolled: 1-line block ×4, first 2 shown]
	v_sub_f32_e32 v55, v54, v82
	v_mul_f32_e32 v53, v80, v53
	v_sub_f32_e32 v55, v81, v55
	v_add_f32_e32 v53, v55, v53
	v_add_f32_e32 v65, v54, v53
	v_mul_f32_e32 v66, v65, v65
	v_mov_b32_e32 v64, 0x3ecc95a3
	v_fmac_f32_e32 v64, 0x3e9b6dac, v66
	v_mov_b32_e32 v55, 0x3f2aaada
	v_fmac_f32_e32 v55, v66, v64
	v_cvt_f32_i32_e32 v64, v70
	v_sub_f32_e32 v54, v65, v54
	v_sub_f32_e32 v53, v53, v54
	v_ldexp_f32 v67, v65, 1
	v_mul_f32_e32 v65, v65, v66
	v_mov_b32_e32 v54, 0x3f317218
	s_mov_b32 s9, 0x3f317218
	v_pk_mul_f32 v[54:55], v[64:65], v[54:55]
	v_fma_f32 v66, v64, s9, -v54
	v_fmac_f32_e32 v66, 0xb102e308, v64
	v_pk_add_f32 v[64:65], v[54:55], v[66:67]
	v_sub_f32_e32 v67, v65, v67
	v_ldexp_f32 v53, v53, 1
	v_sub_f32_e32 v67, v55, v67
	v_add_f32_e32 v69, v53, v67
	v_mov_b32_e32 v68, v54
	v_pk_add_f32 v[54:55], v[64:65], v[54:55] neg_lo:[0,1] neg_hi:[0,1]
	v_pk_add_f32 v[70:71], v[64:65], v[68:69]
	v_mov_b32_e32 v55, v71
	v_mov_b32_e32 v67, v64
	v_pk_add_f32 v[80:81], v[66:67], v[54:55] neg_lo:[0,1] neg_hi:[0,1]
	v_pk_add_f32 v[54:55], v[66:67], v[54:55]
	v_mov_b32_e32 v66, v55
	v_pk_add_f32 v[82:83], v[66:67], v[64:65] neg_lo:[0,1] neg_hi:[0,1]
	v_mov_b32_e32 v53, v82
	v_pk_add_f32 v[86:87], v[70:71], v[52:53] neg_lo:[0,1] neg_hi:[0,1]
	v_mov_b32_e32 v54, v71
	v_mov_b32_e32 v70, v65
	;; [unrolled: 1-line block ×4, first 2 shown]
	v_pk_add_f32 v[54:55], v[54:55], v[70:71] neg_lo:[0,1] neg_hi:[0,1]
	v_mov_b32_e32 v68, v69
	v_mov_b32_e32 v69, v64
	v_pk_add_f32 v[54:55], v[68:69], v[54:55] neg_lo:[0,1] neg_hi:[0,1]
	v_mov_b32_e32 v86, v80
	v_pk_add_f32 v[64:65], v[86:87], v[54:55]
	v_mov_b32_e32 v68, v65
	v_pk_add_f32 v[68:69], v[64:65], v[68:69]
	v_pk_add_f32 v[66:67], v[66:67], v[68:69]
	v_mov_b32_e32 v65, v66
	v_pk_add_f32 v[70:71], v[64:65], v[80:81] neg_lo:[0,1] neg_hi:[0,1]
	v_mov_b32_e32 v55, v68
	v_sub_f32_e32 v53, v64, v70
	v_pk_add_f32 v[54:55], v[54:55], v[70:71] neg_lo:[0,1] neg_hi:[0,1]
	v_sub_f32_e32 v53, v80, v53
	s_mov_b32 s10, 0x7f800000
	v_add_f32_e32 v53, v54, v53
	s_mov_b32 s9, 0x33800000
	v_add_f32_e32 v53, v53, v55
	v_cmp_eq_f32_e32 vcc, s10, v84
	v_cmp_lt_f32_e64 s[10:11], |v84|, s9
	v_add_f32_e32 v53, v66, v53
	s_or_b64 vcc, vcc, s[10:11]
	v_cndmask_b32_e32 v53, v53, v84, vcc
	v_add_f32_e32 v54, v52, v53
.LBB492_230:
	s_or_b64 exec, exec, s[6:7]
	v_bfe_u32 v52, v54, 16, 1
	s_movk_i32 s9, 0x7fff
	v_add3_u32 v52, v54, v52, s9
	v_lshrrev_b32_e32 v52, 16, v52
	v_mov_b32_e32 v53, 0x7fc0
	v_cmp_o_f32_e32 vcc, v54, v54
	v_cndmask_b32_e32 v52, v53, v52, vcc
	v_lshlrev_b32_e32 v55, 16, v52
	v_max_f32_e32 v54, v55, v55
	v_min_f32_e32 v64, v54, v99
	v_cmp_u_f32_e32 vcc, v55, v55
	v_max_f32_e32 v54, v54, v99
	v_cndmask_b32_e32 v64, v64, v55, vcc
	v_cndmask_b32_e32 v54, v54, v55, vcc
	v_cndmask_b32_e64 v64, v64, v85, s[30:31]
	v_cndmask_b32_e64 v54, v54, v85, s[30:31]
	v_cmp_neq_f32_e32 vcc, v64, v54
	v_cmp_class_f32_e64 s[6:7], v64, s8
	s_or_b64 s[10:11], vcc, s[6:7]
	s_and_saveexec_b64 s[6:7], s[10:11]
	s_cbranch_execz .LBB492_232
; %bb.231:
	v_sub_f32_e32 v55, v64, v54
	s_mov_b32 s8, 0x3fb8aa3b
	v_mul_f32_e32 v64, 0x3fb8aa3b, v55
	v_fma_f32 v65, v55, s8, -v64
	v_rndne_f32_e32 v66, v64
	v_fmac_f32_e32 v65, 0x32a5705f, v55
	v_sub_f32_e32 v64, v64, v66
	v_add_f32_e32 v64, v64, v65
	v_exp_f32_e32 v64, v64
	v_cvt_i32_f32_e32 v65, v66
	s_mov_b32 s8, 0xc2ce8ed0
	v_cmp_ngt_f32_e32 vcc, s8, v55
	s_mov_b32 s8, 0x42b17218
	v_ldexp_f32 v64, v64, v65
	v_cndmask_b32_e32 v64, 0, v64, vcc
	v_mov_b32_e32 v65, 0x7f800000
	v_cmp_nlt_f32_e32 vcc, s8, v55
	v_cndmask_b32_e32 v98, v65, v64, vcc
	v_add_f32_e32 v55, 1.0, v98
	v_add_f32_e32 v64, -1.0, v55
	v_sub_f32_e32 v65, v64, v55
	v_add_f32_e32 v65, 1.0, v65
	v_sub_f32_e32 v64, v98, v64
	v_add_f32_e32 v66, v64, v65
	v_frexp_mant_f32_e32 v67, v55
	s_mov_b32 s8, 0x3f2aaaab
	v_cvt_f64_f32_e32 v[64:65], v55
	v_frexp_exp_i32_f64_e32 v64, v[64:65]
	v_cmp_gt_f32_e32 vcc, s8, v67
	v_subbrev_co_u32_e32 v80, vcc, 0, v64, vcc
	v_sub_u32_e32 v64, 0, v80
	v_ldexp_f32 v55, v55, v64
	v_ldexp_f32 v64, v66, v64
	v_add_f32_e32 v66, -1.0, v55
	v_add_f32_e32 v65, 1.0, v66
	v_sub_f32_e32 v65, v55, v65
	v_add_f32_e32 v67, v64, v65
	v_add_f32_e32 v65, 1.0, v55
	v_add_f32_e32 v68, -1.0, v65
	v_sub_f32_e32 v55, v55, v68
	v_add_f32_e32 v55, v64, v55
	v_add_f32_e32 v81, v65, v55
	v_rcp_f32_e32 v82, v81
	v_sub_f32_e32 v64, v65, v81
	v_add_f32_e32 v65, v66, v67
	v_add_f32_e32 v55, v55, v64
	v_mul_f32_e32 v84, v65, v82
	v_sub_f32_e32 v64, v66, v65
	v_mul_f32_e32 v66, v81, v84
	v_fma_f32 v68, v84, v81, -v66
	v_fmac_f32_e32 v68, v84, v55
	v_add_f32_e32 v83, v67, v64
	v_add_f32_e32 v64, v66, v68
	v_sub_f32_e32 v67, v65, v64
	v_pk_add_f32 v[70:71], v[64:65], v[66:67] neg_lo:[0,1] neg_hi:[0,1]
	v_mov_b32_e32 v69, v64
	v_pk_add_f32 v[64:65], v[70:71], v[68:69] neg_lo:[0,1] neg_hi:[0,1]
	v_add_f32_e32 v65, v83, v65
	v_add_f32_e32 v64, v64, v65
	;; [unrolled: 1-line block ×3, first 2 shown]
	v_mul_f32_e32 v83, v82, v65
	v_mul_f32_e32 v66, v81, v83
	v_fma_f32 v68, v83, v81, -v66
	v_fmac_f32_e32 v68, v83, v55
	v_sub_f32_e32 v55, v67, v65
	v_add_f32_e32 v55, v64, v55
	v_add_f32_e32 v64, v66, v68
	v_sub_f32_e32 v67, v65, v64
	v_pk_add_f32 v[70:71], v[64:65], v[66:67] neg_lo:[0,1] neg_hi:[0,1]
	v_mov_b32_e32 v69, v64
	v_pk_add_f32 v[64:65], v[70:71], v[68:69] neg_lo:[0,1] neg_hi:[0,1]
	v_add_f32_e32 v55, v55, v65
	v_add_f32_e32 v55, v64, v55
	;; [unrolled: 1-line block ×4, first 2 shown]
	v_sub_f32_e32 v65, v64, v84
	v_mul_f32_e32 v55, v82, v55
	v_sub_f32_e32 v65, v83, v65
	v_add_f32_e32 v55, v65, v55
	v_add_f32_e32 v67, v64, v55
	v_mul_f32_e32 v68, v67, v67
	v_mov_b32_e32 v66, 0x3ecc95a3
	v_fmac_f32_e32 v66, 0x3e9b6dac, v68
	v_mov_b32_e32 v65, 0x3f2aaada
	v_fmac_f32_e32 v65, v68, v66
	v_cvt_f32_i32_e32 v66, v80
	v_sub_f32_e32 v64, v67, v64
	v_sub_f32_e32 v55, v55, v64
	v_ldexp_f32 v69, v67, 1
	v_mul_f32_e32 v67, v67, v68
	v_mov_b32_e32 v64, 0x3f317218
	s_mov_b32 s8, 0x3f317218
	v_pk_mul_f32 v[64:65], v[66:67], v[64:65]
	v_fma_f32 v68, v66, s8, -v64
	v_fmac_f32_e32 v68, 0xb102e308, v66
	v_pk_add_f32 v[66:67], v[64:65], v[68:69]
	v_sub_f32_e32 v69, v67, v69
	v_ldexp_f32 v55, v55, 1
	v_sub_f32_e32 v69, v65, v69
	v_add_f32_e32 v71, v55, v69
	v_mov_b32_e32 v70, v64
	v_pk_add_f32 v[64:65], v[66:67], v[64:65] neg_lo:[0,1] neg_hi:[0,1]
	v_pk_add_f32 v[80:81], v[66:67], v[70:71]
	v_mov_b32_e32 v65, v81
	v_mov_b32_e32 v69, v66
	v_pk_add_f32 v[82:83], v[68:69], v[64:65] neg_lo:[0,1] neg_hi:[0,1]
	v_pk_add_f32 v[64:65], v[68:69], v[64:65]
	v_mov_b32_e32 v68, v65
	v_pk_add_f32 v[84:85], v[68:69], v[66:67] neg_lo:[0,1] neg_hi:[0,1]
	v_mov_b32_e32 v55, v84
	v_pk_add_f32 v[86:87], v[80:81], v[54:55] neg_lo:[0,1] neg_hi:[0,1]
	v_mov_b32_e32 v64, v81
	v_mov_b32_e32 v80, v67
	;; [unrolled: 1-line block ×4, first 2 shown]
	v_pk_add_f32 v[64:65], v[64:65], v[80:81] neg_lo:[0,1] neg_hi:[0,1]
	v_mov_b32_e32 v70, v71
	v_mov_b32_e32 v71, v66
	v_pk_add_f32 v[64:65], v[70:71], v[64:65] neg_lo:[0,1] neg_hi:[0,1]
	v_mov_b32_e32 v86, v82
	v_pk_add_f32 v[66:67], v[86:87], v[64:65]
	v_mov_b32_e32 v70, v67
	v_pk_add_f32 v[70:71], v[66:67], v[70:71]
	v_pk_add_f32 v[68:69], v[68:69], v[70:71]
	v_mov_b32_e32 v67, v68
	v_pk_add_f32 v[80:81], v[66:67], v[82:83] neg_lo:[0,1] neg_hi:[0,1]
	v_mov_b32_e32 v65, v70
	v_sub_f32_e32 v55, v66, v80
	v_pk_add_f32 v[64:65], v[64:65], v[80:81] neg_lo:[0,1] neg_hi:[0,1]
	v_sub_f32_e32 v55, v82, v55
	s_mov_b32 s10, 0x7f800000
	v_add_f32_e32 v55, v64, v55
	s_mov_b32 s8, 0x33800000
	v_add_f32_e32 v55, v55, v65
	v_cmp_eq_f32_e32 vcc, s10, v98
	v_cmp_lt_f32_e64 s[10:11], |v98|, s8
	v_add_f32_e32 v55, v68, v55
	s_or_b64 vcc, vcc, s[10:11]
	v_cndmask_b32_e32 v55, v55, v98, vcc
	v_add_f32_e32 v55, v54, v55
.LBB492_232:
	s_or_b64 exec, exec, s[6:7]
	v_bfe_u32 v54, v55, 16, 1
	v_add3_u32 v54, v55, v54, s9
	v_lshrrev_b32_e32 v54, 16, v54
	v_cmp_o_f32_e32 vcc, v55, v55
	v_cndmask_b32_e32 v53, v53, v54, vcc
	v_lshlrev_b32_e32 v64, 16, v53
	v_max_f32_e32 v54, v64, v64
	v_min_f32_e32 v55, v54, v102
	v_cmp_u_f32_e32 vcc, v64, v64
	v_max_f32_e32 v54, v54, v102
	v_cndmask_b32_e32 v55, v55, v64, vcc
	v_cndmask_b32_e32 v54, v54, v64, vcc
	v_cndmask_b32_e64 v55, v55, v96, s[34:35]
	v_cndmask_b32_e64 v54, v54, v96, s[34:35]
	s_movk_i32 s8, 0x1f8
	v_cmp_neq_f32_e32 vcc, v55, v54
	v_cmp_class_f32_e64 s[6:7], v55, s8
	s_or_b64 s[10:11], vcc, s[6:7]
	s_and_saveexec_b64 s[6:7], s[10:11]
	s_cbranch_execz .LBB492_234
; %bb.233:
	v_sub_f32_e32 v55, v55, v54
	s_mov_b32 s9, 0x3fb8aa3b
	v_mul_f32_e32 v64, 0x3fb8aa3b, v55
	v_fma_f32 v65, v55, s9, -v64
	v_rndne_f32_e32 v66, v64
	v_fmac_f32_e32 v65, 0x32a5705f, v55
	v_sub_f32_e32 v64, v64, v66
	v_add_f32_e32 v64, v64, v65
	v_exp_f32_e32 v64, v64
	v_cvt_i32_f32_e32 v65, v66
	s_mov_b32 s9, 0xc2ce8ed0
	v_cmp_ngt_f32_e32 vcc, s9, v55
	s_mov_b32 s9, 0x42b17218
	v_ldexp_f32 v64, v64, v65
	v_cndmask_b32_e32 v64, 0, v64, vcc
	v_mov_b32_e32 v65, 0x7f800000
	v_cmp_nlt_f32_e32 vcc, s9, v55
	v_cndmask_b32_e32 v96, v65, v64, vcc
	v_add_f32_e32 v55, 1.0, v96
	v_add_f32_e32 v64, -1.0, v55
	v_sub_f32_e32 v65, v64, v55
	v_add_f32_e32 v65, 1.0, v65
	v_sub_f32_e32 v64, v96, v64
	v_add_f32_e32 v66, v64, v65
	v_frexp_mant_f32_e32 v67, v55
	s_mov_b32 s9, 0x3f2aaaab
	v_cvt_f64_f32_e32 v[64:65], v55
	v_frexp_exp_i32_f64_e32 v64, v[64:65]
	v_cmp_gt_f32_e32 vcc, s9, v67
	v_subbrev_co_u32_e32 v80, vcc, 0, v64, vcc
	v_sub_u32_e32 v64, 0, v80
	v_ldexp_f32 v55, v55, v64
	v_ldexp_f32 v64, v66, v64
	v_add_f32_e32 v66, -1.0, v55
	v_add_f32_e32 v65, 1.0, v66
	v_sub_f32_e32 v65, v55, v65
	v_add_f32_e32 v67, v64, v65
	v_add_f32_e32 v65, 1.0, v55
	v_add_f32_e32 v68, -1.0, v65
	v_sub_f32_e32 v55, v55, v68
	v_add_f32_e32 v55, v64, v55
	v_add_f32_e32 v81, v65, v55
	v_rcp_f32_e32 v82, v81
	v_sub_f32_e32 v64, v65, v81
	v_add_f32_e32 v65, v66, v67
	v_add_f32_e32 v55, v55, v64
	v_mul_f32_e32 v84, v65, v82
	v_sub_f32_e32 v64, v66, v65
	v_mul_f32_e32 v66, v81, v84
	v_fma_f32 v68, v84, v81, -v66
	v_fmac_f32_e32 v68, v84, v55
	v_add_f32_e32 v83, v67, v64
	v_add_f32_e32 v64, v66, v68
	v_sub_f32_e32 v67, v65, v64
	v_pk_add_f32 v[70:71], v[64:65], v[66:67] neg_lo:[0,1] neg_hi:[0,1]
	v_mov_b32_e32 v69, v64
	v_pk_add_f32 v[64:65], v[70:71], v[68:69] neg_lo:[0,1] neg_hi:[0,1]
	v_add_f32_e32 v65, v83, v65
	v_add_f32_e32 v64, v64, v65
	;; [unrolled: 1-line block ×3, first 2 shown]
	v_mul_f32_e32 v83, v82, v65
	v_mul_f32_e32 v66, v81, v83
	v_fma_f32 v68, v83, v81, -v66
	v_fmac_f32_e32 v68, v83, v55
	v_sub_f32_e32 v55, v67, v65
	v_add_f32_e32 v55, v64, v55
	v_add_f32_e32 v64, v66, v68
	v_sub_f32_e32 v67, v65, v64
	v_pk_add_f32 v[70:71], v[64:65], v[66:67] neg_lo:[0,1] neg_hi:[0,1]
	v_mov_b32_e32 v69, v64
	v_pk_add_f32 v[64:65], v[70:71], v[68:69] neg_lo:[0,1] neg_hi:[0,1]
	v_add_f32_e32 v55, v55, v65
	v_add_f32_e32 v55, v64, v55
	;; [unrolled: 1-line block ×4, first 2 shown]
	v_sub_f32_e32 v65, v64, v84
	v_mul_f32_e32 v55, v82, v55
	v_sub_f32_e32 v65, v83, v65
	v_add_f32_e32 v55, v65, v55
	v_add_f32_e32 v67, v64, v55
	v_mul_f32_e32 v68, v67, v67
	v_mov_b32_e32 v66, 0x3ecc95a3
	v_fmac_f32_e32 v66, 0x3e9b6dac, v68
	v_mov_b32_e32 v65, 0x3f2aaada
	v_fmac_f32_e32 v65, v68, v66
	v_cvt_f32_i32_e32 v66, v80
	v_sub_f32_e32 v64, v67, v64
	v_sub_f32_e32 v55, v55, v64
	v_ldexp_f32 v69, v67, 1
	v_mul_f32_e32 v67, v67, v68
	v_mov_b32_e32 v64, 0x3f317218
	s_mov_b32 s9, 0x3f317218
	v_pk_mul_f32 v[64:65], v[66:67], v[64:65]
	v_fma_f32 v68, v66, s9, -v64
	v_fmac_f32_e32 v68, 0xb102e308, v66
	v_pk_add_f32 v[66:67], v[64:65], v[68:69]
	v_sub_f32_e32 v69, v67, v69
	v_ldexp_f32 v55, v55, 1
	v_sub_f32_e32 v69, v65, v69
	v_add_f32_e32 v71, v55, v69
	v_mov_b32_e32 v70, v64
	v_pk_add_f32 v[64:65], v[66:67], v[64:65] neg_lo:[0,1] neg_hi:[0,1]
	v_pk_add_f32 v[80:81], v[66:67], v[70:71]
	v_mov_b32_e32 v65, v81
	v_mov_b32_e32 v69, v66
	v_pk_add_f32 v[82:83], v[68:69], v[64:65] neg_lo:[0,1] neg_hi:[0,1]
	v_pk_add_f32 v[64:65], v[68:69], v[64:65]
	v_mov_b32_e32 v68, v65
	v_pk_add_f32 v[84:85], v[68:69], v[66:67] neg_lo:[0,1] neg_hi:[0,1]
	v_mov_b32_e32 v55, v84
	v_pk_add_f32 v[86:87], v[80:81], v[54:55] neg_lo:[0,1] neg_hi:[0,1]
	v_mov_b32_e32 v64, v81
	v_mov_b32_e32 v80, v67
	v_mov_b32_e32 v81, v84
	v_mov_b32_e32 v83, v65
	v_pk_add_f32 v[64:65], v[64:65], v[80:81] neg_lo:[0,1] neg_hi:[0,1]
	v_mov_b32_e32 v70, v71
	v_mov_b32_e32 v71, v66
	v_pk_add_f32 v[64:65], v[70:71], v[64:65] neg_lo:[0,1] neg_hi:[0,1]
	v_mov_b32_e32 v86, v82
	v_pk_add_f32 v[66:67], v[86:87], v[64:65]
	v_mov_b32_e32 v70, v67
	v_pk_add_f32 v[70:71], v[66:67], v[70:71]
	v_pk_add_f32 v[68:69], v[68:69], v[70:71]
	v_mov_b32_e32 v67, v68
	v_pk_add_f32 v[80:81], v[66:67], v[82:83] neg_lo:[0,1] neg_hi:[0,1]
	v_mov_b32_e32 v65, v70
	v_sub_f32_e32 v55, v66, v80
	v_pk_add_f32 v[64:65], v[64:65], v[80:81] neg_lo:[0,1] neg_hi:[0,1]
	v_sub_f32_e32 v55, v82, v55
	s_mov_b32 s10, 0x7f800000
	v_add_f32_e32 v55, v64, v55
	s_mov_b32 s9, 0x33800000
	v_add_f32_e32 v55, v55, v65
	v_cmp_eq_f32_e32 vcc, s10, v96
	v_cmp_lt_f32_e64 s[10:11], |v96|, s9
	v_add_f32_e32 v55, v68, v55
	s_or_b64 vcc, vcc, s[10:11]
	v_cndmask_b32_e32 v55, v55, v96, vcc
	v_add_f32_e32 v64, v54, v55
.LBB492_234:
	s_or_b64 exec, exec, s[6:7]
	v_bfe_u32 v54, v64, 16, 1
	s_movk_i32 s9, 0x7fff
	v_add3_u32 v54, v64, v54, s9
	v_lshrrev_b32_e32 v54, 16, v54
	v_mov_b32_e32 v55, 0x7fc0
	v_cmp_o_f32_e32 vcc, v64, v64
	v_cndmask_b32_e32 v54, v55, v54, vcc
	v_lshlrev_b32_e32 v65, 16, v54
	v_max_f32_e32 v64, v65, v65
	v_min_f32_e32 v66, v64, v103
	v_cmp_u_f32_e32 vcc, v65, v65
	v_max_f32_e32 v64, v64, v103
	v_cndmask_b32_e32 v66, v66, v65, vcc
	v_cndmask_b32_e32 v64, v64, v65, vcc
	v_cndmask_b32_e64 v66, v66, v97, s[36:37]
	v_cndmask_b32_e64 v64, v64, v97, s[36:37]
	v_cmp_neq_f32_e32 vcc, v66, v64
	v_cmp_class_f32_e64 s[6:7], v66, s8
	s_or_b64 s[10:11], vcc, s[6:7]
	s_and_saveexec_b64 s[6:7], s[10:11]
	s_cbranch_execz .LBB492_236
; %bb.235:
	v_sub_f32_e32 v65, v66, v64
	s_mov_b32 s8, 0x3fb8aa3b
	v_mul_f32_e32 v66, 0x3fb8aa3b, v65
	v_fma_f32 v67, v65, s8, -v66
	v_rndne_f32_e32 v68, v66
	v_fmac_f32_e32 v67, 0x32a5705f, v65
	v_sub_f32_e32 v66, v66, v68
	v_add_f32_e32 v66, v66, v67
	v_exp_f32_e32 v66, v66
	v_cvt_i32_f32_e32 v67, v68
	s_mov_b32 s8, 0xc2ce8ed0
	v_cmp_ngt_f32_e32 vcc, s8, v65
	s_mov_b32 s8, 0x42b17218
	v_ldexp_f32 v66, v66, v67
	v_cndmask_b32_e32 v66, 0, v66, vcc
	v_mov_b32_e32 v67, 0x7f800000
	v_cmp_nlt_f32_e32 vcc, s8, v65
	v_cndmask_b32_e32 v98, v67, v66, vcc
	v_add_f32_e32 v65, 1.0, v98
	v_add_f32_e32 v66, -1.0, v65
	v_sub_f32_e32 v67, v66, v65
	v_add_f32_e32 v67, 1.0, v67
	v_sub_f32_e32 v66, v98, v66
	v_add_f32_e32 v68, v66, v67
	v_frexp_mant_f32_e32 v69, v65
	s_mov_b32 s8, 0x3f2aaaab
	v_cvt_f64_f32_e32 v[66:67], v65
	v_frexp_exp_i32_f64_e32 v66, v[66:67]
	v_cmp_gt_f32_e32 vcc, s8, v69
	v_subbrev_co_u32_e32 v82, vcc, 0, v66, vcc
	v_sub_u32_e32 v66, 0, v82
	v_ldexp_f32 v65, v65, v66
	v_ldexp_f32 v66, v68, v66
	v_add_f32_e32 v68, -1.0, v65
	v_add_f32_e32 v67, 1.0, v68
	v_sub_f32_e32 v67, v65, v67
	v_add_f32_e32 v69, v66, v67
	v_add_f32_e32 v67, 1.0, v65
	v_add_f32_e32 v70, -1.0, v67
	v_sub_f32_e32 v65, v65, v70
	v_add_f32_e32 v65, v66, v65
	v_add_f32_e32 v83, v67, v65
	v_rcp_f32_e32 v84, v83
	v_sub_f32_e32 v66, v67, v83
	v_add_f32_e32 v67, v68, v69
	v_add_f32_e32 v65, v65, v66
	v_mul_f32_e32 v86, v67, v84
	v_sub_f32_e32 v66, v68, v67
	v_mul_f32_e32 v68, v83, v86
	v_fma_f32 v70, v86, v83, -v68
	v_fmac_f32_e32 v70, v86, v65
	v_add_f32_e32 v85, v69, v66
	v_add_f32_e32 v66, v68, v70
	v_sub_f32_e32 v69, v67, v66
	v_pk_add_f32 v[80:81], v[66:67], v[68:69] neg_lo:[0,1] neg_hi:[0,1]
	v_mov_b32_e32 v71, v66
	v_pk_add_f32 v[66:67], v[80:81], v[70:71] neg_lo:[0,1] neg_hi:[0,1]
	v_add_f32_e32 v67, v85, v67
	v_add_f32_e32 v66, v66, v67
	;; [unrolled: 1-line block ×3, first 2 shown]
	v_mul_f32_e32 v85, v84, v67
	v_mul_f32_e32 v68, v83, v85
	v_fma_f32 v70, v85, v83, -v68
	v_fmac_f32_e32 v70, v85, v65
	v_sub_f32_e32 v65, v69, v67
	v_add_f32_e32 v65, v66, v65
	v_add_f32_e32 v66, v68, v70
	v_sub_f32_e32 v69, v67, v66
	v_pk_add_f32 v[80:81], v[66:67], v[68:69] neg_lo:[0,1] neg_hi:[0,1]
	v_mov_b32_e32 v71, v66
	v_pk_add_f32 v[66:67], v[80:81], v[70:71] neg_lo:[0,1] neg_hi:[0,1]
	v_add_f32_e32 v65, v65, v67
	v_add_f32_e32 v65, v66, v65
	;; [unrolled: 1-line block ×4, first 2 shown]
	v_sub_f32_e32 v67, v66, v86
	v_mul_f32_e32 v65, v84, v65
	v_sub_f32_e32 v67, v85, v67
	v_add_f32_e32 v65, v67, v65
	v_add_f32_e32 v69, v66, v65
	v_mul_f32_e32 v70, v69, v69
	v_mov_b32_e32 v68, 0x3ecc95a3
	v_fmac_f32_e32 v68, 0x3e9b6dac, v70
	v_mov_b32_e32 v67, 0x3f2aaada
	v_fmac_f32_e32 v67, v70, v68
	v_cvt_f32_i32_e32 v68, v82
	v_sub_f32_e32 v66, v69, v66
	v_sub_f32_e32 v65, v65, v66
	v_ldexp_f32 v71, v69, 1
	v_mul_f32_e32 v69, v69, v70
	v_mov_b32_e32 v66, 0x3f317218
	s_mov_b32 s8, 0x3f317218
	v_pk_mul_f32 v[66:67], v[68:69], v[66:67]
	v_fma_f32 v70, v68, s8, -v66
	v_fmac_f32_e32 v70, 0xb102e308, v68
	v_pk_add_f32 v[68:69], v[66:67], v[70:71]
	v_sub_f32_e32 v71, v69, v71
	v_ldexp_f32 v65, v65, 1
	v_sub_f32_e32 v71, v67, v71
	v_add_f32_e32 v81, v65, v71
	v_mov_b32_e32 v80, v66
	v_pk_add_f32 v[66:67], v[68:69], v[66:67] neg_lo:[0,1] neg_hi:[0,1]
	v_pk_add_f32 v[82:83], v[68:69], v[80:81]
	v_mov_b32_e32 v67, v83
	v_mov_b32_e32 v71, v68
	v_pk_add_f32 v[84:85], v[70:71], v[66:67] neg_lo:[0,1] neg_hi:[0,1]
	v_pk_add_f32 v[66:67], v[70:71], v[66:67]
	v_mov_b32_e32 v70, v67
	v_pk_add_f32 v[86:87], v[70:71], v[68:69] neg_lo:[0,1] neg_hi:[0,1]
	v_mov_b32_e32 v65, v86
	v_pk_add_f32 v[96:97], v[82:83], v[64:65] neg_lo:[0,1] neg_hi:[0,1]
	v_mov_b32_e32 v66, v83
	v_mov_b32_e32 v82, v69
	;; [unrolled: 1-line block ×4, first 2 shown]
	v_pk_add_f32 v[66:67], v[66:67], v[82:83] neg_lo:[0,1] neg_hi:[0,1]
	v_mov_b32_e32 v80, v81
	v_mov_b32_e32 v81, v68
	v_pk_add_f32 v[66:67], v[80:81], v[66:67] neg_lo:[0,1] neg_hi:[0,1]
	v_mov_b32_e32 v96, v84
	v_pk_add_f32 v[68:69], v[96:97], v[66:67]
	v_mov_b32_e32 v80, v69
	v_pk_add_f32 v[80:81], v[68:69], v[80:81]
	v_pk_add_f32 v[70:71], v[70:71], v[80:81]
	v_mov_b32_e32 v69, v70
	v_pk_add_f32 v[82:83], v[68:69], v[84:85] neg_lo:[0,1] neg_hi:[0,1]
	v_mov_b32_e32 v67, v80
	v_sub_f32_e32 v65, v68, v82
	v_pk_add_f32 v[66:67], v[66:67], v[82:83] neg_lo:[0,1] neg_hi:[0,1]
	v_sub_f32_e32 v65, v84, v65
	s_mov_b32 s10, 0x7f800000
	v_add_f32_e32 v65, v66, v65
	s_mov_b32 s8, 0x33800000
	v_add_f32_e32 v65, v65, v67
	v_cmp_eq_f32_e32 vcc, s10, v98
	v_cmp_lt_f32_e64 s[10:11], |v98|, s8
	v_add_f32_e32 v65, v70, v65
	s_or_b64 vcc, vcc, s[10:11]
	v_cndmask_b32_e32 v65, v65, v98, vcc
	v_add_f32_e32 v65, v64, v65
.LBB492_236:
	s_or_b64 exec, exec, s[6:7]
	v_bfe_u32 v64, v65, 16, 1
	v_add3_u32 v64, v65, v64, s9
	v_lshrrev_b32_e32 v64, 16, v64
	v_cmp_o_f32_e32 vcc, v65, v65
	v_cndmask_b32_e32 v55, v55, v64, vcc
	v_lshlrev_b32_e32 v66, 16, v55
	v_max_f32_e32 v64, v66, v66
	v_min_f32_e32 v65, v64, v114
	v_cmp_u_f32_e32 vcc, v66, v66
	v_max_f32_e32 v64, v64, v114
	v_cndmask_b32_e32 v65, v65, v66, vcc
	v_cndmask_b32_e32 v64, v64, v66, vcc
	v_cndmask_b32_e64 v65, v65, v100, s[38:39]
	v_cndmask_b32_e64 v64, v64, v100, s[38:39]
	s_movk_i32 s8, 0x1f8
	v_cmp_neq_f32_e32 vcc, v65, v64
	v_cmp_class_f32_e64 s[6:7], v65, s8
	s_or_b64 s[10:11], vcc, s[6:7]
	s_and_saveexec_b64 s[6:7], s[10:11]
	s_cbranch_execz .LBB492_238
; %bb.237:
	v_sub_f32_e32 v65, v65, v64
	s_mov_b32 s9, 0x3fb8aa3b
	v_mul_f32_e32 v66, 0x3fb8aa3b, v65
	v_fma_f32 v67, v65, s9, -v66
	v_rndne_f32_e32 v68, v66
	v_fmac_f32_e32 v67, 0x32a5705f, v65
	v_sub_f32_e32 v66, v66, v68
	v_add_f32_e32 v66, v66, v67
	v_exp_f32_e32 v66, v66
	v_cvt_i32_f32_e32 v67, v68
	s_mov_b32 s9, 0xc2ce8ed0
	v_cmp_ngt_f32_e32 vcc, s9, v65
	s_mov_b32 s9, 0x42b17218
	v_ldexp_f32 v66, v66, v67
	v_cndmask_b32_e32 v66, 0, v66, vcc
	v_mov_b32_e32 v67, 0x7f800000
	v_cmp_nlt_f32_e32 vcc, s9, v65
	v_cndmask_b32_e32 v98, v67, v66, vcc
	v_add_f32_e32 v65, 1.0, v98
	v_add_f32_e32 v66, -1.0, v65
	v_sub_f32_e32 v67, v66, v65
	v_add_f32_e32 v67, 1.0, v67
	v_sub_f32_e32 v66, v98, v66
	v_add_f32_e32 v68, v66, v67
	v_frexp_mant_f32_e32 v69, v65
	s_mov_b32 s9, 0x3f2aaaab
	v_cvt_f64_f32_e32 v[66:67], v65
	v_frexp_exp_i32_f64_e32 v66, v[66:67]
	v_cmp_gt_f32_e32 vcc, s9, v69
	v_subbrev_co_u32_e32 v82, vcc, 0, v66, vcc
	v_sub_u32_e32 v66, 0, v82
	v_ldexp_f32 v65, v65, v66
	v_ldexp_f32 v66, v68, v66
	v_add_f32_e32 v68, -1.0, v65
	v_add_f32_e32 v67, 1.0, v68
	v_sub_f32_e32 v67, v65, v67
	v_add_f32_e32 v69, v66, v67
	v_add_f32_e32 v67, 1.0, v65
	v_add_f32_e32 v70, -1.0, v67
	v_sub_f32_e32 v65, v65, v70
	v_add_f32_e32 v65, v66, v65
	v_add_f32_e32 v83, v67, v65
	v_rcp_f32_e32 v84, v83
	v_sub_f32_e32 v66, v67, v83
	v_add_f32_e32 v67, v68, v69
	v_add_f32_e32 v65, v65, v66
	v_mul_f32_e32 v86, v67, v84
	v_sub_f32_e32 v66, v68, v67
	v_mul_f32_e32 v68, v83, v86
	v_fma_f32 v70, v86, v83, -v68
	v_fmac_f32_e32 v70, v86, v65
	v_add_f32_e32 v85, v69, v66
	v_add_f32_e32 v66, v68, v70
	v_sub_f32_e32 v69, v67, v66
	v_pk_add_f32 v[80:81], v[66:67], v[68:69] neg_lo:[0,1] neg_hi:[0,1]
	v_mov_b32_e32 v71, v66
	v_pk_add_f32 v[66:67], v[80:81], v[70:71] neg_lo:[0,1] neg_hi:[0,1]
	v_add_f32_e32 v67, v85, v67
	v_add_f32_e32 v66, v66, v67
	;; [unrolled: 1-line block ×3, first 2 shown]
	v_mul_f32_e32 v85, v84, v67
	v_mul_f32_e32 v68, v83, v85
	v_fma_f32 v70, v85, v83, -v68
	v_fmac_f32_e32 v70, v85, v65
	v_sub_f32_e32 v65, v69, v67
	v_add_f32_e32 v65, v66, v65
	v_add_f32_e32 v66, v68, v70
	v_sub_f32_e32 v69, v67, v66
	v_pk_add_f32 v[80:81], v[66:67], v[68:69] neg_lo:[0,1] neg_hi:[0,1]
	v_mov_b32_e32 v71, v66
	v_pk_add_f32 v[66:67], v[80:81], v[70:71] neg_lo:[0,1] neg_hi:[0,1]
	v_add_f32_e32 v65, v65, v67
	v_add_f32_e32 v65, v66, v65
	v_add_f32_e32 v66, v86, v85
	v_add_f32_e32 v65, v69, v65
	v_sub_f32_e32 v67, v66, v86
	v_mul_f32_e32 v65, v84, v65
	v_sub_f32_e32 v67, v85, v67
	v_add_f32_e32 v65, v67, v65
	v_add_f32_e32 v69, v66, v65
	v_mul_f32_e32 v70, v69, v69
	v_mov_b32_e32 v68, 0x3ecc95a3
	v_fmac_f32_e32 v68, 0x3e9b6dac, v70
	v_mov_b32_e32 v67, 0x3f2aaada
	v_fmac_f32_e32 v67, v70, v68
	v_cvt_f32_i32_e32 v68, v82
	v_sub_f32_e32 v66, v69, v66
	v_sub_f32_e32 v65, v65, v66
	v_ldexp_f32 v71, v69, 1
	v_mul_f32_e32 v69, v69, v70
	v_mov_b32_e32 v66, 0x3f317218
	s_mov_b32 s9, 0x3f317218
	v_pk_mul_f32 v[66:67], v[68:69], v[66:67]
	v_fma_f32 v70, v68, s9, -v66
	v_fmac_f32_e32 v70, 0xb102e308, v68
	v_pk_add_f32 v[68:69], v[66:67], v[70:71]
	v_sub_f32_e32 v71, v69, v71
	v_ldexp_f32 v65, v65, 1
	v_sub_f32_e32 v71, v67, v71
	v_add_f32_e32 v81, v65, v71
	v_mov_b32_e32 v80, v66
	v_pk_add_f32 v[66:67], v[68:69], v[66:67] neg_lo:[0,1] neg_hi:[0,1]
	v_pk_add_f32 v[82:83], v[68:69], v[80:81]
	v_mov_b32_e32 v67, v83
	v_mov_b32_e32 v71, v68
	v_pk_add_f32 v[84:85], v[70:71], v[66:67] neg_lo:[0,1] neg_hi:[0,1]
	v_pk_add_f32 v[66:67], v[70:71], v[66:67]
	v_mov_b32_e32 v70, v67
	v_pk_add_f32 v[86:87], v[70:71], v[68:69] neg_lo:[0,1] neg_hi:[0,1]
	v_mov_b32_e32 v65, v86
	v_pk_add_f32 v[96:97], v[82:83], v[64:65] neg_lo:[0,1] neg_hi:[0,1]
	v_mov_b32_e32 v66, v83
	v_mov_b32_e32 v82, v69
	;; [unrolled: 1-line block ×4, first 2 shown]
	v_pk_add_f32 v[66:67], v[66:67], v[82:83] neg_lo:[0,1] neg_hi:[0,1]
	v_mov_b32_e32 v80, v81
	v_mov_b32_e32 v81, v68
	v_pk_add_f32 v[66:67], v[80:81], v[66:67] neg_lo:[0,1] neg_hi:[0,1]
	v_mov_b32_e32 v96, v84
	v_pk_add_f32 v[68:69], v[96:97], v[66:67]
	v_mov_b32_e32 v80, v69
	v_pk_add_f32 v[80:81], v[68:69], v[80:81]
	v_pk_add_f32 v[70:71], v[70:71], v[80:81]
	v_mov_b32_e32 v69, v70
	v_pk_add_f32 v[82:83], v[68:69], v[84:85] neg_lo:[0,1] neg_hi:[0,1]
	v_mov_b32_e32 v67, v80
	v_sub_f32_e32 v65, v68, v82
	v_pk_add_f32 v[66:67], v[66:67], v[82:83] neg_lo:[0,1] neg_hi:[0,1]
	v_sub_f32_e32 v65, v84, v65
	s_mov_b32 s10, 0x7f800000
	v_add_f32_e32 v65, v66, v65
	s_mov_b32 s9, 0x33800000
	v_add_f32_e32 v65, v65, v67
	v_cmp_eq_f32_e32 vcc, s10, v98
	v_cmp_lt_f32_e64 s[10:11], |v98|, s9
	v_add_f32_e32 v65, v70, v65
	s_or_b64 vcc, vcc, s[10:11]
	v_cndmask_b32_e32 v65, v65, v98, vcc
	v_add_f32_e32 v66, v64, v65
.LBB492_238:
	s_or_b64 exec, exec, s[6:7]
	v_bfe_u32 v64, v66, 16, 1
	s_movk_i32 s9, 0x7fff
	v_add3_u32 v64, v66, v64, s9
	v_lshrrev_b32_e32 v64, 16, v64
	v_mov_b32_e32 v65, 0x7fc0
	v_cmp_o_f32_e32 vcc, v66, v66
	v_cndmask_b32_e32 v64, v65, v64, vcc
	v_lshlrev_b32_e32 v67, 16, v64
	v_max_f32_e32 v66, v67, v67
	v_min_f32_e32 v68, v66, v115
	v_cmp_u_f32_e32 vcc, v67, v67
	v_max_f32_e32 v66, v66, v115
	v_cndmask_b32_e32 v68, v68, v67, vcc
	v_cndmask_b32_e32 v66, v66, v67, vcc
	v_cndmask_b32_e64 v68, v68, v101, s[40:41]
	v_cndmask_b32_e64 v66, v66, v101, s[40:41]
	v_cmp_neq_f32_e32 vcc, v68, v66
	v_cmp_class_f32_e64 s[6:7], v68, s8
	s_or_b64 s[10:11], vcc, s[6:7]
	s_and_saveexec_b64 s[6:7], s[10:11]
	s_cbranch_execz .LBB492_240
; %bb.239:
	v_sub_f32_e32 v67, v68, v66
	s_mov_b32 s8, 0x3fb8aa3b
	v_mul_f32_e32 v68, 0x3fb8aa3b, v67
	v_fma_f32 v69, v67, s8, -v68
	v_rndne_f32_e32 v70, v68
	v_fmac_f32_e32 v69, 0x32a5705f, v67
	v_sub_f32_e32 v68, v68, v70
	v_add_f32_e32 v68, v68, v69
	v_exp_f32_e32 v68, v68
	v_cvt_i32_f32_e32 v69, v70
	s_mov_b32 s8, 0xc2ce8ed0
	v_cmp_ngt_f32_e32 vcc, s8, v67
	s_mov_b32 s8, 0x42b17218
	v_ldexp_f32 v68, v68, v69
	v_cndmask_b32_e32 v68, 0, v68, vcc
	v_mov_b32_e32 v69, 0x7f800000
	v_cmp_nlt_f32_e32 vcc, s8, v67
	v_cndmask_b32_e32 v100, v69, v68, vcc
	v_add_f32_e32 v67, 1.0, v100
	v_add_f32_e32 v68, -1.0, v67
	v_sub_f32_e32 v69, v68, v67
	v_add_f32_e32 v69, 1.0, v69
	v_sub_f32_e32 v68, v100, v68
	v_add_f32_e32 v70, v68, v69
	v_frexp_mant_f32_e32 v71, v67
	s_mov_b32 s8, 0x3f2aaaab
	v_cvt_f64_f32_e32 v[68:69], v67
	v_frexp_exp_i32_f64_e32 v68, v[68:69]
	v_cmp_gt_f32_e32 vcc, s8, v71
	v_subbrev_co_u32_e32 v84, vcc, 0, v68, vcc
	v_sub_u32_e32 v68, 0, v84
	v_ldexp_f32 v67, v67, v68
	v_ldexp_f32 v68, v70, v68
	v_add_f32_e32 v70, -1.0, v67
	v_add_f32_e32 v69, 1.0, v70
	v_sub_f32_e32 v69, v67, v69
	v_add_f32_e32 v71, v68, v69
	v_add_f32_e32 v69, 1.0, v67
	v_add_f32_e32 v80, -1.0, v69
	v_sub_f32_e32 v67, v67, v80
	v_add_f32_e32 v67, v68, v67
	v_add_f32_e32 v85, v69, v67
	v_rcp_f32_e32 v86, v85
	v_sub_f32_e32 v68, v69, v85
	v_add_f32_e32 v69, v70, v71
	v_add_f32_e32 v67, v67, v68
	v_mul_f32_e32 v96, v69, v86
	v_sub_f32_e32 v68, v70, v69
	v_mul_f32_e32 v70, v85, v96
	v_fma_f32 v80, v96, v85, -v70
	v_fmac_f32_e32 v80, v96, v67
	v_add_f32_e32 v87, v71, v68
	v_add_f32_e32 v68, v70, v80
	v_sub_f32_e32 v71, v69, v68
	v_pk_add_f32 v[82:83], v[68:69], v[70:71] neg_lo:[0,1] neg_hi:[0,1]
	v_mov_b32_e32 v81, v68
	v_pk_add_f32 v[68:69], v[82:83], v[80:81] neg_lo:[0,1] neg_hi:[0,1]
	v_add_f32_e32 v69, v87, v69
	v_add_f32_e32 v68, v68, v69
	;; [unrolled: 1-line block ×3, first 2 shown]
	v_mul_f32_e32 v87, v86, v69
	v_mul_f32_e32 v70, v85, v87
	v_fma_f32 v80, v87, v85, -v70
	v_fmac_f32_e32 v80, v87, v67
	v_sub_f32_e32 v67, v71, v69
	v_add_f32_e32 v67, v68, v67
	v_add_f32_e32 v68, v70, v80
	v_sub_f32_e32 v71, v69, v68
	v_pk_add_f32 v[82:83], v[68:69], v[70:71] neg_lo:[0,1] neg_hi:[0,1]
	v_mov_b32_e32 v81, v68
	v_pk_add_f32 v[68:69], v[82:83], v[80:81] neg_lo:[0,1] neg_hi:[0,1]
	v_add_f32_e32 v67, v67, v69
	v_add_f32_e32 v67, v68, v67
	;; [unrolled: 1-line block ×4, first 2 shown]
	v_sub_f32_e32 v69, v68, v96
	v_mul_f32_e32 v67, v86, v67
	v_sub_f32_e32 v69, v87, v69
	v_add_f32_e32 v67, v69, v67
	v_add_f32_e32 v71, v68, v67
	v_mul_f32_e32 v80, v71, v71
	v_mov_b32_e32 v70, 0x3ecc95a3
	v_fmac_f32_e32 v70, 0x3e9b6dac, v80
	v_mov_b32_e32 v69, 0x3f2aaada
	v_fmac_f32_e32 v69, v80, v70
	v_cvt_f32_i32_e32 v70, v84
	v_sub_f32_e32 v68, v71, v68
	v_sub_f32_e32 v67, v67, v68
	v_ldexp_f32 v81, v71, 1
	v_mul_f32_e32 v71, v71, v80
	v_mov_b32_e32 v68, 0x3f317218
	s_mov_b32 s8, 0x3f317218
	v_pk_mul_f32 v[68:69], v[70:71], v[68:69]
	v_fma_f32 v80, v70, s8, -v68
	v_fmac_f32_e32 v80, 0xb102e308, v70
	v_pk_add_f32 v[70:71], v[68:69], v[80:81]
	v_sub_f32_e32 v81, v71, v81
	v_ldexp_f32 v67, v67, 1
	v_sub_f32_e32 v81, v69, v81
	v_add_f32_e32 v83, v67, v81
	v_mov_b32_e32 v82, v68
	v_pk_add_f32 v[68:69], v[70:71], v[68:69] neg_lo:[0,1] neg_hi:[0,1]
	v_pk_add_f32 v[84:85], v[70:71], v[82:83]
	v_mov_b32_e32 v69, v85
	v_mov_b32_e32 v81, v70
	v_pk_add_f32 v[86:87], v[80:81], v[68:69] neg_lo:[0,1] neg_hi:[0,1]
	v_pk_add_f32 v[68:69], v[80:81], v[68:69]
	v_mov_b32_e32 v80, v69
	v_pk_add_f32 v[96:97], v[80:81], v[70:71] neg_lo:[0,1] neg_hi:[0,1]
	v_mov_b32_e32 v67, v96
	v_pk_add_f32 v[98:99], v[84:85], v[66:67] neg_lo:[0,1] neg_hi:[0,1]
	v_mov_b32_e32 v68, v85
	v_mov_b32_e32 v84, v71
	;; [unrolled: 1-line block ×4, first 2 shown]
	v_pk_add_f32 v[68:69], v[68:69], v[84:85] neg_lo:[0,1] neg_hi:[0,1]
	v_mov_b32_e32 v82, v83
	v_mov_b32_e32 v83, v70
	v_pk_add_f32 v[68:69], v[82:83], v[68:69] neg_lo:[0,1] neg_hi:[0,1]
	v_mov_b32_e32 v98, v86
	v_pk_add_f32 v[70:71], v[98:99], v[68:69]
	v_mov_b32_e32 v82, v71
	v_pk_add_f32 v[82:83], v[70:71], v[82:83]
	v_pk_add_f32 v[80:81], v[80:81], v[82:83]
	v_mov_b32_e32 v71, v80
	v_pk_add_f32 v[84:85], v[70:71], v[86:87] neg_lo:[0,1] neg_hi:[0,1]
	v_mov_b32_e32 v69, v82
	v_sub_f32_e32 v67, v70, v84
	v_pk_add_f32 v[68:69], v[68:69], v[84:85] neg_lo:[0,1] neg_hi:[0,1]
	v_sub_f32_e32 v67, v86, v67
	s_mov_b32 s10, 0x7f800000
	v_add_f32_e32 v67, v68, v67
	s_mov_b32 s8, 0x33800000
	v_add_f32_e32 v67, v67, v69
	v_cmp_eq_f32_e32 vcc, s10, v100
	v_cmp_lt_f32_e64 s[10:11], |v100|, s8
	v_add_f32_e32 v67, v80, v67
	s_or_b64 vcc, vcc, s[10:11]
	v_cndmask_b32_e32 v67, v67, v100, vcc
	v_add_f32_e32 v67, v66, v67
.LBB492_240:
	s_or_b64 exec, exec, s[6:7]
	v_bfe_u32 v66, v67, 16, 1
	v_add3_u32 v66, v67, v66, s9
	v_lshrrev_b32_e32 v66, 16, v66
	v_cmp_o_f32_e32 vcc, v67, v67
	v_cndmask_b32_e32 v65, v65, v66, vcc
	v_lshlrev_b32_e32 v68, 16, v65
	v_max_f32_e32 v66, v68, v68
	v_min_f32_e32 v67, v66, v118
	v_cmp_u_f32_e32 vcc, v68, v68
	v_max_f32_e32 v66, v66, v118
	v_cndmask_b32_e32 v67, v67, v68, vcc
	v_cndmask_b32_e32 v66, v66, v68, vcc
	v_cndmask_b32_e64 v67, v67, v112, s[42:43]
	v_cndmask_b32_e64 v66, v66, v112, s[42:43]
	s_movk_i32 s8, 0x1f8
	v_cmp_neq_f32_e32 vcc, v67, v66
	v_cmp_class_f32_e64 s[6:7], v67, s8
	s_or_b64 s[10:11], vcc, s[6:7]
	s_and_saveexec_b64 s[6:7], s[10:11]
	s_cbranch_execz .LBB492_242
; %bb.241:
	v_sub_f32_e32 v67, v67, v66
	s_mov_b32 s9, 0x3fb8aa3b
	v_mul_f32_e32 v68, 0x3fb8aa3b, v67
	v_fma_f32 v69, v67, s9, -v68
	v_rndne_f32_e32 v70, v68
	v_fmac_f32_e32 v69, 0x32a5705f, v67
	v_sub_f32_e32 v68, v68, v70
	v_add_f32_e32 v68, v68, v69
	v_exp_f32_e32 v68, v68
	v_cvt_i32_f32_e32 v69, v70
	s_mov_b32 s9, 0xc2ce8ed0
	v_cmp_ngt_f32_e32 vcc, s9, v67
	s_mov_b32 s9, 0x42b17218
	v_ldexp_f32 v68, v68, v69
	v_cndmask_b32_e32 v68, 0, v68, vcc
	v_mov_b32_e32 v69, 0x7f800000
	v_cmp_nlt_f32_e32 vcc, s9, v67
	v_cndmask_b32_e32 v100, v69, v68, vcc
	v_add_f32_e32 v67, 1.0, v100
	v_add_f32_e32 v68, -1.0, v67
	v_sub_f32_e32 v69, v68, v67
	v_add_f32_e32 v69, 1.0, v69
	v_sub_f32_e32 v68, v100, v68
	v_add_f32_e32 v70, v68, v69
	v_frexp_mant_f32_e32 v71, v67
	s_mov_b32 s9, 0x3f2aaaab
	v_cvt_f64_f32_e32 v[68:69], v67
	v_frexp_exp_i32_f64_e32 v68, v[68:69]
	v_cmp_gt_f32_e32 vcc, s9, v71
	v_subbrev_co_u32_e32 v84, vcc, 0, v68, vcc
	v_sub_u32_e32 v68, 0, v84
	v_ldexp_f32 v67, v67, v68
	v_ldexp_f32 v68, v70, v68
	v_add_f32_e32 v70, -1.0, v67
	v_add_f32_e32 v69, 1.0, v70
	v_sub_f32_e32 v69, v67, v69
	v_add_f32_e32 v71, v68, v69
	v_add_f32_e32 v69, 1.0, v67
	v_add_f32_e32 v80, -1.0, v69
	v_sub_f32_e32 v67, v67, v80
	v_add_f32_e32 v67, v68, v67
	v_add_f32_e32 v85, v69, v67
	v_rcp_f32_e32 v86, v85
	v_sub_f32_e32 v68, v69, v85
	v_add_f32_e32 v69, v70, v71
	v_add_f32_e32 v67, v67, v68
	v_mul_f32_e32 v96, v69, v86
	v_sub_f32_e32 v68, v70, v69
	v_mul_f32_e32 v70, v85, v96
	v_fma_f32 v80, v96, v85, -v70
	v_fmac_f32_e32 v80, v96, v67
	v_add_f32_e32 v87, v71, v68
	v_add_f32_e32 v68, v70, v80
	v_sub_f32_e32 v71, v69, v68
	v_pk_add_f32 v[82:83], v[68:69], v[70:71] neg_lo:[0,1] neg_hi:[0,1]
	v_mov_b32_e32 v81, v68
	v_pk_add_f32 v[68:69], v[82:83], v[80:81] neg_lo:[0,1] neg_hi:[0,1]
	v_add_f32_e32 v69, v87, v69
	v_add_f32_e32 v68, v68, v69
	;; [unrolled: 1-line block ×3, first 2 shown]
	v_mul_f32_e32 v87, v86, v69
	v_mul_f32_e32 v70, v85, v87
	v_fma_f32 v80, v87, v85, -v70
	v_fmac_f32_e32 v80, v87, v67
	v_sub_f32_e32 v67, v71, v69
	v_add_f32_e32 v67, v68, v67
	v_add_f32_e32 v68, v70, v80
	v_sub_f32_e32 v71, v69, v68
	v_pk_add_f32 v[82:83], v[68:69], v[70:71] neg_lo:[0,1] neg_hi:[0,1]
	v_mov_b32_e32 v81, v68
	v_pk_add_f32 v[68:69], v[82:83], v[80:81] neg_lo:[0,1] neg_hi:[0,1]
	v_add_f32_e32 v67, v67, v69
	v_add_f32_e32 v67, v68, v67
	;; [unrolled: 1-line block ×4, first 2 shown]
	v_sub_f32_e32 v69, v68, v96
	v_mul_f32_e32 v67, v86, v67
	v_sub_f32_e32 v69, v87, v69
	v_add_f32_e32 v67, v69, v67
	v_add_f32_e32 v71, v68, v67
	v_mul_f32_e32 v80, v71, v71
	v_mov_b32_e32 v70, 0x3ecc95a3
	v_fmac_f32_e32 v70, 0x3e9b6dac, v80
	v_mov_b32_e32 v69, 0x3f2aaada
	v_fmac_f32_e32 v69, v80, v70
	v_cvt_f32_i32_e32 v70, v84
	v_sub_f32_e32 v68, v71, v68
	v_sub_f32_e32 v67, v67, v68
	v_ldexp_f32 v81, v71, 1
	v_mul_f32_e32 v71, v71, v80
	v_mov_b32_e32 v68, 0x3f317218
	s_mov_b32 s9, 0x3f317218
	v_pk_mul_f32 v[68:69], v[70:71], v[68:69]
	v_fma_f32 v80, v70, s9, -v68
	v_fmac_f32_e32 v80, 0xb102e308, v70
	v_pk_add_f32 v[70:71], v[68:69], v[80:81]
	v_sub_f32_e32 v81, v71, v81
	v_ldexp_f32 v67, v67, 1
	v_sub_f32_e32 v81, v69, v81
	v_add_f32_e32 v83, v67, v81
	v_mov_b32_e32 v82, v68
	v_pk_add_f32 v[68:69], v[70:71], v[68:69] neg_lo:[0,1] neg_hi:[0,1]
	v_pk_add_f32 v[84:85], v[70:71], v[82:83]
	v_mov_b32_e32 v69, v85
	v_mov_b32_e32 v81, v70
	v_pk_add_f32 v[86:87], v[80:81], v[68:69] neg_lo:[0,1] neg_hi:[0,1]
	v_pk_add_f32 v[68:69], v[80:81], v[68:69]
	v_mov_b32_e32 v80, v69
	v_pk_add_f32 v[96:97], v[80:81], v[70:71] neg_lo:[0,1] neg_hi:[0,1]
	v_mov_b32_e32 v67, v96
	v_pk_add_f32 v[98:99], v[84:85], v[66:67] neg_lo:[0,1] neg_hi:[0,1]
	v_mov_b32_e32 v68, v85
	v_mov_b32_e32 v84, v71
	;; [unrolled: 1-line block ×4, first 2 shown]
	v_pk_add_f32 v[68:69], v[68:69], v[84:85] neg_lo:[0,1] neg_hi:[0,1]
	v_mov_b32_e32 v82, v83
	v_mov_b32_e32 v83, v70
	v_pk_add_f32 v[68:69], v[82:83], v[68:69] neg_lo:[0,1] neg_hi:[0,1]
	v_mov_b32_e32 v98, v86
	v_pk_add_f32 v[70:71], v[98:99], v[68:69]
	v_mov_b32_e32 v82, v71
	v_pk_add_f32 v[82:83], v[70:71], v[82:83]
	v_pk_add_f32 v[80:81], v[80:81], v[82:83]
	v_mov_b32_e32 v71, v80
	v_pk_add_f32 v[84:85], v[70:71], v[86:87] neg_lo:[0,1] neg_hi:[0,1]
	v_mov_b32_e32 v69, v82
	v_sub_f32_e32 v67, v70, v84
	v_pk_add_f32 v[68:69], v[68:69], v[84:85] neg_lo:[0,1] neg_hi:[0,1]
	v_sub_f32_e32 v67, v86, v67
	s_mov_b32 s10, 0x7f800000
	v_add_f32_e32 v67, v68, v67
	s_mov_b32 s9, 0x33800000
	v_add_f32_e32 v67, v67, v69
	v_cmp_eq_f32_e32 vcc, s10, v100
	v_cmp_lt_f32_e64 s[10:11], |v100|, s9
	v_add_f32_e32 v67, v80, v67
	s_or_b64 vcc, vcc, s[10:11]
	v_cndmask_b32_e32 v67, v67, v100, vcc
	v_add_f32_e32 v68, v66, v67
.LBB492_242:
	s_or_b64 exec, exec, s[6:7]
	v_bfe_u32 v66, v68, 16, 1
	s_movk_i32 s9, 0x7fff
	v_add3_u32 v66, v68, v66, s9
	v_lshrrev_b32_e32 v66, 16, v66
	v_mov_b32_e32 v67, 0x7fc0
	v_cmp_o_f32_e32 vcc, v68, v68
	v_cndmask_b32_e32 v66, v67, v66, vcc
	v_lshlrev_b32_e32 v69, 16, v66
	v_max_f32_e32 v68, v69, v69
	v_min_f32_e32 v70, v68, v119
	v_cmp_u_f32_e32 vcc, v69, v69
	v_max_f32_e32 v68, v68, v119
	v_cndmask_b32_e32 v70, v70, v69, vcc
	v_cndmask_b32_e32 v68, v68, v69, vcc
	v_cndmask_b32_e64 v70, v70, v113, s[44:45]
	v_cndmask_b32_e64 v68, v68, v113, s[44:45]
	v_cmp_neq_f32_e32 vcc, v70, v68
	v_cmp_class_f32_e64 s[6:7], v70, s8
	s_or_b64 s[10:11], vcc, s[6:7]
	s_and_saveexec_b64 s[6:7], s[10:11]
	s_cbranch_execz .LBB492_244
; %bb.243:
	v_sub_f32_e32 v69, v70, v68
	s_mov_b32 s8, 0x3fb8aa3b
	v_mul_f32_e32 v70, 0x3fb8aa3b, v69
	v_fma_f32 v71, v69, s8, -v70
	v_rndne_f32_e32 v80, v70
	v_fmac_f32_e32 v71, 0x32a5705f, v69
	v_sub_f32_e32 v70, v70, v80
	v_add_f32_e32 v70, v70, v71
	v_exp_f32_e32 v70, v70
	v_cvt_i32_f32_e32 v71, v80
	s_mov_b32 s8, 0xc2ce8ed0
	v_cmp_ngt_f32_e32 vcc, s8, v69
	s_mov_b32 s8, 0x42b17218
	v_ldexp_f32 v70, v70, v71
	v_cndmask_b32_e32 v70, 0, v70, vcc
	v_mov_b32_e32 v71, 0x7f800000
	v_cmp_nlt_f32_e32 vcc, s8, v69
	v_cndmask_b32_e32 v102, v71, v70, vcc
	v_add_f32_e32 v69, 1.0, v102
	v_add_f32_e32 v70, -1.0, v69
	v_sub_f32_e32 v71, v70, v69
	v_add_f32_e32 v71, 1.0, v71
	v_sub_f32_e32 v70, v102, v70
	v_add_f32_e32 v80, v70, v71
	v_frexp_mant_f32_e32 v81, v69
	s_mov_b32 s8, 0x3f2aaaab
	v_cvt_f64_f32_e32 v[70:71], v69
	v_frexp_exp_i32_f64_e32 v70, v[70:71]
	v_cmp_gt_f32_e32 vcc, s8, v81
	v_subbrev_co_u32_e32 v86, vcc, 0, v70, vcc
	v_sub_u32_e32 v70, 0, v86
	v_ldexp_f32 v69, v69, v70
	v_ldexp_f32 v70, v80, v70
	v_add_f32_e32 v80, -1.0, v69
	v_add_f32_e32 v71, 1.0, v80
	v_sub_f32_e32 v71, v69, v71
	v_add_f32_e32 v81, v70, v71
	v_add_f32_e32 v71, 1.0, v69
	v_add_f32_e32 v82, -1.0, v71
	v_sub_f32_e32 v69, v69, v82
	v_add_f32_e32 v69, v70, v69
	v_add_f32_e32 v87, v71, v69
	v_rcp_f32_e32 v96, v87
	v_sub_f32_e32 v70, v71, v87
	v_add_f32_e32 v71, v80, v81
	v_add_f32_e32 v69, v69, v70
	v_mul_f32_e32 v98, v71, v96
	v_sub_f32_e32 v70, v80, v71
	v_mul_f32_e32 v80, v87, v98
	v_fma_f32 v82, v98, v87, -v80
	v_fmac_f32_e32 v82, v98, v69
	v_add_f32_e32 v97, v81, v70
	v_add_f32_e32 v70, v80, v82
	v_sub_f32_e32 v81, v71, v70
	v_pk_add_f32 v[84:85], v[70:71], v[80:81] neg_lo:[0,1] neg_hi:[0,1]
	v_mov_b32_e32 v83, v70
	v_pk_add_f32 v[70:71], v[84:85], v[82:83] neg_lo:[0,1] neg_hi:[0,1]
	v_add_f32_e32 v71, v97, v71
	v_add_f32_e32 v70, v70, v71
	;; [unrolled: 1-line block ×3, first 2 shown]
	v_mul_f32_e32 v97, v96, v71
	v_mul_f32_e32 v80, v87, v97
	v_fma_f32 v82, v97, v87, -v80
	v_fmac_f32_e32 v82, v97, v69
	v_sub_f32_e32 v69, v81, v71
	v_add_f32_e32 v69, v70, v69
	v_add_f32_e32 v70, v80, v82
	v_sub_f32_e32 v81, v71, v70
	v_pk_add_f32 v[84:85], v[70:71], v[80:81] neg_lo:[0,1] neg_hi:[0,1]
	v_mov_b32_e32 v83, v70
	v_pk_add_f32 v[70:71], v[84:85], v[82:83] neg_lo:[0,1] neg_hi:[0,1]
	v_add_f32_e32 v69, v69, v71
	v_add_f32_e32 v69, v70, v69
	v_add_f32_e32 v70, v98, v97
	v_add_f32_e32 v69, v81, v69
	v_sub_f32_e32 v71, v70, v98
	v_mul_f32_e32 v69, v96, v69
	v_sub_f32_e32 v71, v97, v71
	v_add_f32_e32 v69, v71, v69
	v_add_f32_e32 v81, v70, v69
	v_mul_f32_e32 v82, v81, v81
	v_mov_b32_e32 v80, 0x3ecc95a3
	v_fmac_f32_e32 v80, 0x3e9b6dac, v82
	v_mov_b32_e32 v71, 0x3f2aaada
	v_fmac_f32_e32 v71, v82, v80
	v_cvt_f32_i32_e32 v80, v86
	v_sub_f32_e32 v70, v81, v70
	v_sub_f32_e32 v69, v69, v70
	v_ldexp_f32 v83, v81, 1
	v_mul_f32_e32 v81, v81, v82
	v_mov_b32_e32 v70, 0x3f317218
	s_mov_b32 s8, 0x3f317218
	v_pk_mul_f32 v[70:71], v[80:81], v[70:71]
	v_fma_f32 v82, v80, s8, -v70
	v_fmac_f32_e32 v82, 0xb102e308, v80
	v_pk_add_f32 v[80:81], v[70:71], v[82:83]
	v_sub_f32_e32 v83, v81, v83
	v_ldexp_f32 v69, v69, 1
	v_sub_f32_e32 v83, v71, v83
	v_add_f32_e32 v85, v69, v83
	v_mov_b32_e32 v84, v70
	v_pk_add_f32 v[70:71], v[80:81], v[70:71] neg_lo:[0,1] neg_hi:[0,1]
	v_pk_add_f32 v[86:87], v[80:81], v[84:85]
	v_mov_b32_e32 v71, v87
	v_mov_b32_e32 v83, v80
	v_pk_add_f32 v[96:97], v[82:83], v[70:71] neg_lo:[0,1] neg_hi:[0,1]
	v_pk_add_f32 v[70:71], v[82:83], v[70:71]
	v_mov_b32_e32 v82, v71
	v_pk_add_f32 v[98:99], v[82:83], v[80:81] neg_lo:[0,1] neg_hi:[0,1]
	v_mov_b32_e32 v69, v98
	v_pk_add_f32 v[100:101], v[86:87], v[68:69] neg_lo:[0,1] neg_hi:[0,1]
	v_mov_b32_e32 v70, v87
	v_mov_b32_e32 v86, v81
	;; [unrolled: 1-line block ×4, first 2 shown]
	v_pk_add_f32 v[70:71], v[70:71], v[86:87] neg_lo:[0,1] neg_hi:[0,1]
	v_mov_b32_e32 v84, v85
	v_mov_b32_e32 v85, v80
	v_pk_add_f32 v[70:71], v[84:85], v[70:71] neg_lo:[0,1] neg_hi:[0,1]
	v_mov_b32_e32 v100, v96
	v_pk_add_f32 v[80:81], v[100:101], v[70:71]
	v_mov_b32_e32 v84, v81
	v_pk_add_f32 v[84:85], v[80:81], v[84:85]
	v_pk_add_f32 v[82:83], v[82:83], v[84:85]
	v_mov_b32_e32 v81, v82
	v_pk_add_f32 v[86:87], v[80:81], v[96:97] neg_lo:[0,1] neg_hi:[0,1]
	v_mov_b32_e32 v71, v84
	v_sub_f32_e32 v69, v80, v86
	v_pk_add_f32 v[70:71], v[70:71], v[86:87] neg_lo:[0,1] neg_hi:[0,1]
	v_sub_f32_e32 v69, v96, v69
	s_mov_b32 s10, 0x7f800000
	v_add_f32_e32 v69, v70, v69
	s_mov_b32 s8, 0x33800000
	v_add_f32_e32 v69, v69, v71
	v_cmp_eq_f32_e32 vcc, s10, v102
	v_cmp_lt_f32_e64 s[10:11], |v102|, s8
	v_add_f32_e32 v69, v82, v69
	s_or_b64 vcc, vcc, s[10:11]
	v_cndmask_b32_e32 v69, v69, v102, vcc
	v_add_f32_e32 v69, v68, v69
.LBB492_244:
	s_or_b64 exec, exec, s[6:7]
	v_bfe_u32 v68, v69, 16, 1
	v_add3_u32 v68, v69, v68, s9
	v_lshrrev_b32_e32 v68, 16, v68
	v_cmp_o_f32_e32 vcc, v69, v69
	v_cndmask_b32_e32 v67, v67, v68, vcc
	v_lshlrev_b32_e32 v70, 16, v67
	v_max_f32_e32 v68, v70, v70
	v_min_f32_e32 v69, v68, v130
	v_cmp_u_f32_e32 vcc, v70, v70
	v_max_f32_e32 v68, v68, v130
	v_cndmask_b32_e32 v69, v69, v70, vcc
	v_cndmask_b32_e32 v68, v68, v70, vcc
	v_cndmask_b32_e64 v69, v69, v116, s[46:47]
	v_cndmask_b32_e64 v68, v68, v116, s[46:47]
	s_movk_i32 s8, 0x1f8
	v_cmp_neq_f32_e32 vcc, v69, v68
	v_cmp_class_f32_e64 s[6:7], v69, s8
	s_or_b64 s[10:11], vcc, s[6:7]
	s_and_saveexec_b64 s[6:7], s[10:11]
	s_cbranch_execz .LBB492_246
; %bb.245:
	v_sub_f32_e32 v69, v69, v68
	s_mov_b32 s9, 0x3fb8aa3b
	v_mul_f32_e32 v70, 0x3fb8aa3b, v69
	v_fma_f32 v71, v69, s9, -v70
	v_rndne_f32_e32 v80, v70
	v_fmac_f32_e32 v71, 0x32a5705f, v69
	v_sub_f32_e32 v70, v70, v80
	v_add_f32_e32 v70, v70, v71
	v_exp_f32_e32 v70, v70
	v_cvt_i32_f32_e32 v71, v80
	s_mov_b32 s9, 0xc2ce8ed0
	v_cmp_ngt_f32_e32 vcc, s9, v69
	s_mov_b32 s9, 0x42b17218
	v_ldexp_f32 v70, v70, v71
	v_cndmask_b32_e32 v70, 0, v70, vcc
	v_mov_b32_e32 v71, 0x7f800000
	v_cmp_nlt_f32_e32 vcc, s9, v69
	v_cndmask_b32_e32 v102, v71, v70, vcc
	v_add_f32_e32 v69, 1.0, v102
	v_add_f32_e32 v70, -1.0, v69
	v_sub_f32_e32 v71, v70, v69
	v_add_f32_e32 v71, 1.0, v71
	v_sub_f32_e32 v70, v102, v70
	v_add_f32_e32 v80, v70, v71
	v_frexp_mant_f32_e32 v81, v69
	s_mov_b32 s9, 0x3f2aaaab
	v_cvt_f64_f32_e32 v[70:71], v69
	v_frexp_exp_i32_f64_e32 v70, v[70:71]
	v_cmp_gt_f32_e32 vcc, s9, v81
	v_subbrev_co_u32_e32 v86, vcc, 0, v70, vcc
	v_sub_u32_e32 v70, 0, v86
	v_ldexp_f32 v69, v69, v70
	v_ldexp_f32 v70, v80, v70
	v_add_f32_e32 v80, -1.0, v69
	v_add_f32_e32 v71, 1.0, v80
	v_sub_f32_e32 v71, v69, v71
	v_add_f32_e32 v81, v70, v71
	v_add_f32_e32 v71, 1.0, v69
	v_add_f32_e32 v82, -1.0, v71
	v_sub_f32_e32 v69, v69, v82
	v_add_f32_e32 v69, v70, v69
	v_add_f32_e32 v87, v71, v69
	v_rcp_f32_e32 v96, v87
	v_sub_f32_e32 v70, v71, v87
	v_add_f32_e32 v71, v80, v81
	v_add_f32_e32 v69, v69, v70
	v_mul_f32_e32 v98, v71, v96
	v_sub_f32_e32 v70, v80, v71
	v_mul_f32_e32 v80, v87, v98
	v_fma_f32 v82, v98, v87, -v80
	v_fmac_f32_e32 v82, v98, v69
	v_add_f32_e32 v97, v81, v70
	v_add_f32_e32 v70, v80, v82
	v_sub_f32_e32 v81, v71, v70
	v_pk_add_f32 v[84:85], v[70:71], v[80:81] neg_lo:[0,1] neg_hi:[0,1]
	v_mov_b32_e32 v83, v70
	v_pk_add_f32 v[70:71], v[84:85], v[82:83] neg_lo:[0,1] neg_hi:[0,1]
	v_add_f32_e32 v71, v97, v71
	v_add_f32_e32 v70, v70, v71
	v_add_f32_e32 v71, v81, v70
	v_mul_f32_e32 v97, v96, v71
	v_mul_f32_e32 v80, v87, v97
	v_fma_f32 v82, v97, v87, -v80
	v_fmac_f32_e32 v82, v97, v69
	v_sub_f32_e32 v69, v81, v71
	v_add_f32_e32 v69, v70, v69
	v_add_f32_e32 v70, v80, v82
	v_sub_f32_e32 v81, v71, v70
	v_pk_add_f32 v[84:85], v[70:71], v[80:81] neg_lo:[0,1] neg_hi:[0,1]
	v_mov_b32_e32 v83, v70
	v_pk_add_f32 v[70:71], v[84:85], v[82:83] neg_lo:[0,1] neg_hi:[0,1]
	v_add_f32_e32 v69, v69, v71
	v_add_f32_e32 v69, v70, v69
	;; [unrolled: 1-line block ×4, first 2 shown]
	v_sub_f32_e32 v71, v70, v98
	v_mul_f32_e32 v69, v96, v69
	v_sub_f32_e32 v71, v97, v71
	v_add_f32_e32 v69, v71, v69
	v_add_f32_e32 v81, v70, v69
	v_mul_f32_e32 v82, v81, v81
	v_mov_b32_e32 v80, 0x3ecc95a3
	v_fmac_f32_e32 v80, 0x3e9b6dac, v82
	v_mov_b32_e32 v71, 0x3f2aaada
	v_fmac_f32_e32 v71, v82, v80
	v_cvt_f32_i32_e32 v80, v86
	v_sub_f32_e32 v70, v81, v70
	v_sub_f32_e32 v69, v69, v70
	v_ldexp_f32 v83, v81, 1
	v_mul_f32_e32 v81, v81, v82
	v_mov_b32_e32 v70, 0x3f317218
	s_mov_b32 s9, 0x3f317218
	v_pk_mul_f32 v[70:71], v[80:81], v[70:71]
	v_fma_f32 v82, v80, s9, -v70
	v_fmac_f32_e32 v82, 0xb102e308, v80
	v_pk_add_f32 v[80:81], v[70:71], v[82:83]
	v_sub_f32_e32 v83, v81, v83
	v_ldexp_f32 v69, v69, 1
	v_sub_f32_e32 v83, v71, v83
	v_add_f32_e32 v85, v69, v83
	v_mov_b32_e32 v84, v70
	v_pk_add_f32 v[70:71], v[80:81], v[70:71] neg_lo:[0,1] neg_hi:[0,1]
	v_pk_add_f32 v[86:87], v[80:81], v[84:85]
	v_mov_b32_e32 v71, v87
	v_mov_b32_e32 v83, v80
	v_pk_add_f32 v[96:97], v[82:83], v[70:71] neg_lo:[0,1] neg_hi:[0,1]
	v_pk_add_f32 v[70:71], v[82:83], v[70:71]
	v_mov_b32_e32 v82, v71
	v_pk_add_f32 v[98:99], v[82:83], v[80:81] neg_lo:[0,1] neg_hi:[0,1]
	v_mov_b32_e32 v69, v98
	v_pk_add_f32 v[100:101], v[86:87], v[68:69] neg_lo:[0,1] neg_hi:[0,1]
	v_mov_b32_e32 v70, v87
	v_mov_b32_e32 v86, v81
	;; [unrolled: 1-line block ×4, first 2 shown]
	v_pk_add_f32 v[70:71], v[70:71], v[86:87] neg_lo:[0,1] neg_hi:[0,1]
	v_mov_b32_e32 v84, v85
	v_mov_b32_e32 v85, v80
	v_pk_add_f32 v[70:71], v[84:85], v[70:71] neg_lo:[0,1] neg_hi:[0,1]
	v_mov_b32_e32 v100, v96
	v_pk_add_f32 v[80:81], v[100:101], v[70:71]
	v_mov_b32_e32 v84, v81
	v_pk_add_f32 v[84:85], v[80:81], v[84:85]
	v_pk_add_f32 v[82:83], v[82:83], v[84:85]
	v_mov_b32_e32 v81, v82
	v_pk_add_f32 v[86:87], v[80:81], v[96:97] neg_lo:[0,1] neg_hi:[0,1]
	v_mov_b32_e32 v71, v84
	v_sub_f32_e32 v69, v80, v86
	v_pk_add_f32 v[70:71], v[70:71], v[86:87] neg_lo:[0,1] neg_hi:[0,1]
	v_sub_f32_e32 v69, v96, v69
	s_mov_b32 s10, 0x7f800000
	v_add_f32_e32 v69, v70, v69
	s_mov_b32 s9, 0x33800000
	v_add_f32_e32 v69, v69, v71
	v_cmp_eq_f32_e32 vcc, s10, v102
	v_cmp_lt_f32_e64 s[10:11], |v102|, s9
	v_add_f32_e32 v69, v82, v69
	s_or_b64 vcc, vcc, s[10:11]
	v_cndmask_b32_e32 v69, v69, v102, vcc
	v_add_f32_e32 v70, v68, v69
.LBB492_246:
	s_or_b64 exec, exec, s[6:7]
	v_bfe_u32 v68, v70, 16, 1
	s_movk_i32 s9, 0x7fff
	v_add3_u32 v68, v70, v68, s9
	v_lshrrev_b32_e32 v68, 16, v68
	v_mov_b32_e32 v69, 0x7fc0
	v_cmp_o_f32_e32 vcc, v70, v70
	v_cndmask_b32_e32 v68, v69, v68, vcc
	v_lshlrev_b32_e32 v71, 16, v68
	v_max_f32_e32 v70, v71, v71
	v_min_f32_e32 v80, v70, v131
	v_cmp_u_f32_e32 vcc, v71, v71
	v_max_f32_e32 v70, v70, v131
	v_cndmask_b32_e32 v80, v80, v71, vcc
	v_cndmask_b32_e32 v70, v70, v71, vcc
	v_cndmask_b32_e64 v80, v80, v117, s[48:49]
	v_cndmask_b32_e64 v70, v70, v117, s[48:49]
	v_cmp_neq_f32_e32 vcc, v80, v70
	v_cmp_class_f32_e64 s[6:7], v80, s8
	s_or_b64 s[10:11], vcc, s[6:7]
	s_and_saveexec_b64 s[6:7], s[10:11]
	s_cbranch_execz .LBB492_248
; %bb.247:
	v_sub_f32_e32 v71, v80, v70
	s_mov_b32 s8, 0x3fb8aa3b
	v_mul_f32_e32 v80, 0x3fb8aa3b, v71
	v_fma_f32 v81, v71, s8, -v80
	v_rndne_f32_e32 v82, v80
	v_fmac_f32_e32 v81, 0x32a5705f, v71
	v_sub_f32_e32 v80, v80, v82
	v_add_f32_e32 v80, v80, v81
	v_exp_f32_e32 v80, v80
	v_cvt_i32_f32_e32 v81, v82
	s_mov_b32 s8, 0xc2ce8ed0
	v_cmp_ngt_f32_e32 vcc, s8, v71
	s_mov_b32 s8, 0x42b17218
	v_ldexp_f32 v80, v80, v81
	v_cndmask_b32_e32 v80, 0, v80, vcc
	v_mov_b32_e32 v81, 0x7f800000
	v_cmp_nlt_f32_e32 vcc, s8, v71
	v_cndmask_b32_e32 v112, v81, v80, vcc
	v_add_f32_e32 v71, 1.0, v112
	v_add_f32_e32 v80, -1.0, v71
	v_sub_f32_e32 v81, v80, v71
	v_add_f32_e32 v81, 1.0, v81
	v_sub_f32_e32 v80, v112, v80
	v_add_f32_e32 v82, v80, v81
	v_frexp_mant_f32_e32 v83, v71
	s_mov_b32 s8, 0x3f2aaaab
	v_cvt_f64_f32_e32 v[80:81], v71
	v_frexp_exp_i32_f64_e32 v80, v[80:81]
	v_cmp_gt_f32_e32 vcc, s8, v83
	v_subbrev_co_u32_e32 v96, vcc, 0, v80, vcc
	v_sub_u32_e32 v80, 0, v96
	v_ldexp_f32 v71, v71, v80
	v_ldexp_f32 v80, v82, v80
	v_add_f32_e32 v82, -1.0, v71
	v_add_f32_e32 v81, 1.0, v82
	v_sub_f32_e32 v81, v71, v81
	v_add_f32_e32 v83, v80, v81
	v_add_f32_e32 v81, 1.0, v71
	v_add_f32_e32 v84, -1.0, v81
	v_sub_f32_e32 v71, v71, v84
	v_add_f32_e32 v71, v80, v71
	v_add_f32_e32 v97, v81, v71
	v_rcp_f32_e32 v98, v97
	v_sub_f32_e32 v80, v81, v97
	v_add_f32_e32 v81, v82, v83
	v_add_f32_e32 v71, v71, v80
	v_mul_f32_e32 v100, v81, v98
	v_sub_f32_e32 v80, v82, v81
	v_mul_f32_e32 v82, v97, v100
	v_fma_f32 v84, v100, v97, -v82
	v_fmac_f32_e32 v84, v100, v71
	v_add_f32_e32 v99, v83, v80
	v_add_f32_e32 v80, v82, v84
	v_sub_f32_e32 v83, v81, v80
	v_pk_add_f32 v[86:87], v[80:81], v[82:83] neg_lo:[0,1] neg_hi:[0,1]
	v_mov_b32_e32 v85, v80
	v_pk_add_f32 v[80:81], v[86:87], v[84:85] neg_lo:[0,1] neg_hi:[0,1]
	v_add_f32_e32 v81, v99, v81
	v_add_f32_e32 v80, v80, v81
	;; [unrolled: 1-line block ×3, first 2 shown]
	v_mul_f32_e32 v99, v98, v81
	v_mul_f32_e32 v82, v97, v99
	v_fma_f32 v84, v99, v97, -v82
	v_fmac_f32_e32 v84, v99, v71
	v_sub_f32_e32 v71, v83, v81
	v_add_f32_e32 v71, v80, v71
	v_add_f32_e32 v80, v82, v84
	v_sub_f32_e32 v83, v81, v80
	v_pk_add_f32 v[86:87], v[80:81], v[82:83] neg_lo:[0,1] neg_hi:[0,1]
	v_mov_b32_e32 v85, v80
	v_pk_add_f32 v[80:81], v[86:87], v[84:85] neg_lo:[0,1] neg_hi:[0,1]
	v_add_f32_e32 v71, v71, v81
	v_add_f32_e32 v71, v80, v71
	;; [unrolled: 1-line block ×4, first 2 shown]
	v_sub_f32_e32 v81, v80, v100
	v_mul_f32_e32 v71, v98, v71
	v_sub_f32_e32 v81, v99, v81
	v_add_f32_e32 v71, v81, v71
	v_add_f32_e32 v83, v80, v71
	v_mul_f32_e32 v84, v83, v83
	v_mov_b32_e32 v82, 0x3ecc95a3
	v_fmac_f32_e32 v82, 0x3e9b6dac, v84
	v_mov_b32_e32 v81, 0x3f2aaada
	v_fmac_f32_e32 v81, v84, v82
	v_cvt_f32_i32_e32 v82, v96
	v_sub_f32_e32 v80, v83, v80
	v_sub_f32_e32 v71, v71, v80
	v_ldexp_f32 v85, v83, 1
	v_mul_f32_e32 v83, v83, v84
	v_mov_b32_e32 v80, 0x3f317218
	s_mov_b32 s8, 0x3f317218
	v_pk_mul_f32 v[80:81], v[82:83], v[80:81]
	v_fma_f32 v84, v82, s8, -v80
	v_fmac_f32_e32 v84, 0xb102e308, v82
	v_pk_add_f32 v[82:83], v[80:81], v[84:85]
	v_sub_f32_e32 v85, v83, v85
	v_ldexp_f32 v71, v71, 1
	v_sub_f32_e32 v85, v81, v85
	v_add_f32_e32 v87, v71, v85
	v_mov_b32_e32 v86, v80
	v_pk_add_f32 v[80:81], v[82:83], v[80:81] neg_lo:[0,1] neg_hi:[0,1]
	v_pk_add_f32 v[96:97], v[82:83], v[86:87]
	v_mov_b32_e32 v81, v97
	v_mov_b32_e32 v85, v82
	v_pk_add_f32 v[98:99], v[84:85], v[80:81] neg_lo:[0,1] neg_hi:[0,1]
	v_pk_add_f32 v[80:81], v[84:85], v[80:81]
	v_mov_b32_e32 v84, v81
	v_pk_add_f32 v[100:101], v[84:85], v[82:83] neg_lo:[0,1] neg_hi:[0,1]
	v_mov_b32_e32 v71, v100
	v_pk_add_f32 v[102:103], v[96:97], v[70:71] neg_lo:[0,1] neg_hi:[0,1]
	v_mov_b32_e32 v80, v97
	v_mov_b32_e32 v96, v83
	;; [unrolled: 1-line block ×4, first 2 shown]
	v_pk_add_f32 v[80:81], v[80:81], v[96:97] neg_lo:[0,1] neg_hi:[0,1]
	v_mov_b32_e32 v86, v87
	v_mov_b32_e32 v87, v82
	v_pk_add_f32 v[80:81], v[86:87], v[80:81] neg_lo:[0,1] neg_hi:[0,1]
	v_mov_b32_e32 v102, v98
	v_pk_add_f32 v[82:83], v[102:103], v[80:81]
	v_mov_b32_e32 v86, v83
	v_pk_add_f32 v[86:87], v[82:83], v[86:87]
	v_pk_add_f32 v[84:85], v[84:85], v[86:87]
	v_mov_b32_e32 v83, v84
	v_pk_add_f32 v[96:97], v[82:83], v[98:99] neg_lo:[0,1] neg_hi:[0,1]
	v_mov_b32_e32 v81, v86
	v_sub_f32_e32 v71, v82, v96
	v_pk_add_f32 v[80:81], v[80:81], v[96:97] neg_lo:[0,1] neg_hi:[0,1]
	v_sub_f32_e32 v71, v98, v71
	s_mov_b32 s10, 0x7f800000
	v_add_f32_e32 v71, v80, v71
	s_mov_b32 s8, 0x33800000
	v_add_f32_e32 v71, v71, v81
	v_cmp_eq_f32_e32 vcc, s10, v112
	v_cmp_lt_f32_e64 s[10:11], |v112|, s8
	v_add_f32_e32 v71, v84, v71
	s_or_b64 vcc, vcc, s[10:11]
	v_cndmask_b32_e32 v71, v71, v112, vcc
	v_add_f32_e32 v71, v70, v71
.LBB492_248:
	s_or_b64 exec, exec, s[6:7]
	v_bfe_u32 v70, v71, 16, 1
	v_add3_u32 v70, v71, v70, s9
	v_lshrrev_b32_e32 v70, 16, v70
	v_cmp_o_f32_e32 vcc, v71, v71
	v_cndmask_b32_e32 v69, v69, v70, vcc
	v_lshlrev_b32_e32 v80, 16, v69
	v_max_f32_e32 v70, v80, v80
	v_min_f32_e32 v71, v70, v132
	v_cmp_u_f32_e32 vcc, v80, v80
	v_max_f32_e32 v70, v70, v132
	v_cndmask_b32_e32 v71, v71, v80, vcc
	v_cndmask_b32_e32 v70, v70, v80, vcc
	v_cndmask_b32_e64 v71, v71, v128, s[50:51]
	v_cndmask_b32_e64 v70, v70, v128, s[50:51]
	s_movk_i32 s8, 0x1f8
	v_cmp_neq_f32_e32 vcc, v71, v70
	v_cmp_class_f32_e64 s[6:7], v71, s8
	s_or_b64 s[10:11], vcc, s[6:7]
	s_and_saveexec_b64 s[6:7], s[10:11]
	s_cbranch_execz .LBB492_250
; %bb.249:
	v_sub_f32_e32 v71, v71, v70
	s_mov_b32 s9, 0x3fb8aa3b
	v_mul_f32_e32 v80, 0x3fb8aa3b, v71
	v_fma_f32 v81, v71, s9, -v80
	v_rndne_f32_e32 v82, v80
	v_fmac_f32_e32 v81, 0x32a5705f, v71
	v_sub_f32_e32 v80, v80, v82
	v_add_f32_e32 v80, v80, v81
	v_exp_f32_e32 v80, v80
	v_cvt_i32_f32_e32 v81, v82
	s_mov_b32 s9, 0xc2ce8ed0
	v_cmp_ngt_f32_e32 vcc, s9, v71
	s_mov_b32 s9, 0x42b17218
	v_ldexp_f32 v80, v80, v81
	v_cndmask_b32_e32 v80, 0, v80, vcc
	v_mov_b32_e32 v81, 0x7f800000
	v_cmp_nlt_f32_e32 vcc, s9, v71
	v_cndmask_b32_e32 v112, v81, v80, vcc
	v_add_f32_e32 v71, 1.0, v112
	v_add_f32_e32 v80, -1.0, v71
	v_sub_f32_e32 v81, v80, v71
	v_add_f32_e32 v81, 1.0, v81
	v_sub_f32_e32 v80, v112, v80
	v_add_f32_e32 v82, v80, v81
	v_frexp_mant_f32_e32 v83, v71
	s_mov_b32 s9, 0x3f2aaaab
	v_cvt_f64_f32_e32 v[80:81], v71
	v_frexp_exp_i32_f64_e32 v80, v[80:81]
	v_cmp_gt_f32_e32 vcc, s9, v83
	v_subbrev_co_u32_e32 v96, vcc, 0, v80, vcc
	v_sub_u32_e32 v80, 0, v96
	v_ldexp_f32 v71, v71, v80
	v_ldexp_f32 v80, v82, v80
	v_add_f32_e32 v82, -1.0, v71
	v_add_f32_e32 v81, 1.0, v82
	v_sub_f32_e32 v81, v71, v81
	v_add_f32_e32 v83, v80, v81
	v_add_f32_e32 v81, 1.0, v71
	v_add_f32_e32 v84, -1.0, v81
	v_sub_f32_e32 v71, v71, v84
	v_add_f32_e32 v71, v80, v71
	v_add_f32_e32 v97, v81, v71
	v_rcp_f32_e32 v98, v97
	v_sub_f32_e32 v80, v81, v97
	v_add_f32_e32 v81, v82, v83
	v_add_f32_e32 v71, v71, v80
	v_mul_f32_e32 v100, v81, v98
	v_sub_f32_e32 v80, v82, v81
	v_mul_f32_e32 v82, v97, v100
	v_fma_f32 v84, v100, v97, -v82
	v_fmac_f32_e32 v84, v100, v71
	v_add_f32_e32 v99, v83, v80
	v_add_f32_e32 v80, v82, v84
	v_sub_f32_e32 v83, v81, v80
	v_pk_add_f32 v[86:87], v[80:81], v[82:83] neg_lo:[0,1] neg_hi:[0,1]
	v_mov_b32_e32 v85, v80
	v_pk_add_f32 v[80:81], v[86:87], v[84:85] neg_lo:[0,1] neg_hi:[0,1]
	v_add_f32_e32 v81, v99, v81
	v_add_f32_e32 v80, v80, v81
	;; [unrolled: 1-line block ×3, first 2 shown]
	v_mul_f32_e32 v99, v98, v81
	v_mul_f32_e32 v82, v97, v99
	v_fma_f32 v84, v99, v97, -v82
	v_fmac_f32_e32 v84, v99, v71
	v_sub_f32_e32 v71, v83, v81
	v_add_f32_e32 v71, v80, v71
	v_add_f32_e32 v80, v82, v84
	v_sub_f32_e32 v83, v81, v80
	v_pk_add_f32 v[86:87], v[80:81], v[82:83] neg_lo:[0,1] neg_hi:[0,1]
	v_mov_b32_e32 v85, v80
	v_pk_add_f32 v[80:81], v[86:87], v[84:85] neg_lo:[0,1] neg_hi:[0,1]
	v_add_f32_e32 v71, v71, v81
	v_add_f32_e32 v71, v80, v71
	;; [unrolled: 1-line block ×4, first 2 shown]
	v_sub_f32_e32 v81, v80, v100
	v_mul_f32_e32 v71, v98, v71
	v_sub_f32_e32 v81, v99, v81
	v_add_f32_e32 v71, v81, v71
	v_add_f32_e32 v83, v80, v71
	v_mul_f32_e32 v84, v83, v83
	v_mov_b32_e32 v82, 0x3ecc95a3
	v_fmac_f32_e32 v82, 0x3e9b6dac, v84
	v_mov_b32_e32 v81, 0x3f2aaada
	v_fmac_f32_e32 v81, v84, v82
	v_cvt_f32_i32_e32 v82, v96
	v_sub_f32_e32 v80, v83, v80
	v_sub_f32_e32 v71, v71, v80
	v_ldexp_f32 v85, v83, 1
	v_mul_f32_e32 v83, v83, v84
	v_mov_b32_e32 v80, 0x3f317218
	s_mov_b32 s9, 0x3f317218
	v_pk_mul_f32 v[80:81], v[82:83], v[80:81]
	v_fma_f32 v84, v82, s9, -v80
	v_fmac_f32_e32 v84, 0xb102e308, v82
	v_pk_add_f32 v[82:83], v[80:81], v[84:85]
	v_sub_f32_e32 v85, v83, v85
	v_ldexp_f32 v71, v71, 1
	v_sub_f32_e32 v85, v81, v85
	v_add_f32_e32 v87, v71, v85
	v_mov_b32_e32 v86, v80
	v_pk_add_f32 v[80:81], v[82:83], v[80:81] neg_lo:[0,1] neg_hi:[0,1]
	v_pk_add_f32 v[96:97], v[82:83], v[86:87]
	v_mov_b32_e32 v81, v97
	v_mov_b32_e32 v85, v82
	v_pk_add_f32 v[98:99], v[84:85], v[80:81] neg_lo:[0,1] neg_hi:[0,1]
	v_pk_add_f32 v[80:81], v[84:85], v[80:81]
	v_mov_b32_e32 v84, v81
	v_pk_add_f32 v[100:101], v[84:85], v[82:83] neg_lo:[0,1] neg_hi:[0,1]
	v_mov_b32_e32 v71, v100
	v_pk_add_f32 v[102:103], v[96:97], v[70:71] neg_lo:[0,1] neg_hi:[0,1]
	v_mov_b32_e32 v80, v97
	v_mov_b32_e32 v96, v83
	;; [unrolled: 1-line block ×4, first 2 shown]
	v_pk_add_f32 v[80:81], v[80:81], v[96:97] neg_lo:[0,1] neg_hi:[0,1]
	v_mov_b32_e32 v86, v87
	v_mov_b32_e32 v87, v82
	v_pk_add_f32 v[80:81], v[86:87], v[80:81] neg_lo:[0,1] neg_hi:[0,1]
	v_mov_b32_e32 v102, v98
	v_pk_add_f32 v[82:83], v[102:103], v[80:81]
	v_mov_b32_e32 v86, v83
	v_pk_add_f32 v[86:87], v[82:83], v[86:87]
	v_pk_add_f32 v[84:85], v[84:85], v[86:87]
	v_mov_b32_e32 v83, v84
	v_pk_add_f32 v[96:97], v[82:83], v[98:99] neg_lo:[0,1] neg_hi:[0,1]
	v_mov_b32_e32 v81, v86
	v_sub_f32_e32 v71, v82, v96
	v_pk_add_f32 v[80:81], v[80:81], v[96:97] neg_lo:[0,1] neg_hi:[0,1]
	v_sub_f32_e32 v71, v98, v71
	s_mov_b32 s10, 0x7f800000
	v_add_f32_e32 v71, v80, v71
	s_mov_b32 s9, 0x33800000
	v_add_f32_e32 v71, v71, v81
	v_cmp_eq_f32_e32 vcc, s10, v112
	v_cmp_lt_f32_e64 s[10:11], |v112|, s9
	v_add_f32_e32 v71, v84, v71
	s_or_b64 vcc, vcc, s[10:11]
	v_cndmask_b32_e32 v71, v71, v112, vcc
	v_add_f32_e32 v80, v70, v71
.LBB492_250:
	s_or_b64 exec, exec, s[6:7]
	v_bfe_u32 v70, v80, 16, 1
	s_movk_i32 s9, 0x7fff
	v_add3_u32 v70, v80, v70, s9
	v_lshrrev_b32_e32 v70, 16, v70
	v_mov_b32_e32 v71, 0x7fc0
	v_cmp_o_f32_e32 vcc, v80, v80
	v_cndmask_b32_e32 v70, v71, v70, vcc
	v_lshlrev_b32_e32 v81, 16, v70
	v_max_f32_e32 v80, v81, v81
	v_min_f32_e32 v82, v80, v133
	v_cmp_u_f32_e32 vcc, v81, v81
	v_max_f32_e32 v80, v80, v133
	v_cndmask_b32_e32 v82, v82, v81, vcc
	v_cndmask_b32_e32 v80, v80, v81, vcc
	v_cndmask_b32_e64 v82, v82, v129, s[52:53]
	v_cndmask_b32_e64 v80, v80, v129, s[52:53]
	v_cmp_neq_f32_e32 vcc, v82, v80
	v_cmp_class_f32_e64 s[6:7], v82, s8
	s_or_b64 s[10:11], vcc, s[6:7]
	s_and_saveexec_b64 s[6:7], s[10:11]
	s_cbranch_execz .LBB492_252
; %bb.251:
	v_sub_f32_e32 v81, v82, v80
	s_mov_b32 s8, 0x3fb8aa3b
	v_mul_f32_e32 v82, 0x3fb8aa3b, v81
	v_fma_f32 v83, v81, s8, -v82
	v_rndne_f32_e32 v84, v82
	v_fmac_f32_e32 v83, 0x32a5705f, v81
	v_sub_f32_e32 v82, v82, v84
	v_add_f32_e32 v82, v82, v83
	v_exp_f32_e32 v82, v82
	v_cvt_i32_f32_e32 v83, v84
	s_mov_b32 s8, 0xc2ce8ed0
	v_cmp_ngt_f32_e32 vcc, s8, v81
	s_mov_b32 s8, 0x42b17218
	v_ldexp_f32 v82, v82, v83
	v_cndmask_b32_e32 v82, 0, v82, vcc
	v_mov_b32_e32 v83, 0x7f800000
	v_cmp_nlt_f32_e32 vcc, s8, v81
	v_cndmask_b32_e32 v114, v83, v82, vcc
	v_add_f32_e32 v81, 1.0, v114
	v_add_f32_e32 v82, -1.0, v81
	v_sub_f32_e32 v83, v82, v81
	v_add_f32_e32 v83, 1.0, v83
	v_sub_f32_e32 v82, v114, v82
	v_add_f32_e32 v84, v82, v83
	v_frexp_mant_f32_e32 v85, v81
	s_mov_b32 s8, 0x3f2aaaab
	v_cvt_f64_f32_e32 v[82:83], v81
	v_frexp_exp_i32_f64_e32 v82, v[82:83]
	v_cmp_gt_f32_e32 vcc, s8, v85
	v_subbrev_co_u32_e32 v98, vcc, 0, v82, vcc
	v_sub_u32_e32 v82, 0, v98
	v_ldexp_f32 v81, v81, v82
	v_ldexp_f32 v82, v84, v82
	v_add_f32_e32 v84, -1.0, v81
	v_add_f32_e32 v83, 1.0, v84
	v_sub_f32_e32 v83, v81, v83
	v_add_f32_e32 v85, v82, v83
	v_add_f32_e32 v83, 1.0, v81
	v_add_f32_e32 v86, -1.0, v83
	v_sub_f32_e32 v81, v81, v86
	v_add_f32_e32 v81, v82, v81
	v_add_f32_e32 v99, v83, v81
	v_rcp_f32_e32 v100, v99
	v_sub_f32_e32 v82, v83, v99
	v_add_f32_e32 v83, v84, v85
	v_add_f32_e32 v81, v81, v82
	v_mul_f32_e32 v102, v83, v100
	v_sub_f32_e32 v82, v84, v83
	v_mul_f32_e32 v84, v99, v102
	v_fma_f32 v86, v102, v99, -v84
	v_fmac_f32_e32 v86, v102, v81
	v_add_f32_e32 v101, v85, v82
	v_add_f32_e32 v82, v84, v86
	v_sub_f32_e32 v85, v83, v82
	v_pk_add_f32 v[96:97], v[82:83], v[84:85] neg_lo:[0,1] neg_hi:[0,1]
	v_mov_b32_e32 v87, v82
	v_pk_add_f32 v[82:83], v[96:97], v[86:87] neg_lo:[0,1] neg_hi:[0,1]
	v_add_f32_e32 v83, v101, v83
	v_add_f32_e32 v82, v82, v83
	;; [unrolled: 1-line block ×3, first 2 shown]
	v_mul_f32_e32 v101, v100, v83
	v_mul_f32_e32 v84, v99, v101
	v_fma_f32 v86, v101, v99, -v84
	v_fmac_f32_e32 v86, v101, v81
	v_sub_f32_e32 v81, v85, v83
	v_add_f32_e32 v81, v82, v81
	v_add_f32_e32 v82, v84, v86
	v_sub_f32_e32 v85, v83, v82
	v_pk_add_f32 v[96:97], v[82:83], v[84:85] neg_lo:[0,1] neg_hi:[0,1]
	v_mov_b32_e32 v87, v82
	v_pk_add_f32 v[82:83], v[96:97], v[86:87] neg_lo:[0,1] neg_hi:[0,1]
	v_add_f32_e32 v81, v81, v83
	v_add_f32_e32 v81, v82, v81
	;; [unrolled: 1-line block ×4, first 2 shown]
	v_sub_f32_e32 v83, v82, v102
	v_mul_f32_e32 v81, v100, v81
	v_sub_f32_e32 v83, v101, v83
	v_add_f32_e32 v81, v83, v81
	v_add_f32_e32 v85, v82, v81
	v_mul_f32_e32 v86, v85, v85
	v_mov_b32_e32 v84, 0x3ecc95a3
	v_fmac_f32_e32 v84, 0x3e9b6dac, v86
	v_mov_b32_e32 v83, 0x3f2aaada
	v_fmac_f32_e32 v83, v86, v84
	v_cvt_f32_i32_e32 v84, v98
	v_sub_f32_e32 v82, v85, v82
	v_sub_f32_e32 v81, v81, v82
	v_ldexp_f32 v87, v85, 1
	v_mul_f32_e32 v85, v85, v86
	v_mov_b32_e32 v82, 0x3f317218
	s_mov_b32 s8, 0x3f317218
	v_pk_mul_f32 v[82:83], v[84:85], v[82:83]
	v_fma_f32 v86, v84, s8, -v82
	v_fmac_f32_e32 v86, 0xb102e308, v84
	v_pk_add_f32 v[84:85], v[82:83], v[86:87]
	v_sub_f32_e32 v87, v85, v87
	v_ldexp_f32 v81, v81, 1
	v_sub_f32_e32 v87, v83, v87
	v_add_f32_e32 v97, v81, v87
	v_mov_b32_e32 v96, v82
	v_pk_add_f32 v[82:83], v[84:85], v[82:83] neg_lo:[0,1] neg_hi:[0,1]
	v_pk_add_f32 v[98:99], v[84:85], v[96:97]
	v_mov_b32_e32 v83, v99
	v_mov_b32_e32 v87, v84
	v_pk_add_f32 v[100:101], v[86:87], v[82:83] neg_lo:[0,1] neg_hi:[0,1]
	v_pk_add_f32 v[82:83], v[86:87], v[82:83]
	v_mov_b32_e32 v86, v83
	v_pk_add_f32 v[102:103], v[86:87], v[84:85] neg_lo:[0,1] neg_hi:[0,1]
	v_mov_b32_e32 v81, v102
	v_pk_add_f32 v[112:113], v[98:99], v[80:81] neg_lo:[0,1] neg_hi:[0,1]
	v_mov_b32_e32 v82, v99
	v_mov_b32_e32 v98, v85
	;; [unrolled: 1-line block ×4, first 2 shown]
	v_pk_add_f32 v[82:83], v[82:83], v[98:99] neg_lo:[0,1] neg_hi:[0,1]
	v_mov_b32_e32 v96, v97
	v_mov_b32_e32 v97, v84
	v_pk_add_f32 v[82:83], v[96:97], v[82:83] neg_lo:[0,1] neg_hi:[0,1]
	v_mov_b32_e32 v112, v100
	v_pk_add_f32 v[84:85], v[112:113], v[82:83]
	v_mov_b32_e32 v96, v85
	v_pk_add_f32 v[96:97], v[84:85], v[96:97]
	v_pk_add_f32 v[86:87], v[86:87], v[96:97]
	v_mov_b32_e32 v85, v86
	v_pk_add_f32 v[98:99], v[84:85], v[100:101] neg_lo:[0,1] neg_hi:[0,1]
	v_mov_b32_e32 v83, v96
	v_sub_f32_e32 v81, v84, v98
	v_pk_add_f32 v[82:83], v[82:83], v[98:99] neg_lo:[0,1] neg_hi:[0,1]
	v_sub_f32_e32 v81, v100, v81
	s_mov_b32 s10, 0x7f800000
	v_add_f32_e32 v81, v82, v81
	s_mov_b32 s8, 0x33800000
	v_add_f32_e32 v81, v81, v83
	v_cmp_eq_f32_e32 vcc, s10, v114
	v_cmp_lt_f32_e64 s[10:11], |v114|, s8
	v_add_f32_e32 v81, v86, v81
	s_or_b64 vcc, vcc, s[10:11]
	v_cndmask_b32_e32 v81, v81, v114, vcc
	v_add_f32_e32 v81, v80, v81
.LBB492_252:
	s_or_b64 exec, exec, s[6:7]
	v_bfe_u32 v80, v81, 16, 1
	v_add3_u32 v80, v81, v80, s9
	v_lshrrev_b32_e32 v80, 16, v80
	v_cmp_o_f32_e32 vcc, v81, v81
	v_cndmask_b32_e32 v71, v71, v80, vcc
	s_branch .LBB492_383
.LBB492_253:
                                        ; implicit-def: $vgpr26
                                        ; implicit-def: $vgpr27
                                        ; implicit-def: $vgpr30
                                        ; implicit-def: $vgpr31
                                        ; implicit-def: $vgpr32
                                        ; implicit-def: $vgpr33
                                        ; implicit-def: $vgpr34
                                        ; implicit-def: $vgpr35
                                        ; implicit-def: $vgpr48
                                        ; implicit-def: $vgpr50
                                        ; implicit-def: $vgpr49
                                        ; implicit-def: $vgpr51
                                        ; implicit-def: $vgpr52
                                        ; implicit-def: $vgpr53
                                        ; implicit-def: $vgpr54
                                        ; implicit-def: $vgpr55
                                        ; implicit-def: $vgpr64
                                        ; implicit-def: $vgpr65
                                        ; implicit-def: $vgpr66
                                        ; implicit-def: $vgpr67
                                        ; implicit-def: $vgpr68
                                        ; implicit-def: $vgpr69
                                        ; implicit-def: $vgpr70
                                        ; implicit-def: $vgpr71
	s_cbranch_execz .LBB492_383
; %bb.254:
	v_cmp_ne_u64_e64 s[6:7], 0, v[6:7]
	v_cmp_eq_u32_e64 s[8:9], 0, v0
	v_cmp_ne_u32_e32 vcc, 0, v0
	s_and_b64 s[6:7], s[8:9], s[6:7]
	v_mov_b32_e32 v26, v20
	s_and_saveexec_b64 s[8:9], s[6:7]
	s_cbranch_execz .LBB492_258
; %bb.255:
	flat_load_ushort v2, v[2:3]
	v_lshlrev_b32_e32 v7, 16, v20
	v_max_f32_e32 v6, v7, v7
	s_movk_i32 s10, 0x1f8
	s_waitcnt vmcnt(0) lgkmcnt(0)
	v_lshlrev_b32_e32 v3, 16, v2
	v_max_f32_e32 v2, v3, v3
	v_min_f32_e32 v26, v2, v6
	v_max_f32_e32 v2, v2, v6
	v_cmp_u_f32_e64 s[6:7], v3, v3
	v_cndmask_b32_e64 v6, v26, v3, s[6:7]
	v_cndmask_b32_e64 v2, v2, v3, s[6:7]
	v_cmp_u_f32_e64 s[6:7], v7, v7
	v_cndmask_b32_e64 v6, v6, v7, s[6:7]
	v_cndmask_b32_e64 v2, v2, v7, s[6:7]
	v_cmp_neq_f32_e64 s[6:7], v6, v2
	v_cmp_class_f32_e64 s[10:11], v6, s10
	s_or_b64 s[6:7], s[6:7], s[10:11]
	s_and_saveexec_b64 s[10:11], s[6:7]
	s_cbranch_execz .LBB492_257
; %bb.256:
	v_sub_f32_e32 v3, v6, v2
	s_mov_b32 s6, 0x3fb8aa3b
	v_mul_f32_e32 v6, 0x3fb8aa3b, v3
	v_fma_f32 v7, v3, s6, -v6
	v_rndne_f32_e32 v26, v6
	v_fmac_f32_e32 v7, 0x32a5705f, v3
	v_sub_f32_e32 v6, v6, v26
	v_add_f32_e32 v6, v6, v7
	v_exp_f32_e32 v6, v6
	v_cvt_i32_f32_e32 v7, v26
	s_mov_b32 s6, 0xc2ce8ed0
	v_cmp_ngt_f32_e64 s[6:7], s6, v3
	s_mov_b32 s12, 0x7f800000
	v_ldexp_f32 v6, v6, v7
	v_cndmask_b32_e64 v6, 0, v6, s[6:7]
	s_mov_b32 s6, 0x42b17218
	v_mov_b32_e32 v7, 0x7f800000
	v_cmp_nlt_f32_e64 s[6:7], s6, v3
	v_cndmask_b32_e64 v54, v7, v6, s[6:7]
	v_add_f32_e32 v3, 1.0, v54
	v_add_f32_e32 v6, -1.0, v3
	v_sub_f32_e32 v7, v6, v3
	v_add_f32_e32 v7, 1.0, v7
	v_sub_f32_e32 v6, v54, v6
	v_add_f32_e32 v26, v6, v7
	v_frexp_mant_f32_e32 v27, v3
	s_mov_b32 s6, 0x3f2aaaab
	v_cvt_f64_f32_e32 v[6:7], v3
	v_frexp_exp_i32_f64_e32 v6, v[6:7]
	v_cmp_gt_f32_e64 s[6:7], s6, v27
	v_subbrev_co_u32_e64 v34, s[6:7], 0, v6, s[6:7]
	v_sub_u32_e32 v6, 0, v34
	v_ldexp_f32 v3, v3, v6
	v_ldexp_f32 v6, v26, v6
	v_add_f32_e32 v26, -1.0, v3
	v_add_f32_e32 v7, 1.0, v26
	v_sub_f32_e32 v7, v3, v7
	v_add_f32_e32 v27, v6, v7
	v_add_f32_e32 v7, 1.0, v3
	v_add_f32_e32 v30, -1.0, v7
	v_sub_f32_e32 v3, v3, v30
	v_add_f32_e32 v3, v6, v3
	v_add_f32_e32 v35, v7, v3
	v_rcp_f32_e32 v48, v35
	v_sub_f32_e32 v6, v7, v35
	v_add_f32_e32 v7, v26, v27
	v_add_f32_e32 v3, v3, v6
	v_mul_f32_e32 v50, v7, v48
	v_sub_f32_e32 v6, v26, v7
	v_mul_f32_e32 v26, v35, v50
	v_fma_f32 v30, v50, v35, -v26
	v_fmac_f32_e32 v30, v50, v3
	v_add_f32_e32 v49, v27, v6
	v_add_f32_e32 v6, v26, v30
	v_sub_f32_e32 v27, v7, v6
	v_pk_add_f32 v[32:33], v[6:7], v[26:27] neg_lo:[0,1] neg_hi:[0,1]
	v_mov_b32_e32 v31, v6
	v_pk_add_f32 v[6:7], v[32:33], v[30:31] neg_lo:[0,1] neg_hi:[0,1]
	v_add_f32_e32 v7, v49, v7
	v_add_f32_e32 v6, v6, v7
	;; [unrolled: 1-line block ×3, first 2 shown]
	v_mul_f32_e32 v49, v48, v7
	v_mul_f32_e32 v26, v35, v49
	v_fma_f32 v30, v49, v35, -v26
	v_fmac_f32_e32 v30, v49, v3
	v_sub_f32_e32 v3, v27, v7
	v_add_f32_e32 v3, v6, v3
	v_add_f32_e32 v6, v26, v30
	v_sub_f32_e32 v27, v7, v6
	v_pk_add_f32 v[32:33], v[6:7], v[26:27] neg_lo:[0,1] neg_hi:[0,1]
	v_mov_b32_e32 v31, v6
	v_pk_add_f32 v[6:7], v[32:33], v[30:31] neg_lo:[0,1] neg_hi:[0,1]
	v_add_f32_e32 v3, v3, v7
	v_add_f32_e32 v3, v6, v3
	;; [unrolled: 1-line block ×4, first 2 shown]
	v_sub_f32_e32 v7, v6, v50
	v_mul_f32_e32 v3, v48, v3
	v_sub_f32_e32 v7, v49, v7
	v_add_f32_e32 v3, v7, v3
	v_add_f32_e32 v27, v6, v3
	v_mul_f32_e32 v30, v27, v27
	v_mov_b32_e32 v26, 0x3ecc95a3
	v_fmac_f32_e32 v26, 0x3e9b6dac, v30
	v_mov_b32_e32 v7, 0x3f2aaada
	v_fmac_f32_e32 v7, v30, v26
	v_cvt_f32_i32_e32 v26, v34
	v_sub_f32_e32 v6, v27, v6
	v_sub_f32_e32 v3, v3, v6
	v_ldexp_f32 v31, v27, 1
	v_mul_f32_e32 v27, v27, v30
	v_mov_b32_e32 v6, 0x3f317218
	s_mov_b32 s6, 0x3f317218
	v_pk_mul_f32 v[6:7], v[26:27], v[6:7]
	v_fma_f32 v30, v26, s6, -v6
	v_fmac_f32_e32 v30, 0xb102e308, v26
	v_pk_add_f32 v[26:27], v[6:7], v[30:31]
	v_sub_f32_e32 v31, v27, v31
	v_ldexp_f32 v3, v3, 1
	v_sub_f32_e32 v31, v7, v31
	v_add_f32_e32 v33, v3, v31
	v_mov_b32_e32 v32, v6
	v_pk_add_f32 v[6:7], v[26:27], v[6:7] neg_lo:[0,1] neg_hi:[0,1]
	v_pk_add_f32 v[34:35], v[26:27], v[32:33]
	v_mov_b32_e32 v7, v35
	v_mov_b32_e32 v31, v26
	v_pk_add_f32 v[48:49], v[30:31], v[6:7] neg_lo:[0,1] neg_hi:[0,1]
	v_pk_add_f32 v[6:7], v[30:31], v[6:7]
	v_mov_b32_e32 v30, v7
	v_pk_add_f32 v[50:51], v[30:31], v[26:27] neg_lo:[0,1] neg_hi:[0,1]
	v_mov_b32_e32 v3, v50
	v_pk_add_f32 v[52:53], v[34:35], v[2:3] neg_lo:[0,1] neg_hi:[0,1]
	v_mov_b32_e32 v6, v35
	v_mov_b32_e32 v34, v27
	;; [unrolled: 1-line block ×4, first 2 shown]
	v_pk_add_f32 v[6:7], v[6:7], v[34:35] neg_lo:[0,1] neg_hi:[0,1]
	v_mov_b32_e32 v32, v33
	v_mov_b32_e32 v33, v26
	v_pk_add_f32 v[6:7], v[32:33], v[6:7] neg_lo:[0,1] neg_hi:[0,1]
	v_mov_b32_e32 v52, v48
	v_pk_add_f32 v[26:27], v[52:53], v[6:7]
	v_mov_b32_e32 v32, v27
	v_pk_add_f32 v[32:33], v[26:27], v[32:33]
	v_pk_add_f32 v[30:31], v[30:31], v[32:33]
	v_mov_b32_e32 v27, v30
	v_pk_add_f32 v[34:35], v[26:27], v[48:49] neg_lo:[0,1] neg_hi:[0,1]
	v_mov_b32_e32 v7, v32
	v_sub_f32_e32 v3, v26, v34
	v_pk_add_f32 v[6:7], v[6:7], v[34:35] neg_lo:[0,1] neg_hi:[0,1]
	v_sub_f32_e32 v3, v48, v3
	v_add_f32_e32 v3, v6, v3
	v_cmp_eq_f32_e64 s[6:7], s12, v54
	s_mov_b32 s12, 0x33800000
	v_add_f32_e32 v3, v3, v7
	v_cmp_lt_f32_e64 s[12:13], |v54|, s12
	v_add_f32_e32 v3, v30, v3
	s_or_b64 s[6:7], s[6:7], s[12:13]
	v_cndmask_b32_e64 v3, v3, v54, s[6:7]
	v_add_f32_e32 v3, v2, v3
.LBB492_257:
	s_or_b64 exec, exec, s[10:11]
	v_bfe_u32 v2, v3, 16, 1
	s_movk_i32 s6, 0x7fff
	v_add3_u32 v2, v3, v2, s6
	v_lshrrev_b32_e32 v2, 16, v2
	v_mov_b32_e32 v6, 0x7fc0
	v_cmp_o_f32_e64 s[6:7], v3, v3
	v_cndmask_b32_e64 v26, v6, v2, s[6:7]
.LBB492_258:
	s_or_b64 exec, exec, s[8:9]
	v_mov_b32_e32 v3, 16
	v_lshlrev_b32_e32 v30, 16, v26
	v_lshlrev_b32_sdwa v2, v3, v20 dst_sel:DWORD dst_unused:UNUSED_PAD src0_sel:DWORD src1_sel:WORD_1
	v_max_f32_e32 v27, v2, v2
	v_max_f32_e32 v98, v30, v30
	v_min_f32_e32 v96, v98, v27
	v_cmp_u_f32_e64 s[54:55], v30, v30
	v_cndmask_b32_e64 v6, v96, v30, s[54:55]
	v_cmp_u_f32_e64 s[6:7], v2, v2
	v_max_f32_e32 v97, v98, v27
	v_cndmask_b32_e64 v20, v6, v2, s[6:7]
	v_cndmask_b32_e64 v6, v97, v30, s[54:55]
	;; [unrolled: 1-line block ×3, first 2 shown]
	s_movk_i32 s12, 0x1f8
	v_cmp_neq_f32_e64 s[8:9], v20, v6
	v_cmp_class_f32_e64 s[10:11], v20, s12
	s_or_b64 s[8:9], s[8:9], s[10:11]
	v_mov_b32_e32 v7, v30
	s_and_saveexec_b64 s[10:11], s[8:9]
	s_cbranch_execz .LBB492_260
; %bb.259:
	v_sub_f32_e32 v7, v20, v6
	s_mov_b32 s8, 0x3fb8aa3b
	v_mul_f32_e32 v20, 0x3fb8aa3b, v7
	v_fma_f32 v31, v7, s8, -v20
	v_rndne_f32_e32 v32, v20
	v_fmac_f32_e32 v31, 0x32a5705f, v7
	v_sub_f32_e32 v20, v20, v32
	v_add_f32_e32 v20, v20, v31
	v_exp_f32_e32 v20, v20
	v_cvt_i32_f32_e32 v31, v32
	s_mov_b32 s8, 0xc2ce8ed0
	v_cmp_ngt_f32_e64 s[8:9], s8, v7
	s_mov_b32 s13, 0x7f800000
	v_ldexp_f32 v20, v20, v31
	v_cndmask_b32_e64 v20, 0, v20, s[8:9]
	s_mov_b32 s8, 0x42b17218
	v_mov_b32_e32 v31, 0x7f800000
	v_cmp_nlt_f32_e64 s[8:9], s8, v7
	v_cndmask_b32_e64 v31, v31, v20, s[8:9]
	v_add_f32_e32 v7, 1.0, v31
	v_add_f32_e32 v20, -1.0, v7
	v_sub_f32_e32 v32, v20, v7
	v_add_f32_e32 v32, 1.0, v32
	v_sub_f32_e32 v20, v31, v20
	v_add_f32_e32 v20, v20, v32
	v_frexp_mant_f32_e32 v34, v7
	s_mov_b32 s8, 0x3f2aaaab
	v_cvt_f64_f32_e32 v[32:33], v7
	v_frexp_exp_i32_f64_e32 v32, v[32:33]
	v_cmp_gt_f32_e64 s[8:9], s8, v34
	v_subbrev_co_u32_e64 v52, s[8:9], 0, v32, s[8:9]
	v_sub_u32_e32 v32, 0, v52
	v_ldexp_f32 v7, v7, v32
	v_ldexp_f32 v20, v20, v32
	v_add_f32_e32 v32, -1.0, v7
	v_add_f32_e32 v33, 1.0, v32
	v_sub_f32_e32 v33, v7, v33
	v_add_f32_e32 v34, v20, v33
	v_add_f32_e32 v33, 1.0, v7
	v_add_f32_e32 v35, -1.0, v33
	v_sub_f32_e32 v7, v7, v35
	v_add_f32_e32 v7, v20, v7
	v_add_f32_e32 v20, v33, v7
	v_rcp_f32_e32 v53, v20
	v_sub_f32_e32 v33, v33, v20
	v_add_f32_e32 v7, v7, v33
	v_add_f32_e32 v33, v32, v34
	v_sub_f32_e32 v32, v32, v33
	v_mul_f32_e32 v55, v33, v53
	v_add_f32_e32 v54, v34, v32
	v_mul_f32_e32 v34, v20, v55
	v_fma_f32 v48, v55, v20, -v34
	v_fmac_f32_e32 v48, v55, v7
	v_add_f32_e32 v32, v34, v48
	v_sub_f32_e32 v35, v33, v32
	v_pk_add_f32 v[50:51], v[32:33], v[34:35] neg_lo:[0,1] neg_hi:[0,1]
	v_mov_b32_e32 v49, v32
	v_pk_add_f32 v[32:33], v[50:51], v[48:49] neg_lo:[0,1] neg_hi:[0,1]
	v_add_f32_e32 v33, v54, v33
	v_add_f32_e32 v32, v32, v33
	;; [unrolled: 1-line block ×3, first 2 shown]
	v_mul_f32_e32 v54, v53, v33
	v_mul_f32_e32 v34, v20, v54
	v_fma_f32 v48, v54, v20, -v34
	v_fmac_f32_e32 v48, v54, v7
	v_sub_f32_e32 v7, v35, v33
	v_add_f32_e32 v7, v32, v7
	v_add_f32_e32 v32, v34, v48
	v_sub_f32_e32 v35, v33, v32
	v_pk_add_f32 v[50:51], v[32:33], v[34:35] neg_lo:[0,1] neg_hi:[0,1]
	v_mov_b32_e32 v49, v32
	v_pk_add_f32 v[32:33], v[50:51], v[48:49] neg_lo:[0,1] neg_hi:[0,1]
	v_add_f32_e32 v7, v7, v33
	v_add_f32_e32 v7, v32, v7
	;; [unrolled: 1-line block ×4, first 2 shown]
	v_sub_f32_e32 v32, v20, v55
	v_mul_f32_e32 v7, v53, v7
	v_sub_f32_e32 v32, v54, v32
	v_add_f32_e32 v7, v32, v7
	v_add_f32_e32 v32, v20, v7
	v_mul_f32_e32 v35, v32, v32
	v_mov_b32_e32 v34, 0x3ecc95a3
	v_fmac_f32_e32 v34, 0x3e9b6dac, v35
	v_mov_b32_e32 v33, 0x3f2aaada
	v_fmac_f32_e32 v33, v35, v34
	v_cvt_f32_i32_e32 v34, v52
	v_sub_f32_e32 v20, v32, v20
	v_ldexp_f32 v49, v32, 1
	v_mul_f32_e32 v35, v32, v35
	v_mov_b32_e32 v32, 0x3f317218
	s_mov_b32 s8, 0x3f317218
	v_pk_mul_f32 v[32:33], v[34:35], v[32:33]
	v_fma_f32 v48, v34, s8, -v32
	v_fmac_f32_e32 v48, 0xb102e308, v34
	v_pk_add_f32 v[34:35], v[32:33], v[48:49]
	v_sub_f32_e32 v7, v7, v20
	v_sub_f32_e32 v20, v35, v49
	v_ldexp_f32 v7, v7, 1
	v_sub_f32_e32 v20, v33, v20
	v_add_f32_e32 v51, v7, v20
	v_mov_b32_e32 v50, v32
	v_pk_add_f32 v[32:33], v[34:35], v[32:33] neg_lo:[0,1] neg_hi:[0,1]
	v_pk_add_f32 v[52:53], v[34:35], v[50:51]
	v_mov_b32_e32 v33, v53
	v_mov_b32_e32 v49, v34
	v_pk_add_f32 v[54:55], v[48:49], v[32:33] neg_lo:[0,1] neg_hi:[0,1]
	v_pk_add_f32 v[32:33], v[48:49], v[32:33]
	v_mov_b32_e32 v20, v33
	v_pk_add_f32 v[48:49], v[20:21], v[34:35] neg_lo:[0,1] neg_hi:[0,1]
	v_mov_b32_e32 v7, v48
	v_pk_add_f32 v[64:65], v[52:53], v[6:7] neg_lo:[0,1] neg_hi:[0,1]
	v_mov_b32_e32 v32, v53
	v_mov_b32_e32 v52, v35
	;; [unrolled: 1-line block ×4, first 2 shown]
	v_pk_add_f32 v[32:33], v[32:33], v[52:53] neg_lo:[0,1] neg_hi:[0,1]
	v_mov_b32_e32 v48, v51
	v_mov_b32_e32 v49, v34
	v_pk_add_f32 v[32:33], v[48:49], v[32:33] neg_lo:[0,1] neg_hi:[0,1]
	v_mov_b32_e32 v64, v54
	v_pk_add_f32 v[34:35], v[64:65], v[32:33]
	v_mov_b32_e32 v48, v35
	v_pk_add_f32 v[48:49], v[34:35], v[48:49]
	v_pk_add_f32 v[50:51], v[20:21], v[48:49]
	v_mov_b32_e32 v35, v50
	v_pk_add_f32 v[52:53], v[34:35], v[54:55] neg_lo:[0,1] neg_hi:[0,1]
	v_mov_b32_e32 v33, v48
	v_sub_f32_e32 v7, v34, v52
	v_pk_add_f32 v[32:33], v[32:33], v[52:53] neg_lo:[0,1] neg_hi:[0,1]
	v_sub_f32_e32 v7, v54, v7
	v_add_f32_e32 v7, v32, v7
	v_cmp_eq_f32_e64 s[8:9], s13, v31
	s_mov_b32 s13, 0x33800000
	v_add_f32_e32 v7, v7, v33
	v_cmp_lt_f32_e64 s[14:15], |v31|, s13
	v_add_f32_e32 v7, v50, v7
	s_or_b64 s[8:9], s[8:9], s[14:15]
	v_cndmask_b32_e64 v7, v7, v31, s[8:9]
	v_add_f32_e32 v7, v6, v7
.LBB492_260:
	s_or_b64 exec, exec, s[10:11]
	v_bfe_u32 v6, v7, 16, 1
	s_movk_i32 s14, 0x7fff
	v_add3_u32 v6, v7, v6, s14
	v_and_b32_e32 v20, 0xffff0000, v6
	v_mov_b32_e32 v6, 0x7fc00000
	v_cmp_o_f32_e64 s[8:9], v7, v7
	v_cndmask_b32_e64 v31, v6, v20, s[8:9]
	v_lshlrev_b32_sdwa v3, v3, v21 dst_sel:DWORD dst_unused:UNUSED_PAD src0_sel:DWORD src1_sel:WORD_0
	v_max_f32_e32 v7, v31, v31
	v_max_f32_e32 v20, v3, v3
	v_min_f32_e32 v32, v7, v20
	v_cmp_u_f32_e64 s[10:11], v31, v31
	v_max_f32_e32 v7, v7, v20
	v_cndmask_b32_e64 v32, v32, v31, s[10:11]
	v_cmp_u_f32_e64 s[8:9], v3, v3
	v_cndmask_b32_e64 v7, v7, v31, s[10:11]
	v_cndmask_b32_e64 v32, v32, v3, s[8:9]
	;; [unrolled: 1-line block ×3, first 2 shown]
	v_cmp_neq_f32_e64 s[10:11], v32, v7
	v_cmp_class_f32_e64 s[12:13], v32, s12
	s_or_b64 s[10:11], s[10:11], s[12:13]
	s_and_saveexec_b64 s[12:13], s[10:11]
	s_cbranch_execz .LBB492_262
; %bb.261:
	v_sub_f32_e32 v31, v32, v7
	s_mov_b32 s10, 0x3fb8aa3b
	v_mul_f32_e32 v32, 0x3fb8aa3b, v31
	v_fma_f32 v33, v31, s10, -v32
	v_rndne_f32_e32 v34, v32
	v_fmac_f32_e32 v33, 0x32a5705f, v31
	v_sub_f32_e32 v32, v32, v34
	v_add_f32_e32 v32, v32, v33
	v_exp_f32_e32 v32, v32
	v_cvt_i32_f32_e32 v33, v34
	s_mov_b32 s10, 0xc2ce8ed0
	v_cmp_ngt_f32_e64 s[10:11], s10, v31
	s_mov_b32 s15, 0x7f800000
	v_ldexp_f32 v32, v32, v33
	v_cndmask_b32_e64 v32, 0, v32, s[10:11]
	s_mov_b32 s10, 0x42b17218
	v_mov_b32_e32 v33, 0x7f800000
	v_cmp_nlt_f32_e64 s[10:11], s10, v31
	v_cndmask_b32_e64 v68, v33, v32, s[10:11]
	v_add_f32_e32 v31, 1.0, v68
	v_add_f32_e32 v32, -1.0, v31
	v_sub_f32_e32 v33, v32, v31
	v_add_f32_e32 v33, 1.0, v33
	v_sub_f32_e32 v32, v68, v32
	v_add_f32_e32 v34, v32, v33
	v_frexp_mant_f32_e32 v35, v31
	s_mov_b32 s10, 0x3f2aaaab
	v_cvt_f64_f32_e32 v[32:33], v31
	v_frexp_exp_i32_f64_e32 v32, v[32:33]
	v_cmp_gt_f32_e64 s[10:11], s10, v35
	v_subbrev_co_u32_e64 v52, s[10:11], 0, v32, s[10:11]
	v_sub_u32_e32 v32, 0, v52
	v_ldexp_f32 v31, v31, v32
	v_ldexp_f32 v32, v34, v32
	v_add_f32_e32 v34, -1.0, v31
	v_add_f32_e32 v33, 1.0, v34
	v_sub_f32_e32 v33, v31, v33
	v_add_f32_e32 v35, v32, v33
	v_add_f32_e32 v33, 1.0, v31
	v_add_f32_e32 v48, -1.0, v33
	v_sub_f32_e32 v31, v31, v48
	v_add_f32_e32 v31, v32, v31
	v_add_f32_e32 v53, v33, v31
	v_rcp_f32_e32 v54, v53
	v_sub_f32_e32 v32, v33, v53
	v_add_f32_e32 v33, v34, v35
	v_add_f32_e32 v31, v31, v32
	v_mul_f32_e32 v64, v33, v54
	v_sub_f32_e32 v32, v34, v33
	v_mul_f32_e32 v34, v53, v64
	v_fma_f32 v48, v64, v53, -v34
	v_fmac_f32_e32 v48, v64, v31
	v_add_f32_e32 v55, v35, v32
	v_add_f32_e32 v32, v34, v48
	v_sub_f32_e32 v35, v33, v32
	v_pk_add_f32 v[50:51], v[32:33], v[34:35] neg_lo:[0,1] neg_hi:[0,1]
	v_mov_b32_e32 v49, v32
	v_pk_add_f32 v[32:33], v[50:51], v[48:49] neg_lo:[0,1] neg_hi:[0,1]
	v_add_f32_e32 v33, v55, v33
	v_add_f32_e32 v32, v32, v33
	;; [unrolled: 1-line block ×3, first 2 shown]
	v_mul_f32_e32 v55, v54, v33
	v_mul_f32_e32 v34, v53, v55
	v_fma_f32 v48, v55, v53, -v34
	v_fmac_f32_e32 v48, v55, v31
	v_sub_f32_e32 v31, v35, v33
	v_add_f32_e32 v31, v32, v31
	v_add_f32_e32 v32, v34, v48
	v_sub_f32_e32 v35, v33, v32
	v_pk_add_f32 v[50:51], v[32:33], v[34:35] neg_lo:[0,1] neg_hi:[0,1]
	v_mov_b32_e32 v49, v32
	v_pk_add_f32 v[32:33], v[50:51], v[48:49] neg_lo:[0,1] neg_hi:[0,1]
	v_add_f32_e32 v31, v31, v33
	v_add_f32_e32 v31, v32, v31
	;; [unrolled: 1-line block ×4, first 2 shown]
	v_sub_f32_e32 v33, v32, v64
	v_mul_f32_e32 v31, v54, v31
	v_sub_f32_e32 v33, v55, v33
	v_add_f32_e32 v31, v33, v31
	v_add_f32_e32 v35, v32, v31
	v_mul_f32_e32 v48, v35, v35
	v_mov_b32_e32 v34, 0x3ecc95a3
	v_fmac_f32_e32 v34, 0x3e9b6dac, v48
	v_mov_b32_e32 v33, 0x3f2aaada
	v_fmac_f32_e32 v33, v48, v34
	v_cvt_f32_i32_e32 v34, v52
	v_sub_f32_e32 v32, v35, v32
	v_sub_f32_e32 v31, v31, v32
	v_ldexp_f32 v49, v35, 1
	v_mul_f32_e32 v35, v35, v48
	v_mov_b32_e32 v32, 0x3f317218
	s_mov_b32 s10, 0x3f317218
	v_pk_mul_f32 v[32:33], v[34:35], v[32:33]
	v_fma_f32 v48, v34, s10, -v32
	v_fmac_f32_e32 v48, 0xb102e308, v34
	v_pk_add_f32 v[34:35], v[32:33], v[48:49]
	v_sub_f32_e32 v49, v35, v49
	v_ldexp_f32 v31, v31, 1
	v_sub_f32_e32 v49, v33, v49
	v_add_f32_e32 v51, v31, v49
	v_mov_b32_e32 v50, v32
	v_pk_add_f32 v[32:33], v[34:35], v[32:33] neg_lo:[0,1] neg_hi:[0,1]
	v_pk_add_f32 v[52:53], v[34:35], v[50:51]
	v_mov_b32_e32 v33, v53
	v_mov_b32_e32 v49, v34
	v_pk_add_f32 v[54:55], v[48:49], v[32:33] neg_lo:[0,1] neg_hi:[0,1]
	v_pk_add_f32 v[32:33], v[48:49], v[32:33]
	v_mov_b32_e32 v48, v33
	v_pk_add_f32 v[64:65], v[48:49], v[34:35] neg_lo:[0,1] neg_hi:[0,1]
	v_mov_b32_e32 v31, v64
	v_pk_add_f32 v[66:67], v[52:53], v[30:31] neg_lo:[0,1] neg_hi:[0,1]
	v_mov_b32_e32 v32, v53
	v_mov_b32_e32 v52, v35
	;; [unrolled: 1-line block ×4, first 2 shown]
	v_pk_add_f32 v[32:33], v[32:33], v[52:53] neg_lo:[0,1] neg_hi:[0,1]
	v_mov_b32_e32 v50, v51
	v_mov_b32_e32 v51, v34
	v_pk_add_f32 v[32:33], v[50:51], v[32:33] neg_lo:[0,1] neg_hi:[0,1]
	v_mov_b32_e32 v66, v54
	v_pk_add_f32 v[34:35], v[66:67], v[32:33]
	v_mov_b32_e32 v50, v35
	v_pk_add_f32 v[50:51], v[34:35], v[50:51]
	v_pk_add_f32 v[48:49], v[48:49], v[50:51]
	v_mov_b32_e32 v35, v48
	v_pk_add_f32 v[52:53], v[34:35], v[54:55] neg_lo:[0,1] neg_hi:[0,1]
	v_mov_b32_e32 v33, v50
	v_sub_f32_e32 v31, v34, v52
	v_pk_add_f32 v[32:33], v[32:33], v[52:53] neg_lo:[0,1] neg_hi:[0,1]
	v_sub_f32_e32 v31, v54, v31
	v_add_f32_e32 v31, v32, v31
	v_cmp_eq_f32_e64 s[10:11], s15, v68
	s_mov_b32 s15, 0x33800000
	v_add_f32_e32 v31, v31, v33
	v_cmp_lt_f32_e64 s[16:17], |v68|, s15
	v_add_f32_e32 v31, v48, v31
	s_or_b64 s[10:11], s[10:11], s[16:17]
	v_cndmask_b32_e64 v31, v31, v68, s[10:11]
	v_add_f32_e32 v31, v7, v31
.LBB492_262:
	s_or_b64 exec, exec, s[12:13]
	v_bfe_u32 v7, v31, 16, 1
	v_add3_u32 v7, v31, v7, s14
	v_and_b32_e32 v7, 0xffff0000, v7
	v_cmp_o_f32_e64 s[10:11], v31, v31
	v_cndmask_b32_e64 v32, v6, v7, s[10:11]
	v_mov_b32_e32 v7, 16
	v_lshlrev_b32_sdwa v6, v7, v21 dst_sel:DWORD dst_unused:UNUSED_PAD src0_sel:DWORD src1_sel:WORD_1
	v_max_f32_e32 v21, v32, v32
	v_max_f32_e32 v31, v6, v6
	v_min_f32_e32 v33, v21, v31
	v_cmp_u_f32_e64 s[12:13], v32, v32
	v_max_f32_e32 v21, v21, v31
	v_cndmask_b32_e64 v33, v33, v32, s[12:13]
	v_cmp_u_f32_e64 s[10:11], v6, v6
	v_cndmask_b32_e64 v21, v21, v32, s[12:13]
	v_cndmask_b32_e64 v33, v33, v6, s[10:11]
	v_cndmask_b32_e64 v21, v21, v6, s[10:11]
	s_movk_i32 s16, 0x1f8
	v_cmp_neq_f32_e64 s[12:13], v33, v21
	v_cmp_class_f32_e64 s[14:15], v33, s16
	s_or_b64 s[12:13], s[12:13], s[14:15]
	s_and_saveexec_b64 s[14:15], s[12:13]
	s_cbranch_execz .LBB492_264
; %bb.263:
	v_sub_f32_e32 v32, v33, v21
	s_mov_b32 s12, 0x3fb8aa3b
	v_mul_f32_e32 v33, 0x3fb8aa3b, v32
	v_fma_f32 v34, v32, s12, -v33
	v_rndne_f32_e32 v35, v33
	v_fmac_f32_e32 v34, 0x32a5705f, v32
	v_sub_f32_e32 v33, v33, v35
	v_add_f32_e32 v33, v33, v34
	v_exp_f32_e32 v33, v33
	v_cvt_i32_f32_e32 v34, v35
	s_mov_b32 s12, 0xc2ce8ed0
	v_cmp_ngt_f32_e64 s[12:13], s12, v32
	s_mov_b32 s17, 0x7f800000
	v_ldexp_f32 v33, v33, v34
	v_cndmask_b32_e64 v33, 0, v33, s[12:13]
	s_mov_b32 s12, 0x42b17218
	v_mov_b32_e32 v34, 0x7f800000
	v_cmp_nlt_f32_e64 s[12:13], s12, v32
	v_cndmask_b32_e64 v68, v34, v33, s[12:13]
	v_add_f32_e32 v34, 1.0, v68
	v_add_f32_e32 v32, -1.0, v34
	v_sub_f32_e32 v33, v32, v34
	v_add_f32_e32 v33, 1.0, v33
	v_sub_f32_e32 v32, v68, v32
	v_add_f32_e32 v35, v32, v33
	v_frexp_mant_f32_e32 v48, v34
	s_mov_b32 s12, 0x3f2aaaab
	v_cvt_f64_f32_e32 v[32:33], v34
	v_frexp_exp_i32_f64_e32 v32, v[32:33]
	v_cmp_gt_f32_e64 s[12:13], s12, v48
	v_subbrev_co_u32_e64 v52, s[12:13], 0, v32, s[12:13]
	v_sub_u32_e32 v32, 0, v52
	v_ldexp_f32 v33, v34, v32
	v_add_f32_e32 v34, -1.0, v33
	v_add_f32_e32 v48, 1.0, v33
	v_ldexp_f32 v32, v35, v32
	v_add_f32_e32 v35, 1.0, v34
	v_add_f32_e32 v49, -1.0, v48
	v_sub_f32_e32 v35, v33, v35
	v_sub_f32_e32 v33, v33, v49
	v_add_f32_e32 v35, v32, v35
	v_add_f32_e32 v32, v32, v33
	;; [unrolled: 1-line block ×3, first 2 shown]
	v_rcp_f32_e32 v55, v53
	v_sub_f32_e32 v33, v48, v53
	v_add_f32_e32 v54, v32, v33
	v_add_f32_e32 v33, v34, v35
	v_mul_f32_e32 v65, v33, v55
	v_sub_f32_e32 v32, v34, v33
	v_mul_f32_e32 v34, v53, v65
	v_fma_f32 v48, v65, v53, -v34
	v_fmac_f32_e32 v48, v65, v54
	v_add_f32_e32 v64, v35, v32
	v_add_f32_e32 v32, v34, v48
	v_sub_f32_e32 v35, v33, v32
	v_pk_add_f32 v[50:51], v[32:33], v[34:35] neg_lo:[0,1] neg_hi:[0,1]
	v_mov_b32_e32 v49, v32
	v_pk_add_f32 v[32:33], v[50:51], v[48:49] neg_lo:[0,1] neg_hi:[0,1]
	v_add_f32_e32 v33, v64, v33
	v_add_f32_e32 v32, v32, v33
	;; [unrolled: 1-line block ×3, first 2 shown]
	v_mul_f32_e32 v64, v55, v33
	v_mul_f32_e32 v34, v53, v64
	v_fma_f32 v48, v64, v53, -v34
	v_fmac_f32_e32 v48, v64, v54
	v_sub_f32_e32 v35, v35, v33
	v_add_f32_e32 v53, v32, v35
	v_add_f32_e32 v32, v34, v48
	v_sub_f32_e32 v35, v33, v32
	v_pk_add_f32 v[50:51], v[32:33], v[34:35] neg_lo:[0,1] neg_hi:[0,1]
	v_mov_b32_e32 v49, v32
	v_pk_add_f32 v[32:33], v[50:51], v[48:49] neg_lo:[0,1] neg_hi:[0,1]
	v_add_f32_e32 v33, v53, v33
	v_add_f32_e32 v32, v32, v33
	;; [unrolled: 1-line block ×4, first 2 shown]
	v_sub_f32_e32 v33, v35, v65
	v_mul_f32_e32 v32, v55, v32
	v_sub_f32_e32 v33, v64, v33
	v_add_f32_e32 v32, v33, v32
	v_add_f32_e32 v48, v35, v32
	v_mul_f32_e32 v50, v48, v48
	v_mov_b32_e32 v34, 0x3ecc95a3
	v_fmac_f32_e32 v34, 0x3e9b6dac, v50
	v_mov_b32_e32 v33, 0x3f2aaada
	v_fmac_f32_e32 v33, v50, v34
	v_cvt_f32_i32_e32 v34, v52
	v_sub_f32_e32 v35, v48, v35
	v_sub_f32_e32 v32, v32, v35
	v_ldexp_f32 v51, v32, 1
	v_mul_f32_e32 v35, v48, v50
	v_mov_b32_e32 v32, 0x3f317218
	s_mov_b32 s12, 0x3f317218
	v_pk_mul_f32 v[32:33], v[34:35], v[32:33]
	v_ldexp_f32 v49, v48, 1
	v_fma_f32 v48, v34, s12, -v32
	v_fmac_f32_e32 v48, 0xb102e308, v34
	v_pk_add_f32 v[34:35], v[32:33], v[48:49]
	v_sub_f32_e32 v49, v35, v49
	v_sub_f32_e32 v49, v33, v49
	v_add_f32_e32 v51, v51, v49
	v_mov_b32_e32 v50, v32
	v_pk_add_f32 v[32:33], v[34:35], v[32:33] neg_lo:[0,1] neg_hi:[0,1]
	v_pk_add_f32 v[52:53], v[34:35], v[50:51]
	v_mov_b32_e32 v33, v53
	v_mov_b32_e32 v49, v34
	v_pk_add_f32 v[54:55], v[48:49], v[32:33] neg_lo:[0,1] neg_hi:[0,1]
	v_pk_add_f32 v[32:33], v[48:49], v[32:33]
	v_mov_b32_e32 v48, v33
	v_pk_add_f32 v[64:65], v[48:49], v[34:35] neg_lo:[0,1] neg_hi:[0,1]
	v_mov_b32_e32 v49, v64
	v_pk_add_f32 v[66:67], v[52:53], v[48:49] neg_lo:[0,1] neg_hi:[0,1]
	v_mov_b32_e32 v32, v53
	v_mov_b32_e32 v52, v35
	;; [unrolled: 1-line block ×4, first 2 shown]
	v_pk_add_f32 v[32:33], v[32:33], v[52:53] neg_lo:[0,1] neg_hi:[0,1]
	v_mov_b32_e32 v50, v51
	v_mov_b32_e32 v51, v34
	v_pk_add_f32 v[32:33], v[50:51], v[32:33] neg_lo:[0,1] neg_hi:[0,1]
	v_mov_b32_e32 v66, v54
	v_pk_add_f32 v[34:35], v[66:67], v[32:33]
	v_mov_b32_e32 v50, v35
	v_pk_add_f32 v[50:51], v[34:35], v[50:51]
	v_pk_add_f32 v[48:49], v[48:49], v[50:51]
	v_mov_b32_e32 v35, v48
	v_pk_add_f32 v[52:53], v[34:35], v[54:55] neg_lo:[0,1] neg_hi:[0,1]
	v_mov_b32_e32 v33, v50
	v_sub_f32_e32 v34, v34, v52
	v_pk_add_f32 v[32:33], v[32:33], v[52:53] neg_lo:[0,1] neg_hi:[0,1]
	v_sub_f32_e32 v34, v54, v34
	v_add_f32_e32 v32, v32, v34
	v_cmp_eq_f32_e64 s[12:13], s17, v68
	s_mov_b32 s17, 0x33800000
	v_add_f32_e32 v32, v32, v33
	v_cmp_lt_f32_e64 s[18:19], |v68|, s17
	v_add_f32_e32 v32, v48, v32
	s_or_b64 s[12:13], s[12:13], s[18:19]
	v_cndmask_b32_e64 v32, v32, v68, s[12:13]
	v_add_f32_e32 v32, v21, v32
.LBB492_264:
	s_or_b64 exec, exec, s[14:15]
	v_bfe_u32 v21, v32, 16, 1
	s_movk_i32 s18, 0x7fff
	v_add3_u32 v21, v32, v21, s18
	v_and_b32_e32 v33, 0xffff0000, v21
	v_mov_b32_e32 v21, 0x7fc00000
	v_cmp_o_f32_e64 s[12:13], v32, v32
	v_cndmask_b32_e64 v34, v21, v33, s[12:13]
	v_lshlrev_b32_sdwa v7, v7, v22 dst_sel:DWORD dst_unused:UNUSED_PAD src0_sel:DWORD src1_sel:WORD_0
	v_max_f32_e32 v33, v34, v34
	v_max_f32_e32 v32, v7, v7
	v_min_f32_e32 v35, v33, v32
	v_cmp_u_f32_e64 s[14:15], v34, v34
	v_max_f32_e32 v33, v33, v32
	v_cndmask_b32_e64 v35, v35, v34, s[14:15]
	v_cmp_u_f32_e64 s[12:13], v7, v7
	v_cndmask_b32_e64 v33, v33, v34, s[14:15]
	v_cndmask_b32_e64 v35, v35, v7, s[12:13]
	;; [unrolled: 1-line block ×3, first 2 shown]
	v_cmp_neq_f32_e64 s[14:15], v35, v33
	v_cmp_class_f32_e64 s[16:17], v35, s16
	s_or_b64 s[14:15], s[14:15], s[16:17]
	s_and_saveexec_b64 s[16:17], s[14:15]
	s_cbranch_execz .LBB492_266
; %bb.265:
	v_sub_f32_e32 v34, v35, v33
	s_mov_b32 s14, 0x3fb8aa3b
	v_mul_f32_e32 v35, 0x3fb8aa3b, v34
	v_fma_f32 v48, v34, s14, -v35
	v_rndne_f32_e32 v49, v35
	v_fmac_f32_e32 v48, 0x32a5705f, v34
	v_sub_f32_e32 v35, v35, v49
	v_add_f32_e32 v35, v35, v48
	v_exp_f32_e32 v35, v35
	v_cvt_i32_f32_e32 v48, v49
	s_mov_b32 s14, 0xc2ce8ed0
	v_cmp_ngt_f32_e64 s[14:15], s14, v34
	s_mov_b32 s19, 0x7f800000
	v_ldexp_f32 v35, v35, v48
	v_cndmask_b32_e64 v35, 0, v35, s[14:15]
	s_mov_b32 s14, 0x42b17218
	v_mov_b32_e32 v48, 0x7f800000
	v_cmp_nlt_f32_e64 s[14:15], s14, v34
	v_cndmask_b32_e64 v70, v48, v35, s[14:15]
	v_add_f32_e32 v48, 1.0, v70
	v_add_f32_e32 v34, -1.0, v48
	v_sub_f32_e32 v35, v34, v48
	v_add_f32_e32 v35, 1.0, v35
	v_sub_f32_e32 v34, v70, v34
	v_add_f32_e32 v49, v34, v35
	v_frexp_mant_f32_e32 v50, v48
	s_mov_b32 s14, 0x3f2aaaab
	v_cvt_f64_f32_e32 v[34:35], v48
	v_frexp_exp_i32_f64_e32 v34, v[34:35]
	v_cmp_gt_f32_e64 s[14:15], s14, v50
	v_subbrev_co_u32_e64 v54, s[14:15], 0, v34, s[14:15]
	v_sub_u32_e32 v34, 0, v54
	v_ldexp_f32 v35, v48, v34
	v_add_f32_e32 v48, -1.0, v35
	v_add_f32_e32 v50, 1.0, v35
	v_ldexp_f32 v34, v49, v34
	v_add_f32_e32 v49, 1.0, v48
	v_add_f32_e32 v51, -1.0, v50
	v_sub_f32_e32 v49, v35, v49
	v_sub_f32_e32 v35, v35, v51
	v_add_f32_e32 v49, v34, v49
	v_add_f32_e32 v34, v34, v35
	;; [unrolled: 1-line block ×3, first 2 shown]
	v_rcp_f32_e32 v65, v55
	v_sub_f32_e32 v35, v50, v55
	v_add_f32_e32 v64, v34, v35
	v_add_f32_e32 v35, v48, v49
	v_mul_f32_e32 v67, v35, v65
	v_sub_f32_e32 v34, v48, v35
	v_mul_f32_e32 v48, v55, v67
	v_fma_f32 v50, v67, v55, -v48
	v_fmac_f32_e32 v50, v67, v64
	v_add_f32_e32 v66, v49, v34
	v_add_f32_e32 v34, v48, v50
	v_sub_f32_e32 v49, v35, v34
	v_pk_add_f32 v[52:53], v[34:35], v[48:49] neg_lo:[0,1] neg_hi:[0,1]
	v_mov_b32_e32 v51, v34
	v_pk_add_f32 v[34:35], v[52:53], v[50:51] neg_lo:[0,1] neg_hi:[0,1]
	v_add_f32_e32 v35, v66, v35
	v_add_f32_e32 v34, v34, v35
	;; [unrolled: 1-line block ×3, first 2 shown]
	v_mul_f32_e32 v66, v65, v35
	v_mul_f32_e32 v48, v55, v66
	v_fma_f32 v50, v66, v55, -v48
	v_fmac_f32_e32 v50, v66, v64
	v_sub_f32_e32 v49, v49, v35
	v_add_f32_e32 v55, v34, v49
	v_add_f32_e32 v34, v48, v50
	v_sub_f32_e32 v49, v35, v34
	v_pk_add_f32 v[52:53], v[34:35], v[48:49] neg_lo:[0,1] neg_hi:[0,1]
	v_mov_b32_e32 v51, v34
	v_pk_add_f32 v[34:35], v[52:53], v[50:51] neg_lo:[0,1] neg_hi:[0,1]
	v_add_f32_e32 v35, v55, v35
	v_add_f32_e32 v34, v34, v35
	;; [unrolled: 1-line block ×4, first 2 shown]
	v_sub_f32_e32 v35, v49, v67
	v_mul_f32_e32 v34, v65, v34
	v_sub_f32_e32 v35, v66, v35
	v_add_f32_e32 v34, v35, v34
	v_add_f32_e32 v50, v49, v34
	v_mul_f32_e32 v52, v50, v50
	v_mov_b32_e32 v48, 0x3ecc95a3
	v_fmac_f32_e32 v48, 0x3e9b6dac, v52
	v_mov_b32_e32 v35, 0x3f2aaada
	v_fmac_f32_e32 v35, v52, v48
	v_cvt_f32_i32_e32 v48, v54
	v_sub_f32_e32 v49, v50, v49
	v_sub_f32_e32 v34, v34, v49
	v_ldexp_f32 v53, v34, 1
	v_mul_f32_e32 v49, v50, v52
	v_mov_b32_e32 v34, 0x3f317218
	s_mov_b32 s14, 0x3f317218
	v_pk_mul_f32 v[34:35], v[48:49], v[34:35]
	v_ldexp_f32 v51, v50, 1
	v_fma_f32 v50, v48, s14, -v34
	v_fmac_f32_e32 v50, 0xb102e308, v48
	v_pk_add_f32 v[48:49], v[34:35], v[50:51]
	v_sub_f32_e32 v51, v49, v51
	v_sub_f32_e32 v51, v35, v51
	v_add_f32_e32 v53, v53, v51
	v_mov_b32_e32 v52, v34
	v_pk_add_f32 v[34:35], v[48:49], v[34:35] neg_lo:[0,1] neg_hi:[0,1]
	v_pk_add_f32 v[54:55], v[48:49], v[52:53]
	v_mov_b32_e32 v35, v55
	v_mov_b32_e32 v51, v48
	v_pk_add_f32 v[64:65], v[50:51], v[34:35] neg_lo:[0,1] neg_hi:[0,1]
	v_pk_add_f32 v[34:35], v[50:51], v[34:35]
	v_mov_b32_e32 v50, v35
	v_pk_add_f32 v[66:67], v[50:51], v[48:49] neg_lo:[0,1] neg_hi:[0,1]
	v_mov_b32_e32 v51, v66
	v_pk_add_f32 v[68:69], v[54:55], v[50:51] neg_lo:[0,1] neg_hi:[0,1]
	v_mov_b32_e32 v34, v55
	v_mov_b32_e32 v54, v49
	;; [unrolled: 1-line block ×4, first 2 shown]
	v_pk_add_f32 v[34:35], v[34:35], v[54:55] neg_lo:[0,1] neg_hi:[0,1]
	v_mov_b32_e32 v52, v53
	v_mov_b32_e32 v53, v48
	v_pk_add_f32 v[34:35], v[52:53], v[34:35] neg_lo:[0,1] neg_hi:[0,1]
	v_mov_b32_e32 v68, v64
	v_pk_add_f32 v[48:49], v[68:69], v[34:35]
	v_mov_b32_e32 v52, v49
	v_pk_add_f32 v[52:53], v[48:49], v[52:53]
	v_pk_add_f32 v[50:51], v[50:51], v[52:53]
	v_mov_b32_e32 v49, v50
	v_pk_add_f32 v[54:55], v[48:49], v[64:65] neg_lo:[0,1] neg_hi:[0,1]
	v_mov_b32_e32 v35, v52
	v_sub_f32_e32 v48, v48, v54
	v_pk_add_f32 v[34:35], v[34:35], v[54:55] neg_lo:[0,1] neg_hi:[0,1]
	v_sub_f32_e32 v48, v64, v48
	v_add_f32_e32 v34, v34, v48
	v_cmp_eq_f32_e64 s[14:15], s19, v70
	s_mov_b32 s19, 0x33800000
	v_add_f32_e32 v34, v34, v35
	v_cmp_lt_f32_e64 s[20:21], |v70|, s19
	v_add_f32_e32 v34, v50, v34
	s_or_b64 s[14:15], s[14:15], s[20:21]
	v_cndmask_b32_e64 v34, v34, v70, s[14:15]
	v_add_f32_e32 v34, v33, v34
.LBB492_266:
	s_or_b64 exec, exec, s[16:17]
	v_bfe_u32 v33, v34, 16, 1
	v_add3_u32 v33, v34, v33, s18
	v_and_b32_e32 v33, 0xffff0000, v33
	v_cmp_o_f32_e64 s[14:15], v34, v34
	v_mov_b32_e32 v34, 16
	v_cndmask_b32_e64 v48, v21, v33, s[14:15]
	v_lshlrev_b32_sdwa v21, v34, v22 dst_sel:DWORD dst_unused:UNUSED_PAD src0_sel:DWORD src1_sel:WORD_1
	v_max_f32_e32 v22, v48, v48
	v_max_f32_e32 v33, v21, v21
	v_min_f32_e32 v35, v22, v33
	v_cmp_u_f32_e64 s[16:17], v48, v48
	v_max_f32_e32 v22, v22, v33
	v_cndmask_b32_e64 v35, v35, v48, s[16:17]
	v_cmp_u_f32_e64 s[14:15], v21, v21
	v_cndmask_b32_e64 v22, v22, v48, s[16:17]
	v_cndmask_b32_e64 v35, v35, v21, s[14:15]
	;; [unrolled: 1-line block ×3, first 2 shown]
	s_movk_i32 s20, 0x1f8
	v_cmp_neq_f32_e64 s[16:17], v35, v22
	v_cmp_class_f32_e64 s[18:19], v35, s20
	s_or_b64 s[16:17], s[16:17], s[18:19]
	s_and_saveexec_b64 s[18:19], s[16:17]
	s_cbranch_execz .LBB492_268
; %bb.267:
	v_sub_f32_e32 v35, v35, v22
	s_mov_b32 s16, 0x3fb8aa3b
	v_mul_f32_e32 v48, 0x3fb8aa3b, v35
	v_fma_f32 v49, v35, s16, -v48
	v_rndne_f32_e32 v50, v48
	v_fmac_f32_e32 v49, 0x32a5705f, v35
	v_sub_f32_e32 v48, v48, v50
	v_add_f32_e32 v48, v48, v49
	v_exp_f32_e32 v48, v48
	v_cvt_i32_f32_e32 v49, v50
	s_mov_b32 s16, 0xc2ce8ed0
	v_cmp_ngt_f32_e64 s[16:17], s16, v35
	s_mov_b32 s21, 0x7f800000
	v_ldexp_f32 v48, v48, v49
	v_cndmask_b32_e64 v48, 0, v48, s[16:17]
	s_mov_b32 s16, 0x42b17218
	v_mov_b32_e32 v49, 0x7f800000
	v_cmp_nlt_f32_e64 s[16:17], s16, v35
	v_cndmask_b32_e64 v80, v49, v48, s[16:17]
	v_add_f32_e32 v35, 1.0, v80
	v_add_f32_e32 v48, -1.0, v35
	v_sub_f32_e32 v49, v48, v35
	v_add_f32_e32 v49, 1.0, v49
	v_sub_f32_e32 v48, v80, v48
	v_add_f32_e32 v50, v48, v49
	v_frexp_mant_f32_e32 v51, v35
	s_mov_b32 s16, 0x3f2aaaab
	v_cvt_f64_f32_e32 v[48:49], v35
	v_frexp_exp_i32_f64_e32 v48, v[48:49]
	v_cmp_gt_f32_e64 s[16:17], s16, v51
	v_subbrev_co_u32_e64 v64, s[16:17], 0, v48, s[16:17]
	v_sub_u32_e32 v48, 0, v64
	v_ldexp_f32 v35, v35, v48
	v_ldexp_f32 v48, v50, v48
	v_add_f32_e32 v50, -1.0, v35
	v_add_f32_e32 v49, 1.0, v50
	v_sub_f32_e32 v49, v35, v49
	v_add_f32_e32 v51, v48, v49
	v_add_f32_e32 v49, 1.0, v35
	v_add_f32_e32 v52, -1.0, v49
	v_sub_f32_e32 v35, v35, v52
	v_add_f32_e32 v35, v48, v35
	v_add_f32_e32 v65, v49, v35
	v_rcp_f32_e32 v66, v65
	v_sub_f32_e32 v48, v49, v65
	v_add_f32_e32 v49, v50, v51
	v_add_f32_e32 v35, v35, v48
	v_mul_f32_e32 v68, v49, v66
	v_sub_f32_e32 v48, v50, v49
	v_mul_f32_e32 v50, v65, v68
	v_fma_f32 v52, v68, v65, -v50
	v_fmac_f32_e32 v52, v68, v35
	v_add_f32_e32 v67, v51, v48
	v_add_f32_e32 v48, v50, v52
	v_sub_f32_e32 v51, v49, v48
	v_pk_add_f32 v[54:55], v[48:49], v[50:51] neg_lo:[0,1] neg_hi:[0,1]
	v_mov_b32_e32 v53, v48
	v_pk_add_f32 v[48:49], v[54:55], v[52:53] neg_lo:[0,1] neg_hi:[0,1]
	v_add_f32_e32 v49, v67, v49
	v_add_f32_e32 v48, v48, v49
	;; [unrolled: 1-line block ×3, first 2 shown]
	v_mul_f32_e32 v67, v66, v49
	v_mul_f32_e32 v50, v65, v67
	v_fma_f32 v52, v67, v65, -v50
	v_fmac_f32_e32 v52, v67, v35
	v_sub_f32_e32 v35, v51, v49
	v_add_f32_e32 v35, v48, v35
	v_add_f32_e32 v48, v50, v52
	v_sub_f32_e32 v51, v49, v48
	v_pk_add_f32 v[54:55], v[48:49], v[50:51] neg_lo:[0,1] neg_hi:[0,1]
	v_mov_b32_e32 v53, v48
	v_pk_add_f32 v[48:49], v[54:55], v[52:53] neg_lo:[0,1] neg_hi:[0,1]
	v_add_f32_e32 v35, v35, v49
	v_add_f32_e32 v35, v48, v35
	;; [unrolled: 1-line block ×4, first 2 shown]
	v_sub_f32_e32 v49, v48, v68
	v_mul_f32_e32 v35, v66, v35
	v_sub_f32_e32 v49, v67, v49
	v_add_f32_e32 v35, v49, v35
	v_add_f32_e32 v51, v48, v35
	v_mul_f32_e32 v52, v51, v51
	v_mov_b32_e32 v50, 0x3ecc95a3
	v_fmac_f32_e32 v50, 0x3e9b6dac, v52
	v_mov_b32_e32 v49, 0x3f2aaada
	v_fmac_f32_e32 v49, v52, v50
	v_cvt_f32_i32_e32 v50, v64
	v_sub_f32_e32 v48, v51, v48
	v_sub_f32_e32 v35, v35, v48
	v_ldexp_f32 v53, v51, 1
	v_mul_f32_e32 v51, v51, v52
	v_mov_b32_e32 v48, 0x3f317218
	s_mov_b32 s16, 0x3f317218
	v_pk_mul_f32 v[48:49], v[50:51], v[48:49]
	v_fma_f32 v52, v50, s16, -v48
	v_fmac_f32_e32 v52, 0xb102e308, v50
	v_pk_add_f32 v[50:51], v[48:49], v[52:53]
	v_sub_f32_e32 v53, v51, v53
	v_ldexp_f32 v35, v35, 1
	v_sub_f32_e32 v53, v49, v53
	v_add_f32_e32 v55, v35, v53
	v_mov_b32_e32 v54, v48
	v_pk_add_f32 v[48:49], v[50:51], v[48:49] neg_lo:[0,1] neg_hi:[0,1]
	v_pk_add_f32 v[64:65], v[50:51], v[54:55]
	v_mov_b32_e32 v49, v65
	v_mov_b32_e32 v53, v50
	v_pk_add_f32 v[66:67], v[52:53], v[48:49] neg_lo:[0,1] neg_hi:[0,1]
	v_pk_add_f32 v[48:49], v[52:53], v[48:49]
	v_mov_b32_e32 v52, v49
	v_pk_add_f32 v[68:69], v[52:53], v[50:51] neg_lo:[0,1] neg_hi:[0,1]
	v_mov_b32_e32 v35, v68
	v_pk_add_f32 v[70:71], v[64:65], v[34:35] neg_lo:[0,1] neg_hi:[0,1]
	v_mov_b32_e32 v48, v65
	v_mov_b32_e32 v64, v51
	;; [unrolled: 1-line block ×4, first 2 shown]
	v_pk_add_f32 v[48:49], v[48:49], v[64:65] neg_lo:[0,1] neg_hi:[0,1]
	v_mov_b32_e32 v54, v55
	v_mov_b32_e32 v55, v50
	v_pk_add_f32 v[48:49], v[54:55], v[48:49] neg_lo:[0,1] neg_hi:[0,1]
	v_mov_b32_e32 v70, v66
	v_pk_add_f32 v[50:51], v[70:71], v[48:49]
	v_mov_b32_e32 v54, v51
	v_pk_add_f32 v[54:55], v[50:51], v[54:55]
	v_pk_add_f32 v[52:53], v[52:53], v[54:55]
	v_mov_b32_e32 v51, v52
	v_pk_add_f32 v[64:65], v[50:51], v[66:67] neg_lo:[0,1] neg_hi:[0,1]
	v_mov_b32_e32 v49, v54
	v_sub_f32_e32 v35, v50, v64
	v_pk_add_f32 v[48:49], v[48:49], v[64:65] neg_lo:[0,1] neg_hi:[0,1]
	v_sub_f32_e32 v35, v66, v35
	v_add_f32_e32 v35, v48, v35
	v_cmp_eq_f32_e64 s[16:17], s21, v80
	s_mov_b32 s21, 0x33800000
	v_add_f32_e32 v35, v35, v49
	v_cmp_lt_f32_e64 s[22:23], |v80|, s21
	v_add_f32_e32 v35, v52, v35
	s_or_b64 s[16:17], s[16:17], s[22:23]
	v_cndmask_b32_e64 v35, v35, v80, s[16:17]
	v_add_f32_e32 v48, v22, v35
.LBB492_268:
	s_or_b64 exec, exec, s[18:19]
	v_bfe_u32 v22, v48, 16, 1
	s_movk_i32 s22, 0x7fff
	v_add3_u32 v22, v48, v22, s22
	v_and_b32_e32 v22, 0xffff0000, v22
	v_mov_b32_e32 v35, 0x7fc00000
	v_cmp_o_f32_e64 s[16:17], v48, v48
	v_cndmask_b32_e64 v49, v35, v22, s[16:17]
	v_lshlrev_b32_sdwa v22, v34, v23 dst_sel:DWORD dst_unused:UNUSED_PAD src0_sel:DWORD src1_sel:WORD_0
	v_max_f32_e32 v48, v49, v49
	v_max_f32_e32 v34, v22, v22
	v_min_f32_e32 v50, v48, v34
	v_cmp_u_f32_e64 s[18:19], v49, v49
	v_max_f32_e32 v48, v48, v34
	v_cndmask_b32_e64 v50, v50, v49, s[18:19]
	v_cmp_u_f32_e64 s[16:17], v22, v22
	v_cndmask_b32_e64 v48, v48, v49, s[18:19]
	v_cndmask_b32_e64 v50, v50, v22, s[16:17]
	;; [unrolled: 1-line block ×3, first 2 shown]
	v_cmp_neq_f32_e64 s[18:19], v50, v48
	v_cmp_class_f32_e64 s[20:21], v50, s20
	s_or_b64 s[18:19], s[18:19], s[20:21]
	s_and_saveexec_b64 s[20:21], s[18:19]
	s_cbranch_execz .LBB492_270
; %bb.269:
	v_sub_f32_e32 v49, v50, v48
	s_mov_b32 s18, 0x3fb8aa3b
	v_mul_f32_e32 v50, 0x3fb8aa3b, v49
	v_fma_f32 v51, v49, s18, -v50
	v_rndne_f32_e32 v52, v50
	v_fmac_f32_e32 v51, 0x32a5705f, v49
	v_sub_f32_e32 v50, v50, v52
	v_add_f32_e32 v50, v50, v51
	v_exp_f32_e32 v50, v50
	v_cvt_i32_f32_e32 v51, v52
	s_mov_b32 s18, 0xc2ce8ed0
	v_cmp_ngt_f32_e64 s[18:19], s18, v49
	s_mov_b32 s23, 0x7f800000
	v_ldexp_f32 v50, v50, v51
	v_cndmask_b32_e64 v50, 0, v50, s[18:19]
	s_mov_b32 s18, 0x42b17218
	v_mov_b32_e32 v51, 0x7f800000
	v_cmp_nlt_f32_e64 s[18:19], s18, v49
	v_cndmask_b32_e64 v82, v51, v50, s[18:19]
	v_add_f32_e32 v49, 1.0, v82
	v_add_f32_e32 v50, -1.0, v49
	v_sub_f32_e32 v51, v50, v49
	v_add_f32_e32 v51, 1.0, v51
	v_sub_f32_e32 v50, v82, v50
	v_add_f32_e32 v52, v50, v51
	v_frexp_mant_f32_e32 v53, v49
	s_mov_b32 s18, 0x3f2aaaab
	v_cvt_f64_f32_e32 v[50:51], v49
	v_frexp_exp_i32_f64_e32 v50, v[50:51]
	v_cmp_gt_f32_e64 s[18:19], s18, v53
	v_subbrev_co_u32_e64 v66, s[18:19], 0, v50, s[18:19]
	v_sub_u32_e32 v50, 0, v66
	v_ldexp_f32 v49, v49, v50
	v_ldexp_f32 v50, v52, v50
	v_add_f32_e32 v52, -1.0, v49
	v_add_f32_e32 v51, 1.0, v52
	v_sub_f32_e32 v51, v49, v51
	v_add_f32_e32 v53, v50, v51
	v_add_f32_e32 v51, 1.0, v49
	v_add_f32_e32 v54, -1.0, v51
	v_sub_f32_e32 v49, v49, v54
	v_add_f32_e32 v49, v50, v49
	v_add_f32_e32 v67, v51, v49
	v_rcp_f32_e32 v68, v67
	v_sub_f32_e32 v50, v51, v67
	v_add_f32_e32 v51, v52, v53
	v_add_f32_e32 v49, v49, v50
	v_mul_f32_e32 v70, v51, v68
	v_sub_f32_e32 v50, v52, v51
	v_mul_f32_e32 v52, v67, v70
	v_fma_f32 v54, v70, v67, -v52
	v_fmac_f32_e32 v54, v70, v49
	v_add_f32_e32 v69, v53, v50
	v_add_f32_e32 v50, v52, v54
	v_sub_f32_e32 v53, v51, v50
	v_pk_add_f32 v[64:65], v[50:51], v[52:53] neg_lo:[0,1] neg_hi:[0,1]
	v_mov_b32_e32 v55, v50
	v_pk_add_f32 v[50:51], v[64:65], v[54:55] neg_lo:[0,1] neg_hi:[0,1]
	v_add_f32_e32 v51, v69, v51
	v_add_f32_e32 v50, v50, v51
	;; [unrolled: 1-line block ×3, first 2 shown]
	v_mul_f32_e32 v69, v68, v51
	v_mul_f32_e32 v52, v67, v69
	v_fma_f32 v54, v69, v67, -v52
	v_fmac_f32_e32 v54, v69, v49
	v_sub_f32_e32 v49, v53, v51
	v_add_f32_e32 v49, v50, v49
	v_add_f32_e32 v50, v52, v54
	v_sub_f32_e32 v53, v51, v50
	v_pk_add_f32 v[64:65], v[50:51], v[52:53] neg_lo:[0,1] neg_hi:[0,1]
	v_mov_b32_e32 v55, v50
	v_pk_add_f32 v[50:51], v[64:65], v[54:55] neg_lo:[0,1] neg_hi:[0,1]
	v_add_f32_e32 v49, v49, v51
	v_add_f32_e32 v49, v50, v49
	;; [unrolled: 1-line block ×4, first 2 shown]
	v_sub_f32_e32 v51, v50, v70
	v_mul_f32_e32 v49, v68, v49
	v_sub_f32_e32 v51, v69, v51
	v_add_f32_e32 v49, v51, v49
	v_add_f32_e32 v53, v50, v49
	v_mul_f32_e32 v54, v53, v53
	v_mov_b32_e32 v52, 0x3ecc95a3
	v_fmac_f32_e32 v52, 0x3e9b6dac, v54
	v_mov_b32_e32 v51, 0x3f2aaada
	v_fmac_f32_e32 v51, v54, v52
	v_cvt_f32_i32_e32 v52, v66
	v_sub_f32_e32 v50, v53, v50
	v_sub_f32_e32 v49, v49, v50
	v_ldexp_f32 v55, v53, 1
	v_mul_f32_e32 v53, v53, v54
	v_mov_b32_e32 v50, 0x3f317218
	s_mov_b32 s18, 0x3f317218
	v_pk_mul_f32 v[50:51], v[52:53], v[50:51]
	v_fma_f32 v54, v52, s18, -v50
	v_fmac_f32_e32 v54, 0xb102e308, v52
	v_pk_add_f32 v[52:53], v[50:51], v[54:55]
	v_sub_f32_e32 v55, v53, v55
	v_ldexp_f32 v49, v49, 1
	v_sub_f32_e32 v55, v51, v55
	v_add_f32_e32 v65, v49, v55
	v_mov_b32_e32 v64, v50
	v_pk_add_f32 v[50:51], v[52:53], v[50:51] neg_lo:[0,1] neg_hi:[0,1]
	v_pk_add_f32 v[66:67], v[52:53], v[64:65]
	v_mov_b32_e32 v51, v67
	v_mov_b32_e32 v55, v52
	v_pk_add_f32 v[68:69], v[54:55], v[50:51] neg_lo:[0,1] neg_hi:[0,1]
	v_pk_add_f32 v[50:51], v[54:55], v[50:51]
	v_mov_b32_e32 v54, v51
	v_pk_add_f32 v[70:71], v[54:55], v[52:53] neg_lo:[0,1] neg_hi:[0,1]
	v_mov_b32_e32 v49, v70
	v_pk_add_f32 v[80:81], v[66:67], v[48:49] neg_lo:[0,1] neg_hi:[0,1]
	v_mov_b32_e32 v50, v67
	v_mov_b32_e32 v66, v53
	v_mov_b32_e32 v67, v70
	v_mov_b32_e32 v69, v51
	v_pk_add_f32 v[50:51], v[50:51], v[66:67] neg_lo:[0,1] neg_hi:[0,1]
	v_mov_b32_e32 v64, v65
	v_mov_b32_e32 v65, v52
	v_pk_add_f32 v[50:51], v[64:65], v[50:51] neg_lo:[0,1] neg_hi:[0,1]
	v_mov_b32_e32 v80, v68
	v_pk_add_f32 v[52:53], v[80:81], v[50:51]
	v_mov_b32_e32 v64, v53
	v_pk_add_f32 v[64:65], v[52:53], v[64:65]
	v_pk_add_f32 v[54:55], v[54:55], v[64:65]
	v_mov_b32_e32 v53, v54
	v_pk_add_f32 v[66:67], v[52:53], v[68:69] neg_lo:[0,1] neg_hi:[0,1]
	v_mov_b32_e32 v51, v64
	v_sub_f32_e32 v49, v52, v66
	v_pk_add_f32 v[50:51], v[50:51], v[66:67] neg_lo:[0,1] neg_hi:[0,1]
	v_sub_f32_e32 v49, v68, v49
	v_add_f32_e32 v49, v50, v49
	v_cmp_eq_f32_e64 s[18:19], s23, v82
	s_mov_b32 s23, 0x33800000
	v_add_f32_e32 v49, v49, v51
	v_cmp_lt_f32_e64 s[24:25], |v82|, s23
	v_add_f32_e32 v49, v54, v49
	s_or_b64 s[18:19], s[18:19], s[24:25]
	v_cndmask_b32_e64 v49, v49, v82, s[18:19]
	v_add_f32_e32 v49, v48, v49
.LBB492_270:
	s_or_b64 exec, exec, s[20:21]
	v_bfe_u32 v48, v49, 16, 1
	v_add3_u32 v48, v49, v48, s22
	v_and_b32_e32 v48, 0xffff0000, v48
	v_cmp_o_f32_e64 s[18:19], v49, v49
	v_cndmask_b32_e64 v50, v35, v48, s[18:19]
	v_mov_b32_e32 v48, 16
	v_lshlrev_b32_sdwa v23, v48, v23 dst_sel:DWORD dst_unused:UNUSED_PAD src0_sel:DWORD src1_sel:WORD_1
	v_max_f32_e32 v49, v50, v50
	v_max_f32_e32 v35, v23, v23
	v_min_f32_e32 v51, v49, v35
	v_cmp_u_f32_e64 s[20:21], v50, v50
	v_max_f32_e32 v49, v49, v35
	v_cndmask_b32_e64 v51, v51, v50, s[20:21]
	v_cmp_u_f32_e64 s[18:19], v23, v23
	v_cndmask_b32_e64 v49, v49, v50, s[20:21]
	v_cndmask_b32_e64 v51, v51, v23, s[18:19]
	;; [unrolled: 1-line block ×3, first 2 shown]
	s_movk_i32 s24, 0x1f8
	v_cmp_neq_f32_e64 s[20:21], v51, v49
	v_cmp_class_f32_e64 s[22:23], v51, s24
	s_or_b64 s[20:21], s[20:21], s[22:23]
	s_and_saveexec_b64 s[22:23], s[20:21]
	s_cbranch_execz .LBB492_272
; %bb.271:
	v_sub_f32_e32 v50, v51, v49
	s_mov_b32 s20, 0x3fb8aa3b
	v_mul_f32_e32 v51, 0x3fb8aa3b, v50
	v_fma_f32 v52, v50, s20, -v51
	v_rndne_f32_e32 v53, v51
	v_fmac_f32_e32 v52, 0x32a5705f, v50
	v_sub_f32_e32 v51, v51, v53
	v_add_f32_e32 v51, v51, v52
	v_exp_f32_e32 v51, v51
	v_cvt_i32_f32_e32 v52, v53
	s_mov_b32 s20, 0xc2ce8ed0
	v_cmp_ngt_f32_e64 s[20:21], s20, v50
	s_mov_b32 s25, 0x7f800000
	v_ldexp_f32 v51, v51, v52
	v_cndmask_b32_e64 v51, 0, v51, s[20:21]
	s_mov_b32 s20, 0x42b17218
	v_mov_b32_e32 v52, 0x7f800000
	v_cmp_nlt_f32_e64 s[20:21], s20, v50
	v_cndmask_b32_e64 v82, v52, v51, s[20:21]
	v_add_f32_e32 v52, 1.0, v82
	v_add_f32_e32 v50, -1.0, v52
	v_sub_f32_e32 v51, v50, v52
	v_add_f32_e32 v51, 1.0, v51
	v_sub_f32_e32 v50, v82, v50
	v_add_f32_e32 v53, v50, v51
	v_frexp_mant_f32_e32 v54, v52
	s_mov_b32 s20, 0x3f2aaaab
	v_cvt_f64_f32_e32 v[50:51], v52
	v_frexp_exp_i32_f64_e32 v50, v[50:51]
	v_cmp_gt_f32_e64 s[20:21], s20, v54
	v_subbrev_co_u32_e64 v66, s[20:21], 0, v50, s[20:21]
	v_sub_u32_e32 v50, 0, v66
	v_ldexp_f32 v51, v52, v50
	v_add_f32_e32 v52, -1.0, v51
	v_add_f32_e32 v54, 1.0, v51
	v_ldexp_f32 v50, v53, v50
	v_add_f32_e32 v53, 1.0, v52
	v_add_f32_e32 v55, -1.0, v54
	v_sub_f32_e32 v53, v51, v53
	v_sub_f32_e32 v51, v51, v55
	v_add_f32_e32 v53, v50, v53
	v_add_f32_e32 v50, v50, v51
	;; [unrolled: 1-line block ×3, first 2 shown]
	v_rcp_f32_e32 v69, v67
	v_sub_f32_e32 v51, v54, v67
	v_add_f32_e32 v68, v50, v51
	v_add_f32_e32 v51, v52, v53
	v_mul_f32_e32 v71, v51, v69
	v_sub_f32_e32 v50, v52, v51
	v_mul_f32_e32 v52, v67, v71
	v_fma_f32 v54, v71, v67, -v52
	v_fmac_f32_e32 v54, v71, v68
	v_add_f32_e32 v70, v53, v50
	v_add_f32_e32 v50, v52, v54
	v_sub_f32_e32 v53, v51, v50
	v_pk_add_f32 v[64:65], v[50:51], v[52:53] neg_lo:[0,1] neg_hi:[0,1]
	v_mov_b32_e32 v55, v50
	v_pk_add_f32 v[50:51], v[64:65], v[54:55] neg_lo:[0,1] neg_hi:[0,1]
	v_add_f32_e32 v51, v70, v51
	v_add_f32_e32 v50, v50, v51
	;; [unrolled: 1-line block ×3, first 2 shown]
	v_mul_f32_e32 v70, v69, v51
	v_mul_f32_e32 v52, v67, v70
	v_fma_f32 v54, v70, v67, -v52
	v_fmac_f32_e32 v54, v70, v68
	v_sub_f32_e32 v53, v53, v51
	v_add_f32_e32 v67, v50, v53
	v_add_f32_e32 v50, v52, v54
	v_sub_f32_e32 v53, v51, v50
	v_pk_add_f32 v[64:65], v[50:51], v[52:53] neg_lo:[0,1] neg_hi:[0,1]
	v_mov_b32_e32 v55, v50
	v_pk_add_f32 v[50:51], v[64:65], v[54:55] neg_lo:[0,1] neg_hi:[0,1]
	v_add_f32_e32 v51, v67, v51
	v_add_f32_e32 v50, v50, v51
	;; [unrolled: 1-line block ×4, first 2 shown]
	v_sub_f32_e32 v51, v53, v71
	v_mul_f32_e32 v50, v69, v50
	v_sub_f32_e32 v51, v70, v51
	v_add_f32_e32 v50, v51, v50
	v_add_f32_e32 v54, v53, v50
	v_mul_f32_e32 v64, v54, v54
	v_mov_b32_e32 v52, 0x3ecc95a3
	v_fmac_f32_e32 v52, 0x3e9b6dac, v64
	v_mov_b32_e32 v51, 0x3f2aaada
	v_fmac_f32_e32 v51, v64, v52
	v_cvt_f32_i32_e32 v52, v66
	v_sub_f32_e32 v53, v54, v53
	v_sub_f32_e32 v50, v50, v53
	v_ldexp_f32 v65, v50, 1
	v_mul_f32_e32 v53, v54, v64
	v_mov_b32_e32 v50, 0x3f317218
	s_mov_b32 s20, 0x3f317218
	v_pk_mul_f32 v[50:51], v[52:53], v[50:51]
	v_ldexp_f32 v55, v54, 1
	v_fma_f32 v54, v52, s20, -v50
	v_fmac_f32_e32 v54, 0xb102e308, v52
	v_pk_add_f32 v[52:53], v[50:51], v[54:55]
	v_sub_f32_e32 v55, v53, v55
	v_sub_f32_e32 v55, v51, v55
	v_add_f32_e32 v65, v65, v55
	v_mov_b32_e32 v64, v50
	v_pk_add_f32 v[50:51], v[52:53], v[50:51] neg_lo:[0,1] neg_hi:[0,1]
	v_pk_add_f32 v[66:67], v[52:53], v[64:65]
	v_mov_b32_e32 v51, v67
	v_mov_b32_e32 v55, v52
	v_pk_add_f32 v[68:69], v[54:55], v[50:51] neg_lo:[0,1] neg_hi:[0,1]
	v_pk_add_f32 v[50:51], v[54:55], v[50:51]
	v_mov_b32_e32 v54, v51
	v_pk_add_f32 v[70:71], v[54:55], v[52:53] neg_lo:[0,1] neg_hi:[0,1]
	v_mov_b32_e32 v55, v70
	v_pk_add_f32 v[80:81], v[66:67], v[54:55] neg_lo:[0,1] neg_hi:[0,1]
	v_mov_b32_e32 v50, v67
	v_mov_b32_e32 v66, v53
	v_mov_b32_e32 v67, v70
	v_mov_b32_e32 v69, v51
	v_pk_add_f32 v[50:51], v[50:51], v[66:67] neg_lo:[0,1] neg_hi:[0,1]
	v_mov_b32_e32 v64, v65
	v_mov_b32_e32 v65, v52
	v_pk_add_f32 v[50:51], v[64:65], v[50:51] neg_lo:[0,1] neg_hi:[0,1]
	v_mov_b32_e32 v80, v68
	v_pk_add_f32 v[52:53], v[80:81], v[50:51]
	v_mov_b32_e32 v64, v53
	v_pk_add_f32 v[64:65], v[52:53], v[64:65]
	v_pk_add_f32 v[54:55], v[54:55], v[64:65]
	v_mov_b32_e32 v53, v54
	v_pk_add_f32 v[66:67], v[52:53], v[68:69] neg_lo:[0,1] neg_hi:[0,1]
	v_mov_b32_e32 v51, v64
	v_sub_f32_e32 v52, v52, v66
	v_pk_add_f32 v[50:51], v[50:51], v[66:67] neg_lo:[0,1] neg_hi:[0,1]
	v_sub_f32_e32 v52, v68, v52
	v_add_f32_e32 v50, v50, v52
	v_cmp_eq_f32_e64 s[20:21], s25, v82
	s_mov_b32 s25, 0x33800000
	v_add_f32_e32 v50, v50, v51
	v_cmp_lt_f32_e64 s[26:27], |v82|, s25
	v_add_f32_e32 v50, v54, v50
	s_or_b64 s[20:21], s[20:21], s[26:27]
	v_cndmask_b32_e64 v50, v50, v82, s[20:21]
	v_add_f32_e32 v50, v49, v50
.LBB492_272:
	s_or_b64 exec, exec, s[22:23]
	v_bfe_u32 v49, v50, 16, 1
	s_movk_i32 s26, 0x7fff
	v_add3_u32 v49, v50, v49, s26
	v_and_b32_e32 v51, 0xffff0000, v49
	v_mov_b32_e32 v49, 0x7fc00000
	v_cmp_o_f32_e64 s[20:21], v50, v50
	v_cndmask_b32_e64 v52, v49, v51, s[20:21]
	v_lshlrev_b32_sdwa v48, v48, v16 dst_sel:DWORD dst_unused:UNUSED_PAD src0_sel:DWORD src1_sel:WORD_0
	v_max_f32_e32 v51, v52, v52
	v_max_f32_e32 v50, v48, v48
	v_min_f32_e32 v53, v51, v50
	v_cmp_u_f32_e64 s[22:23], v52, v52
	v_max_f32_e32 v51, v51, v50
	v_cndmask_b32_e64 v53, v53, v52, s[22:23]
	v_cmp_u_f32_e64 s[20:21], v48, v48
	v_cndmask_b32_e64 v51, v51, v52, s[22:23]
	v_cndmask_b32_e64 v53, v53, v48, s[20:21]
	v_cndmask_b32_e64 v51, v51, v48, s[20:21]
	v_cmp_neq_f32_e64 s[22:23], v53, v51
	v_cmp_class_f32_e64 s[24:25], v53, s24
	s_or_b64 s[22:23], s[22:23], s[24:25]
	s_and_saveexec_b64 s[24:25], s[22:23]
	s_cbranch_execz .LBB492_274
; %bb.273:
	v_sub_f32_e32 v52, v53, v51
	s_mov_b32 s22, 0x3fb8aa3b
	v_mul_f32_e32 v53, 0x3fb8aa3b, v52
	v_fma_f32 v54, v52, s22, -v53
	v_rndne_f32_e32 v55, v53
	v_fmac_f32_e32 v54, 0x32a5705f, v52
	v_sub_f32_e32 v53, v53, v55
	v_add_f32_e32 v53, v53, v54
	v_exp_f32_e32 v53, v53
	v_cvt_i32_f32_e32 v54, v55
	s_mov_b32 s22, 0xc2ce8ed0
	v_cmp_ngt_f32_e64 s[22:23], s22, v52
	s_mov_b32 s27, 0x7f800000
	v_ldexp_f32 v53, v53, v54
	v_cndmask_b32_e64 v53, 0, v53, s[22:23]
	s_mov_b32 s22, 0x42b17218
	v_mov_b32_e32 v54, 0x7f800000
	v_cmp_nlt_f32_e64 s[22:23], s22, v52
	v_cndmask_b32_e64 v84, v54, v53, s[22:23]
	v_add_f32_e32 v54, 1.0, v84
	v_add_f32_e32 v52, -1.0, v54
	v_sub_f32_e32 v53, v52, v54
	v_add_f32_e32 v53, 1.0, v53
	v_sub_f32_e32 v52, v84, v52
	v_add_f32_e32 v55, v52, v53
	v_frexp_mant_f32_e32 v64, v54
	s_mov_b32 s22, 0x3f2aaaab
	v_cvt_f64_f32_e32 v[52:53], v54
	v_frexp_exp_i32_f64_e32 v52, v[52:53]
	v_cmp_gt_f32_e64 s[22:23], s22, v64
	v_subbrev_co_u32_e64 v68, s[22:23], 0, v52, s[22:23]
	v_sub_u32_e32 v52, 0, v68
	v_ldexp_f32 v53, v54, v52
	v_add_f32_e32 v54, -1.0, v53
	v_add_f32_e32 v64, 1.0, v53
	v_ldexp_f32 v52, v55, v52
	v_add_f32_e32 v55, 1.0, v54
	v_add_f32_e32 v65, -1.0, v64
	v_sub_f32_e32 v55, v53, v55
	v_sub_f32_e32 v53, v53, v65
	v_add_f32_e32 v55, v52, v55
	v_add_f32_e32 v52, v52, v53
	;; [unrolled: 1-line block ×3, first 2 shown]
	v_rcp_f32_e32 v71, v69
	v_sub_f32_e32 v53, v64, v69
	v_add_f32_e32 v70, v52, v53
	v_add_f32_e32 v53, v54, v55
	v_mul_f32_e32 v81, v53, v71
	v_sub_f32_e32 v52, v54, v53
	v_mul_f32_e32 v54, v69, v81
	v_fma_f32 v64, v81, v69, -v54
	v_fmac_f32_e32 v64, v81, v70
	v_add_f32_e32 v80, v55, v52
	v_add_f32_e32 v52, v54, v64
	v_sub_f32_e32 v55, v53, v52
	v_pk_add_f32 v[66:67], v[52:53], v[54:55] neg_lo:[0,1] neg_hi:[0,1]
	v_mov_b32_e32 v65, v52
	v_pk_add_f32 v[52:53], v[66:67], v[64:65] neg_lo:[0,1] neg_hi:[0,1]
	v_add_f32_e32 v53, v80, v53
	v_add_f32_e32 v52, v52, v53
	v_add_f32_e32 v53, v55, v52
	v_mul_f32_e32 v80, v71, v53
	v_mul_f32_e32 v54, v69, v80
	v_fma_f32 v64, v80, v69, -v54
	v_fmac_f32_e32 v64, v80, v70
	v_sub_f32_e32 v55, v55, v53
	v_add_f32_e32 v69, v52, v55
	v_add_f32_e32 v52, v54, v64
	v_sub_f32_e32 v55, v53, v52
	v_pk_add_f32 v[66:67], v[52:53], v[54:55] neg_lo:[0,1] neg_hi:[0,1]
	v_mov_b32_e32 v65, v52
	v_pk_add_f32 v[52:53], v[66:67], v[64:65] neg_lo:[0,1] neg_hi:[0,1]
	v_add_f32_e32 v53, v69, v53
	v_add_f32_e32 v52, v52, v53
	;; [unrolled: 1-line block ×4, first 2 shown]
	v_sub_f32_e32 v53, v55, v81
	v_mul_f32_e32 v52, v71, v52
	v_sub_f32_e32 v53, v80, v53
	v_add_f32_e32 v52, v53, v52
	v_add_f32_e32 v64, v55, v52
	v_mul_f32_e32 v66, v64, v64
	v_mov_b32_e32 v54, 0x3ecc95a3
	v_fmac_f32_e32 v54, 0x3e9b6dac, v66
	v_mov_b32_e32 v53, 0x3f2aaada
	v_fmac_f32_e32 v53, v66, v54
	v_cvt_f32_i32_e32 v54, v68
	v_sub_f32_e32 v55, v64, v55
	v_sub_f32_e32 v52, v52, v55
	v_ldexp_f32 v67, v52, 1
	v_mul_f32_e32 v55, v64, v66
	v_mov_b32_e32 v52, 0x3f317218
	s_mov_b32 s22, 0x3f317218
	v_pk_mul_f32 v[52:53], v[54:55], v[52:53]
	v_ldexp_f32 v65, v64, 1
	v_fma_f32 v64, v54, s22, -v52
	v_fmac_f32_e32 v64, 0xb102e308, v54
	v_pk_add_f32 v[54:55], v[52:53], v[64:65]
	v_sub_f32_e32 v65, v55, v65
	v_sub_f32_e32 v65, v53, v65
	v_add_f32_e32 v67, v67, v65
	v_mov_b32_e32 v66, v52
	v_pk_add_f32 v[52:53], v[54:55], v[52:53] neg_lo:[0,1] neg_hi:[0,1]
	v_pk_add_f32 v[68:69], v[54:55], v[66:67]
	v_mov_b32_e32 v53, v69
	v_mov_b32_e32 v65, v54
	v_pk_add_f32 v[70:71], v[64:65], v[52:53] neg_lo:[0,1] neg_hi:[0,1]
	v_pk_add_f32 v[52:53], v[64:65], v[52:53]
	v_mov_b32_e32 v64, v53
	v_pk_add_f32 v[80:81], v[64:65], v[54:55] neg_lo:[0,1] neg_hi:[0,1]
	v_mov_b32_e32 v65, v80
	v_pk_add_f32 v[82:83], v[68:69], v[64:65] neg_lo:[0,1] neg_hi:[0,1]
	v_mov_b32_e32 v52, v69
	v_mov_b32_e32 v68, v55
	;; [unrolled: 1-line block ×4, first 2 shown]
	v_pk_add_f32 v[52:53], v[52:53], v[68:69] neg_lo:[0,1] neg_hi:[0,1]
	v_mov_b32_e32 v66, v67
	v_mov_b32_e32 v67, v54
	v_pk_add_f32 v[52:53], v[66:67], v[52:53] neg_lo:[0,1] neg_hi:[0,1]
	v_mov_b32_e32 v82, v70
	v_pk_add_f32 v[54:55], v[82:83], v[52:53]
	v_mov_b32_e32 v66, v55
	v_pk_add_f32 v[66:67], v[54:55], v[66:67]
	v_pk_add_f32 v[64:65], v[64:65], v[66:67]
	v_mov_b32_e32 v55, v64
	v_pk_add_f32 v[68:69], v[54:55], v[70:71] neg_lo:[0,1] neg_hi:[0,1]
	v_mov_b32_e32 v53, v66
	v_sub_f32_e32 v54, v54, v68
	v_pk_add_f32 v[52:53], v[52:53], v[68:69] neg_lo:[0,1] neg_hi:[0,1]
	v_sub_f32_e32 v54, v70, v54
	v_add_f32_e32 v52, v52, v54
	v_cmp_eq_f32_e64 s[22:23], s27, v84
	s_mov_b32 s27, 0x33800000
	v_add_f32_e32 v52, v52, v53
	v_cmp_lt_f32_e64 s[28:29], |v84|, s27
	v_add_f32_e32 v52, v64, v52
	s_or_b64 s[22:23], s[22:23], s[28:29]
	v_cndmask_b32_e64 v52, v52, v84, s[22:23]
	v_add_f32_e32 v52, v51, v52
.LBB492_274:
	s_or_b64 exec, exec, s[24:25]
	v_bfe_u32 v51, v52, 16, 1
	v_add3_u32 v51, v52, v51, s26
	v_and_b32_e32 v51, 0xffff0000, v51
	v_cmp_o_f32_e64 s[22:23], v52, v52
	v_cndmask_b32_e64 v53, v49, v51, s[22:23]
	v_mov_b32_e32 v49, 16
	v_lshlrev_b32_sdwa v16, v49, v16 dst_sel:DWORD dst_unused:UNUSED_PAD src0_sel:DWORD src1_sel:WORD_1
	v_max_f32_e32 v52, v53, v53
	v_max_f32_e32 v51, v16, v16
	v_min_f32_e32 v54, v52, v51
	v_cmp_u_f32_e64 s[24:25], v53, v53
	v_max_f32_e32 v52, v52, v51
	v_cndmask_b32_e64 v54, v54, v53, s[24:25]
	v_cmp_u_f32_e64 s[22:23], v16, v16
	v_cndmask_b32_e64 v52, v52, v53, s[24:25]
	v_cndmask_b32_e64 v54, v54, v16, s[22:23]
	;; [unrolled: 1-line block ×3, first 2 shown]
	s_movk_i32 s28, 0x1f8
	v_cmp_neq_f32_e64 s[24:25], v54, v52
	v_cmp_class_f32_e64 s[26:27], v54, s28
	s_or_b64 s[24:25], s[24:25], s[26:27]
	s_and_saveexec_b64 s[26:27], s[24:25]
	s_cbranch_execz .LBB492_276
; %bb.275:
	v_sub_f32_e32 v53, v54, v52
	s_mov_b32 s24, 0x3fb8aa3b
	v_mul_f32_e32 v54, 0x3fb8aa3b, v53
	v_fma_f32 v55, v53, s24, -v54
	v_rndne_f32_e32 v64, v54
	v_fmac_f32_e32 v55, 0x32a5705f, v53
	v_sub_f32_e32 v54, v54, v64
	v_add_f32_e32 v54, v54, v55
	v_exp_f32_e32 v54, v54
	v_cvt_i32_f32_e32 v55, v64
	s_mov_b32 s24, 0xc2ce8ed0
	v_cmp_ngt_f32_e64 s[24:25], s24, v53
	s_mov_b32 s29, 0x7f800000
	v_ldexp_f32 v54, v54, v55
	v_cndmask_b32_e64 v54, 0, v54, s[24:25]
	s_mov_b32 s24, 0x42b17218
	v_mov_b32_e32 v55, 0x7f800000
	v_cmp_nlt_f32_e64 s[24:25], s24, v53
	v_cndmask_b32_e64 v86, v55, v54, s[24:25]
	v_add_f32_e32 v53, 1.0, v86
	v_add_f32_e32 v54, -1.0, v53
	v_sub_f32_e32 v55, v54, v53
	v_add_f32_e32 v55, 1.0, v55
	v_sub_f32_e32 v54, v86, v54
	v_add_f32_e32 v64, v54, v55
	v_frexp_mant_f32_e32 v65, v53
	s_mov_b32 s24, 0x3f2aaaab
	v_cvt_f64_f32_e32 v[54:55], v53
	v_frexp_exp_i32_f64_e32 v54, v[54:55]
	v_cmp_gt_f32_e64 s[24:25], s24, v65
	v_subbrev_co_u32_e64 v70, s[24:25], 0, v54, s[24:25]
	v_sub_u32_e32 v54, 0, v70
	v_ldexp_f32 v53, v53, v54
	v_ldexp_f32 v54, v64, v54
	v_add_f32_e32 v64, -1.0, v53
	v_add_f32_e32 v55, 1.0, v64
	v_sub_f32_e32 v55, v53, v55
	v_add_f32_e32 v65, v54, v55
	v_add_f32_e32 v55, 1.0, v53
	v_add_f32_e32 v66, -1.0, v55
	v_sub_f32_e32 v53, v53, v66
	v_add_f32_e32 v53, v54, v53
	v_add_f32_e32 v71, v55, v53
	v_rcp_f32_e32 v80, v71
	v_sub_f32_e32 v54, v55, v71
	v_add_f32_e32 v55, v64, v65
	v_add_f32_e32 v53, v53, v54
	v_mul_f32_e32 v82, v55, v80
	v_sub_f32_e32 v54, v64, v55
	v_mul_f32_e32 v64, v71, v82
	v_fma_f32 v66, v82, v71, -v64
	v_fmac_f32_e32 v66, v82, v53
	v_add_f32_e32 v81, v65, v54
	v_add_f32_e32 v54, v64, v66
	v_sub_f32_e32 v65, v55, v54
	v_pk_add_f32 v[68:69], v[54:55], v[64:65] neg_lo:[0,1] neg_hi:[0,1]
	v_mov_b32_e32 v67, v54
	v_pk_add_f32 v[54:55], v[68:69], v[66:67] neg_lo:[0,1] neg_hi:[0,1]
	v_add_f32_e32 v55, v81, v55
	v_add_f32_e32 v54, v54, v55
	v_add_f32_e32 v55, v65, v54
	v_mul_f32_e32 v81, v80, v55
	v_mul_f32_e32 v64, v71, v81
	v_fma_f32 v66, v81, v71, -v64
	v_fmac_f32_e32 v66, v81, v53
	v_sub_f32_e32 v53, v65, v55
	v_add_f32_e32 v53, v54, v53
	v_add_f32_e32 v54, v64, v66
	v_sub_f32_e32 v65, v55, v54
	v_pk_add_f32 v[68:69], v[54:55], v[64:65] neg_lo:[0,1] neg_hi:[0,1]
	v_mov_b32_e32 v67, v54
	v_pk_add_f32 v[54:55], v[68:69], v[66:67] neg_lo:[0,1] neg_hi:[0,1]
	v_add_f32_e32 v53, v53, v55
	v_add_f32_e32 v53, v54, v53
	v_add_f32_e32 v54, v82, v81
	v_add_f32_e32 v53, v65, v53
	v_sub_f32_e32 v55, v54, v82
	v_mul_f32_e32 v53, v80, v53
	v_sub_f32_e32 v55, v81, v55
	v_add_f32_e32 v53, v55, v53
	v_add_f32_e32 v65, v54, v53
	v_mul_f32_e32 v66, v65, v65
	v_mov_b32_e32 v64, 0x3ecc95a3
	v_fmac_f32_e32 v64, 0x3e9b6dac, v66
	v_mov_b32_e32 v55, 0x3f2aaada
	v_fmac_f32_e32 v55, v66, v64
	v_cvt_f32_i32_e32 v64, v70
	v_sub_f32_e32 v54, v65, v54
	v_sub_f32_e32 v53, v53, v54
	v_ldexp_f32 v67, v65, 1
	v_mul_f32_e32 v65, v65, v66
	v_mov_b32_e32 v54, 0x3f317218
	s_mov_b32 s24, 0x3f317218
	v_pk_mul_f32 v[54:55], v[64:65], v[54:55]
	v_fma_f32 v66, v64, s24, -v54
	v_fmac_f32_e32 v66, 0xb102e308, v64
	v_pk_add_f32 v[64:65], v[54:55], v[66:67]
	v_sub_f32_e32 v67, v65, v67
	v_ldexp_f32 v53, v53, 1
	v_sub_f32_e32 v67, v55, v67
	v_add_f32_e32 v69, v53, v67
	v_mov_b32_e32 v68, v54
	v_pk_add_f32 v[54:55], v[64:65], v[54:55] neg_lo:[0,1] neg_hi:[0,1]
	v_pk_add_f32 v[70:71], v[64:65], v[68:69]
	v_mov_b32_e32 v55, v71
	v_mov_b32_e32 v67, v64
	v_pk_add_f32 v[80:81], v[66:67], v[54:55] neg_lo:[0,1] neg_hi:[0,1]
	v_pk_add_f32 v[54:55], v[66:67], v[54:55]
	v_mov_b32_e32 v66, v55
	v_pk_add_f32 v[82:83], v[66:67], v[64:65] neg_lo:[0,1] neg_hi:[0,1]
	v_mov_b32_e32 v53, v82
	v_pk_add_f32 v[84:85], v[70:71], v[52:53] neg_lo:[0,1] neg_hi:[0,1]
	v_mov_b32_e32 v54, v71
	v_mov_b32_e32 v70, v65
	;; [unrolled: 1-line block ×4, first 2 shown]
	v_pk_add_f32 v[54:55], v[54:55], v[70:71] neg_lo:[0,1] neg_hi:[0,1]
	v_mov_b32_e32 v68, v69
	v_mov_b32_e32 v69, v64
	v_pk_add_f32 v[54:55], v[68:69], v[54:55] neg_lo:[0,1] neg_hi:[0,1]
	v_mov_b32_e32 v84, v80
	v_pk_add_f32 v[64:65], v[84:85], v[54:55]
	v_mov_b32_e32 v68, v65
	v_pk_add_f32 v[68:69], v[64:65], v[68:69]
	v_pk_add_f32 v[66:67], v[66:67], v[68:69]
	v_mov_b32_e32 v65, v66
	v_pk_add_f32 v[70:71], v[64:65], v[80:81] neg_lo:[0,1] neg_hi:[0,1]
	v_mov_b32_e32 v55, v68
	v_sub_f32_e32 v53, v64, v70
	v_pk_add_f32 v[54:55], v[54:55], v[70:71] neg_lo:[0,1] neg_hi:[0,1]
	v_sub_f32_e32 v53, v80, v53
	v_add_f32_e32 v53, v54, v53
	v_cmp_eq_f32_e64 s[24:25], s29, v86
	s_mov_b32 s29, 0x33800000
	v_add_f32_e32 v53, v53, v55
	v_cmp_lt_f32_e64 s[30:31], |v86|, s29
	v_add_f32_e32 v53, v66, v53
	s_or_b64 s[24:25], s[24:25], s[30:31]
	v_cndmask_b32_e64 v53, v53, v86, s[24:25]
	v_add_f32_e32 v53, v52, v53
.LBB492_276:
	s_or_b64 exec, exec, s[26:27]
	v_bfe_u32 v52, v53, 16, 1
	s_movk_i32 s30, 0x7fff
	v_add3_u32 v52, v53, v52, s30
	v_and_b32_e32 v54, 0xffff0000, v52
	v_mov_b32_e32 v52, 0x7fc00000
	v_cmp_o_f32_e64 s[24:25], v53, v53
	v_cndmask_b32_e64 v55, v52, v54, s[24:25]
	v_lshlrev_b32_sdwa v49, v49, v17 dst_sel:DWORD dst_unused:UNUSED_PAD src0_sel:DWORD src1_sel:WORD_0
	v_max_f32_e32 v54, v55, v55
	v_max_f32_e32 v53, v49, v49
	v_min_f32_e32 v64, v54, v53
	v_cmp_u_f32_e64 s[26:27], v55, v55
	v_max_f32_e32 v54, v54, v53
	v_cndmask_b32_e64 v64, v64, v55, s[26:27]
	v_cmp_u_f32_e64 s[24:25], v49, v49
	v_cndmask_b32_e64 v54, v54, v55, s[26:27]
	v_cndmask_b32_e64 v64, v64, v49, s[24:25]
	;; [unrolled: 1-line block ×3, first 2 shown]
	v_cmp_neq_f32_e64 s[26:27], v64, v54
	v_cmp_class_f32_e64 s[28:29], v64, s28
	s_or_b64 s[26:27], s[26:27], s[28:29]
	s_and_saveexec_b64 s[28:29], s[26:27]
	s_cbranch_execz .LBB492_278
; %bb.277:
	v_sub_f32_e32 v55, v64, v54
	s_mov_b32 s26, 0x3fb8aa3b
	v_mul_f32_e32 v64, 0x3fb8aa3b, v55
	v_fma_f32 v65, v55, s26, -v64
	v_rndne_f32_e32 v66, v64
	v_fmac_f32_e32 v65, 0x32a5705f, v55
	v_sub_f32_e32 v64, v64, v66
	v_add_f32_e32 v64, v64, v65
	v_exp_f32_e32 v64, v64
	v_cvt_i32_f32_e32 v65, v66
	s_mov_b32 s26, 0xc2ce8ed0
	v_cmp_ngt_f32_e64 s[26:27], s26, v55
	s_mov_b32 s31, 0x7f800000
	v_ldexp_f32 v64, v64, v65
	v_cndmask_b32_e64 v64, 0, v64, s[26:27]
	s_mov_b32 s26, 0x42b17218
	v_mov_b32_e32 v65, 0x7f800000
	v_cmp_nlt_f32_e64 s[26:27], s26, v55
	v_cndmask_b32_e64 v99, v65, v64, s[26:27]
	v_add_f32_e32 v55, 1.0, v99
	v_add_f32_e32 v64, -1.0, v55
	v_sub_f32_e32 v65, v64, v55
	v_add_f32_e32 v65, 1.0, v65
	v_sub_f32_e32 v64, v99, v64
	v_add_f32_e32 v66, v64, v65
	v_frexp_mant_f32_e32 v67, v55
	s_mov_b32 s26, 0x3f2aaaab
	v_cvt_f64_f32_e32 v[64:65], v55
	v_frexp_exp_i32_f64_e32 v64, v[64:65]
	v_cmp_gt_f32_e64 s[26:27], s26, v67
	v_subbrev_co_u32_e64 v80, s[26:27], 0, v64, s[26:27]
	v_sub_u32_e32 v64, 0, v80
	v_ldexp_f32 v55, v55, v64
	v_ldexp_f32 v64, v66, v64
	v_add_f32_e32 v66, -1.0, v55
	v_add_f32_e32 v65, 1.0, v66
	v_sub_f32_e32 v65, v55, v65
	v_add_f32_e32 v67, v64, v65
	v_add_f32_e32 v65, 1.0, v55
	v_add_f32_e32 v68, -1.0, v65
	v_sub_f32_e32 v55, v55, v68
	v_add_f32_e32 v55, v64, v55
	v_add_f32_e32 v81, v65, v55
	v_rcp_f32_e32 v82, v81
	v_sub_f32_e32 v64, v65, v81
	v_add_f32_e32 v65, v66, v67
	v_add_f32_e32 v55, v55, v64
	v_mul_f32_e32 v84, v65, v82
	v_sub_f32_e32 v64, v66, v65
	v_mul_f32_e32 v66, v81, v84
	v_fma_f32 v68, v84, v81, -v66
	v_fmac_f32_e32 v68, v84, v55
	v_add_f32_e32 v83, v67, v64
	v_add_f32_e32 v64, v66, v68
	v_sub_f32_e32 v67, v65, v64
	v_pk_add_f32 v[70:71], v[64:65], v[66:67] neg_lo:[0,1] neg_hi:[0,1]
	v_mov_b32_e32 v69, v64
	v_pk_add_f32 v[64:65], v[70:71], v[68:69] neg_lo:[0,1] neg_hi:[0,1]
	v_add_f32_e32 v65, v83, v65
	v_add_f32_e32 v64, v64, v65
	;; [unrolled: 1-line block ×3, first 2 shown]
	v_mul_f32_e32 v83, v82, v65
	v_mul_f32_e32 v66, v81, v83
	v_fma_f32 v68, v83, v81, -v66
	v_fmac_f32_e32 v68, v83, v55
	v_sub_f32_e32 v55, v67, v65
	v_add_f32_e32 v55, v64, v55
	v_add_f32_e32 v64, v66, v68
	v_sub_f32_e32 v67, v65, v64
	v_pk_add_f32 v[70:71], v[64:65], v[66:67] neg_lo:[0,1] neg_hi:[0,1]
	v_mov_b32_e32 v69, v64
	v_pk_add_f32 v[64:65], v[70:71], v[68:69] neg_lo:[0,1] neg_hi:[0,1]
	v_add_f32_e32 v55, v55, v65
	v_add_f32_e32 v55, v64, v55
	;; [unrolled: 1-line block ×4, first 2 shown]
	v_sub_f32_e32 v65, v64, v84
	v_mul_f32_e32 v55, v82, v55
	v_sub_f32_e32 v65, v83, v65
	v_add_f32_e32 v55, v65, v55
	v_add_f32_e32 v67, v64, v55
	v_mul_f32_e32 v68, v67, v67
	v_mov_b32_e32 v66, 0x3ecc95a3
	v_fmac_f32_e32 v66, 0x3e9b6dac, v68
	v_mov_b32_e32 v65, 0x3f2aaada
	v_fmac_f32_e32 v65, v68, v66
	v_cvt_f32_i32_e32 v66, v80
	v_sub_f32_e32 v64, v67, v64
	v_sub_f32_e32 v55, v55, v64
	v_ldexp_f32 v69, v67, 1
	v_mul_f32_e32 v67, v67, v68
	v_mov_b32_e32 v64, 0x3f317218
	s_mov_b32 s26, 0x3f317218
	v_pk_mul_f32 v[64:65], v[66:67], v[64:65]
	v_fma_f32 v68, v66, s26, -v64
	v_fmac_f32_e32 v68, 0xb102e308, v66
	v_pk_add_f32 v[66:67], v[64:65], v[68:69]
	v_sub_f32_e32 v69, v67, v69
	v_ldexp_f32 v55, v55, 1
	v_sub_f32_e32 v69, v65, v69
	v_add_f32_e32 v71, v55, v69
	v_mov_b32_e32 v70, v64
	v_pk_add_f32 v[64:65], v[66:67], v[64:65] neg_lo:[0,1] neg_hi:[0,1]
	v_pk_add_f32 v[80:81], v[66:67], v[70:71]
	v_mov_b32_e32 v65, v81
	v_mov_b32_e32 v69, v66
	v_pk_add_f32 v[82:83], v[68:69], v[64:65] neg_lo:[0,1] neg_hi:[0,1]
	v_pk_add_f32 v[64:65], v[68:69], v[64:65]
	v_mov_b32_e32 v68, v65
	v_pk_add_f32 v[84:85], v[68:69], v[66:67] neg_lo:[0,1] neg_hi:[0,1]
	v_mov_b32_e32 v55, v84
	v_pk_add_f32 v[86:87], v[80:81], v[54:55] neg_lo:[0,1] neg_hi:[0,1]
	v_mov_b32_e32 v64, v81
	v_mov_b32_e32 v80, v67
	;; [unrolled: 1-line block ×4, first 2 shown]
	v_pk_add_f32 v[64:65], v[64:65], v[80:81] neg_lo:[0,1] neg_hi:[0,1]
	v_mov_b32_e32 v70, v71
	v_mov_b32_e32 v71, v66
	v_pk_add_f32 v[64:65], v[70:71], v[64:65] neg_lo:[0,1] neg_hi:[0,1]
	v_mov_b32_e32 v86, v82
	v_pk_add_f32 v[66:67], v[86:87], v[64:65]
	v_mov_b32_e32 v70, v67
	v_pk_add_f32 v[70:71], v[66:67], v[70:71]
	v_pk_add_f32 v[68:69], v[68:69], v[70:71]
	v_mov_b32_e32 v67, v68
	v_pk_add_f32 v[80:81], v[66:67], v[82:83] neg_lo:[0,1] neg_hi:[0,1]
	v_mov_b32_e32 v65, v70
	v_sub_f32_e32 v55, v66, v80
	v_pk_add_f32 v[64:65], v[64:65], v[80:81] neg_lo:[0,1] neg_hi:[0,1]
	v_sub_f32_e32 v55, v82, v55
	v_add_f32_e32 v55, v64, v55
	v_cmp_eq_f32_e64 s[26:27], s31, v99
	s_mov_b32 s31, 0x33800000
	v_add_f32_e32 v55, v55, v65
	v_cmp_lt_f32_e64 s[34:35], |v99|, s31
	v_add_f32_e32 v55, v68, v55
	s_or_b64 s[26:27], s[26:27], s[34:35]
	v_cndmask_b32_e64 v55, v55, v99, s[26:27]
	v_add_f32_e32 v55, v54, v55
.LBB492_278:
	s_or_b64 exec, exec, s[28:29]
	v_bfe_u32 v54, v55, 16, 1
	v_add3_u32 v54, v55, v54, s30
	v_and_b32_e32 v54, 0xffff0000, v54
	v_cmp_o_f32_e64 s[26:27], v55, v55
	v_cndmask_b32_e64 v64, v52, v54, s[26:27]
	v_mov_b32_e32 v52, 16
	v_lshlrev_b32_sdwa v17, v52, v17 dst_sel:DWORD dst_unused:UNUSED_PAD src0_sel:DWORD src1_sel:WORD_1
	v_max_f32_e32 v55, v64, v64
	v_max_f32_e32 v54, v17, v17
	v_min_f32_e32 v65, v55, v54
	v_cmp_u_f32_e64 s[28:29], v64, v64
	v_max_f32_e32 v55, v55, v54
	v_cndmask_b32_e64 v65, v65, v64, s[28:29]
	v_cmp_u_f32_e64 s[26:27], v17, v17
	v_cndmask_b32_e64 v55, v55, v64, s[28:29]
	v_cndmask_b32_e64 v65, v65, v17, s[26:27]
	;; [unrolled: 1-line block ×3, first 2 shown]
	s_movk_i32 s34, 0x1f8
	v_cmp_neq_f32_e64 s[28:29], v65, v55
	v_cmp_class_f32_e64 s[30:31], v65, s34
	s_or_b64 s[28:29], s[28:29], s[30:31]
	s_and_saveexec_b64 s[30:31], s[28:29]
	s_cbranch_execz .LBB492_280
; %bb.279:
	v_sub_f32_e32 v64, v65, v55
	s_mov_b32 s28, 0x3fb8aa3b
	v_mul_f32_e32 v65, 0x3fb8aa3b, v64
	v_fma_f32 v66, v64, s28, -v65
	v_rndne_f32_e32 v67, v65
	v_fmac_f32_e32 v66, 0x32a5705f, v64
	v_sub_f32_e32 v65, v65, v67
	v_add_f32_e32 v65, v65, v66
	v_exp_f32_e32 v65, v65
	v_cvt_i32_f32_e32 v66, v67
	s_mov_b32 s28, 0xc2ce8ed0
	v_cmp_ngt_f32_e64 s[28:29], s28, v64
	s_mov_b32 s35, 0x7f800000
	v_ldexp_f32 v65, v65, v66
	v_cndmask_b32_e64 v65, 0, v65, s[28:29]
	s_mov_b32 s28, 0x42b17218
	v_mov_b32_e32 v66, 0x7f800000
	v_cmp_nlt_f32_e64 s[28:29], s28, v64
	v_cndmask_b32_e64 v99, v66, v65, s[28:29]
	v_add_f32_e32 v66, 1.0, v99
	v_add_f32_e32 v64, -1.0, v66
	v_sub_f32_e32 v65, v64, v66
	v_add_f32_e32 v65, 1.0, v65
	v_sub_f32_e32 v64, v99, v64
	v_add_f32_e32 v67, v64, v65
	v_frexp_mant_f32_e32 v68, v66
	s_mov_b32 s28, 0x3f2aaaab
	v_cvt_f64_f32_e32 v[64:65], v66
	v_frexp_exp_i32_f64_e32 v64, v[64:65]
	v_cmp_gt_f32_e64 s[28:29], s28, v68
	v_subbrev_co_u32_e64 v80, s[28:29], 0, v64, s[28:29]
	v_sub_u32_e32 v64, 0, v80
	v_ldexp_f32 v65, v66, v64
	v_add_f32_e32 v66, -1.0, v65
	v_add_f32_e32 v68, 1.0, v65
	v_ldexp_f32 v64, v67, v64
	v_add_f32_e32 v67, 1.0, v66
	v_add_f32_e32 v69, -1.0, v68
	v_sub_f32_e32 v67, v65, v67
	v_sub_f32_e32 v65, v65, v69
	v_add_f32_e32 v67, v64, v67
	v_add_f32_e32 v64, v64, v65
	;; [unrolled: 1-line block ×3, first 2 shown]
	v_rcp_f32_e32 v83, v81
	v_sub_f32_e32 v65, v68, v81
	v_add_f32_e32 v82, v64, v65
	v_add_f32_e32 v65, v66, v67
	v_mul_f32_e32 v85, v65, v83
	v_sub_f32_e32 v64, v66, v65
	v_mul_f32_e32 v66, v81, v85
	v_fma_f32 v68, v85, v81, -v66
	v_fmac_f32_e32 v68, v85, v82
	v_add_f32_e32 v84, v67, v64
	v_add_f32_e32 v64, v66, v68
	v_sub_f32_e32 v67, v65, v64
	v_pk_add_f32 v[70:71], v[64:65], v[66:67] neg_lo:[0,1] neg_hi:[0,1]
	v_mov_b32_e32 v69, v64
	v_pk_add_f32 v[64:65], v[70:71], v[68:69] neg_lo:[0,1] neg_hi:[0,1]
	v_add_f32_e32 v65, v84, v65
	v_add_f32_e32 v64, v64, v65
	v_add_f32_e32 v65, v67, v64
	v_mul_f32_e32 v84, v83, v65
	v_mul_f32_e32 v66, v81, v84
	v_fma_f32 v68, v84, v81, -v66
	v_fmac_f32_e32 v68, v84, v82
	v_sub_f32_e32 v67, v67, v65
	v_add_f32_e32 v81, v64, v67
	v_add_f32_e32 v64, v66, v68
	v_sub_f32_e32 v67, v65, v64
	v_pk_add_f32 v[70:71], v[64:65], v[66:67] neg_lo:[0,1] neg_hi:[0,1]
	v_mov_b32_e32 v69, v64
	v_pk_add_f32 v[64:65], v[70:71], v[68:69] neg_lo:[0,1] neg_hi:[0,1]
	v_add_f32_e32 v65, v81, v65
	v_add_f32_e32 v64, v64, v65
	;; [unrolled: 1-line block ×4, first 2 shown]
	v_sub_f32_e32 v65, v67, v85
	v_mul_f32_e32 v64, v83, v64
	v_sub_f32_e32 v65, v84, v65
	v_add_f32_e32 v64, v65, v64
	v_add_f32_e32 v68, v67, v64
	v_mul_f32_e32 v70, v68, v68
	v_mov_b32_e32 v66, 0x3ecc95a3
	v_fmac_f32_e32 v66, 0x3e9b6dac, v70
	v_mov_b32_e32 v65, 0x3f2aaada
	v_fmac_f32_e32 v65, v70, v66
	v_cvt_f32_i32_e32 v66, v80
	v_sub_f32_e32 v67, v68, v67
	v_sub_f32_e32 v64, v64, v67
	v_ldexp_f32 v71, v64, 1
	v_mul_f32_e32 v67, v68, v70
	v_mov_b32_e32 v64, 0x3f317218
	s_mov_b32 s28, 0x3f317218
	v_pk_mul_f32 v[64:65], v[66:67], v[64:65]
	v_ldexp_f32 v69, v68, 1
	v_fma_f32 v68, v66, s28, -v64
	v_fmac_f32_e32 v68, 0xb102e308, v66
	v_pk_add_f32 v[66:67], v[64:65], v[68:69]
	v_sub_f32_e32 v69, v67, v69
	v_sub_f32_e32 v69, v65, v69
	v_add_f32_e32 v71, v71, v69
	v_mov_b32_e32 v70, v64
	v_pk_add_f32 v[64:65], v[66:67], v[64:65] neg_lo:[0,1] neg_hi:[0,1]
	v_pk_add_f32 v[80:81], v[66:67], v[70:71]
	v_mov_b32_e32 v65, v81
	v_mov_b32_e32 v69, v66
	v_pk_add_f32 v[82:83], v[68:69], v[64:65] neg_lo:[0,1] neg_hi:[0,1]
	v_pk_add_f32 v[64:65], v[68:69], v[64:65]
	v_mov_b32_e32 v68, v65
	v_pk_add_f32 v[84:85], v[68:69], v[66:67] neg_lo:[0,1] neg_hi:[0,1]
	v_mov_b32_e32 v69, v84
	v_pk_add_f32 v[86:87], v[80:81], v[68:69] neg_lo:[0,1] neg_hi:[0,1]
	v_mov_b32_e32 v64, v81
	v_mov_b32_e32 v80, v67
	;; [unrolled: 1-line block ×4, first 2 shown]
	v_pk_add_f32 v[64:65], v[64:65], v[80:81] neg_lo:[0,1] neg_hi:[0,1]
	v_mov_b32_e32 v70, v71
	v_mov_b32_e32 v71, v66
	v_pk_add_f32 v[64:65], v[70:71], v[64:65] neg_lo:[0,1] neg_hi:[0,1]
	v_mov_b32_e32 v86, v82
	v_pk_add_f32 v[66:67], v[86:87], v[64:65]
	v_mov_b32_e32 v70, v67
	v_pk_add_f32 v[70:71], v[66:67], v[70:71]
	v_pk_add_f32 v[68:69], v[68:69], v[70:71]
	v_mov_b32_e32 v67, v68
	v_pk_add_f32 v[80:81], v[66:67], v[82:83] neg_lo:[0,1] neg_hi:[0,1]
	v_mov_b32_e32 v65, v70
	v_sub_f32_e32 v66, v66, v80
	v_pk_add_f32 v[64:65], v[64:65], v[80:81] neg_lo:[0,1] neg_hi:[0,1]
	v_sub_f32_e32 v66, v82, v66
	v_add_f32_e32 v64, v64, v66
	v_cmp_eq_f32_e64 s[28:29], s35, v99
	s_mov_b32 s35, 0x33800000
	v_add_f32_e32 v64, v64, v65
	v_cmp_lt_f32_e64 s[36:37], |v99|, s35
	v_add_f32_e32 v64, v68, v64
	s_or_b64 s[28:29], s[28:29], s[36:37]
	v_cndmask_b32_e64 v64, v64, v99, s[28:29]
	v_add_f32_e32 v64, v55, v64
.LBB492_280:
	s_or_b64 exec, exec, s[30:31]
	v_bfe_u32 v55, v64, 16, 1
	s_movk_i32 s36, 0x7fff
	v_add3_u32 v55, v64, v55, s36
	v_and_b32_e32 v65, 0xffff0000, v55
	v_mov_b32_e32 v55, 0x7fc00000
	v_cmp_o_f32_e64 s[28:29], v64, v64
	v_cndmask_b32_e64 v66, v55, v65, s[28:29]
	v_lshlrev_b32_sdwa v52, v52, v18 dst_sel:DWORD dst_unused:UNUSED_PAD src0_sel:DWORD src1_sel:WORD_0
	v_max_f32_e32 v65, v66, v66
	v_max_f32_e32 v64, v52, v52
	v_min_f32_e32 v67, v65, v64
	v_cmp_u_f32_e64 s[30:31], v66, v66
	v_max_f32_e32 v65, v65, v64
	v_cndmask_b32_e64 v67, v67, v66, s[30:31]
	v_cmp_u_f32_e64 s[28:29], v52, v52
	v_cndmask_b32_e64 v65, v65, v66, s[30:31]
	v_cndmask_b32_e64 v67, v67, v52, s[28:29]
	;; [unrolled: 1-line block ×3, first 2 shown]
	v_cmp_neq_f32_e64 s[30:31], v67, v65
	v_cmp_class_f32_e64 s[34:35], v67, s34
	s_or_b64 s[30:31], s[30:31], s[34:35]
	s_and_saveexec_b64 s[34:35], s[30:31]
	s_cbranch_execz .LBB492_282
; %bb.281:
	v_sub_f32_e32 v66, v67, v65
	s_mov_b32 s30, 0x3fb8aa3b
	v_mul_f32_e32 v67, 0x3fb8aa3b, v66
	v_fma_f32 v68, v66, s30, -v67
	v_rndne_f32_e32 v69, v67
	v_fmac_f32_e32 v68, 0x32a5705f, v66
	v_sub_f32_e32 v67, v67, v69
	v_add_f32_e32 v67, v67, v68
	v_exp_f32_e32 v67, v67
	v_cvt_i32_f32_e32 v68, v69
	s_mov_b32 s30, 0xc2ce8ed0
	v_cmp_ngt_f32_e64 s[30:31], s30, v66
	s_mov_b32 s37, 0x7f800000
	v_ldexp_f32 v67, v67, v68
	v_cndmask_b32_e64 v67, 0, v67, s[30:31]
	s_mov_b32 s30, 0x42b17218
	v_mov_b32_e32 v68, 0x7f800000
	v_cmp_nlt_f32_e64 s[30:31], s30, v66
	v_cndmask_b32_e64 v99, v68, v67, s[30:31]
	v_add_f32_e32 v68, 1.0, v99
	v_add_f32_e32 v66, -1.0, v68
	v_sub_f32_e32 v67, v66, v68
	v_add_f32_e32 v67, 1.0, v67
	v_sub_f32_e32 v66, v99, v66
	v_add_f32_e32 v69, v66, v67
	v_frexp_mant_f32_e32 v70, v68
	s_mov_b32 s30, 0x3f2aaaab
	v_cvt_f64_f32_e32 v[66:67], v68
	v_frexp_exp_i32_f64_e32 v66, v[66:67]
	v_cmp_gt_f32_e64 s[30:31], s30, v70
	v_subbrev_co_u32_e64 v82, s[30:31], 0, v66, s[30:31]
	v_sub_u32_e32 v66, 0, v82
	v_ldexp_f32 v67, v68, v66
	v_add_f32_e32 v68, -1.0, v67
	v_add_f32_e32 v70, 1.0, v67
	v_ldexp_f32 v66, v69, v66
	v_add_f32_e32 v69, 1.0, v68
	v_add_f32_e32 v71, -1.0, v70
	v_sub_f32_e32 v69, v67, v69
	v_sub_f32_e32 v67, v67, v71
	v_add_f32_e32 v69, v66, v69
	v_add_f32_e32 v66, v66, v67
	;; [unrolled: 1-line block ×3, first 2 shown]
	v_rcp_f32_e32 v85, v83
	v_sub_f32_e32 v67, v70, v83
	v_add_f32_e32 v84, v66, v67
	v_add_f32_e32 v67, v68, v69
	v_mul_f32_e32 v87, v67, v85
	v_sub_f32_e32 v66, v68, v67
	v_mul_f32_e32 v68, v83, v87
	v_fma_f32 v70, v87, v83, -v68
	v_fmac_f32_e32 v70, v87, v84
	v_add_f32_e32 v86, v69, v66
	v_add_f32_e32 v66, v68, v70
	v_sub_f32_e32 v69, v67, v66
	v_pk_add_f32 v[80:81], v[66:67], v[68:69] neg_lo:[0,1] neg_hi:[0,1]
	v_mov_b32_e32 v71, v66
	v_pk_add_f32 v[66:67], v[80:81], v[70:71] neg_lo:[0,1] neg_hi:[0,1]
	v_add_f32_e32 v67, v86, v67
	v_add_f32_e32 v66, v66, v67
	;; [unrolled: 1-line block ×3, first 2 shown]
	v_mul_f32_e32 v86, v85, v67
	v_mul_f32_e32 v68, v83, v86
	v_fma_f32 v70, v86, v83, -v68
	v_fmac_f32_e32 v70, v86, v84
	v_sub_f32_e32 v69, v69, v67
	v_add_f32_e32 v83, v66, v69
	v_add_f32_e32 v66, v68, v70
	v_sub_f32_e32 v69, v67, v66
	v_pk_add_f32 v[80:81], v[66:67], v[68:69] neg_lo:[0,1] neg_hi:[0,1]
	v_mov_b32_e32 v71, v66
	v_pk_add_f32 v[66:67], v[80:81], v[70:71] neg_lo:[0,1] neg_hi:[0,1]
	v_add_f32_e32 v67, v83, v67
	v_add_f32_e32 v66, v66, v67
	;; [unrolled: 1-line block ×4, first 2 shown]
	v_sub_f32_e32 v67, v69, v87
	v_mul_f32_e32 v66, v85, v66
	v_sub_f32_e32 v67, v86, v67
	v_add_f32_e32 v66, v67, v66
	v_add_f32_e32 v70, v69, v66
	v_mul_f32_e32 v80, v70, v70
	v_mov_b32_e32 v68, 0x3ecc95a3
	v_fmac_f32_e32 v68, 0x3e9b6dac, v80
	v_mov_b32_e32 v67, 0x3f2aaada
	v_fmac_f32_e32 v67, v80, v68
	v_cvt_f32_i32_e32 v68, v82
	v_sub_f32_e32 v69, v70, v69
	v_sub_f32_e32 v66, v66, v69
	v_ldexp_f32 v81, v66, 1
	v_mul_f32_e32 v69, v70, v80
	v_mov_b32_e32 v66, 0x3f317218
	s_mov_b32 s30, 0x3f317218
	v_pk_mul_f32 v[66:67], v[68:69], v[66:67]
	v_ldexp_f32 v71, v70, 1
	v_fma_f32 v70, v68, s30, -v66
	v_fmac_f32_e32 v70, 0xb102e308, v68
	v_pk_add_f32 v[68:69], v[66:67], v[70:71]
	v_sub_f32_e32 v71, v69, v71
	v_sub_f32_e32 v71, v67, v71
	v_add_f32_e32 v81, v81, v71
	v_mov_b32_e32 v80, v66
	v_pk_add_f32 v[66:67], v[68:69], v[66:67] neg_lo:[0,1] neg_hi:[0,1]
	v_pk_add_f32 v[82:83], v[68:69], v[80:81]
	v_mov_b32_e32 v67, v83
	v_mov_b32_e32 v71, v68
	v_pk_add_f32 v[84:85], v[70:71], v[66:67] neg_lo:[0,1] neg_hi:[0,1]
	v_pk_add_f32 v[66:67], v[70:71], v[66:67]
	v_mov_b32_e32 v70, v67
	v_pk_add_f32 v[86:87], v[70:71], v[68:69] neg_lo:[0,1] neg_hi:[0,1]
	v_mov_b32_e32 v71, v86
	v_pk_add_f32 v[100:101], v[82:83], v[70:71] neg_lo:[0,1] neg_hi:[0,1]
	v_mov_b32_e32 v66, v83
	v_mov_b32_e32 v82, v69
	;; [unrolled: 1-line block ×4, first 2 shown]
	v_pk_add_f32 v[66:67], v[66:67], v[82:83] neg_lo:[0,1] neg_hi:[0,1]
	v_mov_b32_e32 v80, v81
	v_mov_b32_e32 v81, v68
	v_pk_add_f32 v[66:67], v[80:81], v[66:67] neg_lo:[0,1] neg_hi:[0,1]
	v_mov_b32_e32 v100, v84
	v_pk_add_f32 v[68:69], v[100:101], v[66:67]
	v_mov_b32_e32 v80, v69
	v_pk_add_f32 v[80:81], v[68:69], v[80:81]
	v_pk_add_f32 v[70:71], v[70:71], v[80:81]
	v_mov_b32_e32 v69, v70
	v_pk_add_f32 v[82:83], v[68:69], v[84:85] neg_lo:[0,1] neg_hi:[0,1]
	v_mov_b32_e32 v67, v80
	v_sub_f32_e32 v68, v68, v82
	v_pk_add_f32 v[66:67], v[66:67], v[82:83] neg_lo:[0,1] neg_hi:[0,1]
	v_sub_f32_e32 v68, v84, v68
	v_add_f32_e32 v66, v66, v68
	v_cmp_eq_f32_e64 s[30:31], s37, v99
	s_mov_b32 s37, 0x33800000
	v_add_f32_e32 v66, v66, v67
	v_cmp_lt_f32_e64 s[38:39], |v99|, s37
	v_add_f32_e32 v66, v70, v66
	s_or_b64 s[30:31], s[30:31], s[38:39]
	v_cndmask_b32_e64 v66, v66, v99, s[30:31]
	v_add_f32_e32 v66, v65, v66
.LBB492_282:
	s_or_b64 exec, exec, s[34:35]
	v_bfe_u32 v65, v66, 16, 1
	v_add3_u32 v65, v66, v65, s36
	v_and_b32_e32 v65, 0xffff0000, v65
	v_cmp_o_f32_e64 s[30:31], v66, v66
	v_cndmask_b32_e64 v67, v55, v65, s[30:31]
	v_mov_b32_e32 v55, 16
	v_lshlrev_b32_sdwa v18, v55, v18 dst_sel:DWORD dst_unused:UNUSED_PAD src0_sel:DWORD src1_sel:WORD_1
	v_max_f32_e32 v66, v67, v67
	v_max_f32_e32 v65, v18, v18
	v_min_f32_e32 v68, v66, v65
	v_cmp_u_f32_e64 s[34:35], v67, v67
	v_max_f32_e32 v66, v66, v65
	v_cndmask_b32_e64 v68, v68, v67, s[34:35]
	v_cmp_u_f32_e64 s[30:31], v18, v18
	v_cndmask_b32_e64 v66, v66, v67, s[34:35]
	v_cndmask_b32_e64 v68, v68, v18, s[30:31]
	;; [unrolled: 1-line block ×3, first 2 shown]
	s_movk_i32 s38, 0x1f8
	v_cmp_neq_f32_e64 s[34:35], v68, v66
	v_cmp_class_f32_e64 s[36:37], v68, s38
	s_or_b64 s[34:35], s[34:35], s[36:37]
	s_and_saveexec_b64 s[36:37], s[34:35]
	s_cbranch_execz .LBB492_284
; %bb.283:
	v_sub_f32_e32 v67, v68, v66
	s_mov_b32 s34, 0x3fb8aa3b
	v_mul_f32_e32 v68, 0x3fb8aa3b, v67
	v_fma_f32 v69, v67, s34, -v68
	v_rndne_f32_e32 v70, v68
	v_fmac_f32_e32 v69, 0x32a5705f, v67
	v_sub_f32_e32 v68, v68, v70
	v_add_f32_e32 v68, v68, v69
	v_exp_f32_e32 v68, v68
	v_cvt_i32_f32_e32 v69, v70
	s_mov_b32 s34, 0xc2ce8ed0
	v_cmp_ngt_f32_e64 s[34:35], s34, v67
	s_mov_b32 s39, 0x7f800000
	v_ldexp_f32 v68, v68, v69
	v_cndmask_b32_e64 v68, 0, v68, s[34:35]
	s_mov_b32 s34, 0x42b17218
	v_mov_b32_e32 v69, 0x7f800000
	v_cmp_nlt_f32_e64 s[34:35], s34, v67
	v_cndmask_b32_e64 v99, v69, v68, s[34:35]
	v_add_f32_e32 v67, 1.0, v99
	v_add_f32_e32 v68, -1.0, v67
	v_sub_f32_e32 v69, v68, v67
	v_add_f32_e32 v69, 1.0, v69
	v_sub_f32_e32 v68, v99, v68
	v_add_f32_e32 v70, v68, v69
	v_frexp_mant_f32_e32 v71, v67
	s_mov_b32 s34, 0x3f2aaaab
	v_cvt_f64_f32_e32 v[68:69], v67
	v_frexp_exp_i32_f64_e32 v68, v[68:69]
	v_cmp_gt_f32_e64 s[34:35], s34, v71
	v_subbrev_co_u32_e64 v84, s[34:35], 0, v68, s[34:35]
	v_sub_u32_e32 v68, 0, v84
	v_ldexp_f32 v67, v67, v68
	v_ldexp_f32 v68, v70, v68
	v_add_f32_e32 v70, -1.0, v67
	v_add_f32_e32 v69, 1.0, v70
	v_sub_f32_e32 v69, v67, v69
	v_add_f32_e32 v71, v68, v69
	v_add_f32_e32 v69, 1.0, v67
	v_add_f32_e32 v80, -1.0, v69
	v_sub_f32_e32 v67, v67, v80
	v_add_f32_e32 v67, v68, v67
	v_add_f32_e32 v85, v69, v67
	v_rcp_f32_e32 v86, v85
	v_sub_f32_e32 v68, v69, v85
	v_add_f32_e32 v69, v70, v71
	v_add_f32_e32 v67, v67, v68
	v_mul_f32_e32 v100, v69, v86
	v_sub_f32_e32 v68, v70, v69
	v_mul_f32_e32 v70, v85, v100
	v_fma_f32 v80, v100, v85, -v70
	v_fmac_f32_e32 v80, v100, v67
	v_add_f32_e32 v87, v71, v68
	v_add_f32_e32 v68, v70, v80
	v_sub_f32_e32 v71, v69, v68
	v_pk_add_f32 v[82:83], v[68:69], v[70:71] neg_lo:[0,1] neg_hi:[0,1]
	v_mov_b32_e32 v81, v68
	v_pk_add_f32 v[68:69], v[82:83], v[80:81] neg_lo:[0,1] neg_hi:[0,1]
	v_add_f32_e32 v69, v87, v69
	v_add_f32_e32 v68, v68, v69
	;; [unrolled: 1-line block ×3, first 2 shown]
	v_mul_f32_e32 v87, v86, v69
	v_mul_f32_e32 v70, v85, v87
	v_fma_f32 v80, v87, v85, -v70
	v_fmac_f32_e32 v80, v87, v67
	v_sub_f32_e32 v67, v71, v69
	v_add_f32_e32 v67, v68, v67
	v_add_f32_e32 v68, v70, v80
	v_sub_f32_e32 v71, v69, v68
	v_pk_add_f32 v[82:83], v[68:69], v[70:71] neg_lo:[0,1] neg_hi:[0,1]
	v_mov_b32_e32 v81, v68
	v_pk_add_f32 v[68:69], v[82:83], v[80:81] neg_lo:[0,1] neg_hi:[0,1]
	v_add_f32_e32 v67, v67, v69
	v_add_f32_e32 v67, v68, v67
	;; [unrolled: 1-line block ×4, first 2 shown]
	v_sub_f32_e32 v69, v68, v100
	v_mul_f32_e32 v67, v86, v67
	v_sub_f32_e32 v69, v87, v69
	v_add_f32_e32 v67, v69, v67
	v_add_f32_e32 v71, v68, v67
	v_mul_f32_e32 v80, v71, v71
	v_mov_b32_e32 v70, 0x3ecc95a3
	v_fmac_f32_e32 v70, 0x3e9b6dac, v80
	v_mov_b32_e32 v69, 0x3f2aaada
	v_fmac_f32_e32 v69, v80, v70
	v_cvt_f32_i32_e32 v70, v84
	v_sub_f32_e32 v68, v71, v68
	v_sub_f32_e32 v67, v67, v68
	v_ldexp_f32 v81, v71, 1
	v_mul_f32_e32 v71, v71, v80
	v_mov_b32_e32 v68, 0x3f317218
	s_mov_b32 s34, 0x3f317218
	v_pk_mul_f32 v[68:69], v[70:71], v[68:69]
	v_fma_f32 v80, v70, s34, -v68
	v_fmac_f32_e32 v80, 0xb102e308, v70
	v_pk_add_f32 v[70:71], v[68:69], v[80:81]
	v_sub_f32_e32 v81, v71, v81
	v_ldexp_f32 v67, v67, 1
	v_sub_f32_e32 v81, v69, v81
	v_add_f32_e32 v83, v67, v81
	v_mov_b32_e32 v82, v68
	v_pk_add_f32 v[68:69], v[70:71], v[68:69] neg_lo:[0,1] neg_hi:[0,1]
	v_pk_add_f32 v[84:85], v[70:71], v[82:83]
	v_mov_b32_e32 v69, v85
	v_mov_b32_e32 v81, v70
	v_pk_add_f32 v[86:87], v[80:81], v[68:69] neg_lo:[0,1] neg_hi:[0,1]
	v_pk_add_f32 v[68:69], v[80:81], v[68:69]
	v_mov_b32_e32 v80, v69
	v_pk_add_f32 v[100:101], v[80:81], v[70:71] neg_lo:[0,1] neg_hi:[0,1]
	v_mov_b32_e32 v67, v100
	v_pk_add_f32 v[102:103], v[84:85], v[66:67] neg_lo:[0,1] neg_hi:[0,1]
	v_mov_b32_e32 v68, v85
	v_mov_b32_e32 v84, v71
	;; [unrolled: 1-line block ×4, first 2 shown]
	v_pk_add_f32 v[68:69], v[68:69], v[84:85] neg_lo:[0,1] neg_hi:[0,1]
	v_mov_b32_e32 v82, v83
	v_mov_b32_e32 v83, v70
	v_pk_add_f32 v[68:69], v[82:83], v[68:69] neg_lo:[0,1] neg_hi:[0,1]
	v_mov_b32_e32 v102, v86
	v_pk_add_f32 v[70:71], v[102:103], v[68:69]
	v_mov_b32_e32 v82, v71
	v_pk_add_f32 v[82:83], v[70:71], v[82:83]
	v_pk_add_f32 v[80:81], v[80:81], v[82:83]
	v_mov_b32_e32 v71, v80
	v_pk_add_f32 v[84:85], v[70:71], v[86:87] neg_lo:[0,1] neg_hi:[0,1]
	v_mov_b32_e32 v69, v82
	v_sub_f32_e32 v67, v70, v84
	v_pk_add_f32 v[68:69], v[68:69], v[84:85] neg_lo:[0,1] neg_hi:[0,1]
	v_sub_f32_e32 v67, v86, v67
	v_add_f32_e32 v67, v68, v67
	v_cmp_eq_f32_e64 s[34:35], s39, v99
	s_mov_b32 s39, 0x33800000
	v_add_f32_e32 v67, v67, v69
	v_cmp_lt_f32_e64 s[40:41], |v99|, s39
	v_add_f32_e32 v67, v80, v67
	s_or_b64 s[34:35], s[34:35], s[40:41]
	v_cndmask_b32_e64 v67, v67, v99, s[34:35]
	v_add_f32_e32 v67, v66, v67
.LBB492_284:
	s_or_b64 exec, exec, s[36:37]
	v_bfe_u32 v66, v67, 16, 1
	s_movk_i32 s40, 0x7fff
	v_add3_u32 v66, v67, v66, s40
	v_and_b32_e32 v68, 0xffff0000, v66
	v_mov_b32_e32 v66, 0x7fc00000
	v_cmp_o_f32_e64 s[34:35], v67, v67
	v_cndmask_b32_e64 v69, v66, v68, s[34:35]
	v_lshlrev_b32_sdwa v55, v55, v19 dst_sel:DWORD dst_unused:UNUSED_PAD src0_sel:DWORD src1_sel:WORD_0
	v_max_f32_e32 v68, v69, v69
	v_max_f32_e32 v67, v55, v55
	v_min_f32_e32 v70, v68, v67
	v_cmp_u_f32_e64 s[36:37], v69, v69
	v_max_f32_e32 v68, v68, v67
	v_cndmask_b32_e64 v70, v70, v69, s[36:37]
	v_cmp_u_f32_e64 s[34:35], v55, v55
	v_cndmask_b32_e64 v68, v68, v69, s[36:37]
	v_cndmask_b32_e64 v70, v70, v55, s[34:35]
	;; [unrolled: 1-line block ×3, first 2 shown]
	v_cmp_neq_f32_e64 s[36:37], v70, v68
	v_cmp_class_f32_e64 s[38:39], v70, s38
	s_or_b64 s[36:37], s[36:37], s[38:39]
	s_and_saveexec_b64 s[38:39], s[36:37]
	s_cbranch_execz .LBB492_286
; %bb.285:
	v_sub_f32_e32 v69, v70, v68
	s_mov_b32 s36, 0x3fb8aa3b
	v_mul_f32_e32 v70, 0x3fb8aa3b, v69
	v_fma_f32 v71, v69, s36, -v70
	v_rndne_f32_e32 v80, v70
	v_fmac_f32_e32 v71, 0x32a5705f, v69
	v_sub_f32_e32 v70, v70, v80
	v_add_f32_e32 v70, v70, v71
	v_exp_f32_e32 v70, v70
	v_cvt_i32_f32_e32 v71, v80
	s_mov_b32 s36, 0xc2ce8ed0
	v_cmp_ngt_f32_e64 s[36:37], s36, v69
	s_mov_b32 s41, 0x7f800000
	v_ldexp_f32 v70, v70, v71
	v_cndmask_b32_e64 v70, 0, v70, s[36:37]
	s_mov_b32 s36, 0x42b17218
	v_mov_b32_e32 v71, 0x7f800000
	v_cmp_nlt_f32_e64 s[36:37], s36, v69
	v_cndmask_b32_e64 v99, v71, v70, s[36:37]
	v_add_f32_e32 v69, 1.0, v99
	v_add_f32_e32 v70, -1.0, v69
	v_sub_f32_e32 v71, v70, v69
	v_add_f32_e32 v71, 1.0, v71
	v_sub_f32_e32 v70, v99, v70
	v_add_f32_e32 v80, v70, v71
	v_frexp_mant_f32_e32 v81, v69
	s_mov_b32 s36, 0x3f2aaaab
	v_cvt_f64_f32_e32 v[70:71], v69
	v_frexp_exp_i32_f64_e32 v70, v[70:71]
	v_cmp_gt_f32_e64 s[36:37], s36, v81
	v_subbrev_co_u32_e64 v86, s[36:37], 0, v70, s[36:37]
	v_sub_u32_e32 v70, 0, v86
	v_ldexp_f32 v69, v69, v70
	v_ldexp_f32 v70, v80, v70
	v_add_f32_e32 v80, -1.0, v69
	v_add_f32_e32 v71, 1.0, v80
	v_sub_f32_e32 v71, v69, v71
	v_add_f32_e32 v81, v70, v71
	v_add_f32_e32 v71, 1.0, v69
	v_add_f32_e32 v82, -1.0, v71
	v_sub_f32_e32 v69, v69, v82
	v_add_f32_e32 v69, v70, v69
	v_add_f32_e32 v87, v71, v69
	v_rcp_f32_e32 v100, v87
	v_sub_f32_e32 v70, v71, v87
	v_add_f32_e32 v71, v80, v81
	v_add_f32_e32 v69, v69, v70
	v_mul_f32_e32 v102, v71, v100
	v_sub_f32_e32 v70, v80, v71
	v_mul_f32_e32 v80, v87, v102
	v_fma_f32 v82, v102, v87, -v80
	v_fmac_f32_e32 v82, v102, v69
	v_add_f32_e32 v101, v81, v70
	v_add_f32_e32 v70, v80, v82
	v_sub_f32_e32 v81, v71, v70
	v_pk_add_f32 v[84:85], v[70:71], v[80:81] neg_lo:[0,1] neg_hi:[0,1]
	v_mov_b32_e32 v83, v70
	v_pk_add_f32 v[70:71], v[84:85], v[82:83] neg_lo:[0,1] neg_hi:[0,1]
	v_add_f32_e32 v71, v101, v71
	v_add_f32_e32 v70, v70, v71
	;; [unrolled: 1-line block ×3, first 2 shown]
	v_mul_f32_e32 v101, v100, v71
	v_mul_f32_e32 v80, v87, v101
	v_fma_f32 v82, v101, v87, -v80
	v_fmac_f32_e32 v82, v101, v69
	v_sub_f32_e32 v69, v81, v71
	v_add_f32_e32 v69, v70, v69
	v_add_f32_e32 v70, v80, v82
	v_sub_f32_e32 v81, v71, v70
	v_pk_add_f32 v[84:85], v[70:71], v[80:81] neg_lo:[0,1] neg_hi:[0,1]
	v_mov_b32_e32 v83, v70
	v_pk_add_f32 v[70:71], v[84:85], v[82:83] neg_lo:[0,1] neg_hi:[0,1]
	v_add_f32_e32 v69, v69, v71
	v_add_f32_e32 v69, v70, v69
	;; [unrolled: 1-line block ×4, first 2 shown]
	v_sub_f32_e32 v71, v70, v102
	v_mul_f32_e32 v69, v100, v69
	v_sub_f32_e32 v71, v101, v71
	v_add_f32_e32 v69, v71, v69
	v_add_f32_e32 v81, v70, v69
	v_mul_f32_e32 v82, v81, v81
	v_mov_b32_e32 v80, 0x3ecc95a3
	v_fmac_f32_e32 v80, 0x3e9b6dac, v82
	v_mov_b32_e32 v71, 0x3f2aaada
	v_fmac_f32_e32 v71, v82, v80
	v_cvt_f32_i32_e32 v80, v86
	v_sub_f32_e32 v70, v81, v70
	v_sub_f32_e32 v69, v69, v70
	v_ldexp_f32 v83, v81, 1
	v_mul_f32_e32 v81, v81, v82
	v_mov_b32_e32 v70, 0x3f317218
	s_mov_b32 s36, 0x3f317218
	v_pk_mul_f32 v[70:71], v[80:81], v[70:71]
	v_fma_f32 v82, v80, s36, -v70
	v_fmac_f32_e32 v82, 0xb102e308, v80
	v_pk_add_f32 v[80:81], v[70:71], v[82:83]
	v_sub_f32_e32 v83, v81, v83
	v_ldexp_f32 v69, v69, 1
	v_sub_f32_e32 v83, v71, v83
	v_add_f32_e32 v85, v69, v83
	v_mov_b32_e32 v84, v70
	v_pk_add_f32 v[70:71], v[80:81], v[70:71] neg_lo:[0,1] neg_hi:[0,1]
	v_pk_add_f32 v[86:87], v[80:81], v[84:85]
	v_mov_b32_e32 v71, v87
	v_mov_b32_e32 v83, v80
	v_pk_add_f32 v[100:101], v[82:83], v[70:71] neg_lo:[0,1] neg_hi:[0,1]
	v_pk_add_f32 v[70:71], v[82:83], v[70:71]
	v_mov_b32_e32 v82, v71
	v_pk_add_f32 v[102:103], v[82:83], v[80:81] neg_lo:[0,1] neg_hi:[0,1]
	v_mov_b32_e32 v69, v102
	v_pk_add_f32 v[112:113], v[86:87], v[68:69] neg_lo:[0,1] neg_hi:[0,1]
	v_mov_b32_e32 v70, v87
	v_mov_b32_e32 v86, v81
	;; [unrolled: 1-line block ×4, first 2 shown]
	v_pk_add_f32 v[70:71], v[70:71], v[86:87] neg_lo:[0,1] neg_hi:[0,1]
	v_mov_b32_e32 v84, v85
	v_mov_b32_e32 v85, v80
	v_pk_add_f32 v[70:71], v[84:85], v[70:71] neg_lo:[0,1] neg_hi:[0,1]
	v_mov_b32_e32 v112, v100
	v_pk_add_f32 v[80:81], v[112:113], v[70:71]
	v_mov_b32_e32 v84, v81
	v_pk_add_f32 v[84:85], v[80:81], v[84:85]
	v_pk_add_f32 v[82:83], v[82:83], v[84:85]
	v_mov_b32_e32 v81, v82
	v_pk_add_f32 v[86:87], v[80:81], v[100:101] neg_lo:[0,1] neg_hi:[0,1]
	v_mov_b32_e32 v71, v84
	v_sub_f32_e32 v69, v80, v86
	v_pk_add_f32 v[70:71], v[70:71], v[86:87] neg_lo:[0,1] neg_hi:[0,1]
	v_sub_f32_e32 v69, v100, v69
	v_add_f32_e32 v69, v70, v69
	v_cmp_eq_f32_e64 s[36:37], s41, v99
	s_mov_b32 s41, 0x33800000
	v_add_f32_e32 v69, v69, v71
	v_cmp_lt_f32_e64 s[42:43], |v99|, s41
	v_add_f32_e32 v69, v82, v69
	s_or_b64 s[36:37], s[36:37], s[42:43]
	v_cndmask_b32_e64 v69, v69, v99, s[36:37]
	v_add_f32_e32 v69, v68, v69
.LBB492_286:
	s_or_b64 exec, exec, s[38:39]
	v_bfe_u32 v68, v69, 16, 1
	v_add3_u32 v68, v69, v68, s40
	v_and_b32_e32 v68, 0xffff0000, v68
	v_cmp_o_f32_e64 s[36:37], v69, v69
	v_cndmask_b32_e64 v70, v66, v68, s[36:37]
	v_mov_b32_e32 v66, 16
	v_lshlrev_b32_sdwa v19, v66, v19 dst_sel:DWORD dst_unused:UNUSED_PAD src0_sel:DWORD src1_sel:WORD_1
	v_max_f32_e32 v69, v70, v70
	v_max_f32_e32 v68, v19, v19
	v_min_f32_e32 v71, v69, v68
	v_cmp_u_f32_e64 s[38:39], v70, v70
	v_max_f32_e32 v69, v69, v68
	v_cndmask_b32_e64 v71, v71, v70, s[38:39]
	v_cmp_u_f32_e64 s[36:37], v19, v19
	v_cndmask_b32_e64 v69, v69, v70, s[38:39]
	v_cndmask_b32_e64 v71, v71, v19, s[36:37]
	;; [unrolled: 1-line block ×3, first 2 shown]
	s_movk_i32 s42, 0x1f8
	v_cmp_neq_f32_e64 s[38:39], v71, v69
	v_cmp_class_f32_e64 s[40:41], v71, s42
	s_or_b64 s[38:39], s[38:39], s[40:41]
	s_and_saveexec_b64 s[40:41], s[38:39]
	s_cbranch_execz .LBB492_288
; %bb.287:
	v_sub_f32_e32 v70, v71, v69
	s_mov_b32 s38, 0x3fb8aa3b
	v_mul_f32_e32 v71, 0x3fb8aa3b, v70
	v_fma_f32 v80, v70, s38, -v71
	v_rndne_f32_e32 v81, v71
	v_fmac_f32_e32 v80, 0x32a5705f, v70
	v_sub_f32_e32 v71, v71, v81
	v_add_f32_e32 v71, v71, v80
	v_exp_f32_e32 v71, v71
	v_cvt_i32_f32_e32 v80, v81
	s_mov_b32 s38, 0xc2ce8ed0
	v_cmp_ngt_f32_e64 s[38:39], s38, v70
	s_mov_b32 s43, 0x7f800000
	v_ldexp_f32 v71, v71, v80
	v_cndmask_b32_e64 v71, 0, v71, s[38:39]
	s_mov_b32 s38, 0x42b17218
	v_mov_b32_e32 v80, 0x7f800000
	v_cmp_nlt_f32_e64 s[38:39], s38, v70
	v_cndmask_b32_e64 v99, v80, v71, s[38:39]
	v_add_f32_e32 v80, 1.0, v99
	v_add_f32_e32 v70, -1.0, v80
	v_sub_f32_e32 v71, v70, v80
	v_add_f32_e32 v71, 1.0, v71
	v_sub_f32_e32 v70, v99, v70
	v_add_f32_e32 v81, v70, v71
	v_frexp_mant_f32_e32 v82, v80
	s_mov_b32 s38, 0x3f2aaaab
	v_cvt_f64_f32_e32 v[70:71], v80
	v_frexp_exp_i32_f64_e32 v70, v[70:71]
	v_cmp_gt_f32_e64 s[38:39], s38, v82
	v_subbrev_co_u32_e64 v86, s[38:39], 0, v70, s[38:39]
	v_sub_u32_e32 v70, 0, v86
	v_ldexp_f32 v71, v80, v70
	v_add_f32_e32 v80, -1.0, v71
	v_add_f32_e32 v82, 1.0, v71
	v_ldexp_f32 v70, v81, v70
	v_add_f32_e32 v81, 1.0, v80
	v_add_f32_e32 v83, -1.0, v82
	v_sub_f32_e32 v81, v71, v81
	v_sub_f32_e32 v71, v71, v83
	v_add_f32_e32 v81, v70, v81
	v_add_f32_e32 v70, v70, v71
	;; [unrolled: 1-line block ×3, first 2 shown]
	v_rcp_f32_e32 v101, v87
	v_sub_f32_e32 v71, v82, v87
	v_add_f32_e32 v100, v70, v71
	v_add_f32_e32 v71, v80, v81
	v_mul_f32_e32 v103, v71, v101
	v_sub_f32_e32 v70, v80, v71
	v_mul_f32_e32 v80, v87, v103
	v_fma_f32 v82, v103, v87, -v80
	v_fmac_f32_e32 v82, v103, v100
	v_add_f32_e32 v102, v81, v70
	v_add_f32_e32 v70, v80, v82
	v_sub_f32_e32 v81, v71, v70
	v_pk_add_f32 v[84:85], v[70:71], v[80:81] neg_lo:[0,1] neg_hi:[0,1]
	v_mov_b32_e32 v83, v70
	v_pk_add_f32 v[70:71], v[84:85], v[82:83] neg_lo:[0,1] neg_hi:[0,1]
	v_add_f32_e32 v71, v102, v71
	v_add_f32_e32 v70, v70, v71
	v_add_f32_e32 v71, v81, v70
	v_mul_f32_e32 v102, v101, v71
	v_mul_f32_e32 v80, v87, v102
	v_fma_f32 v82, v102, v87, -v80
	v_fmac_f32_e32 v82, v102, v100
	v_sub_f32_e32 v81, v81, v71
	v_add_f32_e32 v87, v70, v81
	v_add_f32_e32 v70, v80, v82
	v_sub_f32_e32 v81, v71, v70
	v_pk_add_f32 v[84:85], v[70:71], v[80:81] neg_lo:[0,1] neg_hi:[0,1]
	v_mov_b32_e32 v83, v70
	v_pk_add_f32 v[70:71], v[84:85], v[82:83] neg_lo:[0,1] neg_hi:[0,1]
	v_add_f32_e32 v71, v87, v71
	v_add_f32_e32 v70, v70, v71
	v_add_f32_e32 v70, v81, v70
	v_add_f32_e32 v81, v103, v102
	v_sub_f32_e32 v71, v81, v103
	v_mul_f32_e32 v70, v101, v70
	v_sub_f32_e32 v71, v102, v71
	v_add_f32_e32 v70, v71, v70
	v_add_f32_e32 v82, v81, v70
	v_mul_f32_e32 v84, v82, v82
	v_mov_b32_e32 v80, 0x3ecc95a3
	v_fmac_f32_e32 v80, 0x3e9b6dac, v84
	v_mov_b32_e32 v71, 0x3f2aaada
	v_fmac_f32_e32 v71, v84, v80
	v_cvt_f32_i32_e32 v80, v86
	v_sub_f32_e32 v81, v82, v81
	v_sub_f32_e32 v70, v70, v81
	v_ldexp_f32 v85, v70, 1
	v_mul_f32_e32 v81, v82, v84
	v_mov_b32_e32 v70, 0x3f317218
	s_mov_b32 s38, 0x3f317218
	v_pk_mul_f32 v[70:71], v[80:81], v[70:71]
	v_ldexp_f32 v83, v82, 1
	v_fma_f32 v82, v80, s38, -v70
	v_fmac_f32_e32 v82, 0xb102e308, v80
	v_pk_add_f32 v[80:81], v[70:71], v[82:83]
	v_sub_f32_e32 v83, v81, v83
	v_sub_f32_e32 v83, v71, v83
	v_add_f32_e32 v85, v85, v83
	v_mov_b32_e32 v84, v70
	v_pk_add_f32 v[70:71], v[80:81], v[70:71] neg_lo:[0,1] neg_hi:[0,1]
	v_pk_add_f32 v[86:87], v[80:81], v[84:85]
	v_mov_b32_e32 v71, v87
	v_mov_b32_e32 v83, v80
	v_pk_add_f32 v[100:101], v[82:83], v[70:71] neg_lo:[0,1] neg_hi:[0,1]
	v_pk_add_f32 v[70:71], v[82:83], v[70:71]
	v_mov_b32_e32 v82, v71
	v_pk_add_f32 v[102:103], v[82:83], v[80:81] neg_lo:[0,1] neg_hi:[0,1]
	v_mov_b32_e32 v83, v102
	v_pk_add_f32 v[112:113], v[86:87], v[82:83] neg_lo:[0,1] neg_hi:[0,1]
	v_mov_b32_e32 v70, v87
	v_mov_b32_e32 v86, v81
	;; [unrolled: 1-line block ×4, first 2 shown]
	v_pk_add_f32 v[70:71], v[70:71], v[86:87] neg_lo:[0,1] neg_hi:[0,1]
	v_mov_b32_e32 v84, v85
	v_mov_b32_e32 v85, v80
	v_pk_add_f32 v[70:71], v[84:85], v[70:71] neg_lo:[0,1] neg_hi:[0,1]
	v_mov_b32_e32 v112, v100
	v_pk_add_f32 v[80:81], v[112:113], v[70:71]
	v_mov_b32_e32 v84, v81
	v_pk_add_f32 v[84:85], v[80:81], v[84:85]
	v_pk_add_f32 v[82:83], v[82:83], v[84:85]
	v_mov_b32_e32 v81, v82
	v_pk_add_f32 v[86:87], v[80:81], v[100:101] neg_lo:[0,1] neg_hi:[0,1]
	v_mov_b32_e32 v71, v84
	v_sub_f32_e32 v80, v80, v86
	v_pk_add_f32 v[70:71], v[70:71], v[86:87] neg_lo:[0,1] neg_hi:[0,1]
	v_sub_f32_e32 v80, v100, v80
	v_add_f32_e32 v70, v70, v80
	v_cmp_eq_f32_e64 s[38:39], s43, v99
	s_mov_b32 s43, 0x33800000
	v_add_f32_e32 v70, v70, v71
	v_cmp_lt_f32_e64 s[44:45], |v99|, s43
	v_add_f32_e32 v70, v82, v70
	s_or_b64 s[38:39], s[38:39], s[44:45]
	v_cndmask_b32_e64 v70, v70, v99, s[38:39]
	v_add_f32_e32 v70, v69, v70
.LBB492_288:
	s_or_b64 exec, exec, s[40:41]
	v_bfe_u32 v69, v70, 16, 1
	s_movk_i32 s44, 0x7fff
	v_add3_u32 v69, v70, v69, s44
	v_and_b32_e32 v71, 0xffff0000, v69
	v_mov_b32_e32 v69, 0x7fc00000
	v_cmp_o_f32_e64 s[38:39], v70, v70
	v_cndmask_b32_e64 v80, v69, v71, s[38:39]
	v_lshlrev_b32_sdwa v66, v66, v12 dst_sel:DWORD dst_unused:UNUSED_PAD src0_sel:DWORD src1_sel:WORD_0
	v_max_f32_e32 v71, v80, v80
	v_max_f32_e32 v70, v66, v66
	v_min_f32_e32 v81, v71, v70
	v_cmp_u_f32_e64 s[40:41], v80, v80
	v_max_f32_e32 v71, v71, v70
	v_cndmask_b32_e64 v81, v81, v80, s[40:41]
	v_cmp_u_f32_e64 s[38:39], v66, v66
	v_cndmask_b32_e64 v71, v71, v80, s[40:41]
	v_cndmask_b32_e64 v81, v81, v66, s[38:39]
	;; [unrolled: 1-line block ×3, first 2 shown]
	v_cmp_neq_f32_e64 s[40:41], v81, v71
	v_cmp_class_f32_e64 s[42:43], v81, s42
	s_or_b64 s[40:41], s[40:41], s[42:43]
	s_and_saveexec_b64 s[42:43], s[40:41]
	s_cbranch_execz .LBB492_290
; %bb.289:
	v_sub_f32_e32 v80, v81, v71
	s_mov_b32 s40, 0x3fb8aa3b
	v_mul_f32_e32 v81, 0x3fb8aa3b, v80
	v_fma_f32 v82, v80, s40, -v81
	v_rndne_f32_e32 v83, v81
	v_fmac_f32_e32 v82, 0x32a5705f, v80
	v_sub_f32_e32 v81, v81, v83
	v_add_f32_e32 v81, v81, v82
	v_exp_f32_e32 v81, v81
	v_cvt_i32_f32_e32 v82, v83
	s_mov_b32 s40, 0xc2ce8ed0
	v_cmp_ngt_f32_e64 s[40:41], s40, v80
	s_mov_b32 s45, 0x7f800000
	v_ldexp_f32 v81, v81, v82
	v_cndmask_b32_e64 v81, 0, v81, s[40:41]
	s_mov_b32 s40, 0x42b17218
	v_mov_b32_e32 v82, 0x7f800000
	v_cmp_nlt_f32_e64 s[40:41], s40, v80
	v_cndmask_b32_e64 v99, v82, v81, s[40:41]
	v_add_f32_e32 v82, 1.0, v99
	v_add_f32_e32 v80, -1.0, v82
	v_sub_f32_e32 v81, v80, v82
	v_add_f32_e32 v81, 1.0, v81
	v_sub_f32_e32 v80, v99, v80
	v_add_f32_e32 v83, v80, v81
	v_frexp_mant_f32_e32 v84, v82
	s_mov_b32 s40, 0x3f2aaaab
	v_cvt_f64_f32_e32 v[80:81], v82
	v_frexp_exp_i32_f64_e32 v80, v[80:81]
	v_cmp_gt_f32_e64 s[40:41], s40, v84
	v_subbrev_co_u32_e64 v100, s[40:41], 0, v80, s[40:41]
	v_sub_u32_e32 v80, 0, v100
	v_ldexp_f32 v81, v82, v80
	v_add_f32_e32 v82, -1.0, v81
	v_add_f32_e32 v84, 1.0, v81
	v_ldexp_f32 v80, v83, v80
	v_add_f32_e32 v83, 1.0, v82
	v_add_f32_e32 v85, -1.0, v84
	v_sub_f32_e32 v83, v81, v83
	v_sub_f32_e32 v81, v81, v85
	v_add_f32_e32 v83, v80, v83
	v_add_f32_e32 v80, v80, v81
	;; [unrolled: 1-line block ×3, first 2 shown]
	v_rcp_f32_e32 v103, v101
	v_sub_f32_e32 v81, v84, v101
	v_add_f32_e32 v102, v80, v81
	v_add_f32_e32 v81, v82, v83
	v_mul_f32_e32 v113, v81, v103
	v_sub_f32_e32 v80, v82, v81
	v_mul_f32_e32 v82, v101, v113
	v_fma_f32 v84, v113, v101, -v82
	v_fmac_f32_e32 v84, v113, v102
	v_add_f32_e32 v112, v83, v80
	v_add_f32_e32 v80, v82, v84
	v_sub_f32_e32 v83, v81, v80
	v_pk_add_f32 v[86:87], v[80:81], v[82:83] neg_lo:[0,1] neg_hi:[0,1]
	v_mov_b32_e32 v85, v80
	v_pk_add_f32 v[80:81], v[86:87], v[84:85] neg_lo:[0,1] neg_hi:[0,1]
	v_add_f32_e32 v81, v112, v81
	v_add_f32_e32 v80, v80, v81
	v_add_f32_e32 v81, v83, v80
	v_mul_f32_e32 v112, v103, v81
	v_mul_f32_e32 v82, v101, v112
	v_fma_f32 v84, v112, v101, -v82
	v_fmac_f32_e32 v84, v112, v102
	v_sub_f32_e32 v83, v83, v81
	v_add_f32_e32 v101, v80, v83
	v_add_f32_e32 v80, v82, v84
	v_sub_f32_e32 v83, v81, v80
	v_pk_add_f32 v[86:87], v[80:81], v[82:83] neg_lo:[0,1] neg_hi:[0,1]
	v_mov_b32_e32 v85, v80
	v_pk_add_f32 v[80:81], v[86:87], v[84:85] neg_lo:[0,1] neg_hi:[0,1]
	v_add_f32_e32 v81, v101, v81
	v_add_f32_e32 v80, v80, v81
	;; [unrolled: 1-line block ×4, first 2 shown]
	v_sub_f32_e32 v81, v83, v113
	v_mul_f32_e32 v80, v103, v80
	v_sub_f32_e32 v81, v112, v81
	v_add_f32_e32 v80, v81, v80
	v_add_f32_e32 v84, v83, v80
	v_mul_f32_e32 v86, v84, v84
	v_mov_b32_e32 v82, 0x3ecc95a3
	v_fmac_f32_e32 v82, 0x3e9b6dac, v86
	v_mov_b32_e32 v81, 0x3f2aaada
	v_fmac_f32_e32 v81, v86, v82
	v_cvt_f32_i32_e32 v82, v100
	v_sub_f32_e32 v83, v84, v83
	v_sub_f32_e32 v80, v80, v83
	v_ldexp_f32 v87, v80, 1
	v_mul_f32_e32 v83, v84, v86
	v_mov_b32_e32 v80, 0x3f317218
	s_mov_b32 s40, 0x3f317218
	v_pk_mul_f32 v[80:81], v[82:83], v[80:81]
	v_ldexp_f32 v85, v84, 1
	v_fma_f32 v84, v82, s40, -v80
	v_fmac_f32_e32 v84, 0xb102e308, v82
	v_pk_add_f32 v[82:83], v[80:81], v[84:85]
	v_sub_f32_e32 v85, v83, v85
	v_sub_f32_e32 v85, v81, v85
	v_add_f32_e32 v87, v87, v85
	v_mov_b32_e32 v86, v80
	v_pk_add_f32 v[80:81], v[82:83], v[80:81] neg_lo:[0,1] neg_hi:[0,1]
	v_pk_add_f32 v[100:101], v[82:83], v[86:87]
	v_mov_b32_e32 v81, v101
	v_mov_b32_e32 v85, v82
	v_pk_add_f32 v[102:103], v[84:85], v[80:81] neg_lo:[0,1] neg_hi:[0,1]
	v_pk_add_f32 v[80:81], v[84:85], v[80:81]
	v_mov_b32_e32 v84, v81
	v_pk_add_f32 v[112:113], v[84:85], v[82:83] neg_lo:[0,1] neg_hi:[0,1]
	v_mov_b32_e32 v85, v112
	v_pk_add_f32 v[114:115], v[100:101], v[84:85] neg_lo:[0,1] neg_hi:[0,1]
	v_mov_b32_e32 v80, v101
	v_mov_b32_e32 v100, v83
	;; [unrolled: 1-line block ×4, first 2 shown]
	v_pk_add_f32 v[80:81], v[80:81], v[100:101] neg_lo:[0,1] neg_hi:[0,1]
	v_mov_b32_e32 v86, v87
	v_mov_b32_e32 v87, v82
	v_pk_add_f32 v[80:81], v[86:87], v[80:81] neg_lo:[0,1] neg_hi:[0,1]
	v_mov_b32_e32 v114, v102
	v_pk_add_f32 v[82:83], v[114:115], v[80:81]
	v_mov_b32_e32 v86, v83
	v_pk_add_f32 v[86:87], v[82:83], v[86:87]
	v_pk_add_f32 v[84:85], v[84:85], v[86:87]
	v_mov_b32_e32 v83, v84
	v_pk_add_f32 v[100:101], v[82:83], v[102:103] neg_lo:[0,1] neg_hi:[0,1]
	v_mov_b32_e32 v81, v86
	v_sub_f32_e32 v82, v82, v100
	v_pk_add_f32 v[80:81], v[80:81], v[100:101] neg_lo:[0,1] neg_hi:[0,1]
	v_sub_f32_e32 v82, v102, v82
	v_add_f32_e32 v80, v80, v82
	v_cmp_eq_f32_e64 s[40:41], s45, v99
	s_mov_b32 s45, 0x33800000
	v_add_f32_e32 v80, v80, v81
	v_cmp_lt_f32_e64 s[46:47], |v99|, s45
	v_add_f32_e32 v80, v84, v80
	s_or_b64 s[40:41], s[40:41], s[46:47]
	v_cndmask_b32_e64 v80, v80, v99, s[40:41]
	v_add_f32_e32 v80, v71, v80
.LBB492_290:
	s_or_b64 exec, exec, s[42:43]
	v_bfe_u32 v71, v80, 16, 1
	v_add3_u32 v71, v80, v71, s44
	v_and_b32_e32 v71, 0xffff0000, v71
	v_cmp_o_f32_e64 s[40:41], v80, v80
	v_cndmask_b32_e64 v81, v69, v71, s[40:41]
	v_mov_b32_e32 v69, 16
	v_lshlrev_b32_sdwa v12, v69, v12 dst_sel:DWORD dst_unused:UNUSED_PAD src0_sel:DWORD src1_sel:WORD_1
	v_max_f32_e32 v80, v81, v81
	v_max_f32_e32 v71, v12, v12
	v_min_f32_e32 v82, v80, v71
	v_cmp_u_f32_e64 s[42:43], v81, v81
	v_max_f32_e32 v80, v80, v71
	v_cndmask_b32_e64 v82, v82, v81, s[42:43]
	v_cmp_u_f32_e64 s[40:41], v12, v12
	v_cndmask_b32_e64 v80, v80, v81, s[42:43]
	v_cndmask_b32_e64 v82, v82, v12, s[40:41]
	;; [unrolled: 1-line block ×3, first 2 shown]
	s_movk_i32 s46, 0x1f8
	v_cmp_neq_f32_e64 s[42:43], v82, v80
	v_cmp_class_f32_e64 s[44:45], v82, s46
	s_or_b64 s[42:43], s[42:43], s[44:45]
	s_and_saveexec_b64 s[44:45], s[42:43]
	s_cbranch_execz .LBB492_292
; %bb.291:
	v_sub_f32_e32 v81, v82, v80
	s_mov_b32 s42, 0x3fb8aa3b
	v_mul_f32_e32 v82, 0x3fb8aa3b, v81
	v_fma_f32 v83, v81, s42, -v82
	v_rndne_f32_e32 v84, v82
	v_fmac_f32_e32 v83, 0x32a5705f, v81
	v_sub_f32_e32 v82, v82, v84
	v_add_f32_e32 v82, v82, v83
	v_exp_f32_e32 v82, v82
	v_cvt_i32_f32_e32 v83, v84
	s_mov_b32 s42, 0xc2ce8ed0
	v_cmp_ngt_f32_e64 s[42:43], s42, v81
	s_mov_b32 s47, 0x7f800000
	v_ldexp_f32 v82, v82, v83
	v_cndmask_b32_e64 v82, 0, v82, s[42:43]
	s_mov_b32 s42, 0x42b17218
	v_mov_b32_e32 v83, 0x7f800000
	v_cmp_nlt_f32_e64 s[42:43], s42, v81
	v_cndmask_b32_e64 v99, v83, v82, s[42:43]
	v_add_f32_e32 v81, 1.0, v99
	v_add_f32_e32 v82, -1.0, v81
	v_sub_f32_e32 v83, v82, v81
	v_add_f32_e32 v83, 1.0, v83
	v_sub_f32_e32 v82, v99, v82
	v_add_f32_e32 v84, v82, v83
	v_frexp_mant_f32_e32 v85, v81
	s_mov_b32 s42, 0x3f2aaaab
	v_cvt_f64_f32_e32 v[82:83], v81
	v_frexp_exp_i32_f64_e32 v82, v[82:83]
	v_cmp_gt_f32_e64 s[42:43], s42, v85
	v_subbrev_co_u32_e64 v102, s[42:43], 0, v82, s[42:43]
	v_sub_u32_e32 v82, 0, v102
	v_ldexp_f32 v81, v81, v82
	v_ldexp_f32 v82, v84, v82
	v_add_f32_e32 v84, -1.0, v81
	v_add_f32_e32 v83, 1.0, v84
	v_sub_f32_e32 v83, v81, v83
	v_add_f32_e32 v85, v82, v83
	v_add_f32_e32 v83, 1.0, v81
	v_add_f32_e32 v86, -1.0, v83
	v_sub_f32_e32 v81, v81, v86
	v_add_f32_e32 v81, v82, v81
	v_add_f32_e32 v103, v83, v81
	v_rcp_f32_e32 v112, v103
	v_sub_f32_e32 v82, v83, v103
	v_add_f32_e32 v83, v84, v85
	v_add_f32_e32 v81, v81, v82
	v_mul_f32_e32 v114, v83, v112
	v_sub_f32_e32 v82, v84, v83
	v_mul_f32_e32 v84, v103, v114
	v_fma_f32 v86, v114, v103, -v84
	v_fmac_f32_e32 v86, v114, v81
	v_add_f32_e32 v113, v85, v82
	v_add_f32_e32 v82, v84, v86
	v_sub_f32_e32 v85, v83, v82
	v_pk_add_f32 v[100:101], v[82:83], v[84:85] neg_lo:[0,1] neg_hi:[0,1]
	v_mov_b32_e32 v87, v82
	v_pk_add_f32 v[82:83], v[100:101], v[86:87] neg_lo:[0,1] neg_hi:[0,1]
	v_add_f32_e32 v83, v113, v83
	v_add_f32_e32 v82, v82, v83
	;; [unrolled: 1-line block ×3, first 2 shown]
	v_mul_f32_e32 v113, v112, v83
	v_mul_f32_e32 v84, v103, v113
	v_fma_f32 v86, v113, v103, -v84
	v_fmac_f32_e32 v86, v113, v81
	v_sub_f32_e32 v81, v85, v83
	v_add_f32_e32 v81, v82, v81
	v_add_f32_e32 v82, v84, v86
	v_sub_f32_e32 v85, v83, v82
	v_pk_add_f32 v[100:101], v[82:83], v[84:85] neg_lo:[0,1] neg_hi:[0,1]
	v_mov_b32_e32 v87, v82
	v_pk_add_f32 v[82:83], v[100:101], v[86:87] neg_lo:[0,1] neg_hi:[0,1]
	v_add_f32_e32 v81, v81, v83
	v_add_f32_e32 v81, v82, v81
	;; [unrolled: 1-line block ×4, first 2 shown]
	v_sub_f32_e32 v83, v82, v114
	v_mul_f32_e32 v81, v112, v81
	v_sub_f32_e32 v83, v113, v83
	v_add_f32_e32 v81, v83, v81
	v_add_f32_e32 v85, v82, v81
	v_mul_f32_e32 v86, v85, v85
	v_mov_b32_e32 v84, 0x3ecc95a3
	v_fmac_f32_e32 v84, 0x3e9b6dac, v86
	v_mov_b32_e32 v83, 0x3f2aaada
	v_fmac_f32_e32 v83, v86, v84
	v_cvt_f32_i32_e32 v84, v102
	v_sub_f32_e32 v82, v85, v82
	v_sub_f32_e32 v81, v81, v82
	v_ldexp_f32 v87, v85, 1
	v_mul_f32_e32 v85, v85, v86
	v_mov_b32_e32 v82, 0x3f317218
	s_mov_b32 s42, 0x3f317218
	v_pk_mul_f32 v[82:83], v[84:85], v[82:83]
	v_fma_f32 v86, v84, s42, -v82
	v_fmac_f32_e32 v86, 0xb102e308, v84
	v_pk_add_f32 v[84:85], v[82:83], v[86:87]
	v_sub_f32_e32 v87, v85, v87
	v_ldexp_f32 v81, v81, 1
	v_sub_f32_e32 v87, v83, v87
	v_add_f32_e32 v101, v81, v87
	v_mov_b32_e32 v100, v82
	v_pk_add_f32 v[82:83], v[84:85], v[82:83] neg_lo:[0,1] neg_hi:[0,1]
	v_pk_add_f32 v[102:103], v[84:85], v[100:101]
	v_mov_b32_e32 v83, v103
	v_mov_b32_e32 v87, v84
	v_pk_add_f32 v[112:113], v[86:87], v[82:83] neg_lo:[0,1] neg_hi:[0,1]
	v_pk_add_f32 v[82:83], v[86:87], v[82:83]
	v_mov_b32_e32 v86, v83
	v_pk_add_f32 v[114:115], v[86:87], v[84:85] neg_lo:[0,1] neg_hi:[0,1]
	v_mov_b32_e32 v81, v114
	v_pk_add_f32 v[116:117], v[102:103], v[80:81] neg_lo:[0,1] neg_hi:[0,1]
	v_mov_b32_e32 v82, v103
	v_mov_b32_e32 v102, v85
	;; [unrolled: 1-line block ×4, first 2 shown]
	v_pk_add_f32 v[82:83], v[82:83], v[102:103] neg_lo:[0,1] neg_hi:[0,1]
	v_mov_b32_e32 v100, v101
	v_mov_b32_e32 v101, v84
	v_pk_add_f32 v[82:83], v[100:101], v[82:83] neg_lo:[0,1] neg_hi:[0,1]
	v_mov_b32_e32 v116, v112
	v_pk_add_f32 v[84:85], v[116:117], v[82:83]
	v_mov_b32_e32 v100, v85
	v_pk_add_f32 v[100:101], v[84:85], v[100:101]
	v_pk_add_f32 v[86:87], v[86:87], v[100:101]
	v_mov_b32_e32 v85, v86
	v_pk_add_f32 v[102:103], v[84:85], v[112:113] neg_lo:[0,1] neg_hi:[0,1]
	v_mov_b32_e32 v83, v100
	v_sub_f32_e32 v81, v84, v102
	v_pk_add_f32 v[82:83], v[82:83], v[102:103] neg_lo:[0,1] neg_hi:[0,1]
	v_sub_f32_e32 v81, v112, v81
	v_add_f32_e32 v81, v82, v81
	v_cmp_eq_f32_e64 s[42:43], s47, v99
	s_mov_b32 s47, 0x33800000
	v_add_f32_e32 v81, v81, v83
	v_cmp_lt_f32_e64 s[48:49], |v99|, s47
	v_add_f32_e32 v81, v86, v81
	s_or_b64 s[42:43], s[42:43], s[48:49]
	v_cndmask_b32_e64 v81, v81, v99, s[42:43]
	v_add_f32_e32 v81, v80, v81
.LBB492_292:
	s_or_b64 exec, exec, s[44:45]
	v_bfe_u32 v80, v81, 16, 1
	s_movk_i32 s48, 0x7fff
	v_add3_u32 v80, v81, v80, s48
	v_and_b32_e32 v82, 0xffff0000, v80
	v_mov_b32_e32 v80, 0x7fc00000
	v_cmp_o_f32_e64 s[42:43], v81, v81
	v_cndmask_b32_e64 v83, v80, v82, s[42:43]
	v_lshlrev_b32_sdwa v69, v69, v13 dst_sel:DWORD dst_unused:UNUSED_PAD src0_sel:DWORD src1_sel:WORD_0
	v_max_f32_e32 v82, v83, v83
	v_max_f32_e32 v81, v69, v69
	v_min_f32_e32 v84, v82, v81
	v_cmp_u_f32_e64 s[44:45], v83, v83
	v_max_f32_e32 v82, v82, v81
	v_cndmask_b32_e64 v84, v84, v83, s[44:45]
	v_cmp_u_f32_e64 s[42:43], v69, v69
	v_cndmask_b32_e64 v82, v82, v83, s[44:45]
	v_cndmask_b32_e64 v84, v84, v69, s[42:43]
	;; [unrolled: 1-line block ×3, first 2 shown]
	v_cmp_neq_f32_e64 s[44:45], v84, v82
	v_cmp_class_f32_e64 s[46:47], v84, s46
	s_or_b64 s[44:45], s[44:45], s[46:47]
	s_and_saveexec_b64 s[46:47], s[44:45]
	s_cbranch_execz .LBB492_294
; %bb.293:
	v_sub_f32_e32 v83, v84, v82
	s_mov_b32 s44, 0x3fb8aa3b
	v_mul_f32_e32 v84, 0x3fb8aa3b, v83
	v_fma_f32 v85, v83, s44, -v84
	v_rndne_f32_e32 v86, v84
	v_fmac_f32_e32 v85, 0x32a5705f, v83
	v_sub_f32_e32 v84, v84, v86
	v_add_f32_e32 v84, v84, v85
	v_exp_f32_e32 v84, v84
	v_cvt_i32_f32_e32 v85, v86
	s_mov_b32 s44, 0xc2ce8ed0
	v_cmp_ngt_f32_e64 s[44:45], s44, v83
	s_mov_b32 s49, 0x7f800000
	v_ldexp_f32 v84, v84, v85
	v_cndmask_b32_e64 v84, 0, v84, s[44:45]
	s_mov_b32 s44, 0x42b17218
	v_mov_b32_e32 v85, 0x7f800000
	v_cmp_nlt_f32_e64 s[44:45], s44, v83
	v_cndmask_b32_e64 v99, v85, v84, s[44:45]
	v_add_f32_e32 v83, 1.0, v99
	v_add_f32_e32 v84, -1.0, v83
	v_sub_f32_e32 v85, v84, v83
	v_add_f32_e32 v85, 1.0, v85
	v_sub_f32_e32 v84, v99, v84
	v_add_f32_e32 v86, v84, v85
	v_frexp_mant_f32_e32 v87, v83
	s_mov_b32 s44, 0x3f2aaaab
	v_cvt_f64_f32_e32 v[84:85], v83
	v_frexp_exp_i32_f64_e32 v84, v[84:85]
	v_cmp_gt_f32_e64 s[44:45], s44, v87
	v_subbrev_co_u32_e64 v112, s[44:45], 0, v84, s[44:45]
	v_sub_u32_e32 v84, 0, v112
	v_ldexp_f32 v83, v83, v84
	v_ldexp_f32 v84, v86, v84
	v_add_f32_e32 v86, -1.0, v83
	v_add_f32_e32 v85, 1.0, v86
	v_sub_f32_e32 v85, v83, v85
	v_add_f32_e32 v87, v84, v85
	v_add_f32_e32 v85, 1.0, v83
	v_add_f32_e32 v100, -1.0, v85
	v_sub_f32_e32 v83, v83, v100
	v_add_f32_e32 v83, v84, v83
	v_add_f32_e32 v113, v85, v83
	v_rcp_f32_e32 v114, v113
	v_sub_f32_e32 v84, v85, v113
	v_add_f32_e32 v85, v86, v87
	v_add_f32_e32 v83, v83, v84
	v_mul_f32_e32 v116, v85, v114
	v_sub_f32_e32 v84, v86, v85
	v_mul_f32_e32 v86, v113, v116
	v_fma_f32 v100, v116, v113, -v86
	v_fmac_f32_e32 v100, v116, v83
	v_add_f32_e32 v115, v87, v84
	v_add_f32_e32 v84, v86, v100
	v_sub_f32_e32 v87, v85, v84
	v_pk_add_f32 v[102:103], v[84:85], v[86:87] neg_lo:[0,1] neg_hi:[0,1]
	v_mov_b32_e32 v101, v84
	v_pk_add_f32 v[84:85], v[102:103], v[100:101] neg_lo:[0,1] neg_hi:[0,1]
	v_add_f32_e32 v85, v115, v85
	v_add_f32_e32 v84, v84, v85
	;; [unrolled: 1-line block ×3, first 2 shown]
	v_mul_f32_e32 v115, v114, v85
	v_mul_f32_e32 v86, v113, v115
	v_fma_f32 v100, v115, v113, -v86
	v_fmac_f32_e32 v100, v115, v83
	v_sub_f32_e32 v83, v87, v85
	v_add_f32_e32 v83, v84, v83
	v_add_f32_e32 v84, v86, v100
	v_sub_f32_e32 v87, v85, v84
	v_pk_add_f32 v[102:103], v[84:85], v[86:87] neg_lo:[0,1] neg_hi:[0,1]
	v_mov_b32_e32 v101, v84
	v_pk_add_f32 v[84:85], v[102:103], v[100:101] neg_lo:[0,1] neg_hi:[0,1]
	v_add_f32_e32 v83, v83, v85
	v_add_f32_e32 v83, v84, v83
	;; [unrolled: 1-line block ×4, first 2 shown]
	v_sub_f32_e32 v85, v84, v116
	v_mul_f32_e32 v83, v114, v83
	v_sub_f32_e32 v85, v115, v85
	v_add_f32_e32 v83, v85, v83
	v_add_f32_e32 v87, v84, v83
	v_mul_f32_e32 v100, v87, v87
	v_mov_b32_e32 v86, 0x3ecc95a3
	v_fmac_f32_e32 v86, 0x3e9b6dac, v100
	v_mov_b32_e32 v85, 0x3f2aaada
	v_fmac_f32_e32 v85, v100, v86
	v_cvt_f32_i32_e32 v86, v112
	v_sub_f32_e32 v84, v87, v84
	v_sub_f32_e32 v83, v83, v84
	v_ldexp_f32 v101, v87, 1
	v_mul_f32_e32 v87, v87, v100
	v_mov_b32_e32 v84, 0x3f317218
	s_mov_b32 s44, 0x3f317218
	v_pk_mul_f32 v[84:85], v[86:87], v[84:85]
	v_fma_f32 v100, v86, s44, -v84
	v_fmac_f32_e32 v100, 0xb102e308, v86
	v_pk_add_f32 v[86:87], v[84:85], v[100:101]
	v_sub_f32_e32 v101, v87, v101
	v_ldexp_f32 v83, v83, 1
	v_sub_f32_e32 v101, v85, v101
	v_add_f32_e32 v103, v83, v101
	v_mov_b32_e32 v102, v84
	v_pk_add_f32 v[84:85], v[86:87], v[84:85] neg_lo:[0,1] neg_hi:[0,1]
	v_pk_add_f32 v[112:113], v[86:87], v[102:103]
	v_mov_b32_e32 v85, v113
	v_mov_b32_e32 v101, v86
	v_pk_add_f32 v[114:115], v[100:101], v[84:85] neg_lo:[0,1] neg_hi:[0,1]
	v_pk_add_f32 v[84:85], v[100:101], v[84:85]
	v_mov_b32_e32 v100, v85
	v_pk_add_f32 v[116:117], v[100:101], v[86:87] neg_lo:[0,1] neg_hi:[0,1]
	v_mov_b32_e32 v83, v116
	v_pk_add_f32 v[118:119], v[112:113], v[82:83] neg_lo:[0,1] neg_hi:[0,1]
	v_mov_b32_e32 v84, v113
	v_mov_b32_e32 v112, v87
	;; [unrolled: 1-line block ×4, first 2 shown]
	v_pk_add_f32 v[84:85], v[84:85], v[112:113] neg_lo:[0,1] neg_hi:[0,1]
	v_mov_b32_e32 v102, v103
	v_mov_b32_e32 v103, v86
	v_pk_add_f32 v[84:85], v[102:103], v[84:85] neg_lo:[0,1] neg_hi:[0,1]
	v_mov_b32_e32 v118, v114
	v_pk_add_f32 v[86:87], v[118:119], v[84:85]
	v_mov_b32_e32 v102, v87
	v_pk_add_f32 v[102:103], v[86:87], v[102:103]
	v_pk_add_f32 v[100:101], v[100:101], v[102:103]
	v_mov_b32_e32 v87, v100
	v_pk_add_f32 v[112:113], v[86:87], v[114:115] neg_lo:[0,1] neg_hi:[0,1]
	v_mov_b32_e32 v85, v102
	v_sub_f32_e32 v83, v86, v112
	v_pk_add_f32 v[84:85], v[84:85], v[112:113] neg_lo:[0,1] neg_hi:[0,1]
	v_sub_f32_e32 v83, v114, v83
	v_add_f32_e32 v83, v84, v83
	v_cmp_eq_f32_e64 s[44:45], s49, v99
	s_mov_b32 s49, 0x33800000
	v_add_f32_e32 v83, v83, v85
	v_cmp_lt_f32_e64 s[50:51], |v99|, s49
	v_add_f32_e32 v83, v100, v83
	s_or_b64 s[44:45], s[44:45], s[50:51]
	v_cndmask_b32_e64 v83, v83, v99, s[44:45]
	v_add_f32_e32 v83, v82, v83
.LBB492_294:
	s_or_b64 exec, exec, s[46:47]
	v_bfe_u32 v82, v83, 16, 1
	v_add3_u32 v82, v83, v82, s48
	v_and_b32_e32 v82, 0xffff0000, v82
	v_cmp_o_f32_e64 s[44:45], v83, v83
	v_cndmask_b32_e64 v84, v80, v82, s[44:45]
	v_mov_b32_e32 v80, 16
	v_lshlrev_b32_sdwa v13, v80, v13 dst_sel:DWORD dst_unused:UNUSED_PAD src0_sel:DWORD src1_sel:WORD_1
	v_max_f32_e32 v83, v84, v84
	v_max_f32_e32 v82, v13, v13
	v_min_f32_e32 v85, v83, v82
	v_cmp_u_f32_e64 s[46:47], v84, v84
	v_max_f32_e32 v83, v83, v82
	v_cndmask_b32_e64 v85, v85, v84, s[46:47]
	v_cmp_u_f32_e64 s[44:45], v13, v13
	v_cndmask_b32_e64 v83, v83, v84, s[46:47]
	v_cndmask_b32_e64 v85, v85, v13, s[44:45]
	;; [unrolled: 1-line block ×3, first 2 shown]
	s_movk_i32 s50, 0x1f8
	v_cmp_neq_f32_e64 s[46:47], v85, v83
	v_cmp_class_f32_e64 s[48:49], v85, s50
	s_or_b64 s[46:47], s[46:47], s[48:49]
	s_and_saveexec_b64 s[48:49], s[46:47]
	s_cbranch_execz .LBB492_296
; %bb.295:
	v_sub_f32_e32 v84, v85, v83
	s_mov_b32 s46, 0x3fb8aa3b
	v_mul_f32_e32 v85, 0x3fb8aa3b, v84
	v_fma_f32 v86, v84, s46, -v85
	v_rndne_f32_e32 v87, v85
	v_fmac_f32_e32 v86, 0x32a5705f, v84
	v_sub_f32_e32 v85, v85, v87
	v_add_f32_e32 v85, v85, v86
	v_exp_f32_e32 v85, v85
	v_cvt_i32_f32_e32 v86, v87
	s_mov_b32 s46, 0xc2ce8ed0
	v_cmp_ngt_f32_e64 s[46:47], s46, v84
	s_mov_b32 s51, 0x7f800000
	v_ldexp_f32 v85, v85, v86
	v_cndmask_b32_e64 v85, 0, v85, s[46:47]
	s_mov_b32 s46, 0x42b17218
	v_mov_b32_e32 v86, 0x7f800000
	v_cmp_nlt_f32_e64 s[46:47], s46, v84
	v_cndmask_b32_e64 v128, v86, v85, s[46:47]
	v_add_f32_e32 v86, 1.0, v128
	v_add_f32_e32 v84, -1.0, v86
	v_sub_f32_e32 v85, v84, v86
	v_add_f32_e32 v85, 1.0, v85
	v_sub_f32_e32 v84, v128, v84
	v_add_f32_e32 v87, v84, v85
	v_frexp_mant_f32_e32 v99, v86
	s_mov_b32 s46, 0x3f2aaaab
	v_cvt_f64_f32_e32 v[84:85], v86
	v_frexp_exp_i32_f64_e32 v84, v[84:85]
	v_cmp_gt_f32_e64 s[46:47], s46, v99
	v_subbrev_co_u32_e64 v99, s[46:47], 0, v84, s[46:47]
	v_sub_u32_e32 v84, 0, v99
	v_ldexp_f32 v85, v86, v84
	v_add_f32_e32 v86, -1.0, v85
	v_add_f32_e32 v100, 1.0, v85
	v_ldexp_f32 v84, v87, v84
	v_add_f32_e32 v87, 1.0, v86
	v_add_f32_e32 v101, -1.0, v100
	v_sub_f32_e32 v87, v85, v87
	v_sub_f32_e32 v85, v85, v101
	v_add_f32_e32 v87, v84, v87
	v_add_f32_e32 v84, v84, v85
	;; [unrolled: 1-line block ×3, first 2 shown]
	v_rcp_f32_e32 v114, v112
	v_sub_f32_e32 v85, v100, v112
	v_add_f32_e32 v113, v84, v85
	v_add_f32_e32 v85, v86, v87
	v_mul_f32_e32 v116, v85, v114
	v_sub_f32_e32 v84, v86, v85
	v_mul_f32_e32 v86, v112, v116
	v_fma_f32 v100, v116, v112, -v86
	v_fmac_f32_e32 v100, v116, v113
	v_add_f32_e32 v115, v87, v84
	v_add_f32_e32 v84, v86, v100
	v_sub_f32_e32 v87, v85, v84
	v_pk_add_f32 v[102:103], v[84:85], v[86:87] neg_lo:[0,1] neg_hi:[0,1]
	v_mov_b32_e32 v101, v84
	v_pk_add_f32 v[84:85], v[102:103], v[100:101] neg_lo:[0,1] neg_hi:[0,1]
	v_add_f32_e32 v85, v115, v85
	v_add_f32_e32 v84, v84, v85
	;; [unrolled: 1-line block ×3, first 2 shown]
	v_mul_f32_e32 v115, v114, v85
	v_mul_f32_e32 v86, v112, v115
	v_fma_f32 v100, v115, v112, -v86
	v_fmac_f32_e32 v100, v115, v113
	v_sub_f32_e32 v87, v87, v85
	v_add_f32_e32 v112, v84, v87
	v_add_f32_e32 v84, v86, v100
	v_sub_f32_e32 v87, v85, v84
	v_pk_add_f32 v[102:103], v[84:85], v[86:87] neg_lo:[0,1] neg_hi:[0,1]
	v_mov_b32_e32 v101, v84
	v_pk_add_f32 v[84:85], v[102:103], v[100:101] neg_lo:[0,1] neg_hi:[0,1]
	v_add_f32_e32 v85, v112, v85
	v_add_f32_e32 v84, v84, v85
	;; [unrolled: 1-line block ×4, first 2 shown]
	v_sub_f32_e32 v85, v87, v116
	v_mul_f32_e32 v84, v114, v84
	v_sub_f32_e32 v85, v115, v85
	v_add_f32_e32 v84, v85, v84
	v_add_f32_e32 v100, v87, v84
	v_mul_f32_e32 v102, v100, v100
	v_mov_b32_e32 v86, 0x3ecc95a3
	v_fmac_f32_e32 v86, 0x3e9b6dac, v102
	v_mov_b32_e32 v85, 0x3f2aaada
	v_fmac_f32_e32 v85, v102, v86
	v_cvt_f32_i32_e32 v86, v99
	v_sub_f32_e32 v87, v100, v87
	v_sub_f32_e32 v84, v84, v87
	v_ldexp_f32 v99, v84, 1
	v_mul_f32_e32 v87, v100, v102
	v_mov_b32_e32 v84, 0x3f317218
	s_mov_b32 s46, 0x3f317218
	v_pk_mul_f32 v[84:85], v[86:87], v[84:85]
	v_ldexp_f32 v101, v100, 1
	v_fma_f32 v100, v86, s46, -v84
	v_fmac_f32_e32 v100, 0xb102e308, v86
	v_pk_add_f32 v[86:87], v[84:85], v[100:101]
	v_sub_f32_e32 v101, v87, v101
	v_sub_f32_e32 v101, v85, v101
	v_add_f32_e32 v103, v99, v101
	v_mov_b32_e32 v102, v84
	v_pk_add_f32 v[84:85], v[86:87], v[84:85] neg_lo:[0,1] neg_hi:[0,1]
	v_pk_add_f32 v[112:113], v[86:87], v[102:103]
	v_mov_b32_e32 v85, v113
	v_mov_b32_e32 v101, v86
	v_pk_add_f32 v[114:115], v[100:101], v[84:85] neg_lo:[0,1] neg_hi:[0,1]
	v_pk_add_f32 v[84:85], v[100:101], v[84:85]
	v_mov_b32_e32 v100, v85
	v_pk_add_f32 v[116:117], v[100:101], v[86:87] neg_lo:[0,1] neg_hi:[0,1]
	v_mov_b32_e32 v99, v116
	v_pk_add_f32 v[118:119], v[112:113], v[98:99] neg_lo:[0,1] neg_hi:[0,1]
	v_mov_b32_e32 v84, v113
	v_mov_b32_e32 v112, v87
	;; [unrolled: 1-line block ×4, first 2 shown]
	v_pk_add_f32 v[84:85], v[84:85], v[112:113] neg_lo:[0,1] neg_hi:[0,1]
	v_mov_b32_e32 v102, v103
	v_mov_b32_e32 v103, v86
	v_pk_add_f32 v[84:85], v[102:103], v[84:85] neg_lo:[0,1] neg_hi:[0,1]
	v_mov_b32_e32 v118, v114
	v_pk_add_f32 v[86:87], v[118:119], v[84:85]
	v_mov_b32_e32 v102, v87
	v_pk_add_f32 v[102:103], v[86:87], v[102:103]
	v_pk_add_f32 v[100:101], v[100:101], v[102:103]
	v_mov_b32_e32 v87, v100
	v_pk_add_f32 v[112:113], v[86:87], v[114:115] neg_lo:[0,1] neg_hi:[0,1]
	v_mov_b32_e32 v85, v102
	v_sub_f32_e32 v86, v86, v112
	v_pk_add_f32 v[84:85], v[84:85], v[112:113] neg_lo:[0,1] neg_hi:[0,1]
	v_sub_f32_e32 v86, v114, v86
	v_add_f32_e32 v84, v84, v86
	v_cmp_eq_f32_e64 s[46:47], s51, v128
	s_mov_b32 s51, 0x33800000
	v_add_f32_e32 v84, v84, v85
	v_cmp_lt_f32_e64 s[52:53], |v128|, s51
	v_add_f32_e32 v84, v100, v84
	s_or_b64 s[46:47], s[46:47], s[52:53]
	v_cndmask_b32_e64 v84, v84, v128, s[46:47]
	v_add_f32_e32 v84, v83, v84
.LBB492_296:
	s_or_b64 exec, exec, s[48:49]
	v_bfe_u32 v83, v84, 16, 1
	s_movk_i32 s52, 0x7fff
	v_add3_u32 v83, v84, v83, s52
	v_and_b32_e32 v85, 0xffff0000, v83
	v_mov_b32_e32 v83, 0x7fc00000
	v_cmp_o_f32_e64 s[46:47], v84, v84
	v_cndmask_b32_e64 v86, v83, v85, s[46:47]
	v_lshlrev_b32_sdwa v80, v80, v14 dst_sel:DWORD dst_unused:UNUSED_PAD src0_sel:DWORD src1_sel:WORD_0
	v_max_f32_e32 v85, v86, v86
	v_max_f32_e32 v84, v80, v80
	v_min_f32_e32 v87, v85, v84
	v_cmp_u_f32_e64 s[48:49], v86, v86
	v_max_f32_e32 v85, v85, v84
	v_cndmask_b32_e64 v87, v87, v86, s[48:49]
	v_cmp_u_f32_e64 s[46:47], v80, v80
	v_cndmask_b32_e64 v85, v85, v86, s[48:49]
	v_cndmask_b32_e64 v87, v87, v80, s[46:47]
	;; [unrolled: 1-line block ×3, first 2 shown]
	v_cmp_neq_f32_e64 s[48:49], v87, v85
	v_cmp_class_f32_e64 s[50:51], v87, s50
	s_or_b64 s[48:49], s[48:49], s[50:51]
	s_and_saveexec_b64 s[50:51], s[48:49]
	s_cbranch_execz .LBB492_298
; %bb.297:
	v_sub_f32_e32 v86, v87, v85
	s_mov_b32 s48, 0x3fb8aa3b
	v_mul_f32_e32 v87, 0x3fb8aa3b, v86
	v_fma_f32 v99, v86, s48, -v87
	v_rndne_f32_e32 v100, v87
	v_fmac_f32_e32 v99, 0x32a5705f, v86
	v_sub_f32_e32 v87, v87, v100
	v_add_f32_e32 v87, v87, v99
	v_exp_f32_e32 v87, v87
	v_cvt_i32_f32_e32 v99, v100
	s_mov_b32 s48, 0xc2ce8ed0
	v_cmp_ngt_f32_e64 s[48:49], s48, v86
	s_mov_b32 s53, 0x7f800000
	v_ldexp_f32 v87, v87, v99
	v_cndmask_b32_e64 v87, 0, v87, s[48:49]
	s_mov_b32 s48, 0x42b17218
	v_mov_b32_e32 v99, 0x7f800000
	v_cmp_nlt_f32_e64 s[48:49], s48, v86
	v_cndmask_b32_e64 v130, v99, v87, s[48:49]
	v_add_f32_e32 v99, 1.0, v130
	v_add_f32_e32 v86, -1.0, v99
	v_sub_f32_e32 v87, v86, v99
	v_add_f32_e32 v87, 1.0, v87
	v_sub_f32_e32 v86, v130, v86
	v_add_f32_e32 v100, v86, v87
	v_frexp_mant_f32_e32 v101, v99
	s_mov_b32 s48, 0x3f2aaaab
	v_cvt_f64_f32_e32 v[86:87], v99
	v_frexp_exp_i32_f64_e32 v86, v[86:87]
	v_cmp_gt_f32_e64 s[48:49], s48, v101
	v_subbrev_co_u32_e64 v114, s[48:49], 0, v86, s[48:49]
	v_sub_u32_e32 v86, 0, v114
	v_ldexp_f32 v87, v99, v86
	v_add_f32_e32 v99, -1.0, v87
	v_add_f32_e32 v101, 1.0, v87
	v_ldexp_f32 v86, v100, v86
	v_add_f32_e32 v100, 1.0, v99
	v_add_f32_e32 v102, -1.0, v101
	v_sub_f32_e32 v100, v87, v100
	v_sub_f32_e32 v87, v87, v102
	v_add_f32_e32 v100, v86, v100
	v_add_f32_e32 v86, v86, v87
	;; [unrolled: 1-line block ×3, first 2 shown]
	v_rcp_f32_e32 v117, v115
	v_sub_f32_e32 v87, v101, v115
	v_add_f32_e32 v116, v86, v87
	v_add_f32_e32 v87, v99, v100
	v_sub_f32_e32 v86, v99, v87
	v_mul_f32_e32 v118, v87, v117
	v_add_f32_e32 v99, v100, v86
	v_mul_f32_e32 v100, v115, v118
	v_fma_f32 v102, v118, v115, -v100
	v_fmac_f32_e32 v102, v118, v116
	v_add_f32_e32 v86, v100, v102
	v_sub_f32_e32 v101, v87, v86
	v_pk_add_f32 v[112:113], v[86:87], v[100:101] neg_lo:[0,1] neg_hi:[0,1]
	v_mov_b32_e32 v103, v86
	v_pk_add_f32 v[86:87], v[112:113], v[102:103] neg_lo:[0,1] neg_hi:[0,1]
	v_add_f32_e32 v87, v99, v87
	v_add_f32_e32 v86, v86, v87
	;; [unrolled: 1-line block ×3, first 2 shown]
	v_mul_f32_e32 v99, v117, v87
	v_mul_f32_e32 v100, v115, v99
	v_fma_f32 v102, v99, v115, -v100
	v_fmac_f32_e32 v102, v99, v116
	v_sub_f32_e32 v101, v101, v87
	v_add_f32_e32 v115, v86, v101
	v_add_f32_e32 v86, v100, v102
	v_sub_f32_e32 v101, v87, v86
	v_pk_add_f32 v[112:113], v[86:87], v[100:101] neg_lo:[0,1] neg_hi:[0,1]
	v_mov_b32_e32 v103, v86
	v_pk_add_f32 v[86:87], v[112:113], v[102:103] neg_lo:[0,1] neg_hi:[0,1]
	v_add_f32_e32 v87, v115, v87
	v_add_f32_e32 v86, v86, v87
	;; [unrolled: 1-line block ×4, first 2 shown]
	v_sub_f32_e32 v87, v101, v118
	v_mul_f32_e32 v86, v117, v86
	v_sub_f32_e32 v87, v99, v87
	v_add_f32_e32 v86, v87, v86
	v_add_f32_e32 v99, v101, v86
	v_mul_f32_e32 v102, v99, v99
	v_mov_b32_e32 v100, 0x3ecc95a3
	v_fmac_f32_e32 v100, 0x3e9b6dac, v102
	v_mov_b32_e32 v87, 0x3f2aaada
	v_fmac_f32_e32 v87, v102, v100
	v_cvt_f32_i32_e32 v100, v114
	v_sub_f32_e32 v101, v99, v101
	v_sub_f32_e32 v86, v86, v101
	v_ldexp_f32 v112, v86, 1
	v_mul_f32_e32 v101, v99, v102
	v_mov_b32_e32 v86, 0x3f317218
	s_mov_b32 s48, 0x3f317218
	v_pk_mul_f32 v[86:87], v[100:101], v[86:87]
	v_fma_f32 v102, v100, s48, -v86
	v_ldexp_f32 v103, v99, 1
	v_fmac_f32_e32 v102, 0xb102e308, v100
	v_pk_add_f32 v[100:101], v[86:87], v[102:103]
	v_sub_f32_e32 v99, v101, v103
	v_sub_f32_e32 v99, v87, v99
	v_add_f32_e32 v113, v112, v99
	v_mov_b32_e32 v112, v86
	v_pk_add_f32 v[86:87], v[100:101], v[86:87] neg_lo:[0,1] neg_hi:[0,1]
	v_pk_add_f32 v[114:115], v[100:101], v[112:113]
	v_mov_b32_e32 v87, v115
	v_mov_b32_e32 v103, v100
	v_pk_add_f32 v[116:117], v[102:103], v[86:87] neg_lo:[0,1] neg_hi:[0,1]
	v_pk_add_f32 v[86:87], v[102:103], v[86:87]
	v_mov_b32_e32 v102, v87
	v_pk_add_f32 v[118:119], v[102:103], v[100:101] neg_lo:[0,1] neg_hi:[0,1]
	v_mov_b32_e32 v99, v118
	v_pk_add_f32 v[128:129], v[114:115], v[98:99] neg_lo:[0,1] neg_hi:[0,1]
	v_mov_b32_e32 v86, v115
	v_mov_b32_e32 v114, v101
	;; [unrolled: 1-line block ×4, first 2 shown]
	v_pk_add_f32 v[86:87], v[86:87], v[114:115] neg_lo:[0,1] neg_hi:[0,1]
	v_mov_b32_e32 v112, v113
	v_mov_b32_e32 v113, v100
	v_pk_add_f32 v[86:87], v[112:113], v[86:87] neg_lo:[0,1] neg_hi:[0,1]
	v_mov_b32_e32 v128, v116
	v_pk_add_f32 v[100:101], v[128:129], v[86:87]
	v_mov_b32_e32 v112, v101
	v_pk_add_f32 v[112:113], v[100:101], v[112:113]
	v_pk_add_f32 v[102:103], v[102:103], v[112:113]
	v_mov_b32_e32 v101, v102
	v_pk_add_f32 v[114:115], v[100:101], v[116:117] neg_lo:[0,1] neg_hi:[0,1]
	v_mov_b32_e32 v87, v112
	v_sub_f32_e32 v99, v100, v114
	v_pk_add_f32 v[86:87], v[86:87], v[114:115] neg_lo:[0,1] neg_hi:[0,1]
	v_sub_f32_e32 v99, v116, v99
	v_add_f32_e32 v86, v86, v99
	v_cmp_eq_f32_e64 s[48:49], s53, v130
	s_mov_b32 s53, 0x33800000
	v_add_f32_e32 v86, v86, v87
	v_cmp_lt_f32_e64 s[56:57], |v130|, s53
	v_add_f32_e32 v86, v102, v86
	s_or_b64 s[48:49], s[48:49], s[56:57]
	v_cndmask_b32_e64 v86, v86, v130, s[48:49]
	v_add_f32_e32 v86, v85, v86
.LBB492_298:
	s_or_b64 exec, exec, s[50:51]
	v_bfe_u32 v85, v86, 16, 1
	v_add3_u32 v85, v86, v85, s52
	v_and_b32_e32 v85, 0xffff0000, v85
	v_cmp_o_f32_e64 s[48:49], v86, v86
	v_cndmask_b32_e64 v99, v83, v85, s[48:49]
	v_mov_b32_e32 v83, 16
	v_lshlrev_b32_sdwa v14, v83, v14 dst_sel:DWORD dst_unused:UNUSED_PAD src0_sel:DWORD src1_sel:WORD_1
	v_max_f32_e32 v86, v99, v99
	v_max_f32_e32 v85, v14, v14
	v_min_f32_e32 v87, v86, v85
	v_cmp_u_f32_e64 s[50:51], v99, v99
	v_max_f32_e32 v86, v86, v85
	v_cndmask_b32_e64 v87, v87, v99, s[50:51]
	v_cmp_u_f32_e64 s[48:49], v14, v14
	v_cndmask_b32_e64 v86, v86, v99, s[50:51]
	v_cndmask_b32_e64 v87, v87, v14, s[48:49]
	;; [unrolled: 1-line block ×3, first 2 shown]
	s_movk_i32 s56, 0x1f8
	v_cmp_neq_f32_e64 s[50:51], v87, v86
	v_cmp_class_f32_e64 s[52:53], v87, s56
	s_or_b64 s[50:51], s[50:51], s[52:53]
	s_and_saveexec_b64 s[52:53], s[50:51]
	s_cbranch_execz .LBB492_300
; %bb.299:
	v_sub_f32_e32 v87, v87, v86
	s_mov_b32 s50, 0x3fb8aa3b
	v_mul_f32_e32 v99, 0x3fb8aa3b, v87
	v_fma_f32 v100, v87, s50, -v99
	v_rndne_f32_e32 v101, v99
	v_fmac_f32_e32 v100, 0x32a5705f, v87
	v_sub_f32_e32 v99, v99, v101
	v_add_f32_e32 v99, v99, v100
	v_exp_f32_e32 v99, v99
	v_cvt_i32_f32_e32 v100, v101
	s_mov_b32 s50, 0xc2ce8ed0
	v_cmp_ngt_f32_e64 s[50:51], s50, v87
	s_mov_b32 s57, 0x7f800000
	v_ldexp_f32 v99, v99, v100
	v_cndmask_b32_e64 v99, 0, v99, s[50:51]
	s_mov_b32 s50, 0x42b17218
	v_mov_b32_e32 v100, 0x7f800000
	v_cmp_nlt_f32_e64 s[50:51], s50, v87
	v_cndmask_b32_e64 v99, v100, v99, s[50:51]
	v_add_f32_e32 v87, 1.0, v99
	v_add_f32_e32 v100, -1.0, v87
	v_sub_f32_e32 v101, v100, v87
	v_add_f32_e32 v101, 1.0, v101
	v_sub_f32_e32 v100, v99, v100
	v_add_f32_e32 v102, v100, v101
	v_frexp_mant_f32_e32 v103, v87
	s_mov_b32 s50, 0x3f2aaaab
	v_cvt_f64_f32_e32 v[100:101], v87
	v_frexp_exp_i32_f64_e32 v100, v[100:101]
	v_cmp_gt_f32_e64 s[50:51], s50, v103
	v_subbrev_co_u32_e64 v116, s[50:51], 0, v100, s[50:51]
	v_sub_u32_e32 v100, 0, v116
	v_ldexp_f32 v87, v87, v100
	v_ldexp_f32 v100, v102, v100
	v_add_f32_e32 v102, -1.0, v87
	v_add_f32_e32 v101, 1.0, v102
	v_sub_f32_e32 v101, v87, v101
	v_add_f32_e32 v103, v100, v101
	v_add_f32_e32 v101, 1.0, v87
	v_add_f32_e32 v112, -1.0, v101
	v_sub_f32_e32 v87, v87, v112
	v_add_f32_e32 v87, v100, v87
	v_add_f32_e32 v117, v101, v87
	v_rcp_f32_e32 v118, v117
	v_sub_f32_e32 v100, v101, v117
	v_add_f32_e32 v101, v102, v103
	v_add_f32_e32 v87, v87, v100
	v_mul_f32_e32 v128, v101, v118
	v_sub_f32_e32 v100, v102, v101
	v_mul_f32_e32 v102, v117, v128
	v_fma_f32 v112, v128, v117, -v102
	v_fmac_f32_e32 v112, v128, v87
	v_add_f32_e32 v119, v103, v100
	v_add_f32_e32 v100, v102, v112
	v_sub_f32_e32 v103, v101, v100
	v_pk_add_f32 v[114:115], v[100:101], v[102:103] neg_lo:[0,1] neg_hi:[0,1]
	v_mov_b32_e32 v113, v100
	v_pk_add_f32 v[100:101], v[114:115], v[112:113] neg_lo:[0,1] neg_hi:[0,1]
	v_add_f32_e32 v101, v119, v101
	v_add_f32_e32 v100, v100, v101
	;; [unrolled: 1-line block ×3, first 2 shown]
	v_mul_f32_e32 v119, v118, v101
	v_mul_f32_e32 v102, v117, v119
	v_fma_f32 v112, v119, v117, -v102
	v_fmac_f32_e32 v112, v119, v87
	v_sub_f32_e32 v87, v103, v101
	v_add_f32_e32 v87, v100, v87
	v_add_f32_e32 v100, v102, v112
	v_sub_f32_e32 v103, v101, v100
	v_pk_add_f32 v[114:115], v[100:101], v[102:103] neg_lo:[0,1] neg_hi:[0,1]
	v_mov_b32_e32 v113, v100
	v_pk_add_f32 v[100:101], v[114:115], v[112:113] neg_lo:[0,1] neg_hi:[0,1]
	v_add_f32_e32 v87, v87, v101
	v_add_f32_e32 v87, v100, v87
	;; [unrolled: 1-line block ×4, first 2 shown]
	v_sub_f32_e32 v101, v100, v128
	v_mul_f32_e32 v87, v118, v87
	v_sub_f32_e32 v101, v119, v101
	v_add_f32_e32 v87, v101, v87
	v_add_f32_e32 v103, v100, v87
	v_mul_f32_e32 v112, v103, v103
	v_mov_b32_e32 v102, 0x3ecc95a3
	v_fmac_f32_e32 v102, 0x3e9b6dac, v112
	v_mov_b32_e32 v101, 0x3f2aaada
	v_fmac_f32_e32 v101, v112, v102
	v_cvt_f32_i32_e32 v102, v116
	v_sub_f32_e32 v100, v103, v100
	v_sub_f32_e32 v87, v87, v100
	v_ldexp_f32 v113, v103, 1
	v_mul_f32_e32 v103, v103, v112
	v_mov_b32_e32 v100, 0x3f317218
	s_mov_b32 s50, 0x3f317218
	v_pk_mul_f32 v[100:101], v[102:103], v[100:101]
	v_fma_f32 v112, v102, s50, -v100
	v_fmac_f32_e32 v112, 0xb102e308, v102
	v_pk_add_f32 v[102:103], v[100:101], v[112:113]
	v_sub_f32_e32 v113, v103, v113
	v_ldexp_f32 v87, v87, 1
	v_sub_f32_e32 v113, v101, v113
	v_add_f32_e32 v115, v87, v113
	v_mov_b32_e32 v114, v100
	v_pk_add_f32 v[100:101], v[102:103], v[100:101] neg_lo:[0,1] neg_hi:[0,1]
	v_pk_add_f32 v[116:117], v[102:103], v[114:115]
	v_mov_b32_e32 v101, v117
	v_mov_b32_e32 v113, v102
	v_pk_add_f32 v[118:119], v[112:113], v[100:101] neg_lo:[0,1] neg_hi:[0,1]
	v_pk_add_f32 v[100:101], v[112:113], v[100:101]
	v_mov_b32_e32 v112, v101
	v_pk_add_f32 v[128:129], v[112:113], v[102:103] neg_lo:[0,1] neg_hi:[0,1]
	v_mov_b32_e32 v87, v128
	v_pk_add_f32 v[130:131], v[116:117], v[86:87] neg_lo:[0,1] neg_hi:[0,1]
	v_mov_b32_e32 v100, v117
	v_mov_b32_e32 v116, v103
	;; [unrolled: 1-line block ×4, first 2 shown]
	v_pk_add_f32 v[100:101], v[100:101], v[116:117] neg_lo:[0,1] neg_hi:[0,1]
	v_mov_b32_e32 v114, v115
	v_mov_b32_e32 v115, v102
	v_pk_add_f32 v[100:101], v[114:115], v[100:101] neg_lo:[0,1] neg_hi:[0,1]
	v_mov_b32_e32 v130, v118
	v_pk_add_f32 v[102:103], v[130:131], v[100:101]
	v_mov_b32_e32 v114, v103
	v_pk_add_f32 v[114:115], v[102:103], v[114:115]
	v_pk_add_f32 v[112:113], v[112:113], v[114:115]
	v_mov_b32_e32 v103, v112
	v_pk_add_f32 v[116:117], v[102:103], v[118:119] neg_lo:[0,1] neg_hi:[0,1]
	v_mov_b32_e32 v101, v114
	v_sub_f32_e32 v87, v102, v116
	v_pk_add_f32 v[100:101], v[100:101], v[116:117] neg_lo:[0,1] neg_hi:[0,1]
	v_sub_f32_e32 v87, v118, v87
	v_add_f32_e32 v87, v100, v87
	v_cmp_eq_f32_e64 s[50:51], s57, v99
	s_mov_b32 s57, 0x33800000
	v_add_f32_e32 v87, v87, v101
	v_cmp_lt_f32_e64 s[58:59], |v99|, s57
	v_add_f32_e32 v87, v112, v87
	s_or_b64 s[50:51], s[50:51], s[58:59]
	v_cndmask_b32_e64 v87, v87, v99, s[50:51]
	v_add_f32_e32 v99, v86, v87
.LBB492_300:
	s_or_b64 exec, exec, s[52:53]
	v_bfe_u32 v86, v99, 16, 1
	s_movk_i32 s58, 0x7fff
	v_add3_u32 v86, v99, v86, s58
	v_and_b32_e32 v86, 0xffff0000, v86
	v_mov_b32_e32 v87, 0x7fc00000
	v_cmp_o_f32_e64 s[50:51], v99, v99
	v_cndmask_b32_e64 v100, v87, v86, s[50:51]
	v_lshlrev_b32_sdwa v83, v83, v15 dst_sel:DWORD dst_unused:UNUSED_PAD src0_sel:DWORD src1_sel:WORD_0
	v_max_f32_e32 v99, v100, v100
	v_max_f32_e32 v86, v83, v83
	v_min_f32_e32 v101, v99, v86
	v_cmp_u_f32_e64 s[52:53], v100, v100
	v_max_f32_e32 v99, v99, v86
	v_cndmask_b32_e64 v101, v101, v100, s[52:53]
	v_cmp_u_f32_e64 s[50:51], v83, v83
	v_cndmask_b32_e64 v99, v99, v100, s[52:53]
	v_cndmask_b32_e64 v101, v101, v83, s[50:51]
	;; [unrolled: 1-line block ×3, first 2 shown]
	v_cmp_neq_f32_e64 s[52:53], v101, v99
	v_cmp_class_f32_e64 s[56:57], v101, s56
	s_or_b64 s[52:53], s[52:53], s[56:57]
	s_and_saveexec_b64 s[56:57], s[52:53]
	s_cbranch_execz .LBB492_302
; %bb.301:
	v_sub_f32_e32 v100, v101, v99
	s_mov_b32 s52, 0x3fb8aa3b
	v_mul_f32_e32 v101, 0x3fb8aa3b, v100
	v_fma_f32 v102, v100, s52, -v101
	v_rndne_f32_e32 v103, v101
	v_fmac_f32_e32 v102, 0x32a5705f, v100
	v_sub_f32_e32 v101, v101, v103
	v_add_f32_e32 v101, v101, v102
	v_exp_f32_e32 v101, v101
	v_cvt_i32_f32_e32 v102, v103
	s_mov_b32 s52, 0xc2ce8ed0
	v_cmp_ngt_f32_e64 s[52:53], s52, v100
	s_mov_b32 s59, 0x7f800000
	v_ldexp_f32 v101, v101, v102
	v_cndmask_b32_e64 v101, 0, v101, s[52:53]
	s_mov_b32 s52, 0x42b17218
	v_mov_b32_e32 v102, 0x7f800000
	v_cmp_nlt_f32_e64 s[52:53], s52, v100
	v_cndmask_b32_e64 v132, v102, v101, s[52:53]
	v_add_f32_e32 v102, 1.0, v132
	v_add_f32_e32 v100, -1.0, v102
	v_sub_f32_e32 v101, v100, v102
	v_add_f32_e32 v101, 1.0, v101
	v_sub_f32_e32 v100, v132, v100
	v_add_f32_e32 v103, v100, v101
	v_frexp_mant_f32_e32 v112, v102
	s_mov_b32 s52, 0x3f2aaaab
	v_cvt_f64_f32_e32 v[100:101], v102
	v_frexp_exp_i32_f64_e32 v100, v[100:101]
	v_cmp_gt_f32_e64 s[52:53], s52, v112
	v_subbrev_co_u32_e64 v116, s[52:53], 0, v100, s[52:53]
	v_sub_u32_e32 v100, 0, v116
	v_ldexp_f32 v101, v102, v100
	v_add_f32_e32 v102, -1.0, v101
	v_add_f32_e32 v112, 1.0, v101
	v_ldexp_f32 v100, v103, v100
	v_add_f32_e32 v103, 1.0, v102
	v_add_f32_e32 v113, -1.0, v112
	v_sub_f32_e32 v103, v101, v103
	v_sub_f32_e32 v101, v101, v113
	v_add_f32_e32 v103, v100, v103
	v_add_f32_e32 v100, v100, v101
	;; [unrolled: 1-line block ×3, first 2 shown]
	v_rcp_f32_e32 v119, v117
	v_sub_f32_e32 v101, v112, v117
	v_add_f32_e32 v118, v100, v101
	v_add_f32_e32 v101, v102, v103
	v_mul_f32_e32 v129, v101, v119
	v_sub_f32_e32 v100, v102, v101
	v_mul_f32_e32 v102, v117, v129
	v_fma_f32 v112, v129, v117, -v102
	v_fmac_f32_e32 v112, v129, v118
	v_add_f32_e32 v128, v103, v100
	v_add_f32_e32 v100, v102, v112
	v_sub_f32_e32 v103, v101, v100
	v_pk_add_f32 v[114:115], v[100:101], v[102:103] neg_lo:[0,1] neg_hi:[0,1]
	v_mov_b32_e32 v113, v100
	v_pk_add_f32 v[100:101], v[114:115], v[112:113] neg_lo:[0,1] neg_hi:[0,1]
	v_add_f32_e32 v101, v128, v101
	v_add_f32_e32 v100, v100, v101
	;; [unrolled: 1-line block ×3, first 2 shown]
	v_mul_f32_e32 v128, v119, v101
	v_mul_f32_e32 v102, v117, v128
	v_fma_f32 v112, v128, v117, -v102
	v_fmac_f32_e32 v112, v128, v118
	v_sub_f32_e32 v103, v103, v101
	v_add_f32_e32 v117, v100, v103
	v_add_f32_e32 v100, v102, v112
	v_sub_f32_e32 v103, v101, v100
	v_pk_add_f32 v[114:115], v[100:101], v[102:103] neg_lo:[0,1] neg_hi:[0,1]
	v_mov_b32_e32 v113, v100
	v_pk_add_f32 v[100:101], v[114:115], v[112:113] neg_lo:[0,1] neg_hi:[0,1]
	v_add_f32_e32 v101, v117, v101
	v_add_f32_e32 v100, v100, v101
	;; [unrolled: 1-line block ×4, first 2 shown]
	v_sub_f32_e32 v101, v103, v129
	v_mul_f32_e32 v100, v119, v100
	v_sub_f32_e32 v101, v128, v101
	v_add_f32_e32 v100, v101, v100
	v_add_f32_e32 v112, v103, v100
	v_mul_f32_e32 v114, v112, v112
	v_mov_b32_e32 v102, 0x3ecc95a3
	v_fmac_f32_e32 v102, 0x3e9b6dac, v114
	v_mov_b32_e32 v101, 0x3f2aaada
	v_fmac_f32_e32 v101, v114, v102
	v_cvt_f32_i32_e32 v102, v116
	v_sub_f32_e32 v103, v112, v103
	v_sub_f32_e32 v100, v100, v103
	v_ldexp_f32 v115, v100, 1
	v_mul_f32_e32 v103, v112, v114
	v_mov_b32_e32 v100, 0x3f317218
	s_mov_b32 s52, 0x3f317218
	v_pk_mul_f32 v[100:101], v[102:103], v[100:101]
	v_ldexp_f32 v113, v112, 1
	v_fma_f32 v112, v102, s52, -v100
	v_fmac_f32_e32 v112, 0xb102e308, v102
	v_pk_add_f32 v[102:103], v[100:101], v[112:113]
	v_sub_f32_e32 v113, v103, v113
	v_sub_f32_e32 v113, v101, v113
	v_add_f32_e32 v115, v115, v113
	v_mov_b32_e32 v114, v100
	v_pk_add_f32 v[100:101], v[102:103], v[100:101] neg_lo:[0,1] neg_hi:[0,1]
	v_pk_add_f32 v[116:117], v[102:103], v[114:115]
	v_mov_b32_e32 v101, v117
	v_mov_b32_e32 v113, v102
	v_pk_add_f32 v[118:119], v[112:113], v[100:101] neg_lo:[0,1] neg_hi:[0,1]
	v_pk_add_f32 v[100:101], v[112:113], v[100:101]
	v_mov_b32_e32 v112, v101
	v_pk_add_f32 v[128:129], v[112:113], v[102:103] neg_lo:[0,1] neg_hi:[0,1]
	v_mov_b32_e32 v113, v128
	v_pk_add_f32 v[130:131], v[116:117], v[112:113] neg_lo:[0,1] neg_hi:[0,1]
	v_mov_b32_e32 v100, v117
	v_mov_b32_e32 v116, v103
	;; [unrolled: 1-line block ×4, first 2 shown]
	v_pk_add_f32 v[100:101], v[100:101], v[116:117] neg_lo:[0,1] neg_hi:[0,1]
	v_mov_b32_e32 v114, v115
	v_mov_b32_e32 v115, v102
	v_pk_add_f32 v[100:101], v[114:115], v[100:101] neg_lo:[0,1] neg_hi:[0,1]
	v_mov_b32_e32 v130, v118
	v_pk_add_f32 v[102:103], v[130:131], v[100:101]
	v_mov_b32_e32 v114, v103
	v_pk_add_f32 v[114:115], v[102:103], v[114:115]
	v_pk_add_f32 v[112:113], v[112:113], v[114:115]
	v_mov_b32_e32 v103, v112
	v_pk_add_f32 v[116:117], v[102:103], v[118:119] neg_lo:[0,1] neg_hi:[0,1]
	v_mov_b32_e32 v101, v114
	v_sub_f32_e32 v102, v102, v116
	v_pk_add_f32 v[100:101], v[100:101], v[116:117] neg_lo:[0,1] neg_hi:[0,1]
	v_sub_f32_e32 v102, v118, v102
	v_add_f32_e32 v100, v100, v102
	v_cmp_eq_f32_e64 s[52:53], s59, v132
	s_mov_b32 s59, 0x33800000
	v_add_f32_e32 v100, v100, v101
	v_cmp_lt_f32_e64 s[60:61], |v132|, s59
	v_add_f32_e32 v100, v112, v100
	s_or_b64 s[52:53], s[52:53], s[60:61]
	v_cndmask_b32_e64 v100, v100, v132, s[52:53]
	v_add_f32_e32 v100, v99, v100
.LBB492_302:
	s_or_b64 exec, exec, s[56:57]
	v_bfe_u32 v99, v100, 16, 1
	v_add3_u32 v99, v100, v99, s58
	v_and_b32_e32 v99, 0xffff0000, v99
	v_cmp_o_f32_e64 s[52:53], v100, v100
	v_cndmask_b32_e64 v100, v87, v99, s[52:53]
	v_mov_b32_e32 v87, 16
	v_lshlrev_b32_sdwa v15, v87, v15 dst_sel:DWORD dst_unused:UNUSED_PAD src0_sel:DWORD src1_sel:WORD_1
	v_max_f32_e32 v99, v100, v100
	v_max_f32_e32 v87, v15, v15
	v_min_f32_e32 v101, v99, v87
	v_cmp_u_f32_e64 s[56:57], v100, v100
	v_max_f32_e32 v99, v99, v87
	v_cndmask_b32_e64 v101, v101, v100, s[56:57]
	v_cmp_u_f32_e64 s[52:53], v15, v15
	v_cndmask_b32_e64 v99, v99, v100, s[56:57]
	v_cndmask_b32_e64 v101, v101, v15, s[52:53]
	;; [unrolled: 1-line block ×3, first 2 shown]
	s_movk_i32 s58, 0x1f8
	v_cmp_neq_f32_e64 s[56:57], v101, v99
	v_cmp_class_f32_e64 s[58:59], v101, s58
	s_or_b64 s[56:57], s[56:57], s[58:59]
	s_and_saveexec_b64 s[58:59], s[56:57]
	s_cbranch_execz .LBB492_304
; %bb.303:
	v_sub_f32_e32 v100, v101, v99
	s_mov_b32 s56, 0x3fb8aa3b
	v_mul_f32_e32 v101, 0x3fb8aa3b, v100
	v_fma_f32 v102, v100, s56, -v101
	v_rndne_f32_e32 v103, v101
	v_fmac_f32_e32 v102, 0x32a5705f, v100
	v_sub_f32_e32 v101, v101, v103
	v_add_f32_e32 v101, v101, v102
	v_exp_f32_e32 v101, v101
	v_cvt_i32_f32_e32 v102, v103
	s_mov_b32 s56, 0xc2ce8ed0
	v_cmp_ngt_f32_e64 s[56:57], s56, v100
	s_mov_b32 s60, 0x7f800000
	v_ldexp_f32 v101, v101, v102
	v_cndmask_b32_e64 v101, 0, v101, s[56:57]
	s_mov_b32 s56, 0x42b17218
	v_mov_b32_e32 v102, 0x7f800000
	v_cmp_nlt_f32_e64 s[56:57], s56, v100
	v_cndmask_b32_e64 v132, v102, v101, s[56:57]
	v_add_f32_e32 v102, 1.0, v132
	v_add_f32_e32 v100, -1.0, v102
	v_sub_f32_e32 v101, v100, v102
	v_add_f32_e32 v101, 1.0, v101
	v_sub_f32_e32 v100, v132, v100
	v_add_f32_e32 v103, v100, v101
	v_frexp_mant_f32_e32 v112, v102
	s_mov_b32 s56, 0x3f2aaaab
	v_cvt_f64_f32_e32 v[100:101], v102
	v_frexp_exp_i32_f64_e32 v100, v[100:101]
	v_cmp_gt_f32_e64 s[56:57], s56, v112
	v_subbrev_co_u32_e64 v116, s[56:57], 0, v100, s[56:57]
	v_sub_u32_e32 v100, 0, v116
	v_ldexp_f32 v101, v102, v100
	v_add_f32_e32 v102, -1.0, v101
	v_add_f32_e32 v112, 1.0, v101
	v_ldexp_f32 v100, v103, v100
	v_add_f32_e32 v103, 1.0, v102
	v_add_f32_e32 v113, -1.0, v112
	v_sub_f32_e32 v103, v101, v103
	v_sub_f32_e32 v101, v101, v113
	v_add_f32_e32 v103, v100, v103
	v_add_f32_e32 v100, v100, v101
	;; [unrolled: 1-line block ×3, first 2 shown]
	v_rcp_f32_e32 v119, v117
	v_sub_f32_e32 v101, v112, v117
	v_add_f32_e32 v118, v100, v101
	v_add_f32_e32 v101, v102, v103
	v_mul_f32_e32 v129, v101, v119
	v_sub_f32_e32 v100, v102, v101
	v_mul_f32_e32 v102, v117, v129
	v_fma_f32 v112, v129, v117, -v102
	v_fmac_f32_e32 v112, v129, v118
	v_add_f32_e32 v128, v103, v100
	v_add_f32_e32 v100, v102, v112
	v_sub_f32_e32 v103, v101, v100
	v_pk_add_f32 v[114:115], v[100:101], v[102:103] neg_lo:[0,1] neg_hi:[0,1]
	v_mov_b32_e32 v113, v100
	v_pk_add_f32 v[100:101], v[114:115], v[112:113] neg_lo:[0,1] neg_hi:[0,1]
	v_add_f32_e32 v101, v128, v101
	v_add_f32_e32 v100, v100, v101
	;; [unrolled: 1-line block ×3, first 2 shown]
	v_mul_f32_e32 v128, v119, v101
	v_mul_f32_e32 v102, v117, v128
	v_fma_f32 v112, v128, v117, -v102
	v_fmac_f32_e32 v112, v128, v118
	v_sub_f32_e32 v103, v103, v101
	v_add_f32_e32 v117, v100, v103
	v_add_f32_e32 v100, v102, v112
	v_sub_f32_e32 v103, v101, v100
	v_pk_add_f32 v[114:115], v[100:101], v[102:103] neg_lo:[0,1] neg_hi:[0,1]
	v_mov_b32_e32 v113, v100
	v_pk_add_f32 v[100:101], v[114:115], v[112:113] neg_lo:[0,1] neg_hi:[0,1]
	v_add_f32_e32 v101, v117, v101
	v_add_f32_e32 v100, v100, v101
	;; [unrolled: 1-line block ×4, first 2 shown]
	v_sub_f32_e32 v101, v103, v129
	v_mul_f32_e32 v100, v119, v100
	v_sub_f32_e32 v101, v128, v101
	v_add_f32_e32 v100, v101, v100
	v_add_f32_e32 v112, v103, v100
	v_mul_f32_e32 v114, v112, v112
	v_mov_b32_e32 v102, 0x3ecc95a3
	v_fmac_f32_e32 v102, 0x3e9b6dac, v114
	v_mov_b32_e32 v101, 0x3f2aaada
	v_fmac_f32_e32 v101, v114, v102
	v_cvt_f32_i32_e32 v102, v116
	v_sub_f32_e32 v103, v112, v103
	v_sub_f32_e32 v100, v100, v103
	v_ldexp_f32 v115, v100, 1
	v_mul_f32_e32 v103, v112, v114
	v_mov_b32_e32 v100, 0x3f317218
	s_mov_b32 s56, 0x3f317218
	v_pk_mul_f32 v[100:101], v[102:103], v[100:101]
	v_ldexp_f32 v113, v112, 1
	v_fma_f32 v112, v102, s56, -v100
	v_fmac_f32_e32 v112, 0xb102e308, v102
	v_pk_add_f32 v[102:103], v[100:101], v[112:113]
	v_sub_f32_e32 v113, v103, v113
	v_sub_f32_e32 v113, v101, v113
	v_add_f32_e32 v115, v115, v113
	v_mov_b32_e32 v114, v100
	v_pk_add_f32 v[100:101], v[102:103], v[100:101] neg_lo:[0,1] neg_hi:[0,1]
	v_pk_add_f32 v[116:117], v[102:103], v[114:115]
	v_mov_b32_e32 v101, v117
	v_mov_b32_e32 v113, v102
	v_pk_add_f32 v[118:119], v[112:113], v[100:101] neg_lo:[0,1] neg_hi:[0,1]
	v_pk_add_f32 v[100:101], v[112:113], v[100:101]
	v_mov_b32_e32 v112, v101
	v_pk_add_f32 v[128:129], v[112:113], v[102:103] neg_lo:[0,1] neg_hi:[0,1]
	v_mov_b32_e32 v113, v128
	v_pk_add_f32 v[130:131], v[116:117], v[112:113] neg_lo:[0,1] neg_hi:[0,1]
	v_mov_b32_e32 v100, v117
	v_mov_b32_e32 v116, v103
	;; [unrolled: 1-line block ×4, first 2 shown]
	v_pk_add_f32 v[100:101], v[100:101], v[116:117] neg_lo:[0,1] neg_hi:[0,1]
	v_mov_b32_e32 v114, v115
	v_mov_b32_e32 v115, v102
	v_pk_add_f32 v[100:101], v[114:115], v[100:101] neg_lo:[0,1] neg_hi:[0,1]
	v_mov_b32_e32 v130, v118
	v_pk_add_f32 v[102:103], v[130:131], v[100:101]
	v_mov_b32_e32 v114, v103
	v_pk_add_f32 v[114:115], v[102:103], v[114:115]
	v_pk_add_f32 v[112:113], v[112:113], v[114:115]
	v_mov_b32_e32 v103, v112
	v_pk_add_f32 v[116:117], v[102:103], v[118:119] neg_lo:[0,1] neg_hi:[0,1]
	v_mov_b32_e32 v101, v114
	v_sub_f32_e32 v102, v102, v116
	v_pk_add_f32 v[100:101], v[100:101], v[116:117] neg_lo:[0,1] neg_hi:[0,1]
	v_sub_f32_e32 v102, v118, v102
	v_add_f32_e32 v100, v100, v102
	v_cmp_eq_f32_e64 s[56:57], s60, v132
	s_mov_b32 s60, 0x33800000
	v_add_f32_e32 v100, v100, v101
	v_cmp_lt_f32_e64 s[60:61], |v132|, s60
	v_add_f32_e32 v100, v112, v100
	s_or_b64 s[56:57], s[56:57], s[60:61]
	v_cndmask_b32_e64 v100, v100, v132, s[56:57]
	v_add_f32_e32 v100, v99, v100
.LBB492_304:
	s_or_b64 exec, exec, s[58:59]
	v_bfe_u32 v99, v100, 16, 1
	s_movk_i32 s56, 0x7fff
	v_add3_u32 v99, v100, v99, s56
	v_lshrrev_b32_e32 v99, 16, v99
	v_mov_b32_e32 v101, 0x7fc0
	v_cmp_o_f32_e64 s[56:57], v100, v100
	v_cndmask_b32_e64 v101, v101, v99, s[56:57]
	v_mbcnt_lo_u32_b32 v99, -1, 0
	v_mbcnt_hi_u32_b32 v99, -1, v99
	v_and_b32_e32 v100, 15, v99
	v_and_b32_e32 v102, 0xffff, v101
	v_cmp_ne_u32_e64 s[56:57], 0, v100
	s_nop 0
	v_mov_b32_dpp v103, v102 row_shr:1 row_mask:0xf bank_mask:0xf
	s_and_saveexec_b64 s[60:61], s[56:57]
	s_cbranch_execz .LBB492_308
; %bb.305:
	v_lshlrev_b32_e32 v103, 16, v103
	v_lshlrev_b32_e32 v101, 16, v102
	v_max_f32_e32 v112, v101, v101
	v_max_f32_e32 v113, v103, v103
	v_min_f32_e32 v102, v113, v112
	v_cmp_u_f32_e64 s[56:57], v103, v103
	v_max_f32_e32 v112, v113, v112
	v_cndmask_b32_e64 v102, v102, v103, s[56:57]
	v_cmp_u_f32_e64 s[58:59], v101, v101
	v_cndmask_b32_e64 v112, v112, v103, s[56:57]
	v_cndmask_b32_e64 v102, v102, v101, s[58:59]
	;; [unrolled: 1-line block ×3, first 2 shown]
	s_movk_i32 s58, 0x1f8
	v_cmp_neq_f32_e64 s[56:57], v102, v101
	v_cmp_class_f32_e64 s[58:59], v102, s58
	s_or_b64 s[56:57], s[56:57], s[58:59]
	s_and_saveexec_b64 s[58:59], s[56:57]
	s_cbranch_execz .LBB492_307
; %bb.306:
	v_sub_f32_e32 v102, v102, v101
	s_mov_b32 s56, 0x3fb8aa3b
	v_mul_f32_e32 v103, 0x3fb8aa3b, v102
	v_fma_f32 v112, v102, s56, -v103
	v_rndne_f32_e32 v113, v103
	v_fmac_f32_e32 v112, 0x32a5705f, v102
	v_sub_f32_e32 v103, v103, v113
	v_add_f32_e32 v103, v103, v112
	v_exp_f32_e32 v103, v103
	v_cvt_i32_f32_e32 v112, v113
	s_mov_b32 s56, 0xc2ce8ed0
	v_cmp_ngt_f32_e64 s[56:57], s56, v102
	s_mov_b32 s64, 0x7f800000
	v_ldexp_f32 v103, v103, v112
	v_cndmask_b32_e64 v103, 0, v103, s[56:57]
	s_mov_b32 s56, 0x42b17218
	v_mov_b32_e32 v112, 0x7f800000
	v_cmp_nlt_f32_e64 s[56:57], s56, v102
	v_cndmask_b32_e64 v134, v112, v103, s[56:57]
	v_add_f32_e32 v112, 1.0, v134
	v_add_f32_e32 v102, -1.0, v112
	v_sub_f32_e32 v103, v102, v112
	v_add_f32_e32 v103, 1.0, v103
	v_sub_f32_e32 v102, v134, v102
	v_add_f32_e32 v113, v102, v103
	v_frexp_mant_f32_e32 v114, v112
	s_mov_b32 s56, 0x3f2aaaab
	v_cvt_f64_f32_e32 v[102:103], v112
	v_frexp_exp_i32_f64_e32 v102, v[102:103]
	v_cmp_gt_f32_e64 s[56:57], s56, v114
	v_subbrev_co_u32_e64 v118, s[56:57], 0, v102, s[56:57]
	v_sub_u32_e32 v102, 0, v118
	v_ldexp_f32 v103, v112, v102
	v_add_f32_e32 v112, -1.0, v103
	v_add_f32_e32 v114, 1.0, v103
	v_ldexp_f32 v102, v113, v102
	v_add_f32_e32 v113, 1.0, v112
	v_add_f32_e32 v115, -1.0, v114
	v_sub_f32_e32 v113, v103, v113
	v_sub_f32_e32 v103, v103, v115
	v_add_f32_e32 v113, v102, v113
	v_add_f32_e32 v102, v102, v103
	;; [unrolled: 1-line block ×3, first 2 shown]
	v_rcp_f32_e32 v129, v119
	v_sub_f32_e32 v103, v114, v119
	v_add_f32_e32 v128, v102, v103
	v_add_f32_e32 v103, v112, v113
	v_mul_f32_e32 v131, v103, v129
	v_sub_f32_e32 v102, v112, v103
	v_mul_f32_e32 v112, v119, v131
	v_fma_f32 v114, v131, v119, -v112
	v_fmac_f32_e32 v114, v131, v128
	v_add_f32_e32 v130, v113, v102
	v_add_f32_e32 v102, v112, v114
	v_sub_f32_e32 v113, v103, v102
	v_pk_add_f32 v[116:117], v[102:103], v[112:113] neg_lo:[0,1] neg_hi:[0,1]
	v_mov_b32_e32 v115, v102
	v_pk_add_f32 v[102:103], v[116:117], v[114:115] neg_lo:[0,1] neg_hi:[0,1]
	v_add_f32_e32 v103, v130, v103
	v_add_f32_e32 v102, v102, v103
	;; [unrolled: 1-line block ×3, first 2 shown]
	v_mul_f32_e32 v130, v129, v103
	v_mul_f32_e32 v112, v119, v130
	v_fma_f32 v114, v130, v119, -v112
	v_fmac_f32_e32 v114, v130, v128
	v_sub_f32_e32 v113, v113, v103
	v_add_f32_e32 v119, v102, v113
	v_add_f32_e32 v102, v112, v114
	v_sub_f32_e32 v113, v103, v102
	v_pk_add_f32 v[116:117], v[102:103], v[112:113] neg_lo:[0,1] neg_hi:[0,1]
	v_mov_b32_e32 v115, v102
	v_pk_add_f32 v[102:103], v[116:117], v[114:115] neg_lo:[0,1] neg_hi:[0,1]
	v_add_f32_e32 v103, v119, v103
	v_add_f32_e32 v102, v102, v103
	;; [unrolled: 1-line block ×4, first 2 shown]
	v_sub_f32_e32 v103, v113, v131
	v_mul_f32_e32 v102, v129, v102
	v_sub_f32_e32 v103, v130, v103
	v_add_f32_e32 v102, v103, v102
	v_add_f32_e32 v114, v113, v102
	v_mul_f32_e32 v116, v114, v114
	v_mov_b32_e32 v112, 0x3ecc95a3
	v_fmac_f32_e32 v112, 0x3e9b6dac, v116
	v_mov_b32_e32 v103, 0x3f2aaada
	v_fmac_f32_e32 v103, v116, v112
	v_cvt_f32_i32_e32 v112, v118
	v_sub_f32_e32 v113, v114, v113
	v_sub_f32_e32 v102, v102, v113
	v_ldexp_f32 v117, v102, 1
	v_mul_f32_e32 v113, v114, v116
	v_mov_b32_e32 v102, 0x3f317218
	s_mov_b32 s56, 0x3f317218
	v_pk_mul_f32 v[102:103], v[112:113], v[102:103]
	v_ldexp_f32 v115, v114, 1
	v_fma_f32 v114, v112, s56, -v102
	v_fmac_f32_e32 v114, 0xb102e308, v112
	v_pk_add_f32 v[112:113], v[102:103], v[114:115]
	v_sub_f32_e32 v115, v113, v115
	v_sub_f32_e32 v115, v103, v115
	v_add_f32_e32 v117, v117, v115
	v_mov_b32_e32 v116, v102
	v_pk_add_f32 v[102:103], v[112:113], v[102:103] neg_lo:[0,1] neg_hi:[0,1]
	v_pk_add_f32 v[118:119], v[112:113], v[116:117]
	v_mov_b32_e32 v103, v119
	v_mov_b32_e32 v115, v112
	v_pk_add_f32 v[128:129], v[114:115], v[102:103] neg_lo:[0,1] neg_hi:[0,1]
	v_pk_add_f32 v[102:103], v[114:115], v[102:103]
	v_mov_b32_e32 v114, v103
	v_pk_add_f32 v[130:131], v[114:115], v[112:113] neg_lo:[0,1] neg_hi:[0,1]
	v_mov_b32_e32 v115, v130
	v_pk_add_f32 v[132:133], v[118:119], v[114:115] neg_lo:[0,1] neg_hi:[0,1]
	v_mov_b32_e32 v102, v119
	v_mov_b32_e32 v118, v113
	;; [unrolled: 1-line block ×4, first 2 shown]
	v_pk_add_f32 v[102:103], v[102:103], v[118:119] neg_lo:[0,1] neg_hi:[0,1]
	v_mov_b32_e32 v116, v117
	v_mov_b32_e32 v117, v112
	v_pk_add_f32 v[102:103], v[116:117], v[102:103] neg_lo:[0,1] neg_hi:[0,1]
	v_mov_b32_e32 v132, v128
	v_pk_add_f32 v[112:113], v[132:133], v[102:103]
	v_mov_b32_e32 v116, v113
	v_pk_add_f32 v[116:117], v[112:113], v[116:117]
	v_pk_add_f32 v[114:115], v[114:115], v[116:117]
	v_mov_b32_e32 v113, v114
	v_pk_add_f32 v[118:119], v[112:113], v[128:129] neg_lo:[0,1] neg_hi:[0,1]
	v_mov_b32_e32 v103, v116
	v_sub_f32_e32 v112, v112, v118
	v_pk_add_f32 v[102:103], v[102:103], v[118:119] neg_lo:[0,1] neg_hi:[0,1]
	v_sub_f32_e32 v112, v128, v112
	v_add_f32_e32 v102, v102, v112
	v_cmp_eq_f32_e64 s[56:57], s64, v134
	s_mov_b32 s64, 0x33800000
	v_add_f32_e32 v102, v102, v103
	v_cmp_lt_f32_e64 s[64:65], |v134|, s64
	v_add_f32_e32 v102, v114, v102
	s_or_b64 s[56:57], s[56:57], s[64:65]
	v_cndmask_b32_e64 v102, v102, v134, s[56:57]
	v_add_f32_e32 v103, v101, v102
.LBB492_307:
	s_or_b64 exec, exec, s[58:59]
	v_bfe_u32 v101, v103, 16, 1
	s_movk_i32 s56, 0x7fff
	v_add3_u32 v101, v103, v101, s56
	v_lshrrev_b32_e32 v101, 16, v101
	v_mov_b32_e32 v102, 0x7fc0
	v_cmp_o_f32_e64 s[56:57], v103, v103
	v_cndmask_b32_e64 v101, v102, v101, s[56:57]
	v_and_b32_e32 v102, 0xffff, v101
.LBB492_308:
	s_or_b64 exec, exec, s[60:61]
	s_nop 0
	v_mov_b32_dpp v103, v102 row_shr:2 row_mask:0xf bank_mask:0xf
	v_cmp_lt_u32_e64 s[56:57], 1, v100
	s_and_saveexec_b64 s[60:61], s[56:57]
	s_cbranch_execz .LBB492_312
; %bb.309:
	v_lshlrev_b32_e32 v103, 16, v103
	v_lshlrev_b32_e32 v101, 16, v102
	v_max_f32_e32 v112, v101, v101
	v_max_f32_e32 v113, v103, v103
	v_min_f32_e32 v102, v113, v112
	v_cmp_u_f32_e64 s[56:57], v103, v103
	v_max_f32_e32 v112, v113, v112
	v_cndmask_b32_e64 v102, v102, v103, s[56:57]
	v_cmp_u_f32_e64 s[58:59], v101, v101
	v_cndmask_b32_e64 v112, v112, v103, s[56:57]
	v_cndmask_b32_e64 v102, v102, v101, s[58:59]
	;; [unrolled: 1-line block ×3, first 2 shown]
	s_movk_i32 s58, 0x1f8
	v_cmp_neq_f32_e64 s[56:57], v102, v101
	v_cmp_class_f32_e64 s[58:59], v102, s58
	s_or_b64 s[56:57], s[56:57], s[58:59]
	s_and_saveexec_b64 s[58:59], s[56:57]
	s_cbranch_execz .LBB492_311
; %bb.310:
	v_sub_f32_e32 v102, v102, v101
	s_mov_b32 s56, 0x3fb8aa3b
	v_mul_f32_e32 v103, 0x3fb8aa3b, v102
	v_fma_f32 v112, v102, s56, -v103
	v_rndne_f32_e32 v113, v103
	v_fmac_f32_e32 v112, 0x32a5705f, v102
	v_sub_f32_e32 v103, v103, v113
	v_add_f32_e32 v103, v103, v112
	v_exp_f32_e32 v103, v103
	v_cvt_i32_f32_e32 v112, v113
	s_mov_b32 s56, 0xc2ce8ed0
	v_cmp_ngt_f32_e64 s[56:57], s56, v102
	s_mov_b32 s64, 0x7f800000
	v_ldexp_f32 v103, v103, v112
	v_cndmask_b32_e64 v103, 0, v103, s[56:57]
	s_mov_b32 s56, 0x42b17218
	v_mov_b32_e32 v112, 0x7f800000
	v_cmp_nlt_f32_e64 s[56:57], s56, v102
	v_cndmask_b32_e64 v134, v112, v103, s[56:57]
	v_add_f32_e32 v112, 1.0, v134
	v_add_f32_e32 v102, -1.0, v112
	v_sub_f32_e32 v103, v102, v112
	v_add_f32_e32 v103, 1.0, v103
	v_sub_f32_e32 v102, v134, v102
	v_add_f32_e32 v113, v102, v103
	v_frexp_mant_f32_e32 v114, v112
	s_mov_b32 s56, 0x3f2aaaab
	v_cvt_f64_f32_e32 v[102:103], v112
	v_frexp_exp_i32_f64_e32 v102, v[102:103]
	v_cmp_gt_f32_e64 s[56:57], s56, v114
	v_subbrev_co_u32_e64 v118, s[56:57], 0, v102, s[56:57]
	v_sub_u32_e32 v102, 0, v118
	v_ldexp_f32 v103, v112, v102
	v_add_f32_e32 v112, -1.0, v103
	v_add_f32_e32 v114, 1.0, v103
	v_ldexp_f32 v102, v113, v102
	v_add_f32_e32 v113, 1.0, v112
	v_add_f32_e32 v115, -1.0, v114
	v_sub_f32_e32 v113, v103, v113
	v_sub_f32_e32 v103, v103, v115
	v_add_f32_e32 v113, v102, v113
	v_add_f32_e32 v102, v102, v103
	v_add_f32_e32 v119, v114, v102
	v_rcp_f32_e32 v129, v119
	v_sub_f32_e32 v103, v114, v119
	v_add_f32_e32 v128, v102, v103
	v_add_f32_e32 v103, v112, v113
	v_mul_f32_e32 v131, v103, v129
	v_sub_f32_e32 v102, v112, v103
	v_mul_f32_e32 v112, v119, v131
	v_fma_f32 v114, v131, v119, -v112
	v_fmac_f32_e32 v114, v131, v128
	v_add_f32_e32 v130, v113, v102
	v_add_f32_e32 v102, v112, v114
	v_sub_f32_e32 v113, v103, v102
	v_pk_add_f32 v[116:117], v[102:103], v[112:113] neg_lo:[0,1] neg_hi:[0,1]
	v_mov_b32_e32 v115, v102
	v_pk_add_f32 v[102:103], v[116:117], v[114:115] neg_lo:[0,1] neg_hi:[0,1]
	v_add_f32_e32 v103, v130, v103
	v_add_f32_e32 v102, v102, v103
	;; [unrolled: 1-line block ×3, first 2 shown]
	v_mul_f32_e32 v130, v129, v103
	v_mul_f32_e32 v112, v119, v130
	v_fma_f32 v114, v130, v119, -v112
	v_fmac_f32_e32 v114, v130, v128
	v_sub_f32_e32 v113, v113, v103
	v_add_f32_e32 v119, v102, v113
	v_add_f32_e32 v102, v112, v114
	v_sub_f32_e32 v113, v103, v102
	v_pk_add_f32 v[116:117], v[102:103], v[112:113] neg_lo:[0,1] neg_hi:[0,1]
	v_mov_b32_e32 v115, v102
	v_pk_add_f32 v[102:103], v[116:117], v[114:115] neg_lo:[0,1] neg_hi:[0,1]
	v_add_f32_e32 v103, v119, v103
	v_add_f32_e32 v102, v102, v103
	;; [unrolled: 1-line block ×4, first 2 shown]
	v_sub_f32_e32 v103, v113, v131
	v_mul_f32_e32 v102, v129, v102
	v_sub_f32_e32 v103, v130, v103
	v_add_f32_e32 v102, v103, v102
	v_add_f32_e32 v114, v113, v102
	v_mul_f32_e32 v116, v114, v114
	v_mov_b32_e32 v112, 0x3ecc95a3
	v_fmac_f32_e32 v112, 0x3e9b6dac, v116
	v_mov_b32_e32 v103, 0x3f2aaada
	v_fmac_f32_e32 v103, v116, v112
	v_cvt_f32_i32_e32 v112, v118
	v_sub_f32_e32 v113, v114, v113
	v_sub_f32_e32 v102, v102, v113
	v_ldexp_f32 v117, v102, 1
	v_mul_f32_e32 v113, v114, v116
	v_mov_b32_e32 v102, 0x3f317218
	s_mov_b32 s56, 0x3f317218
	v_pk_mul_f32 v[102:103], v[112:113], v[102:103]
	v_ldexp_f32 v115, v114, 1
	v_fma_f32 v114, v112, s56, -v102
	v_fmac_f32_e32 v114, 0xb102e308, v112
	v_pk_add_f32 v[112:113], v[102:103], v[114:115]
	v_sub_f32_e32 v115, v113, v115
	v_sub_f32_e32 v115, v103, v115
	v_add_f32_e32 v117, v117, v115
	v_mov_b32_e32 v116, v102
	v_pk_add_f32 v[102:103], v[112:113], v[102:103] neg_lo:[0,1] neg_hi:[0,1]
	v_pk_add_f32 v[118:119], v[112:113], v[116:117]
	v_mov_b32_e32 v103, v119
	v_mov_b32_e32 v115, v112
	v_pk_add_f32 v[128:129], v[114:115], v[102:103] neg_lo:[0,1] neg_hi:[0,1]
	v_pk_add_f32 v[102:103], v[114:115], v[102:103]
	v_mov_b32_e32 v114, v103
	v_pk_add_f32 v[130:131], v[114:115], v[112:113] neg_lo:[0,1] neg_hi:[0,1]
	v_mov_b32_e32 v115, v130
	v_pk_add_f32 v[132:133], v[118:119], v[114:115] neg_lo:[0,1] neg_hi:[0,1]
	v_mov_b32_e32 v102, v119
	v_mov_b32_e32 v118, v113
	;; [unrolled: 1-line block ×4, first 2 shown]
	v_pk_add_f32 v[102:103], v[102:103], v[118:119] neg_lo:[0,1] neg_hi:[0,1]
	v_mov_b32_e32 v116, v117
	v_mov_b32_e32 v117, v112
	v_pk_add_f32 v[102:103], v[116:117], v[102:103] neg_lo:[0,1] neg_hi:[0,1]
	v_mov_b32_e32 v132, v128
	v_pk_add_f32 v[112:113], v[132:133], v[102:103]
	v_mov_b32_e32 v116, v113
	v_pk_add_f32 v[116:117], v[112:113], v[116:117]
	v_pk_add_f32 v[114:115], v[114:115], v[116:117]
	v_mov_b32_e32 v113, v114
	v_pk_add_f32 v[118:119], v[112:113], v[128:129] neg_lo:[0,1] neg_hi:[0,1]
	v_mov_b32_e32 v103, v116
	v_sub_f32_e32 v112, v112, v118
	v_pk_add_f32 v[102:103], v[102:103], v[118:119] neg_lo:[0,1] neg_hi:[0,1]
	v_sub_f32_e32 v112, v128, v112
	v_add_f32_e32 v102, v102, v112
	v_cmp_eq_f32_e64 s[56:57], s64, v134
	s_mov_b32 s64, 0x33800000
	v_add_f32_e32 v102, v102, v103
	v_cmp_lt_f32_e64 s[64:65], |v134|, s64
	v_add_f32_e32 v102, v114, v102
	s_or_b64 s[56:57], s[56:57], s[64:65]
	v_cndmask_b32_e64 v102, v102, v134, s[56:57]
	v_add_f32_e32 v103, v101, v102
.LBB492_311:
	s_or_b64 exec, exec, s[58:59]
	v_bfe_u32 v101, v103, 16, 1
	s_movk_i32 s56, 0x7fff
	v_add3_u32 v101, v103, v101, s56
	v_lshrrev_b32_e32 v101, 16, v101
	v_mov_b32_e32 v102, 0x7fc0
	v_cmp_o_f32_e64 s[56:57], v103, v103
	v_cndmask_b32_e64 v101, v102, v101, s[56:57]
	v_and_b32_e32 v102, 0xffff, v101
.LBB492_312:
	s_or_b64 exec, exec, s[60:61]
	s_nop 0
	v_mov_b32_dpp v103, v102 row_shr:4 row_mask:0xf bank_mask:0xf
	v_cmp_lt_u32_e64 s[56:57], 3, v100
	s_and_saveexec_b64 s[60:61], s[56:57]
	s_cbranch_execz .LBB492_316
; %bb.313:
	v_lshlrev_b32_e32 v103, 16, v103
	v_lshlrev_b32_e32 v101, 16, v102
	v_max_f32_e32 v112, v101, v101
	v_max_f32_e32 v113, v103, v103
	v_min_f32_e32 v102, v113, v112
	v_cmp_u_f32_e64 s[56:57], v103, v103
	v_max_f32_e32 v112, v113, v112
	v_cndmask_b32_e64 v102, v102, v103, s[56:57]
	v_cmp_u_f32_e64 s[58:59], v101, v101
	v_cndmask_b32_e64 v112, v112, v103, s[56:57]
	v_cndmask_b32_e64 v102, v102, v101, s[58:59]
	;; [unrolled: 1-line block ×3, first 2 shown]
	s_movk_i32 s58, 0x1f8
	v_cmp_neq_f32_e64 s[56:57], v102, v101
	v_cmp_class_f32_e64 s[58:59], v102, s58
	s_or_b64 s[56:57], s[56:57], s[58:59]
	s_and_saveexec_b64 s[58:59], s[56:57]
	s_cbranch_execz .LBB492_315
; %bb.314:
	v_sub_f32_e32 v102, v102, v101
	s_mov_b32 s56, 0x3fb8aa3b
	v_mul_f32_e32 v103, 0x3fb8aa3b, v102
	v_fma_f32 v112, v102, s56, -v103
	v_rndne_f32_e32 v113, v103
	v_fmac_f32_e32 v112, 0x32a5705f, v102
	v_sub_f32_e32 v103, v103, v113
	v_add_f32_e32 v103, v103, v112
	v_exp_f32_e32 v103, v103
	v_cvt_i32_f32_e32 v112, v113
	s_mov_b32 s56, 0xc2ce8ed0
	v_cmp_ngt_f32_e64 s[56:57], s56, v102
	s_mov_b32 s64, 0x7f800000
	v_ldexp_f32 v103, v103, v112
	v_cndmask_b32_e64 v103, 0, v103, s[56:57]
	s_mov_b32 s56, 0x42b17218
	v_mov_b32_e32 v112, 0x7f800000
	v_cmp_nlt_f32_e64 s[56:57], s56, v102
	v_cndmask_b32_e64 v134, v112, v103, s[56:57]
	v_add_f32_e32 v112, 1.0, v134
	v_add_f32_e32 v102, -1.0, v112
	v_sub_f32_e32 v103, v102, v112
	v_add_f32_e32 v103, 1.0, v103
	v_sub_f32_e32 v102, v134, v102
	v_add_f32_e32 v113, v102, v103
	v_frexp_mant_f32_e32 v114, v112
	s_mov_b32 s56, 0x3f2aaaab
	v_cvt_f64_f32_e32 v[102:103], v112
	v_frexp_exp_i32_f64_e32 v102, v[102:103]
	v_cmp_gt_f32_e64 s[56:57], s56, v114
	v_subbrev_co_u32_e64 v118, s[56:57], 0, v102, s[56:57]
	v_sub_u32_e32 v102, 0, v118
	v_ldexp_f32 v103, v112, v102
	v_add_f32_e32 v112, -1.0, v103
	v_add_f32_e32 v114, 1.0, v103
	v_ldexp_f32 v102, v113, v102
	v_add_f32_e32 v113, 1.0, v112
	v_add_f32_e32 v115, -1.0, v114
	v_sub_f32_e32 v113, v103, v113
	v_sub_f32_e32 v103, v103, v115
	v_add_f32_e32 v113, v102, v113
	v_add_f32_e32 v102, v102, v103
	v_add_f32_e32 v119, v114, v102
	v_rcp_f32_e32 v129, v119
	v_sub_f32_e32 v103, v114, v119
	v_add_f32_e32 v128, v102, v103
	v_add_f32_e32 v103, v112, v113
	v_mul_f32_e32 v131, v103, v129
	v_sub_f32_e32 v102, v112, v103
	v_mul_f32_e32 v112, v119, v131
	v_fma_f32 v114, v131, v119, -v112
	v_fmac_f32_e32 v114, v131, v128
	v_add_f32_e32 v130, v113, v102
	v_add_f32_e32 v102, v112, v114
	v_sub_f32_e32 v113, v103, v102
	v_pk_add_f32 v[116:117], v[102:103], v[112:113] neg_lo:[0,1] neg_hi:[0,1]
	v_mov_b32_e32 v115, v102
	v_pk_add_f32 v[102:103], v[116:117], v[114:115] neg_lo:[0,1] neg_hi:[0,1]
	v_add_f32_e32 v103, v130, v103
	v_add_f32_e32 v102, v102, v103
	;; [unrolled: 1-line block ×3, first 2 shown]
	v_mul_f32_e32 v130, v129, v103
	v_mul_f32_e32 v112, v119, v130
	v_fma_f32 v114, v130, v119, -v112
	v_fmac_f32_e32 v114, v130, v128
	v_sub_f32_e32 v113, v113, v103
	v_add_f32_e32 v119, v102, v113
	v_add_f32_e32 v102, v112, v114
	v_sub_f32_e32 v113, v103, v102
	v_pk_add_f32 v[116:117], v[102:103], v[112:113] neg_lo:[0,1] neg_hi:[0,1]
	v_mov_b32_e32 v115, v102
	v_pk_add_f32 v[102:103], v[116:117], v[114:115] neg_lo:[0,1] neg_hi:[0,1]
	v_add_f32_e32 v103, v119, v103
	v_add_f32_e32 v102, v102, v103
	v_add_f32_e32 v102, v113, v102
	v_add_f32_e32 v113, v131, v130
	v_sub_f32_e32 v103, v113, v131
	v_mul_f32_e32 v102, v129, v102
	v_sub_f32_e32 v103, v130, v103
	v_add_f32_e32 v102, v103, v102
	v_add_f32_e32 v114, v113, v102
	v_mul_f32_e32 v116, v114, v114
	v_mov_b32_e32 v112, 0x3ecc95a3
	v_fmac_f32_e32 v112, 0x3e9b6dac, v116
	v_mov_b32_e32 v103, 0x3f2aaada
	v_fmac_f32_e32 v103, v116, v112
	v_cvt_f32_i32_e32 v112, v118
	v_sub_f32_e32 v113, v114, v113
	v_sub_f32_e32 v102, v102, v113
	v_ldexp_f32 v117, v102, 1
	v_mul_f32_e32 v113, v114, v116
	v_mov_b32_e32 v102, 0x3f317218
	s_mov_b32 s56, 0x3f317218
	v_pk_mul_f32 v[102:103], v[112:113], v[102:103]
	v_ldexp_f32 v115, v114, 1
	v_fma_f32 v114, v112, s56, -v102
	v_fmac_f32_e32 v114, 0xb102e308, v112
	v_pk_add_f32 v[112:113], v[102:103], v[114:115]
	v_sub_f32_e32 v115, v113, v115
	v_sub_f32_e32 v115, v103, v115
	v_add_f32_e32 v117, v117, v115
	v_mov_b32_e32 v116, v102
	v_pk_add_f32 v[102:103], v[112:113], v[102:103] neg_lo:[0,1] neg_hi:[0,1]
	v_pk_add_f32 v[118:119], v[112:113], v[116:117]
	v_mov_b32_e32 v103, v119
	v_mov_b32_e32 v115, v112
	v_pk_add_f32 v[128:129], v[114:115], v[102:103] neg_lo:[0,1] neg_hi:[0,1]
	v_pk_add_f32 v[102:103], v[114:115], v[102:103]
	v_mov_b32_e32 v114, v103
	v_pk_add_f32 v[130:131], v[114:115], v[112:113] neg_lo:[0,1] neg_hi:[0,1]
	v_mov_b32_e32 v115, v130
	v_pk_add_f32 v[132:133], v[118:119], v[114:115] neg_lo:[0,1] neg_hi:[0,1]
	v_mov_b32_e32 v102, v119
	v_mov_b32_e32 v118, v113
	;; [unrolled: 1-line block ×4, first 2 shown]
	v_pk_add_f32 v[102:103], v[102:103], v[118:119] neg_lo:[0,1] neg_hi:[0,1]
	v_mov_b32_e32 v116, v117
	v_mov_b32_e32 v117, v112
	v_pk_add_f32 v[102:103], v[116:117], v[102:103] neg_lo:[0,1] neg_hi:[0,1]
	v_mov_b32_e32 v132, v128
	v_pk_add_f32 v[112:113], v[132:133], v[102:103]
	v_mov_b32_e32 v116, v113
	v_pk_add_f32 v[116:117], v[112:113], v[116:117]
	v_pk_add_f32 v[114:115], v[114:115], v[116:117]
	v_mov_b32_e32 v113, v114
	v_pk_add_f32 v[118:119], v[112:113], v[128:129] neg_lo:[0,1] neg_hi:[0,1]
	v_mov_b32_e32 v103, v116
	v_sub_f32_e32 v112, v112, v118
	v_pk_add_f32 v[102:103], v[102:103], v[118:119] neg_lo:[0,1] neg_hi:[0,1]
	v_sub_f32_e32 v112, v128, v112
	v_add_f32_e32 v102, v102, v112
	v_cmp_eq_f32_e64 s[56:57], s64, v134
	s_mov_b32 s64, 0x33800000
	v_add_f32_e32 v102, v102, v103
	v_cmp_lt_f32_e64 s[64:65], |v134|, s64
	v_add_f32_e32 v102, v114, v102
	s_or_b64 s[56:57], s[56:57], s[64:65]
	v_cndmask_b32_e64 v102, v102, v134, s[56:57]
	v_add_f32_e32 v103, v101, v102
.LBB492_315:
	s_or_b64 exec, exec, s[58:59]
	v_bfe_u32 v101, v103, 16, 1
	s_movk_i32 s56, 0x7fff
	v_add3_u32 v101, v103, v101, s56
	v_lshrrev_b32_e32 v101, 16, v101
	v_mov_b32_e32 v102, 0x7fc0
	v_cmp_o_f32_e64 s[56:57], v103, v103
	v_cndmask_b32_e64 v101, v102, v101, s[56:57]
	v_and_b32_e32 v102, 0xffff, v101
.LBB492_316:
	s_or_b64 exec, exec, s[60:61]
	s_nop 0
	v_mov_b32_dpp v103, v102 row_shr:8 row_mask:0xf bank_mask:0xf
	v_cmp_lt_u32_e64 s[56:57], 7, v100
	s_and_saveexec_b64 s[60:61], s[56:57]
	s_cbranch_execz .LBB492_320
; %bb.317:
	v_lshlrev_b32_e32 v101, 16, v103
	v_lshlrev_b32_e32 v100, 16, v102
	v_max_f32_e32 v103, v100, v100
	v_max_f32_e32 v112, v101, v101
	v_min_f32_e32 v102, v112, v103
	v_cmp_u_f32_e64 s[56:57], v101, v101
	v_max_f32_e32 v103, v112, v103
	v_cndmask_b32_e64 v102, v102, v101, s[56:57]
	v_cmp_u_f32_e64 s[58:59], v100, v100
	v_cndmask_b32_e64 v103, v103, v101, s[56:57]
	v_cndmask_b32_e64 v102, v102, v100, s[58:59]
	;; [unrolled: 1-line block ×3, first 2 shown]
	s_movk_i32 s58, 0x1f8
	v_cmp_neq_f32_e64 s[56:57], v102, v100
	v_cmp_class_f32_e64 s[58:59], v102, s58
	s_or_b64 s[56:57], s[56:57], s[58:59]
	s_and_saveexec_b64 s[58:59], s[56:57]
	s_cbranch_execz .LBB492_319
; %bb.318:
	v_sub_f32_e32 v101, v102, v100
	s_mov_b32 s56, 0x3fb8aa3b
	v_mul_f32_e32 v102, 0x3fb8aa3b, v101
	v_fma_f32 v103, v101, s56, -v102
	v_rndne_f32_e32 v112, v102
	v_fmac_f32_e32 v103, 0x32a5705f, v101
	v_sub_f32_e32 v102, v102, v112
	v_add_f32_e32 v102, v102, v103
	v_exp_f32_e32 v102, v102
	v_cvt_i32_f32_e32 v103, v112
	s_mov_b32 s56, 0xc2ce8ed0
	v_cmp_ngt_f32_e64 s[56:57], s56, v101
	s_mov_b32 s64, 0x7f800000
	v_ldexp_f32 v102, v102, v103
	v_cndmask_b32_e64 v102, 0, v102, s[56:57]
	s_mov_b32 s56, 0x42b17218
	v_mov_b32_e32 v103, 0x7f800000
	v_cmp_nlt_f32_e64 s[56:57], s56, v101
	v_cndmask_b32_e64 v134, v103, v102, s[56:57]
	v_add_f32_e32 v101, 1.0, v134
	v_add_f32_e32 v102, -1.0, v101
	v_sub_f32_e32 v103, v102, v101
	v_add_f32_e32 v103, 1.0, v103
	v_sub_f32_e32 v102, v134, v102
	v_add_f32_e32 v112, v102, v103
	v_frexp_mant_f32_e32 v113, v101
	s_mov_b32 s56, 0x3f2aaaab
	v_cvt_f64_f32_e32 v[102:103], v101
	v_frexp_exp_i32_f64_e32 v102, v[102:103]
	v_cmp_gt_f32_e64 s[56:57], s56, v113
	v_subbrev_co_u32_e64 v118, s[56:57], 0, v102, s[56:57]
	v_sub_u32_e32 v102, 0, v118
	v_ldexp_f32 v101, v101, v102
	v_ldexp_f32 v102, v112, v102
	v_add_f32_e32 v112, -1.0, v101
	v_add_f32_e32 v103, 1.0, v112
	v_sub_f32_e32 v103, v101, v103
	v_add_f32_e32 v113, v102, v103
	v_add_f32_e32 v103, 1.0, v101
	v_add_f32_e32 v114, -1.0, v103
	v_sub_f32_e32 v101, v101, v114
	v_add_f32_e32 v101, v102, v101
	v_add_f32_e32 v119, v103, v101
	v_rcp_f32_e32 v128, v119
	v_sub_f32_e32 v102, v103, v119
	v_add_f32_e32 v103, v112, v113
	v_add_f32_e32 v101, v101, v102
	v_mul_f32_e32 v130, v103, v128
	v_sub_f32_e32 v102, v112, v103
	v_mul_f32_e32 v112, v119, v130
	v_fma_f32 v114, v130, v119, -v112
	v_fmac_f32_e32 v114, v130, v101
	v_add_f32_e32 v129, v113, v102
	v_add_f32_e32 v102, v112, v114
	v_sub_f32_e32 v113, v103, v102
	v_pk_add_f32 v[116:117], v[102:103], v[112:113] neg_lo:[0,1] neg_hi:[0,1]
	v_mov_b32_e32 v115, v102
	v_pk_add_f32 v[102:103], v[116:117], v[114:115] neg_lo:[0,1] neg_hi:[0,1]
	v_add_f32_e32 v103, v129, v103
	v_add_f32_e32 v102, v102, v103
	v_add_f32_e32 v103, v113, v102
	v_mul_f32_e32 v129, v128, v103
	v_mul_f32_e32 v112, v119, v129
	v_fma_f32 v114, v129, v119, -v112
	v_fmac_f32_e32 v114, v129, v101
	v_sub_f32_e32 v101, v113, v103
	v_add_f32_e32 v101, v102, v101
	v_add_f32_e32 v102, v112, v114
	v_sub_f32_e32 v113, v103, v102
	v_pk_add_f32 v[116:117], v[102:103], v[112:113] neg_lo:[0,1] neg_hi:[0,1]
	v_mov_b32_e32 v115, v102
	v_pk_add_f32 v[102:103], v[116:117], v[114:115] neg_lo:[0,1] neg_hi:[0,1]
	v_add_f32_e32 v101, v101, v103
	v_add_f32_e32 v101, v102, v101
	;; [unrolled: 1-line block ×4, first 2 shown]
	v_sub_f32_e32 v103, v102, v130
	v_mul_f32_e32 v101, v128, v101
	v_sub_f32_e32 v103, v129, v103
	v_add_f32_e32 v101, v103, v101
	v_add_f32_e32 v113, v102, v101
	v_mul_f32_e32 v114, v113, v113
	v_mov_b32_e32 v112, 0x3ecc95a3
	v_fmac_f32_e32 v112, 0x3e9b6dac, v114
	v_mov_b32_e32 v103, 0x3f2aaada
	v_fmac_f32_e32 v103, v114, v112
	v_cvt_f32_i32_e32 v112, v118
	v_sub_f32_e32 v102, v113, v102
	v_sub_f32_e32 v101, v101, v102
	v_ldexp_f32 v115, v113, 1
	v_mul_f32_e32 v113, v113, v114
	v_mov_b32_e32 v102, 0x3f317218
	s_mov_b32 s56, 0x3f317218
	v_pk_mul_f32 v[102:103], v[112:113], v[102:103]
	v_fma_f32 v114, v112, s56, -v102
	v_fmac_f32_e32 v114, 0xb102e308, v112
	v_pk_add_f32 v[112:113], v[102:103], v[114:115]
	v_sub_f32_e32 v115, v113, v115
	v_ldexp_f32 v101, v101, 1
	v_sub_f32_e32 v115, v103, v115
	v_add_f32_e32 v117, v101, v115
	v_mov_b32_e32 v116, v102
	v_pk_add_f32 v[102:103], v[112:113], v[102:103] neg_lo:[0,1] neg_hi:[0,1]
	v_pk_add_f32 v[118:119], v[112:113], v[116:117]
	v_mov_b32_e32 v103, v119
	v_mov_b32_e32 v115, v112
	v_pk_add_f32 v[128:129], v[114:115], v[102:103] neg_lo:[0,1] neg_hi:[0,1]
	v_pk_add_f32 v[102:103], v[114:115], v[102:103]
	v_mov_b32_e32 v114, v103
	v_pk_add_f32 v[130:131], v[114:115], v[112:113] neg_lo:[0,1] neg_hi:[0,1]
	v_mov_b32_e32 v101, v130
	v_pk_add_f32 v[132:133], v[118:119], v[100:101] neg_lo:[0,1] neg_hi:[0,1]
	v_mov_b32_e32 v102, v119
	v_mov_b32_e32 v118, v113
	v_mov_b32_e32 v119, v130
	v_mov_b32_e32 v129, v103
	v_pk_add_f32 v[102:103], v[102:103], v[118:119] neg_lo:[0,1] neg_hi:[0,1]
	v_mov_b32_e32 v116, v117
	v_mov_b32_e32 v117, v112
	v_pk_add_f32 v[102:103], v[116:117], v[102:103] neg_lo:[0,1] neg_hi:[0,1]
	v_mov_b32_e32 v132, v128
	v_pk_add_f32 v[112:113], v[132:133], v[102:103]
	v_mov_b32_e32 v116, v113
	v_pk_add_f32 v[116:117], v[112:113], v[116:117]
	v_pk_add_f32 v[114:115], v[114:115], v[116:117]
	v_mov_b32_e32 v113, v114
	v_pk_add_f32 v[118:119], v[112:113], v[128:129] neg_lo:[0,1] neg_hi:[0,1]
	v_mov_b32_e32 v103, v116
	v_sub_f32_e32 v101, v112, v118
	v_pk_add_f32 v[102:103], v[102:103], v[118:119] neg_lo:[0,1] neg_hi:[0,1]
	v_sub_f32_e32 v101, v128, v101
	v_add_f32_e32 v101, v102, v101
	v_cmp_eq_f32_e64 s[56:57], s64, v134
	s_mov_b32 s64, 0x33800000
	v_add_f32_e32 v101, v101, v103
	v_cmp_lt_f32_e64 s[64:65], |v134|, s64
	v_add_f32_e32 v101, v114, v101
	s_or_b64 s[56:57], s[56:57], s[64:65]
	v_cndmask_b32_e64 v101, v101, v134, s[56:57]
	v_add_f32_e32 v101, v100, v101
.LBB492_319:
	s_or_b64 exec, exec, s[58:59]
	v_bfe_u32 v100, v101, 16, 1
	s_movk_i32 s56, 0x7fff
	v_add3_u32 v100, v101, v100, s56
	v_lshrrev_b32_e32 v100, 16, v100
	v_mov_b32_e32 v102, 0x7fc0
	v_cmp_o_f32_e64 s[56:57], v101, v101
	v_cndmask_b32_e64 v101, v102, v100, s[56:57]
	v_and_b32_e32 v102, 0xffff, v101
.LBB492_320:
	s_or_b64 exec, exec, s[60:61]
	v_and_b32_e32 v103, 16, v99
	v_mov_b32_dpp v100, v102 row_bcast:15 row_mask:0xf bank_mask:0xf
	v_cmp_ne_u32_e64 s[56:57], 0, v103
	s_and_saveexec_b64 s[60:61], s[56:57]
	s_cbranch_execz .LBB492_324
; %bb.321:
	v_lshlrev_b32_e32 v101, 16, v100
	v_lshlrev_b32_e32 v100, 16, v102
	v_max_f32_e32 v103, v100, v100
	v_max_f32_e32 v112, v101, v101
	v_min_f32_e32 v102, v112, v103
	v_cmp_u_f32_e64 s[56:57], v101, v101
	v_max_f32_e32 v103, v112, v103
	v_cndmask_b32_e64 v102, v102, v101, s[56:57]
	v_cmp_u_f32_e64 s[58:59], v100, v100
	v_cndmask_b32_e64 v103, v103, v101, s[56:57]
	v_cndmask_b32_e64 v102, v102, v100, s[58:59]
	v_cndmask_b32_e64 v100, v103, v100, s[58:59]
	s_movk_i32 s58, 0x1f8
	v_cmp_neq_f32_e64 s[56:57], v102, v100
	v_cmp_class_f32_e64 s[58:59], v102, s58
	s_or_b64 s[56:57], s[56:57], s[58:59]
	s_and_saveexec_b64 s[58:59], s[56:57]
	s_cbranch_execz .LBB492_323
; %bb.322:
	v_sub_f32_e32 v101, v102, v100
	s_mov_b32 s56, 0x3fb8aa3b
	v_mul_f32_e32 v102, 0x3fb8aa3b, v101
	v_fma_f32 v103, v101, s56, -v102
	v_rndne_f32_e32 v112, v102
	v_fmac_f32_e32 v103, 0x32a5705f, v101
	v_sub_f32_e32 v102, v102, v112
	v_add_f32_e32 v102, v102, v103
	v_exp_f32_e32 v102, v102
	v_cvt_i32_f32_e32 v103, v112
	s_mov_b32 s56, 0xc2ce8ed0
	v_cmp_ngt_f32_e64 s[56:57], s56, v101
	s_mov_b32 s64, 0x7f800000
	v_ldexp_f32 v102, v102, v103
	v_cndmask_b32_e64 v102, 0, v102, s[56:57]
	s_mov_b32 s56, 0x42b17218
	v_mov_b32_e32 v103, 0x7f800000
	v_cmp_nlt_f32_e64 s[56:57], s56, v101
	v_cndmask_b32_e64 v134, v103, v102, s[56:57]
	v_add_f32_e32 v101, 1.0, v134
	v_add_f32_e32 v102, -1.0, v101
	v_sub_f32_e32 v103, v102, v101
	v_add_f32_e32 v103, 1.0, v103
	v_sub_f32_e32 v102, v134, v102
	v_add_f32_e32 v112, v102, v103
	v_frexp_mant_f32_e32 v113, v101
	s_mov_b32 s56, 0x3f2aaaab
	v_cvt_f64_f32_e32 v[102:103], v101
	v_frexp_exp_i32_f64_e32 v102, v[102:103]
	v_cmp_gt_f32_e64 s[56:57], s56, v113
	v_subbrev_co_u32_e64 v118, s[56:57], 0, v102, s[56:57]
	v_sub_u32_e32 v102, 0, v118
	v_ldexp_f32 v101, v101, v102
	v_ldexp_f32 v102, v112, v102
	v_add_f32_e32 v112, -1.0, v101
	v_add_f32_e32 v103, 1.0, v112
	v_sub_f32_e32 v103, v101, v103
	v_add_f32_e32 v113, v102, v103
	v_add_f32_e32 v103, 1.0, v101
	v_add_f32_e32 v114, -1.0, v103
	v_sub_f32_e32 v101, v101, v114
	v_add_f32_e32 v101, v102, v101
	v_add_f32_e32 v119, v103, v101
	v_rcp_f32_e32 v128, v119
	v_sub_f32_e32 v102, v103, v119
	v_add_f32_e32 v103, v112, v113
	v_add_f32_e32 v101, v101, v102
	v_mul_f32_e32 v130, v103, v128
	v_sub_f32_e32 v102, v112, v103
	v_mul_f32_e32 v112, v119, v130
	v_fma_f32 v114, v130, v119, -v112
	v_fmac_f32_e32 v114, v130, v101
	v_add_f32_e32 v129, v113, v102
	v_add_f32_e32 v102, v112, v114
	v_sub_f32_e32 v113, v103, v102
	v_pk_add_f32 v[116:117], v[102:103], v[112:113] neg_lo:[0,1] neg_hi:[0,1]
	v_mov_b32_e32 v115, v102
	v_pk_add_f32 v[102:103], v[116:117], v[114:115] neg_lo:[0,1] neg_hi:[0,1]
	v_add_f32_e32 v103, v129, v103
	v_add_f32_e32 v102, v102, v103
	;; [unrolled: 1-line block ×3, first 2 shown]
	v_mul_f32_e32 v129, v128, v103
	v_mul_f32_e32 v112, v119, v129
	v_fma_f32 v114, v129, v119, -v112
	v_fmac_f32_e32 v114, v129, v101
	v_sub_f32_e32 v101, v113, v103
	v_add_f32_e32 v101, v102, v101
	v_add_f32_e32 v102, v112, v114
	v_sub_f32_e32 v113, v103, v102
	v_pk_add_f32 v[116:117], v[102:103], v[112:113] neg_lo:[0,1] neg_hi:[0,1]
	v_mov_b32_e32 v115, v102
	v_pk_add_f32 v[102:103], v[116:117], v[114:115] neg_lo:[0,1] neg_hi:[0,1]
	v_add_f32_e32 v101, v101, v103
	v_add_f32_e32 v101, v102, v101
	;; [unrolled: 1-line block ×4, first 2 shown]
	v_sub_f32_e32 v103, v102, v130
	v_mul_f32_e32 v101, v128, v101
	v_sub_f32_e32 v103, v129, v103
	v_add_f32_e32 v101, v103, v101
	v_add_f32_e32 v113, v102, v101
	v_mul_f32_e32 v114, v113, v113
	v_mov_b32_e32 v112, 0x3ecc95a3
	v_fmac_f32_e32 v112, 0x3e9b6dac, v114
	v_mov_b32_e32 v103, 0x3f2aaada
	v_fmac_f32_e32 v103, v114, v112
	v_cvt_f32_i32_e32 v112, v118
	v_sub_f32_e32 v102, v113, v102
	v_sub_f32_e32 v101, v101, v102
	v_ldexp_f32 v115, v113, 1
	v_mul_f32_e32 v113, v113, v114
	v_mov_b32_e32 v102, 0x3f317218
	s_mov_b32 s56, 0x3f317218
	v_pk_mul_f32 v[102:103], v[112:113], v[102:103]
	v_fma_f32 v114, v112, s56, -v102
	v_fmac_f32_e32 v114, 0xb102e308, v112
	v_pk_add_f32 v[112:113], v[102:103], v[114:115]
	v_sub_f32_e32 v115, v113, v115
	v_ldexp_f32 v101, v101, 1
	v_sub_f32_e32 v115, v103, v115
	v_add_f32_e32 v117, v101, v115
	v_mov_b32_e32 v116, v102
	v_pk_add_f32 v[102:103], v[112:113], v[102:103] neg_lo:[0,1] neg_hi:[0,1]
	v_pk_add_f32 v[118:119], v[112:113], v[116:117]
	v_mov_b32_e32 v103, v119
	v_mov_b32_e32 v115, v112
	v_pk_add_f32 v[128:129], v[114:115], v[102:103] neg_lo:[0,1] neg_hi:[0,1]
	v_pk_add_f32 v[102:103], v[114:115], v[102:103]
	v_mov_b32_e32 v114, v103
	v_pk_add_f32 v[130:131], v[114:115], v[112:113] neg_lo:[0,1] neg_hi:[0,1]
	v_mov_b32_e32 v101, v130
	v_pk_add_f32 v[132:133], v[118:119], v[100:101] neg_lo:[0,1] neg_hi:[0,1]
	v_mov_b32_e32 v102, v119
	v_mov_b32_e32 v118, v113
	;; [unrolled: 1-line block ×4, first 2 shown]
	v_pk_add_f32 v[102:103], v[102:103], v[118:119] neg_lo:[0,1] neg_hi:[0,1]
	v_mov_b32_e32 v116, v117
	v_mov_b32_e32 v117, v112
	v_pk_add_f32 v[102:103], v[116:117], v[102:103] neg_lo:[0,1] neg_hi:[0,1]
	v_mov_b32_e32 v132, v128
	v_pk_add_f32 v[112:113], v[132:133], v[102:103]
	v_mov_b32_e32 v116, v113
	v_pk_add_f32 v[116:117], v[112:113], v[116:117]
	v_pk_add_f32 v[114:115], v[114:115], v[116:117]
	v_mov_b32_e32 v113, v114
	v_pk_add_f32 v[118:119], v[112:113], v[128:129] neg_lo:[0,1] neg_hi:[0,1]
	v_mov_b32_e32 v103, v116
	v_sub_f32_e32 v101, v112, v118
	v_pk_add_f32 v[102:103], v[102:103], v[118:119] neg_lo:[0,1] neg_hi:[0,1]
	v_sub_f32_e32 v101, v128, v101
	v_add_f32_e32 v101, v102, v101
	v_cmp_eq_f32_e64 s[56:57], s64, v134
	s_mov_b32 s64, 0x33800000
	v_add_f32_e32 v101, v101, v103
	v_cmp_lt_f32_e64 s[64:65], |v134|, s64
	v_add_f32_e32 v101, v114, v101
	s_or_b64 s[56:57], s[56:57], s[64:65]
	v_cndmask_b32_e64 v101, v101, v134, s[56:57]
	v_add_f32_e32 v101, v100, v101
.LBB492_323:
	s_or_b64 exec, exec, s[58:59]
	v_bfe_u32 v100, v101, 16, 1
	s_movk_i32 s56, 0x7fff
	v_add3_u32 v100, v101, v100, s56
	v_lshrrev_b32_e32 v100, 16, v100
	v_mov_b32_e32 v102, 0x7fc0
	v_cmp_o_f32_e64 s[56:57], v101, v101
	v_cndmask_b32_e64 v101, v102, v100, s[56:57]
	v_and_b32_e32 v102, 0xffff, v101
.LBB492_324:
	s_or_b64 exec, exec, s[60:61]
	s_nop 0
	v_mov_b32_dpp v100, v102 row_bcast:31 row_mask:0xf bank_mask:0xf
	v_cmp_lt_u32_e64 s[56:57], 31, v99
	s_and_saveexec_b64 s[60:61], s[56:57]
	s_cbranch_execz .LBB492_328
; %bb.325:
	v_lshlrev_b32_e32 v101, 16, v100
	v_lshlrev_b32_e32 v100, 16, v102
	v_max_f32_e32 v103, v100, v100
	v_max_f32_e32 v112, v101, v101
	v_min_f32_e32 v102, v112, v103
	v_cmp_u_f32_e64 s[56:57], v101, v101
	v_max_f32_e32 v103, v112, v103
	v_cndmask_b32_e64 v102, v102, v101, s[56:57]
	v_cmp_u_f32_e64 s[58:59], v100, v100
	v_cndmask_b32_e64 v103, v103, v101, s[56:57]
	v_cndmask_b32_e64 v102, v102, v100, s[58:59]
	;; [unrolled: 1-line block ×3, first 2 shown]
	s_movk_i32 s58, 0x1f8
	v_cmp_neq_f32_e64 s[56:57], v102, v100
	v_cmp_class_f32_e64 s[58:59], v102, s58
	s_or_b64 s[56:57], s[56:57], s[58:59]
	s_and_saveexec_b64 s[58:59], s[56:57]
	s_cbranch_execz .LBB492_327
; %bb.326:
	v_sub_f32_e32 v101, v102, v100
	s_mov_b32 s56, 0x3fb8aa3b
	v_mul_f32_e32 v102, 0x3fb8aa3b, v101
	v_fma_f32 v103, v101, s56, -v102
	v_rndne_f32_e32 v112, v102
	v_fmac_f32_e32 v103, 0x32a5705f, v101
	v_sub_f32_e32 v102, v102, v112
	v_add_f32_e32 v102, v102, v103
	v_exp_f32_e32 v102, v102
	v_cvt_i32_f32_e32 v103, v112
	s_mov_b32 s56, 0xc2ce8ed0
	v_cmp_ngt_f32_e64 s[56:57], s56, v101
	s_mov_b32 s64, 0x7f800000
	v_ldexp_f32 v102, v102, v103
	v_cndmask_b32_e64 v102, 0, v102, s[56:57]
	s_mov_b32 s56, 0x42b17218
	v_mov_b32_e32 v103, 0x7f800000
	v_cmp_nlt_f32_e64 s[56:57], s56, v101
	v_cndmask_b32_e64 v134, v103, v102, s[56:57]
	v_add_f32_e32 v101, 1.0, v134
	v_add_f32_e32 v102, -1.0, v101
	v_sub_f32_e32 v103, v102, v101
	v_add_f32_e32 v103, 1.0, v103
	v_sub_f32_e32 v102, v134, v102
	v_add_f32_e32 v112, v102, v103
	v_frexp_mant_f32_e32 v113, v101
	s_mov_b32 s56, 0x3f2aaaab
	v_cvt_f64_f32_e32 v[102:103], v101
	v_frexp_exp_i32_f64_e32 v102, v[102:103]
	v_cmp_gt_f32_e64 s[56:57], s56, v113
	v_subbrev_co_u32_e64 v118, s[56:57], 0, v102, s[56:57]
	v_sub_u32_e32 v102, 0, v118
	v_ldexp_f32 v101, v101, v102
	v_ldexp_f32 v102, v112, v102
	v_add_f32_e32 v112, -1.0, v101
	v_add_f32_e32 v103, 1.0, v112
	v_sub_f32_e32 v103, v101, v103
	v_add_f32_e32 v113, v102, v103
	v_add_f32_e32 v103, 1.0, v101
	v_add_f32_e32 v114, -1.0, v103
	v_sub_f32_e32 v101, v101, v114
	v_add_f32_e32 v101, v102, v101
	v_add_f32_e32 v119, v103, v101
	v_rcp_f32_e32 v128, v119
	v_sub_f32_e32 v102, v103, v119
	v_add_f32_e32 v103, v112, v113
	v_add_f32_e32 v101, v101, v102
	v_mul_f32_e32 v130, v103, v128
	v_sub_f32_e32 v102, v112, v103
	v_mul_f32_e32 v112, v119, v130
	v_fma_f32 v114, v130, v119, -v112
	v_fmac_f32_e32 v114, v130, v101
	v_add_f32_e32 v129, v113, v102
	v_add_f32_e32 v102, v112, v114
	v_sub_f32_e32 v113, v103, v102
	v_pk_add_f32 v[116:117], v[102:103], v[112:113] neg_lo:[0,1] neg_hi:[0,1]
	v_mov_b32_e32 v115, v102
	v_pk_add_f32 v[102:103], v[116:117], v[114:115] neg_lo:[0,1] neg_hi:[0,1]
	v_add_f32_e32 v103, v129, v103
	v_add_f32_e32 v102, v102, v103
	;; [unrolled: 1-line block ×3, first 2 shown]
	v_mul_f32_e32 v129, v128, v103
	v_mul_f32_e32 v112, v119, v129
	v_fma_f32 v114, v129, v119, -v112
	v_fmac_f32_e32 v114, v129, v101
	v_sub_f32_e32 v101, v113, v103
	v_add_f32_e32 v101, v102, v101
	v_add_f32_e32 v102, v112, v114
	v_sub_f32_e32 v113, v103, v102
	v_pk_add_f32 v[116:117], v[102:103], v[112:113] neg_lo:[0,1] neg_hi:[0,1]
	v_mov_b32_e32 v115, v102
	v_pk_add_f32 v[102:103], v[116:117], v[114:115] neg_lo:[0,1] neg_hi:[0,1]
	v_add_f32_e32 v101, v101, v103
	v_add_f32_e32 v101, v102, v101
	;; [unrolled: 1-line block ×4, first 2 shown]
	v_sub_f32_e32 v103, v102, v130
	v_mul_f32_e32 v101, v128, v101
	v_sub_f32_e32 v103, v129, v103
	v_add_f32_e32 v101, v103, v101
	v_add_f32_e32 v113, v102, v101
	v_mul_f32_e32 v114, v113, v113
	v_mov_b32_e32 v112, 0x3ecc95a3
	v_fmac_f32_e32 v112, 0x3e9b6dac, v114
	v_mov_b32_e32 v103, 0x3f2aaada
	v_fmac_f32_e32 v103, v114, v112
	v_cvt_f32_i32_e32 v112, v118
	v_sub_f32_e32 v102, v113, v102
	v_sub_f32_e32 v101, v101, v102
	v_ldexp_f32 v115, v113, 1
	v_mul_f32_e32 v113, v113, v114
	v_mov_b32_e32 v102, 0x3f317218
	s_mov_b32 s56, 0x3f317218
	v_pk_mul_f32 v[102:103], v[112:113], v[102:103]
	v_fma_f32 v114, v112, s56, -v102
	v_fmac_f32_e32 v114, 0xb102e308, v112
	v_pk_add_f32 v[112:113], v[102:103], v[114:115]
	v_sub_f32_e32 v115, v113, v115
	v_ldexp_f32 v101, v101, 1
	v_sub_f32_e32 v115, v103, v115
	v_add_f32_e32 v117, v101, v115
	v_mov_b32_e32 v116, v102
	v_pk_add_f32 v[102:103], v[112:113], v[102:103] neg_lo:[0,1] neg_hi:[0,1]
	v_pk_add_f32 v[118:119], v[112:113], v[116:117]
	v_mov_b32_e32 v103, v119
	v_mov_b32_e32 v115, v112
	v_pk_add_f32 v[128:129], v[114:115], v[102:103] neg_lo:[0,1] neg_hi:[0,1]
	v_pk_add_f32 v[102:103], v[114:115], v[102:103]
	v_mov_b32_e32 v114, v103
	v_pk_add_f32 v[130:131], v[114:115], v[112:113] neg_lo:[0,1] neg_hi:[0,1]
	v_mov_b32_e32 v101, v130
	v_pk_add_f32 v[132:133], v[118:119], v[100:101] neg_lo:[0,1] neg_hi:[0,1]
	v_mov_b32_e32 v102, v119
	v_mov_b32_e32 v118, v113
	v_mov_b32_e32 v119, v130
	v_mov_b32_e32 v129, v103
	v_pk_add_f32 v[102:103], v[102:103], v[118:119] neg_lo:[0,1] neg_hi:[0,1]
	v_mov_b32_e32 v116, v117
	v_mov_b32_e32 v117, v112
	v_pk_add_f32 v[102:103], v[116:117], v[102:103] neg_lo:[0,1] neg_hi:[0,1]
	v_mov_b32_e32 v132, v128
	v_pk_add_f32 v[112:113], v[132:133], v[102:103]
	v_mov_b32_e32 v116, v113
	v_pk_add_f32 v[116:117], v[112:113], v[116:117]
	v_pk_add_f32 v[114:115], v[114:115], v[116:117]
	v_mov_b32_e32 v113, v114
	v_pk_add_f32 v[118:119], v[112:113], v[128:129] neg_lo:[0,1] neg_hi:[0,1]
	v_mov_b32_e32 v103, v116
	v_sub_f32_e32 v101, v112, v118
	v_pk_add_f32 v[102:103], v[102:103], v[118:119] neg_lo:[0,1] neg_hi:[0,1]
	v_sub_f32_e32 v101, v128, v101
	v_add_f32_e32 v101, v102, v101
	v_cmp_eq_f32_e64 s[56:57], s64, v134
	s_mov_b32 s64, 0x33800000
	v_add_f32_e32 v101, v101, v103
	v_cmp_lt_f32_e64 s[64:65], |v134|, s64
	v_add_f32_e32 v101, v114, v101
	s_or_b64 s[56:57], s[56:57], s[64:65]
	v_cndmask_b32_e64 v101, v101, v134, s[56:57]
	v_add_f32_e32 v101, v100, v101
.LBB492_327:
	s_or_b64 exec, exec, s[58:59]
	v_bfe_u32 v100, v101, 16, 1
	s_movk_i32 s56, 0x7fff
	v_add3_u32 v100, v101, v100, s56
	v_lshrrev_b32_e32 v100, 16, v100
	v_mov_b32_e32 v102, 0x7fc0
	v_cmp_o_f32_e64 s[56:57], v101, v101
	v_cndmask_b32_e64 v101, v102, v100, s[56:57]
.LBB492_328:
	s_or_b64 exec, exec, s[60:61]
	v_cmp_eq_u32_e64 s[56:57], 63, v0
	s_and_saveexec_b64 s[58:59], s[56:57]
	s_cbranch_execz .LBB492_330
; %bb.329:
	v_mov_b32_e32 v100, 0
	ds_write_b16 v100, v101
.LBB492_330:
	s_or_b64 exec, exec, s[58:59]
	v_and_b32_e32 v100, 0xffff, v101
	v_add_u32_e32 v101, -1, v99
	v_and_b32_e32 v102, 64, v99
	v_cmp_lt_i32_e64 s[58:59], v101, v102
	v_cndmask_b32_e64 v99, v101, v99, s[58:59]
	v_lshlrev_b32_e32 v99, 2, v99
	ds_bpermute_b32 v99, v99, v100
	s_waitcnt lgkmcnt(0)
	; wave barrier
	s_waitcnt lgkmcnt(0)
	s_and_saveexec_b64 s[58:59], vcc
	s_cbranch_execz .LBB492_334
; %bb.331:
	v_lshlrev_b32_e32 v96, 16, v99
	v_max_f32_e32 v26, v96, v96
	v_min_f32_e32 v97, v26, v98
	v_cmp_u_f32_e32 vcc, v96, v96
	v_max_f32_e32 v26, v26, v98
	v_cndmask_b32_e32 v97, v97, v96, vcc
	v_cndmask_b32_e32 v26, v26, v96, vcc
	v_cndmask_b32_e64 v97, v97, v30, s[54:55]
	v_cndmask_b32_e64 v26, v26, v30, s[54:55]
	s_movk_i32 s54, 0x1f8
	v_cmp_neq_f32_e32 vcc, v97, v26
	v_cmp_class_f32_e64 s[54:55], v97, s54
	s_or_b64 vcc, vcc, s[54:55]
	s_and_saveexec_b64 s[54:55], vcc
	s_cbranch_execz .LBB492_333
; %bb.332:
	v_sub_f32_e32 v30, v97, v26
	s_mov_b32 s60, 0x3fb8aa3b
	v_mul_f32_e32 v96, 0x3fb8aa3b, v30
	v_fma_f32 v97, v30, s60, -v96
	v_rndne_f32_e32 v98, v96
	v_fmac_f32_e32 v97, 0x32a5705f, v30
	v_sub_f32_e32 v96, v96, v98
	v_add_f32_e32 v96, v96, v97
	v_exp_f32_e32 v96, v96
	v_cvt_i32_f32_e32 v97, v98
	s_mov_b32 s60, 0xc2ce8ed0
	v_cmp_ngt_f32_e32 vcc, s60, v30
	s_mov_b32 s60, 0x42b17218
	v_ldexp_f32 v96, v96, v97
	v_cndmask_b32_e32 v96, 0, v96, vcc
	v_mov_b32_e32 v97, 0x7f800000
	v_cmp_nlt_f32_e32 vcc, s60, v30
	v_cndmask_b32_e32 v118, v97, v96, vcc
	v_add_f32_e32 v30, 1.0, v118
	v_add_f32_e32 v96, -1.0, v30
	v_sub_f32_e32 v97, v96, v30
	v_add_f32_e32 v97, 1.0, v97
	v_sub_f32_e32 v96, v118, v96
	v_add_f32_e32 v98, v96, v97
	v_frexp_mant_f32_e32 v99, v30
	s_mov_b32 s60, 0x3f2aaaab
	v_cvt_f64_f32_e32 v[96:97], v30
	v_frexp_exp_i32_f64_e32 v96, v[96:97]
	v_cmp_gt_f32_e32 vcc, s60, v99
	v_subbrev_co_u32_e32 v112, vcc, 0, v96, vcc
	v_sub_u32_e32 v96, 0, v112
	v_ldexp_f32 v30, v30, v96
	v_ldexp_f32 v96, v98, v96
	v_add_f32_e32 v98, -1.0, v30
	v_add_f32_e32 v97, 1.0, v98
	v_sub_f32_e32 v97, v30, v97
	v_add_f32_e32 v99, v96, v97
	v_add_f32_e32 v97, 1.0, v30
	v_add_f32_e32 v100, -1.0, v97
	v_sub_f32_e32 v30, v30, v100
	v_add_f32_e32 v30, v96, v30
	v_add_f32_e32 v113, v97, v30
	v_rcp_f32_e32 v114, v113
	v_sub_f32_e32 v96, v97, v113
	v_add_f32_e32 v97, v98, v99
	v_add_f32_e32 v30, v30, v96
	v_mul_f32_e32 v116, v97, v114
	v_sub_f32_e32 v96, v98, v97
	v_mul_f32_e32 v98, v113, v116
	v_fma_f32 v100, v116, v113, -v98
	v_fmac_f32_e32 v100, v116, v30
	v_add_f32_e32 v115, v99, v96
	v_add_f32_e32 v96, v98, v100
	v_sub_f32_e32 v99, v97, v96
	v_pk_add_f32 v[102:103], v[96:97], v[98:99] neg_lo:[0,1] neg_hi:[0,1]
	v_mov_b32_e32 v101, v96
	v_pk_add_f32 v[96:97], v[102:103], v[100:101] neg_lo:[0,1] neg_hi:[0,1]
	v_add_f32_e32 v97, v115, v97
	v_add_f32_e32 v96, v96, v97
	;; [unrolled: 1-line block ×3, first 2 shown]
	v_mul_f32_e32 v115, v114, v97
	v_mul_f32_e32 v98, v113, v115
	v_fma_f32 v100, v115, v113, -v98
	v_fmac_f32_e32 v100, v115, v30
	v_sub_f32_e32 v30, v99, v97
	v_add_f32_e32 v30, v96, v30
	v_add_f32_e32 v96, v98, v100
	v_sub_f32_e32 v99, v97, v96
	v_pk_add_f32 v[102:103], v[96:97], v[98:99] neg_lo:[0,1] neg_hi:[0,1]
	v_mov_b32_e32 v101, v96
	v_pk_add_f32 v[96:97], v[102:103], v[100:101] neg_lo:[0,1] neg_hi:[0,1]
	v_add_f32_e32 v30, v30, v97
	v_add_f32_e32 v30, v96, v30
	;; [unrolled: 1-line block ×4, first 2 shown]
	v_sub_f32_e32 v97, v96, v116
	v_mul_f32_e32 v30, v114, v30
	v_sub_f32_e32 v97, v115, v97
	v_add_f32_e32 v30, v97, v30
	v_add_f32_e32 v99, v96, v30
	v_mul_f32_e32 v100, v99, v99
	v_mov_b32_e32 v98, 0x3ecc95a3
	v_fmac_f32_e32 v98, 0x3e9b6dac, v100
	v_mov_b32_e32 v97, 0x3f2aaada
	v_fmac_f32_e32 v97, v100, v98
	v_cvt_f32_i32_e32 v98, v112
	v_sub_f32_e32 v96, v99, v96
	v_sub_f32_e32 v30, v30, v96
	v_ldexp_f32 v101, v99, 1
	v_mul_f32_e32 v99, v99, v100
	v_mov_b32_e32 v96, 0x3f317218
	s_mov_b32 s60, 0x3f317218
	v_pk_mul_f32 v[96:97], v[98:99], v[96:97]
	v_fma_f32 v100, v98, s60, -v96
	v_fmac_f32_e32 v100, 0xb102e308, v98
	v_pk_add_f32 v[98:99], v[96:97], v[100:101]
	v_sub_f32_e32 v101, v99, v101
	v_ldexp_f32 v30, v30, 1
	v_sub_f32_e32 v101, v97, v101
	v_add_f32_e32 v103, v30, v101
	v_mov_b32_e32 v102, v96
	v_pk_add_f32 v[96:97], v[98:99], v[96:97] neg_lo:[0,1] neg_hi:[0,1]
	v_pk_add_f32 v[112:113], v[98:99], v[102:103]
	v_mov_b32_e32 v97, v113
	v_mov_b32_e32 v101, v98
	v_pk_add_f32 v[114:115], v[100:101], v[96:97] neg_lo:[0,1] neg_hi:[0,1]
	v_pk_add_f32 v[96:97], v[100:101], v[96:97]
	v_mov_b32_e32 v30, v97
	v_pk_add_f32 v[100:101], v[30:31], v[98:99] neg_lo:[0,1] neg_hi:[0,1]
	v_mov_b32_e32 v101, v100
	v_pk_add_f32 v[116:117], v[112:113], v[100:101] neg_lo:[0,1] neg_hi:[0,1]
	v_mov_b32_e32 v96, v113
	v_mov_b32_e32 v112, v99
	;; [unrolled: 1-line block ×4, first 2 shown]
	v_pk_add_f32 v[96:97], v[96:97], v[112:113] neg_lo:[0,1] neg_hi:[0,1]
	v_mov_b32_e32 v100, v103
	v_mov_b32_e32 v101, v98
	v_pk_add_f32 v[96:97], v[100:101], v[96:97] neg_lo:[0,1] neg_hi:[0,1]
	v_mov_b32_e32 v116, v114
	v_pk_add_f32 v[98:99], v[116:117], v[96:97]
	v_mov_b32_e32 v100, v99
	v_pk_add_f32 v[100:101], v[98:99], v[100:101]
	v_pk_add_f32 v[102:103], v[30:31], v[100:101]
	v_mov_b32_e32 v99, v102
	v_pk_add_f32 v[112:113], v[98:99], v[114:115] neg_lo:[0,1] neg_hi:[0,1]
	v_mov_b32_e32 v97, v100
	v_sub_f32_e32 v30, v98, v112
	v_pk_add_f32 v[96:97], v[96:97], v[112:113] neg_lo:[0,1] neg_hi:[0,1]
	v_sub_f32_e32 v30, v114, v30
	s_mov_b32 s61, 0x7f800000
	v_add_f32_e32 v30, v96, v30
	s_mov_b32 s60, 0x33800000
	v_add_f32_e32 v30, v30, v97
	v_cmp_eq_f32_e32 vcc, s61, v118
	v_cmp_lt_f32_e64 s[60:61], |v118|, s60
	v_add_f32_e32 v30, v102, v30
	s_or_b64 vcc, vcc, s[60:61]
	v_cndmask_b32_e32 v30, v30, v118, vcc
	v_add_f32_e32 v96, v26, v30
.LBB492_333:
	s_or_b64 exec, exec, s[54:55]
	v_bfe_u32 v26, v96, 16, 1
	s_movk_i32 vcc_lo, 0x7fff
	v_add3_u32 v26, v96, v26, vcc_lo
	v_lshrrev_b32_e32 v26, 16, v26
	v_mov_b32_e32 v30, 0x7fc0
	v_cmp_o_f32_e32 vcc, v96, v96
	v_cndmask_b32_e32 v26, v30, v26, vcc
	v_lshlrev_b32_e32 v30, 16, v26
	v_max_f32_e32 v97, v30, v30
	v_min_f32_e32 v96, v97, v27
	v_max_f32_e32 v97, v97, v27
	;;#ASMSTART
	;;#ASMEND
.LBB492_334:
	s_or_b64 exec, exec, s[58:59]
	v_cmp_u_f32_e32 vcc, v30, v30
	v_cndmask_b32_e32 v27, v96, v30, vcc
	v_cndmask_b32_e32 v96, v97, v30, vcc
	v_cndmask_b32_e64 v27, v27, v2, s[6:7]
	v_cndmask_b32_e64 v2, v96, v2, s[6:7]
	s_movk_i32 s54, 0x1f8
	v_cmp_neq_f32_e32 vcc, v27, v2
	v_cmp_class_f32_e64 s[6:7], v27, s54
	s_or_b64 vcc, vcc, s[6:7]
	s_and_saveexec_b64 s[6:7], vcc
	s_cbranch_execz .LBB492_336
; %bb.335:
	v_sub_f32_e32 v27, v27, v2
	s_mov_b32 s55, 0x3fb8aa3b
	v_mul_f32_e32 v30, 0x3fb8aa3b, v27
	v_fma_f32 v96, v27, s55, -v30
	v_rndne_f32_e32 v97, v30
	v_fmac_f32_e32 v96, 0x32a5705f, v27
	v_sub_f32_e32 v30, v30, v97
	v_add_f32_e32 v30, v30, v96
	v_exp_f32_e32 v30, v30
	v_cvt_i32_f32_e32 v96, v97
	s_mov_b32 s55, 0xc2ce8ed0
	v_cmp_ngt_f32_e32 vcc, s55, v27
	s_mov_b32 s55, 0x42b17218
	v_ldexp_f32 v30, v30, v96
	v_cndmask_b32_e32 v30, 0, v30, vcc
	v_mov_b32_e32 v96, 0x7f800000
	v_cmp_nlt_f32_e32 vcc, s55, v27
	v_cndmask_b32_e32 v118, v96, v30, vcc
	v_add_f32_e32 v27, 1.0, v118
	v_add_f32_e32 v30, -1.0, v27
	v_sub_f32_e32 v96, v30, v27
	v_add_f32_e32 v96, 1.0, v96
	v_sub_f32_e32 v30, v118, v30
	v_add_f32_e32 v30, v30, v96
	v_frexp_mant_f32_e32 v98, v27
	s_mov_b32 s55, 0x3f2aaaab
	v_cvt_f64_f32_e32 v[96:97], v27
	v_frexp_exp_i32_f64_e32 v96, v[96:97]
	v_cmp_gt_f32_e32 vcc, s55, v98
	v_subbrev_co_u32_e32 v112, vcc, 0, v96, vcc
	v_sub_u32_e32 v96, 0, v112
	v_ldexp_f32 v27, v27, v96
	v_ldexp_f32 v30, v30, v96
	v_add_f32_e32 v96, -1.0, v27
	v_add_f32_e32 v97, 1.0, v96
	v_sub_f32_e32 v97, v27, v97
	v_add_f32_e32 v98, v30, v97
	v_add_f32_e32 v97, 1.0, v27
	v_add_f32_e32 v99, -1.0, v97
	v_sub_f32_e32 v27, v27, v99
	v_add_f32_e32 v27, v30, v27
	v_add_f32_e32 v30, v97, v27
	v_rcp_f32_e32 v113, v30
	v_sub_f32_e32 v97, v97, v30
	v_add_f32_e32 v27, v27, v97
	v_add_f32_e32 v97, v96, v98
	v_sub_f32_e32 v96, v96, v97
	v_mul_f32_e32 v115, v97, v113
	v_add_f32_e32 v114, v98, v96
	v_mul_f32_e32 v98, v30, v115
	v_fma_f32 v100, v115, v30, -v98
	v_fmac_f32_e32 v100, v115, v27
	v_add_f32_e32 v96, v98, v100
	v_sub_f32_e32 v99, v97, v96
	v_pk_add_f32 v[102:103], v[96:97], v[98:99] neg_lo:[0,1] neg_hi:[0,1]
	v_mov_b32_e32 v101, v96
	v_pk_add_f32 v[96:97], v[102:103], v[100:101] neg_lo:[0,1] neg_hi:[0,1]
	v_add_f32_e32 v97, v114, v97
	v_add_f32_e32 v96, v96, v97
	;; [unrolled: 1-line block ×3, first 2 shown]
	v_mul_f32_e32 v114, v113, v97
	v_mul_f32_e32 v98, v30, v114
	v_fma_f32 v100, v114, v30, -v98
	v_fmac_f32_e32 v100, v114, v27
	v_sub_f32_e32 v27, v99, v97
	v_add_f32_e32 v27, v96, v27
	v_add_f32_e32 v96, v98, v100
	v_sub_f32_e32 v99, v97, v96
	v_pk_add_f32 v[102:103], v[96:97], v[98:99] neg_lo:[0,1] neg_hi:[0,1]
	v_mov_b32_e32 v101, v96
	v_pk_add_f32 v[96:97], v[102:103], v[100:101] neg_lo:[0,1] neg_hi:[0,1]
	v_add_f32_e32 v27, v27, v97
	v_add_f32_e32 v27, v96, v27
	;; [unrolled: 1-line block ×4, first 2 shown]
	v_sub_f32_e32 v96, v30, v115
	v_mul_f32_e32 v27, v113, v27
	v_sub_f32_e32 v96, v114, v96
	v_add_f32_e32 v27, v96, v27
	v_add_f32_e32 v96, v30, v27
	v_mul_f32_e32 v99, v96, v96
	v_mov_b32_e32 v98, 0x3ecc95a3
	v_fmac_f32_e32 v98, 0x3e9b6dac, v99
	v_mov_b32_e32 v97, 0x3f2aaada
	v_fmac_f32_e32 v97, v99, v98
	v_cvt_f32_i32_e32 v98, v112
	v_sub_f32_e32 v30, v96, v30
	v_ldexp_f32 v101, v96, 1
	v_mul_f32_e32 v99, v96, v99
	v_mov_b32_e32 v96, 0x3f317218
	s_mov_b32 s55, 0x3f317218
	v_pk_mul_f32 v[96:97], v[98:99], v[96:97]
	v_fma_f32 v100, v98, s55, -v96
	v_fmac_f32_e32 v100, 0xb102e308, v98
	v_pk_add_f32 v[98:99], v[96:97], v[100:101]
	v_sub_f32_e32 v27, v27, v30
	v_sub_f32_e32 v30, v99, v101
	v_ldexp_f32 v27, v27, 1
	v_sub_f32_e32 v30, v97, v30
	v_add_f32_e32 v103, v27, v30
	v_mov_b32_e32 v102, v96
	v_pk_add_f32 v[96:97], v[98:99], v[96:97] neg_lo:[0,1] neg_hi:[0,1]
	v_pk_add_f32 v[112:113], v[98:99], v[102:103]
	v_mov_b32_e32 v97, v113
	v_mov_b32_e32 v101, v98
	v_pk_add_f32 v[114:115], v[100:101], v[96:97] neg_lo:[0,1] neg_hi:[0,1]
	v_pk_add_f32 v[96:97], v[100:101], v[96:97]
	v_mov_b32_e32 v30, v97
	v_pk_add_f32 v[100:101], v[30:31], v[98:99] neg_lo:[0,1] neg_hi:[0,1]
	v_mov_b32_e32 v27, v100
	v_pk_add_f32 v[116:117], v[112:113], v[26:27] neg_lo:[0,1] neg_hi:[0,1]
	v_mov_b32_e32 v96, v113
	v_mov_b32_e32 v112, v99
	;; [unrolled: 1-line block ×4, first 2 shown]
	v_pk_add_f32 v[96:97], v[96:97], v[112:113] neg_lo:[0,1] neg_hi:[0,1]
	v_mov_b32_e32 v100, v103
	v_mov_b32_e32 v101, v98
	v_pk_add_f32 v[96:97], v[100:101], v[96:97] neg_lo:[0,1] neg_hi:[0,1]
	v_mov_b32_e32 v116, v114
	v_pk_add_f32 v[98:99], v[116:117], v[96:97]
	v_mov_b32_e32 v100, v99
	v_pk_add_f32 v[100:101], v[98:99], v[100:101]
	v_pk_add_f32 v[102:103], v[30:31], v[100:101]
	v_mov_b32_e32 v99, v102
	v_pk_add_f32 v[112:113], v[98:99], v[114:115] neg_lo:[0,1] neg_hi:[0,1]
	v_mov_b32_e32 v97, v100
	v_sub_f32_e32 v27, v98, v112
	v_pk_add_f32 v[96:97], v[96:97], v[112:113] neg_lo:[0,1] neg_hi:[0,1]
	v_sub_f32_e32 v27, v114, v27
	s_mov_b32 s58, 0x7f800000
	v_add_f32_e32 v27, v96, v27
	s_mov_b32 s55, 0x33800000
	v_add_f32_e32 v27, v27, v97
	v_cmp_eq_f32_e32 vcc, s58, v118
	v_cmp_lt_f32_e64 s[58:59], |v118|, s55
	v_add_f32_e32 v27, v102, v27
	s_or_b64 vcc, vcc, s[58:59]
	v_cndmask_b32_e32 v27, v27, v118, vcc
	v_add_f32_e32 v30, v2, v27
.LBB492_336:
	s_or_b64 exec, exec, s[6:7]
	v_bfe_u32 v2, v30, 16, 1
	s_movk_i32 s55, 0x7fff
	v_add3_u32 v2, v30, v2, s55
	v_lshrrev_b32_e32 v27, 16, v2
	v_mov_b32_e32 v2, 0x7fc0
	v_cmp_o_f32_e32 vcc, v30, v30
	v_cndmask_b32_e32 v27, v2, v27, vcc
	v_lshlrev_b32_e32 v30, 16, v27
	v_max_f32_e32 v97, v30, v30
	v_min_f32_e32 v96, v97, v20
	v_cmp_u_f32_e32 vcc, v30, v30
	v_max_f32_e32 v20, v97, v20
	v_cndmask_b32_e32 v96, v96, v30, vcc
	v_cndmask_b32_e32 v20, v20, v30, vcc
	v_cndmask_b32_e64 v96, v96, v3, s[8:9]
	v_cndmask_b32_e64 v3, v20, v3, s[8:9]
	v_cmp_neq_f32_e32 vcc, v96, v3
	v_cmp_class_f32_e64 s[6:7], v96, s54
	s_or_b64 s[8:9], vcc, s[6:7]
	s_and_saveexec_b64 s[6:7], s[8:9]
	s_cbranch_execz .LBB492_338
; %bb.337:
	v_sub_f32_e32 v20, v96, v3
	s_mov_b32 s8, 0x3fb8aa3b
	v_mul_f32_e32 v30, 0x3fb8aa3b, v20
	v_fma_f32 v96, v20, s8, -v30
	v_rndne_f32_e32 v97, v30
	v_fmac_f32_e32 v96, 0x32a5705f, v20
	v_sub_f32_e32 v30, v30, v97
	v_add_f32_e32 v30, v30, v96
	v_exp_f32_e32 v30, v30
	v_cvt_i32_f32_e32 v96, v97
	s_mov_b32 s8, 0xc2ce8ed0
	v_cmp_ngt_f32_e32 vcc, s8, v20
	s_mov_b32 s8, 0x42b17218
	v_ldexp_f32 v30, v30, v96
	v_cndmask_b32_e32 v30, 0, v30, vcc
	v_mov_b32_e32 v96, 0x7f800000
	v_cmp_nlt_f32_e32 vcc, s8, v20
	v_cndmask_b32_e32 v118, v96, v30, vcc
	v_add_f32_e32 v20, 1.0, v118
	v_add_f32_e32 v30, -1.0, v20
	v_sub_f32_e32 v96, v30, v20
	v_add_f32_e32 v96, 1.0, v96
	v_sub_f32_e32 v30, v118, v30
	v_add_f32_e32 v30, v30, v96
	v_frexp_mant_f32_e32 v98, v20
	s_mov_b32 s8, 0x3f2aaaab
	v_cvt_f64_f32_e32 v[96:97], v20
	v_frexp_exp_i32_f64_e32 v96, v[96:97]
	v_cmp_gt_f32_e32 vcc, s8, v98
	v_subbrev_co_u32_e32 v112, vcc, 0, v96, vcc
	v_sub_u32_e32 v96, 0, v112
	v_ldexp_f32 v20, v20, v96
	v_ldexp_f32 v30, v30, v96
	v_add_f32_e32 v96, -1.0, v20
	v_add_f32_e32 v97, 1.0, v96
	v_sub_f32_e32 v97, v20, v97
	v_add_f32_e32 v98, v30, v97
	v_add_f32_e32 v97, 1.0, v20
	v_add_f32_e32 v99, -1.0, v97
	v_sub_f32_e32 v20, v20, v99
	v_add_f32_e32 v20, v30, v20
	v_add_f32_e32 v30, v97, v20
	v_rcp_f32_e32 v113, v30
	v_sub_f32_e32 v97, v97, v30
	v_add_f32_e32 v20, v20, v97
	v_add_f32_e32 v97, v96, v98
	v_sub_f32_e32 v96, v96, v97
	v_mul_f32_e32 v115, v97, v113
	v_add_f32_e32 v114, v98, v96
	v_mul_f32_e32 v98, v30, v115
	v_fma_f32 v100, v115, v30, -v98
	v_fmac_f32_e32 v100, v115, v20
	v_add_f32_e32 v96, v98, v100
	v_sub_f32_e32 v99, v97, v96
	v_pk_add_f32 v[102:103], v[96:97], v[98:99] neg_lo:[0,1] neg_hi:[0,1]
	v_mov_b32_e32 v101, v96
	v_pk_add_f32 v[96:97], v[102:103], v[100:101] neg_lo:[0,1] neg_hi:[0,1]
	v_add_f32_e32 v97, v114, v97
	v_add_f32_e32 v96, v96, v97
	;; [unrolled: 1-line block ×3, first 2 shown]
	v_mul_f32_e32 v114, v113, v97
	v_mul_f32_e32 v98, v30, v114
	v_fma_f32 v100, v114, v30, -v98
	v_fmac_f32_e32 v100, v114, v20
	v_sub_f32_e32 v20, v99, v97
	v_add_f32_e32 v20, v96, v20
	v_add_f32_e32 v96, v98, v100
	v_sub_f32_e32 v99, v97, v96
	v_pk_add_f32 v[102:103], v[96:97], v[98:99] neg_lo:[0,1] neg_hi:[0,1]
	v_mov_b32_e32 v101, v96
	v_pk_add_f32 v[96:97], v[102:103], v[100:101] neg_lo:[0,1] neg_hi:[0,1]
	v_add_f32_e32 v20, v20, v97
	v_add_f32_e32 v20, v96, v20
	;; [unrolled: 1-line block ×4, first 2 shown]
	v_sub_f32_e32 v96, v30, v115
	v_mul_f32_e32 v20, v113, v20
	v_sub_f32_e32 v96, v114, v96
	v_add_f32_e32 v20, v96, v20
	v_add_f32_e32 v96, v30, v20
	v_mul_f32_e32 v99, v96, v96
	v_mov_b32_e32 v98, 0x3ecc95a3
	v_fmac_f32_e32 v98, 0x3e9b6dac, v99
	v_mov_b32_e32 v97, 0x3f2aaada
	v_fmac_f32_e32 v97, v99, v98
	v_cvt_f32_i32_e32 v98, v112
	v_sub_f32_e32 v30, v96, v30
	v_ldexp_f32 v101, v96, 1
	v_mul_f32_e32 v99, v96, v99
	v_mov_b32_e32 v96, 0x3f317218
	s_mov_b32 s8, 0x3f317218
	v_pk_mul_f32 v[96:97], v[98:99], v[96:97]
	v_fma_f32 v100, v98, s8, -v96
	v_fmac_f32_e32 v100, 0xb102e308, v98
	v_pk_add_f32 v[98:99], v[96:97], v[100:101]
	v_sub_f32_e32 v20, v20, v30
	v_sub_f32_e32 v30, v99, v101
	v_ldexp_f32 v20, v20, 1
	v_sub_f32_e32 v30, v97, v30
	v_add_f32_e32 v103, v20, v30
	v_mov_b32_e32 v102, v96
	v_pk_add_f32 v[96:97], v[98:99], v[96:97] neg_lo:[0,1] neg_hi:[0,1]
	v_pk_add_f32 v[112:113], v[98:99], v[102:103]
	v_mov_b32_e32 v97, v113
	v_mov_b32_e32 v101, v98
	v_pk_add_f32 v[114:115], v[100:101], v[96:97] neg_lo:[0,1] neg_hi:[0,1]
	v_pk_add_f32 v[96:97], v[100:101], v[96:97]
	v_mov_b32_e32 v20, v97
	v_pk_add_f32 v[100:101], v[20:21], v[98:99] neg_lo:[0,1] neg_hi:[0,1]
	v_mov_b32_e32 v101, v100
	v_pk_add_f32 v[116:117], v[112:113], v[100:101] neg_lo:[0,1] neg_hi:[0,1]
	v_mov_b32_e32 v96, v113
	v_mov_b32_e32 v112, v99
	;; [unrolled: 1-line block ×4, first 2 shown]
	v_pk_add_f32 v[96:97], v[96:97], v[112:113] neg_lo:[0,1] neg_hi:[0,1]
	v_mov_b32_e32 v100, v103
	v_mov_b32_e32 v101, v98
	v_pk_add_f32 v[96:97], v[100:101], v[96:97] neg_lo:[0,1] neg_hi:[0,1]
	v_mov_b32_e32 v116, v114
	v_pk_add_f32 v[98:99], v[116:117], v[96:97]
	v_mov_b32_e32 v30, v99
	v_pk_add_f32 v[100:101], v[98:99], v[30:31]
	v_pk_add_f32 v[102:103], v[20:21], v[100:101]
	v_mov_b32_e32 v99, v102
	v_pk_add_f32 v[112:113], v[98:99], v[114:115] neg_lo:[0,1] neg_hi:[0,1]
	v_mov_b32_e32 v97, v100
	v_sub_f32_e32 v20, v98, v112
	v_pk_add_f32 v[96:97], v[96:97], v[112:113] neg_lo:[0,1] neg_hi:[0,1]
	v_sub_f32_e32 v20, v114, v20
	s_mov_b32 s9, 0x7f800000
	v_add_f32_e32 v20, v96, v20
	s_mov_b32 s8, 0x33800000
	v_add_f32_e32 v20, v20, v97
	v_cmp_eq_f32_e32 vcc, s9, v118
	v_cmp_lt_f32_e64 s[8:9], |v118|, s8
	v_add_f32_e32 v20, v102, v20
	s_or_b64 vcc, vcc, s[8:9]
	v_cndmask_b32_e32 v20, v20, v118, vcc
	v_add_f32_e32 v30, v3, v20
.LBB492_338:
	s_or_b64 exec, exec, s[6:7]
	v_bfe_u32 v3, v30, 16, 1
	v_add3_u32 v3, v30, v3, s55
	v_lshrrev_b32_e32 v3, 16, v3
	v_cmp_o_f32_e32 vcc, v30, v30
	v_cndmask_b32_e32 v30, v2, v3, vcc
	v_lshlrev_b32_e32 v3, 16, v30
	v_max_f32_e32 v2, v3, v3
	v_min_f32_e32 v20, v2, v31
	v_cmp_u_f32_e32 vcc, v3, v3
	v_max_f32_e32 v2, v2, v31
	v_cndmask_b32_e32 v20, v20, v3, vcc
	v_cndmask_b32_e32 v2, v2, v3, vcc
	v_cndmask_b32_e64 v20, v20, v6, s[10:11]
	v_cndmask_b32_e64 v2, v2, v6, s[10:11]
	s_movk_i32 s8, 0x1f8
	v_cmp_neq_f32_e32 vcc, v20, v2
	v_cmp_class_f32_e64 s[6:7], v20, s8
	s_or_b64 s[10:11], vcc, s[6:7]
	s_and_saveexec_b64 s[6:7], s[10:11]
	s_cbranch_execz .LBB492_340
; %bb.339:
	v_sub_f32_e32 v3, v20, v2
	s_mov_b32 s9, 0x3fb8aa3b
	v_mul_f32_e32 v6, 0x3fb8aa3b, v3
	v_fma_f32 v20, v3, s9, -v6
	v_rndne_f32_e32 v31, v6
	v_fmac_f32_e32 v20, 0x32a5705f, v3
	v_sub_f32_e32 v6, v6, v31
	v_add_f32_e32 v6, v6, v20
	v_exp_f32_e32 v6, v6
	v_cvt_i32_f32_e32 v20, v31
	s_mov_b32 s9, 0xc2ce8ed0
	v_cmp_ngt_f32_e32 vcc, s9, v3
	s_mov_b32 s9, 0x42b17218
	v_ldexp_f32 v6, v6, v20
	v_cndmask_b32_e32 v6, 0, v6, vcc
	v_mov_b32_e32 v20, 0x7f800000
	v_cmp_nlt_f32_e32 vcc, s9, v3
	v_cndmask_b32_e32 v31, v20, v6, vcc
	v_add_f32_e32 v3, 1.0, v31
	v_add_f32_e32 v6, -1.0, v3
	v_sub_f32_e32 v20, v6, v3
	v_add_f32_e32 v20, 1.0, v20
	v_sub_f32_e32 v6, v31, v6
	v_add_f32_e32 v6, v6, v20
	v_frexp_mant_f32_e32 v20, v3
	s_mov_b32 s9, 0x3f2aaaab
	v_cvt_f64_f32_e32 v[96:97], v3
	v_frexp_exp_i32_f64_e32 v96, v[96:97]
	v_cmp_gt_f32_e32 vcc, s9, v20
	v_subbrev_co_u32_e32 v20, vcc, 0, v96, vcc
	v_sub_u32_e32 v96, 0, v20
	v_ldexp_f32 v3, v3, v96
	v_ldexp_f32 v6, v6, v96
	v_add_f32_e32 v96, -1.0, v3
	v_add_f32_e32 v97, 1.0, v96
	v_sub_f32_e32 v97, v3, v97
	v_add_f32_e32 v98, v6, v97
	v_add_f32_e32 v97, 1.0, v3
	v_add_f32_e32 v99, -1.0, v97
	v_sub_f32_e32 v3, v3, v99
	v_add_f32_e32 v3, v6, v3
	v_add_f32_e32 v6, v97, v3
	v_rcp_f32_e32 v112, v6
	v_sub_f32_e32 v97, v97, v6
	v_add_f32_e32 v3, v3, v97
	v_add_f32_e32 v97, v96, v98
	v_sub_f32_e32 v96, v96, v97
	v_mul_f32_e32 v114, v97, v112
	v_add_f32_e32 v113, v98, v96
	v_mul_f32_e32 v98, v6, v114
	v_fma_f32 v100, v114, v6, -v98
	v_fmac_f32_e32 v100, v114, v3
	v_add_f32_e32 v96, v98, v100
	v_sub_f32_e32 v99, v97, v96
	v_pk_add_f32 v[102:103], v[96:97], v[98:99] neg_lo:[0,1] neg_hi:[0,1]
	v_mov_b32_e32 v101, v96
	v_pk_add_f32 v[96:97], v[102:103], v[100:101] neg_lo:[0,1] neg_hi:[0,1]
	v_add_f32_e32 v97, v113, v97
	v_add_f32_e32 v96, v96, v97
	;; [unrolled: 1-line block ×3, first 2 shown]
	v_mul_f32_e32 v113, v112, v97
	v_mul_f32_e32 v98, v6, v113
	v_fma_f32 v100, v113, v6, -v98
	v_fmac_f32_e32 v100, v113, v3
	v_sub_f32_e32 v3, v99, v97
	v_add_f32_e32 v3, v96, v3
	v_add_f32_e32 v96, v98, v100
	v_sub_f32_e32 v99, v97, v96
	v_pk_add_f32 v[102:103], v[96:97], v[98:99] neg_lo:[0,1] neg_hi:[0,1]
	v_mov_b32_e32 v101, v96
	v_pk_add_f32 v[96:97], v[102:103], v[100:101] neg_lo:[0,1] neg_hi:[0,1]
	v_add_f32_e32 v3, v3, v97
	v_add_f32_e32 v3, v96, v3
	;; [unrolled: 1-line block ×4, first 2 shown]
	v_sub_f32_e32 v96, v6, v114
	v_mul_f32_e32 v3, v112, v3
	v_sub_f32_e32 v96, v113, v96
	v_add_f32_e32 v3, v96, v3
	v_add_f32_e32 v96, v6, v3
	v_mul_f32_e32 v99, v96, v96
	v_mov_b32_e32 v98, 0x3ecc95a3
	v_fmac_f32_e32 v98, 0x3e9b6dac, v99
	v_mov_b32_e32 v97, 0x3f2aaada
	v_fmac_f32_e32 v97, v99, v98
	v_cvt_f32_i32_e32 v98, v20
	v_sub_f32_e32 v6, v96, v6
	v_ldexp_f32 v101, v96, 1
	v_mul_f32_e32 v99, v96, v99
	v_mov_b32_e32 v96, 0x3f317218
	s_mov_b32 s9, 0x3f317218
	v_pk_mul_f32 v[96:97], v[98:99], v[96:97]
	v_fma_f32 v100, v98, s9, -v96
	v_fmac_f32_e32 v100, 0xb102e308, v98
	v_pk_add_f32 v[98:99], v[96:97], v[100:101]
	v_sub_f32_e32 v3, v3, v6
	v_sub_f32_e32 v6, v99, v101
	v_ldexp_f32 v3, v3, 1
	v_sub_f32_e32 v6, v97, v6
	v_add_f32_e32 v103, v3, v6
	v_mov_b32_e32 v102, v96
	v_pk_add_f32 v[96:97], v[98:99], v[96:97] neg_lo:[0,1] neg_hi:[0,1]
	v_pk_add_f32 v[112:113], v[98:99], v[102:103]
	v_mov_b32_e32 v97, v113
	v_mov_b32_e32 v101, v98
	v_pk_add_f32 v[114:115], v[100:101], v[96:97] neg_lo:[0,1] neg_hi:[0,1]
	v_pk_add_f32 v[96:97], v[100:101], v[96:97]
	v_mov_b32_e32 v6, v97
	v_pk_add_f32 v[100:101], v[6:7], v[98:99] neg_lo:[0,1] neg_hi:[0,1]
	v_mov_b32_e32 v3, v100
	v_pk_add_f32 v[116:117], v[112:113], v[2:3] neg_lo:[0,1] neg_hi:[0,1]
	v_mov_b32_e32 v96, v113
	v_mov_b32_e32 v112, v99
	v_mov_b32_e32 v113, v100
	v_mov_b32_e32 v115, v97
	v_pk_add_f32 v[96:97], v[96:97], v[112:113] neg_lo:[0,1] neg_hi:[0,1]
	v_mov_b32_e32 v100, v103
	v_mov_b32_e32 v101, v98
	v_pk_add_f32 v[96:97], v[100:101], v[96:97] neg_lo:[0,1] neg_hi:[0,1]
	v_mov_b32_e32 v116, v114
	v_pk_add_f32 v[98:99], v[116:117], v[96:97]
	v_mov_b32_e32 v20, v99
	v_pk_add_f32 v[100:101], v[98:99], v[20:21]
	v_pk_add_f32 v[102:103], v[6:7], v[100:101]
	v_mov_b32_e32 v99, v102
	v_pk_add_f32 v[112:113], v[98:99], v[114:115] neg_lo:[0,1] neg_hi:[0,1]
	v_mov_b32_e32 v97, v100
	v_sub_f32_e32 v3, v98, v112
	v_pk_add_f32 v[96:97], v[96:97], v[112:113] neg_lo:[0,1] neg_hi:[0,1]
	v_sub_f32_e32 v3, v114, v3
	s_mov_b32 s10, 0x7f800000
	v_add_f32_e32 v3, v96, v3
	s_mov_b32 s9, 0x33800000
	v_add_f32_e32 v3, v3, v97
	v_cmp_eq_f32_e32 vcc, s10, v31
	v_cmp_lt_f32_e64 s[10:11], |v31|, s9
	v_add_f32_e32 v3, v102, v3
	s_or_b64 vcc, vcc, s[10:11]
	v_cndmask_b32_e32 v3, v3, v31, vcc
	v_add_f32_e32 v3, v2, v3
.LBB492_340:
	s_or_b64 exec, exec, s[6:7]
	v_bfe_u32 v2, v3, 16, 1
	s_movk_i32 s9, 0x7fff
	v_add3_u32 v2, v3, v2, s9
	v_lshrrev_b32_e32 v6, 16, v2
	v_mov_b32_e32 v2, 0x7fc0
	v_cmp_o_f32_e32 vcc, v3, v3
	v_cndmask_b32_e32 v31, v2, v6, vcc
	v_lshlrev_b32_e32 v6, 16, v31
	v_max_f32_e32 v3, v6, v6
	v_min_f32_e32 v20, v3, v32
	v_cmp_u_f32_e32 vcc, v6, v6
	v_max_f32_e32 v3, v3, v32
	v_cndmask_b32_e32 v20, v20, v6, vcc
	v_cndmask_b32_e32 v3, v3, v6, vcc
	v_cndmask_b32_e64 v20, v20, v7, s[12:13]
	v_cndmask_b32_e64 v3, v3, v7, s[12:13]
	v_cmp_neq_f32_e32 vcc, v20, v3
	v_cmp_class_f32_e64 s[6:7], v20, s8
	s_or_b64 s[10:11], vcc, s[6:7]
	s_and_saveexec_b64 s[6:7], s[10:11]
	s_cbranch_execz .LBB492_342
; %bb.341:
	v_sub_f32_e32 v6, v20, v3
	s_mov_b32 s8, 0x3fb8aa3b
	v_mul_f32_e32 v7, 0x3fb8aa3b, v6
	v_fma_f32 v20, v6, s8, -v7
	v_rndne_f32_e32 v32, v7
	v_fmac_f32_e32 v20, 0x32a5705f, v6
	v_sub_f32_e32 v7, v7, v32
	v_add_f32_e32 v7, v7, v20
	v_exp_f32_e32 v7, v7
	v_cvt_i32_f32_e32 v20, v32
	s_mov_b32 s8, 0xc2ce8ed0
	v_cmp_ngt_f32_e32 vcc, s8, v6
	s_mov_b32 s8, 0x42b17218
	v_ldexp_f32 v7, v7, v20
	v_cndmask_b32_e32 v7, 0, v7, vcc
	v_mov_b32_e32 v20, 0x7f800000
	v_cmp_nlt_f32_e32 vcc, s8, v6
	v_cndmask_b32_e32 v116, v20, v7, vcc
	v_add_f32_e32 v20, 1.0, v116
	v_add_f32_e32 v6, -1.0, v20
	v_sub_f32_e32 v7, v6, v20
	v_add_f32_e32 v7, 1.0, v7
	v_sub_f32_e32 v6, v116, v6
	v_add_f32_e32 v32, v6, v7
	v_frexp_mant_f32_e32 v96, v20
	s_mov_b32 s8, 0x3f2aaaab
	v_cvt_f64_f32_e32 v[6:7], v20
	v_frexp_exp_i32_f64_e32 v6, v[6:7]
	v_cmp_gt_f32_e32 vcc, s8, v96
	v_subbrev_co_u32_e32 v102, vcc, 0, v6, vcc
	v_sub_u32_e32 v6, 0, v102
	v_ldexp_f32 v7, v20, v6
	v_add_f32_e32 v20, -1.0, v7
	v_add_f32_e32 v96, 1.0, v7
	v_ldexp_f32 v6, v32, v6
	v_add_f32_e32 v32, 1.0, v20
	v_add_f32_e32 v97, -1.0, v96
	v_sub_f32_e32 v32, v7, v32
	v_sub_f32_e32 v7, v7, v97
	v_add_f32_e32 v32, v6, v32
	v_add_f32_e32 v6, v6, v7
	;; [unrolled: 1-line block ×3, first 2 shown]
	v_rcp_f32_e32 v113, v103
	v_sub_f32_e32 v7, v96, v103
	v_add_f32_e32 v112, v6, v7
	v_add_f32_e32 v7, v20, v32
	v_sub_f32_e32 v6, v20, v7
	v_add_f32_e32 v20, v32, v6
	v_mul_f32_e32 v32, v7, v113
	v_mul_f32_e32 v96, v103, v32
	v_fma_f32 v98, v32, v103, -v96
	v_fmac_f32_e32 v98, v32, v112
	v_add_f32_e32 v6, v96, v98
	v_sub_f32_e32 v97, v7, v6
	v_pk_add_f32 v[100:101], v[6:7], v[96:97] neg_lo:[0,1] neg_hi:[0,1]
	v_mov_b32_e32 v99, v6
	v_pk_add_f32 v[6:7], v[100:101], v[98:99] neg_lo:[0,1] neg_hi:[0,1]
	v_add_f32_e32 v7, v20, v7
	v_add_f32_e32 v6, v6, v7
	;; [unrolled: 1-line block ×3, first 2 shown]
	v_mul_f32_e32 v20, v113, v7
	v_mul_f32_e32 v96, v103, v20
	v_fma_f32 v98, v20, v103, -v96
	v_fmac_f32_e32 v98, v20, v112
	v_sub_f32_e32 v97, v97, v7
	v_add_f32_e32 v103, v6, v97
	v_add_f32_e32 v6, v96, v98
	v_sub_f32_e32 v97, v7, v6
	v_pk_add_f32 v[100:101], v[6:7], v[96:97] neg_lo:[0,1] neg_hi:[0,1]
	v_mov_b32_e32 v99, v6
	v_pk_add_f32 v[6:7], v[100:101], v[98:99] neg_lo:[0,1] neg_hi:[0,1]
	v_add_f32_e32 v7, v103, v7
	v_add_f32_e32 v6, v6, v7
	;; [unrolled: 1-line block ×4, first 2 shown]
	v_sub_f32_e32 v7, v97, v32
	v_mul_f32_e32 v6, v113, v6
	v_sub_f32_e32 v7, v20, v7
	v_add_f32_e32 v6, v7, v6
	v_add_f32_e32 v20, v97, v6
	v_mul_f32_e32 v32, v20, v20
	v_mov_b32_e32 v96, 0x3ecc95a3
	v_fmac_f32_e32 v96, 0x3e9b6dac, v32
	v_mov_b32_e32 v7, 0x3f2aaada
	v_fmac_f32_e32 v7, v32, v96
	v_cvt_f32_i32_e32 v96, v102
	v_sub_f32_e32 v97, v20, v97
	v_sub_f32_e32 v6, v6, v97
	v_ldexp_f32 v100, v6, 1
	v_mul_f32_e32 v97, v20, v32
	v_mov_b32_e32 v6, 0x3f317218
	s_mov_b32 s8, 0x3f317218
	v_pk_mul_f32 v[6:7], v[96:97], v[6:7]
	v_fma_f32 v98, v96, s8, -v6
	v_ldexp_f32 v99, v20, 1
	v_fmac_f32_e32 v98, 0xb102e308, v96
	v_pk_add_f32 v[96:97], v[6:7], v[98:99]
	v_sub_f32_e32 v20, v97, v99
	v_sub_f32_e32 v20, v7, v20
	v_add_f32_e32 v101, v100, v20
	v_mov_b32_e32 v100, v6
	v_pk_add_f32 v[6:7], v[96:97], v[6:7] neg_lo:[0,1] neg_hi:[0,1]
	v_pk_add_f32 v[102:103], v[96:97], v[100:101]
	v_mov_b32_e32 v7, v103
	v_mov_b32_e32 v99, v96
	v_pk_add_f32 v[112:113], v[98:99], v[6:7] neg_lo:[0,1] neg_hi:[0,1]
	v_pk_add_f32 v[6:7], v[98:99], v[6:7]
	v_mov_b32_e32 v20, v7
	v_pk_add_f32 v[98:99], v[20:21], v[96:97] neg_lo:[0,1] neg_hi:[0,1]
	v_mov_b32_e32 v99, v98
	v_pk_add_f32 v[114:115], v[102:103], v[98:99] neg_lo:[0,1] neg_hi:[0,1]
	v_mov_b32_e32 v6, v103
	v_mov_b32_e32 v102, v97
	;; [unrolled: 1-line block ×4, first 2 shown]
	v_pk_add_f32 v[6:7], v[6:7], v[102:103] neg_lo:[0,1] neg_hi:[0,1]
	v_mov_b32_e32 v98, v101
	v_mov_b32_e32 v99, v96
	v_pk_add_f32 v[6:7], v[98:99], v[6:7] neg_lo:[0,1] neg_hi:[0,1]
	v_mov_b32_e32 v114, v112
	v_pk_add_f32 v[96:97], v[114:115], v[6:7]
	v_mov_b32_e32 v32, v97
	v_pk_add_f32 v[98:99], v[96:97], v[32:33]
	v_pk_add_f32 v[100:101], v[20:21], v[98:99]
	v_mov_b32_e32 v97, v100
	v_pk_add_f32 v[102:103], v[96:97], v[112:113] neg_lo:[0,1] neg_hi:[0,1]
	v_mov_b32_e32 v7, v98
	v_sub_f32_e32 v20, v96, v102
	v_pk_add_f32 v[6:7], v[6:7], v[102:103] neg_lo:[0,1] neg_hi:[0,1]
	v_sub_f32_e32 v20, v112, v20
	s_mov_b32 s10, 0x7f800000
	v_add_f32_e32 v6, v6, v20
	s_mov_b32 s8, 0x33800000
	v_add_f32_e32 v6, v6, v7
	v_cmp_eq_f32_e32 vcc, s10, v116
	v_cmp_lt_f32_e64 s[10:11], |v116|, s8
	v_add_f32_e32 v6, v100, v6
	s_or_b64 vcc, vcc, s[10:11]
	v_cndmask_b32_e32 v6, v6, v116, vcc
	v_add_f32_e32 v6, v3, v6
.LBB492_342:
	s_or_b64 exec, exec, s[6:7]
	v_bfe_u32 v3, v6, 16, 1
	v_add3_u32 v3, v6, v3, s9
	v_lshrrev_b32_e32 v3, 16, v3
	v_cmp_o_f32_e32 vcc, v6, v6
	v_cndmask_b32_e32 v32, v2, v3, vcc
	v_lshlrev_b32_e32 v3, 16, v32
	v_max_f32_e32 v2, v3, v3
	v_min_f32_e32 v6, v2, v33
	v_cmp_u_f32_e32 vcc, v3, v3
	v_max_f32_e32 v2, v2, v33
	v_cndmask_b32_e32 v6, v6, v3, vcc
	v_cndmask_b32_e32 v2, v2, v3, vcc
	v_cndmask_b32_e64 v6, v6, v21, s[14:15]
	v_cndmask_b32_e64 v2, v2, v21, s[14:15]
	s_movk_i32 s8, 0x1f8
	v_cmp_neq_f32_e32 vcc, v6, v2
	v_cmp_class_f32_e64 s[6:7], v6, s8
	s_or_b64 s[10:11], vcc, s[6:7]
	s_and_saveexec_b64 s[6:7], s[10:11]
	s_cbranch_execz .LBB492_344
; %bb.343:
	v_sub_f32_e32 v3, v6, v2
	s_mov_b32 s9, 0x3fb8aa3b
	v_mul_f32_e32 v6, 0x3fb8aa3b, v3
	v_fma_f32 v7, v3, s9, -v6
	v_rndne_f32_e32 v20, v6
	v_fmac_f32_e32 v7, 0x32a5705f, v3
	v_sub_f32_e32 v6, v6, v20
	v_add_f32_e32 v6, v6, v7
	v_exp_f32_e32 v6, v6
	v_cvt_i32_f32_e32 v7, v20
	s_mov_b32 s9, 0xc2ce8ed0
	v_cmp_ngt_f32_e32 vcc, s9, v3
	s_mov_b32 s9, 0x42b17218
	v_ldexp_f32 v6, v6, v7
	v_cndmask_b32_e32 v6, 0, v6, vcc
	v_mov_b32_e32 v7, 0x7f800000
	v_cmp_nlt_f32_e32 vcc, s9, v3
	v_cndmask_b32_e32 v33, v7, v6, vcc
	v_add_f32_e32 v3, 1.0, v33
	v_add_f32_e32 v6, -1.0, v3
	v_sub_f32_e32 v7, v6, v3
	v_add_f32_e32 v7, 1.0, v7
	v_sub_f32_e32 v6, v33, v6
	v_add_f32_e32 v20, v6, v7
	v_frexp_mant_f32_e32 v21, v3
	s_mov_b32 s9, 0x3f2aaaab
	v_cvt_f64_f32_e32 v[6:7], v3
	v_frexp_exp_i32_f64_e32 v6, v[6:7]
	v_cmp_gt_f32_e32 vcc, s9, v21
	v_subbrev_co_u32_e32 v100, vcc, 0, v6, vcc
	v_sub_u32_e32 v6, 0, v100
	v_ldexp_f32 v3, v3, v6
	v_ldexp_f32 v6, v20, v6
	v_add_f32_e32 v20, -1.0, v3
	v_add_f32_e32 v7, 1.0, v20
	v_sub_f32_e32 v7, v3, v7
	v_add_f32_e32 v21, v6, v7
	v_add_f32_e32 v7, 1.0, v3
	v_add_f32_e32 v96, -1.0, v7
	v_sub_f32_e32 v3, v3, v96
	v_add_f32_e32 v3, v6, v3
	v_add_f32_e32 v101, v7, v3
	v_rcp_f32_e32 v102, v101
	v_sub_f32_e32 v6, v7, v101
	v_add_f32_e32 v7, v20, v21
	v_add_f32_e32 v3, v3, v6
	v_mul_f32_e32 v112, v7, v102
	v_sub_f32_e32 v6, v20, v7
	v_mul_f32_e32 v20, v101, v112
	v_fma_f32 v96, v112, v101, -v20
	v_fmac_f32_e32 v96, v112, v3
	v_add_f32_e32 v103, v21, v6
	v_add_f32_e32 v6, v20, v96
	v_sub_f32_e32 v21, v7, v6
	v_pk_add_f32 v[98:99], v[6:7], v[20:21] neg_lo:[0,1] neg_hi:[0,1]
	v_mov_b32_e32 v97, v6
	v_pk_add_f32 v[6:7], v[98:99], v[96:97] neg_lo:[0,1] neg_hi:[0,1]
	v_add_f32_e32 v7, v103, v7
	v_add_f32_e32 v6, v6, v7
	;; [unrolled: 1-line block ×3, first 2 shown]
	v_mul_f32_e32 v103, v102, v7
	v_mul_f32_e32 v20, v101, v103
	v_fma_f32 v96, v103, v101, -v20
	v_fmac_f32_e32 v96, v103, v3
	v_sub_f32_e32 v3, v21, v7
	v_add_f32_e32 v3, v6, v3
	v_add_f32_e32 v6, v20, v96
	v_sub_f32_e32 v21, v7, v6
	v_pk_add_f32 v[98:99], v[6:7], v[20:21] neg_lo:[0,1] neg_hi:[0,1]
	v_mov_b32_e32 v97, v6
	v_pk_add_f32 v[6:7], v[98:99], v[96:97] neg_lo:[0,1] neg_hi:[0,1]
	v_add_f32_e32 v3, v3, v7
	v_add_f32_e32 v3, v6, v3
	;; [unrolled: 1-line block ×4, first 2 shown]
	v_sub_f32_e32 v7, v6, v112
	v_mul_f32_e32 v3, v102, v3
	v_sub_f32_e32 v7, v103, v7
	v_add_f32_e32 v3, v7, v3
	v_add_f32_e32 v21, v6, v3
	v_mul_f32_e32 v96, v21, v21
	v_mov_b32_e32 v20, 0x3ecc95a3
	v_fmac_f32_e32 v20, 0x3e9b6dac, v96
	v_mov_b32_e32 v7, 0x3f2aaada
	v_fmac_f32_e32 v7, v96, v20
	v_cvt_f32_i32_e32 v20, v100
	v_sub_f32_e32 v6, v21, v6
	v_sub_f32_e32 v3, v3, v6
	v_ldexp_f32 v97, v21, 1
	v_mul_f32_e32 v21, v21, v96
	v_mov_b32_e32 v6, 0x3f317218
	s_mov_b32 s9, 0x3f317218
	v_pk_mul_f32 v[6:7], v[20:21], v[6:7]
	v_fma_f32 v96, v20, s9, -v6
	v_fmac_f32_e32 v96, 0xb102e308, v20
	v_pk_add_f32 v[20:21], v[6:7], v[96:97]
	v_sub_f32_e32 v97, v21, v97
	v_ldexp_f32 v3, v3, 1
	v_sub_f32_e32 v97, v7, v97
	v_add_f32_e32 v99, v3, v97
	v_mov_b32_e32 v98, v6
	v_pk_add_f32 v[6:7], v[20:21], v[6:7] neg_lo:[0,1] neg_hi:[0,1]
	v_pk_add_f32 v[100:101], v[20:21], v[98:99]
	v_mov_b32_e32 v7, v101
	v_mov_b32_e32 v97, v20
	v_pk_add_f32 v[102:103], v[96:97], v[6:7] neg_lo:[0,1] neg_hi:[0,1]
	v_pk_add_f32 v[6:7], v[96:97], v[6:7]
	v_mov_b32_e32 v96, v7
	v_pk_add_f32 v[112:113], v[96:97], v[20:21] neg_lo:[0,1] neg_hi:[0,1]
	v_mov_b32_e32 v3, v112
	v_pk_add_f32 v[114:115], v[100:101], v[2:3] neg_lo:[0,1] neg_hi:[0,1]
	v_mov_b32_e32 v6, v101
	v_mov_b32_e32 v100, v21
	;; [unrolled: 1-line block ×4, first 2 shown]
	v_pk_add_f32 v[6:7], v[6:7], v[100:101] neg_lo:[0,1] neg_hi:[0,1]
	v_mov_b32_e32 v98, v99
	v_mov_b32_e32 v99, v20
	v_pk_add_f32 v[6:7], v[98:99], v[6:7] neg_lo:[0,1] neg_hi:[0,1]
	v_mov_b32_e32 v114, v102
	v_pk_add_f32 v[20:21], v[114:115], v[6:7]
	v_mov_b32_e32 v98, v21
	v_pk_add_f32 v[98:99], v[20:21], v[98:99]
	v_pk_add_f32 v[96:97], v[96:97], v[98:99]
	v_mov_b32_e32 v21, v96
	v_pk_add_f32 v[100:101], v[20:21], v[102:103] neg_lo:[0,1] neg_hi:[0,1]
	v_mov_b32_e32 v7, v98
	v_sub_f32_e32 v3, v20, v100
	v_pk_add_f32 v[6:7], v[6:7], v[100:101] neg_lo:[0,1] neg_hi:[0,1]
	v_sub_f32_e32 v3, v102, v3
	s_mov_b32 s10, 0x7f800000
	v_add_f32_e32 v3, v6, v3
	s_mov_b32 s9, 0x33800000
	v_add_f32_e32 v3, v3, v7
	v_cmp_eq_f32_e32 vcc, s10, v33
	v_cmp_lt_f32_e64 s[10:11], |v33|, s9
	v_add_f32_e32 v3, v96, v3
	s_or_b64 vcc, vcc, s[10:11]
	v_cndmask_b32_e32 v3, v3, v33, vcc
	v_add_f32_e32 v3, v2, v3
.LBB492_344:
	s_or_b64 exec, exec, s[6:7]
	v_bfe_u32 v2, v3, 16, 1
	s_movk_i32 s9, 0x7fff
	v_add3_u32 v2, v3, v2, s9
	v_lshrrev_b32_e32 v6, 16, v2
	v_mov_b32_e32 v2, 0x7fc0
	v_cmp_o_f32_e32 vcc, v3, v3
	v_cndmask_b32_e32 v33, v2, v6, vcc
	v_lshlrev_b32_e32 v6, 16, v33
	v_max_f32_e32 v3, v6, v6
	v_min_f32_e32 v7, v3, v34
	v_cmp_u_f32_e32 vcc, v6, v6
	v_max_f32_e32 v3, v3, v34
	v_cndmask_b32_e32 v7, v7, v6, vcc
	v_cndmask_b32_e32 v3, v3, v6, vcc
	v_cndmask_b32_e64 v7, v7, v22, s[16:17]
	v_cndmask_b32_e64 v3, v3, v22, s[16:17]
	v_cmp_neq_f32_e32 vcc, v7, v3
	v_cmp_class_f32_e64 s[6:7], v7, s8
	s_or_b64 s[10:11], vcc, s[6:7]
	s_and_saveexec_b64 s[6:7], s[10:11]
	s_cbranch_execz .LBB492_346
; %bb.345:
	v_sub_f32_e32 v6, v7, v3
	s_mov_b32 s8, 0x3fb8aa3b
	v_mul_f32_e32 v7, 0x3fb8aa3b, v6
	v_fma_f32 v20, v6, s8, -v7
	v_rndne_f32_e32 v21, v7
	v_fmac_f32_e32 v20, 0x32a5705f, v6
	v_sub_f32_e32 v7, v7, v21
	v_add_f32_e32 v7, v7, v20
	v_exp_f32_e32 v7, v7
	v_cvt_i32_f32_e32 v20, v21
	s_mov_b32 s8, 0xc2ce8ed0
	v_cmp_ngt_f32_e32 vcc, s8, v6
	s_mov_b32 s8, 0x42b17218
	v_ldexp_f32 v7, v7, v20
	v_cndmask_b32_e32 v7, 0, v7, vcc
	v_mov_b32_e32 v20, 0x7f800000
	v_cmp_nlt_f32_e32 vcc, s8, v6
	v_cndmask_b32_e32 v114, v20, v7, vcc
	v_add_f32_e32 v20, 1.0, v114
	v_add_f32_e32 v6, -1.0, v20
	v_sub_f32_e32 v7, v6, v20
	v_add_f32_e32 v7, 1.0, v7
	v_sub_f32_e32 v6, v114, v6
	v_add_f32_e32 v21, v6, v7
	v_frexp_mant_f32_e32 v22, v20
	s_mov_b32 s8, 0x3f2aaaab
	v_cvt_f64_f32_e32 v[6:7], v20
	v_frexp_exp_i32_f64_e32 v6, v[6:7]
	v_cmp_gt_f32_e32 vcc, s8, v22
	v_subbrev_co_u32_e32 v22, vcc, 0, v6, vcc
	v_sub_u32_e32 v6, 0, v22
	v_ldexp_f32 v7, v20, v6
	v_add_f32_e32 v20, -1.0, v7
	v_add_f32_e32 v34, 1.0, v7
	v_ldexp_f32 v6, v21, v6
	v_add_f32_e32 v21, 1.0, v20
	v_add_f32_e32 v96, -1.0, v34
	v_sub_f32_e32 v21, v7, v21
	v_sub_f32_e32 v7, v7, v96
	v_add_f32_e32 v21, v6, v21
	v_add_f32_e32 v6, v6, v7
	;; [unrolled: 1-line block ×3, first 2 shown]
	v_rcp_f32_e32 v101, v100
	v_sub_f32_e32 v7, v34, v100
	v_add_f32_e32 v34, v6, v7
	v_add_f32_e32 v7, v20, v21
	v_mul_f32_e32 v103, v7, v101
	v_sub_f32_e32 v6, v20, v7
	v_mul_f32_e32 v20, v100, v103
	v_fma_f32 v96, v103, v100, -v20
	v_fmac_f32_e32 v96, v103, v34
	v_add_f32_e32 v102, v21, v6
	v_add_f32_e32 v6, v20, v96
	v_sub_f32_e32 v21, v7, v6
	v_pk_add_f32 v[98:99], v[6:7], v[20:21] neg_lo:[0,1] neg_hi:[0,1]
	v_mov_b32_e32 v97, v6
	v_pk_add_f32 v[6:7], v[98:99], v[96:97] neg_lo:[0,1] neg_hi:[0,1]
	v_add_f32_e32 v7, v102, v7
	v_add_f32_e32 v6, v6, v7
	;; [unrolled: 1-line block ×3, first 2 shown]
	v_mul_f32_e32 v102, v101, v7
	v_mul_f32_e32 v20, v100, v102
	v_fma_f32 v96, v102, v100, -v20
	v_fmac_f32_e32 v96, v102, v34
	v_sub_f32_e32 v21, v21, v7
	v_add_f32_e32 v34, v6, v21
	v_add_f32_e32 v6, v20, v96
	v_sub_f32_e32 v21, v7, v6
	v_pk_add_f32 v[98:99], v[6:7], v[20:21] neg_lo:[0,1] neg_hi:[0,1]
	v_mov_b32_e32 v97, v6
	v_pk_add_f32 v[6:7], v[98:99], v[96:97] neg_lo:[0,1] neg_hi:[0,1]
	v_add_f32_e32 v7, v34, v7
	v_add_f32_e32 v6, v6, v7
	;; [unrolled: 1-line block ×4, first 2 shown]
	v_sub_f32_e32 v7, v21, v103
	v_mul_f32_e32 v6, v101, v6
	v_sub_f32_e32 v7, v102, v7
	v_add_f32_e32 v6, v7, v6
	v_add_f32_e32 v34, v21, v6
	v_mul_f32_e32 v96, v34, v34
	v_mov_b32_e32 v20, 0x3ecc95a3
	v_fmac_f32_e32 v20, 0x3e9b6dac, v96
	v_mov_b32_e32 v7, 0x3f2aaada
	v_fmac_f32_e32 v7, v96, v20
	v_cvt_f32_i32_e32 v20, v22
	v_sub_f32_e32 v21, v34, v21
	v_sub_f32_e32 v6, v6, v21
	v_ldexp_f32 v22, v6, 1
	v_mul_f32_e32 v21, v34, v96
	v_mov_b32_e32 v6, 0x3f317218
	s_mov_b32 s8, 0x3f317218
	v_pk_mul_f32 v[6:7], v[20:21], v[6:7]
	v_fma_f32 v96, v20, s8, -v6
	v_ldexp_f32 v97, v34, 1
	v_fmac_f32_e32 v96, 0xb102e308, v20
	v_pk_add_f32 v[20:21], v[6:7], v[96:97]
	v_sub_f32_e32 v34, v21, v97
	v_sub_f32_e32 v34, v7, v34
	v_add_f32_e32 v99, v22, v34
	v_mov_b32_e32 v98, v6
	v_pk_add_f32 v[6:7], v[20:21], v[6:7] neg_lo:[0,1] neg_hi:[0,1]
	v_pk_add_f32 v[100:101], v[20:21], v[98:99]
	v_mov_b32_e32 v7, v101
	v_mov_b32_e32 v97, v20
	v_pk_add_f32 v[102:103], v[96:97], v[6:7] neg_lo:[0,1] neg_hi:[0,1]
	v_pk_add_f32 v[6:7], v[96:97], v[6:7]
	v_mov_b32_e32 v22, v7
	v_pk_add_f32 v[96:97], v[22:23], v[20:21] neg_lo:[0,1] neg_hi:[0,1]
	v_mov_b32_e32 v97, v96
	v_pk_add_f32 v[112:113], v[100:101], v[96:97] neg_lo:[0,1] neg_hi:[0,1]
	v_mov_b32_e32 v6, v101
	v_mov_b32_e32 v100, v21
	;; [unrolled: 1-line block ×4, first 2 shown]
	v_pk_add_f32 v[6:7], v[6:7], v[100:101] neg_lo:[0,1] neg_hi:[0,1]
	v_mov_b32_e32 v96, v99
	v_mov_b32_e32 v97, v20
	v_pk_add_f32 v[6:7], v[96:97], v[6:7] neg_lo:[0,1] neg_hi:[0,1]
	v_mov_b32_e32 v112, v102
	v_pk_add_f32 v[20:21], v[112:113], v[6:7]
	v_mov_b32_e32 v34, v21
	v_pk_add_f32 v[96:97], v[20:21], v[34:35]
	v_pk_add_f32 v[98:99], v[22:23], v[96:97]
	v_mov_b32_e32 v21, v98
	v_pk_add_f32 v[100:101], v[20:21], v[102:103] neg_lo:[0,1] neg_hi:[0,1]
	v_mov_b32_e32 v7, v96
	v_sub_f32_e32 v20, v20, v100
	v_pk_add_f32 v[6:7], v[6:7], v[100:101] neg_lo:[0,1] neg_hi:[0,1]
	v_sub_f32_e32 v20, v102, v20
	s_mov_b32 s10, 0x7f800000
	v_add_f32_e32 v6, v6, v20
	s_mov_b32 s8, 0x33800000
	v_add_f32_e32 v6, v6, v7
	v_cmp_eq_f32_e32 vcc, s10, v114
	v_cmp_lt_f32_e64 s[10:11], |v114|, s8
	v_add_f32_e32 v6, v98, v6
	s_or_b64 vcc, vcc, s[10:11]
	v_cndmask_b32_e32 v6, v6, v114, vcc
	v_add_f32_e32 v6, v3, v6
.LBB492_346:
	s_or_b64 exec, exec, s[6:7]
	v_bfe_u32 v3, v6, 16, 1
	v_add3_u32 v3, v6, v3, s9
	v_lshrrev_b32_e32 v3, 16, v3
	v_cmp_o_f32_e32 vcc, v6, v6
	v_cndmask_b32_e32 v34, v2, v3, vcc
	v_lshlrev_b32_e32 v3, 16, v34
	v_max_f32_e32 v2, v3, v3
	v_min_f32_e32 v6, v2, v35
	v_cmp_u_f32_e32 vcc, v3, v3
	v_max_f32_e32 v2, v2, v35
	v_cndmask_b32_e32 v6, v6, v3, vcc
	v_cndmask_b32_e32 v2, v2, v3, vcc
	v_cndmask_b32_e64 v6, v6, v23, s[18:19]
	v_cndmask_b32_e64 v2, v2, v23, s[18:19]
	s_movk_i32 s8, 0x1f8
	v_cmp_neq_f32_e32 vcc, v6, v2
	v_cmp_class_f32_e64 s[6:7], v6, s8
	s_or_b64 s[10:11], vcc, s[6:7]
	s_and_saveexec_b64 s[6:7], s[10:11]
	s_cbranch_execz .LBB492_348
; %bb.347:
	v_sub_f32_e32 v3, v6, v2
	s_mov_b32 s9, 0x3fb8aa3b
	v_mul_f32_e32 v6, 0x3fb8aa3b, v3
	v_fma_f32 v7, v3, s9, -v6
	v_rndne_f32_e32 v20, v6
	v_fmac_f32_e32 v7, 0x32a5705f, v3
	v_sub_f32_e32 v6, v6, v20
	v_add_f32_e32 v6, v6, v7
	v_exp_f32_e32 v6, v6
	v_cvt_i32_f32_e32 v7, v20
	s_mov_b32 s9, 0xc2ce8ed0
	v_cmp_ngt_f32_e32 vcc, s9, v3
	s_mov_b32 s9, 0x42b17218
	v_ldexp_f32 v6, v6, v7
	v_cndmask_b32_e32 v6, 0, v6, vcc
	v_mov_b32_e32 v7, 0x7f800000
	v_cmp_nlt_f32_e32 vcc, s9, v3
	v_cndmask_b32_e32 v35, v7, v6, vcc
	v_add_f32_e32 v3, 1.0, v35
	v_add_f32_e32 v6, -1.0, v3
	v_sub_f32_e32 v7, v6, v3
	v_add_f32_e32 v7, 1.0, v7
	v_sub_f32_e32 v6, v35, v6
	v_add_f32_e32 v20, v6, v7
	v_frexp_mant_f32_e32 v21, v3
	s_mov_b32 s9, 0x3f2aaaab
	v_cvt_f64_f32_e32 v[6:7], v3
	v_frexp_exp_i32_f64_e32 v6, v[6:7]
	v_cmp_gt_f32_e32 vcc, s9, v21
	v_subbrev_co_u32_e32 v98, vcc, 0, v6, vcc
	v_sub_u32_e32 v6, 0, v98
	v_ldexp_f32 v3, v3, v6
	v_ldexp_f32 v6, v20, v6
	v_add_f32_e32 v20, -1.0, v3
	v_add_f32_e32 v7, 1.0, v20
	v_sub_f32_e32 v7, v3, v7
	v_add_f32_e32 v21, v6, v7
	v_add_f32_e32 v7, 1.0, v3
	v_add_f32_e32 v22, -1.0, v7
	v_sub_f32_e32 v3, v3, v22
	v_add_f32_e32 v3, v6, v3
	v_add_f32_e32 v99, v7, v3
	v_rcp_f32_e32 v100, v99
	v_sub_f32_e32 v6, v7, v99
	v_add_f32_e32 v7, v20, v21
	v_add_f32_e32 v3, v3, v6
	v_mul_f32_e32 v102, v7, v100
	v_sub_f32_e32 v6, v20, v7
	v_mul_f32_e32 v20, v99, v102
	v_fma_f32 v22, v102, v99, -v20
	v_fmac_f32_e32 v22, v102, v3
	v_add_f32_e32 v101, v21, v6
	v_add_f32_e32 v6, v20, v22
	v_sub_f32_e32 v21, v7, v6
	v_pk_add_f32 v[96:97], v[6:7], v[20:21] neg_lo:[0,1] neg_hi:[0,1]
	v_mov_b32_e32 v23, v6
	v_pk_add_f32 v[6:7], v[96:97], v[22:23] neg_lo:[0,1] neg_hi:[0,1]
	v_add_f32_e32 v7, v101, v7
	v_add_f32_e32 v6, v6, v7
	v_add_f32_e32 v7, v21, v6
	v_mul_f32_e32 v101, v100, v7
	v_mul_f32_e32 v20, v99, v101
	v_fma_f32 v22, v101, v99, -v20
	v_fmac_f32_e32 v22, v101, v3
	v_sub_f32_e32 v3, v21, v7
	v_add_f32_e32 v3, v6, v3
	v_add_f32_e32 v6, v20, v22
	v_sub_f32_e32 v21, v7, v6
	v_pk_add_f32 v[96:97], v[6:7], v[20:21] neg_lo:[0,1] neg_hi:[0,1]
	v_mov_b32_e32 v23, v6
	v_pk_add_f32 v[6:7], v[96:97], v[22:23] neg_lo:[0,1] neg_hi:[0,1]
	v_add_f32_e32 v3, v3, v7
	v_add_f32_e32 v3, v6, v3
	;; [unrolled: 1-line block ×4, first 2 shown]
	v_sub_f32_e32 v7, v6, v102
	v_mul_f32_e32 v3, v100, v3
	v_sub_f32_e32 v7, v101, v7
	v_add_f32_e32 v3, v7, v3
	v_add_f32_e32 v21, v6, v3
	v_mul_f32_e32 v22, v21, v21
	v_mov_b32_e32 v20, 0x3ecc95a3
	v_fmac_f32_e32 v20, 0x3e9b6dac, v22
	v_mov_b32_e32 v7, 0x3f2aaada
	v_fmac_f32_e32 v7, v22, v20
	v_cvt_f32_i32_e32 v20, v98
	v_sub_f32_e32 v6, v21, v6
	v_sub_f32_e32 v3, v3, v6
	v_ldexp_f32 v23, v21, 1
	v_mul_f32_e32 v21, v21, v22
	v_mov_b32_e32 v6, 0x3f317218
	s_mov_b32 s9, 0x3f317218
	v_pk_mul_f32 v[6:7], v[20:21], v[6:7]
	v_fma_f32 v22, v20, s9, -v6
	v_fmac_f32_e32 v22, 0xb102e308, v20
	v_pk_add_f32 v[20:21], v[6:7], v[22:23]
	v_sub_f32_e32 v23, v21, v23
	v_ldexp_f32 v3, v3, 1
	v_sub_f32_e32 v23, v7, v23
	v_add_f32_e32 v97, v3, v23
	v_mov_b32_e32 v96, v6
	v_pk_add_f32 v[6:7], v[20:21], v[6:7] neg_lo:[0,1] neg_hi:[0,1]
	v_pk_add_f32 v[98:99], v[20:21], v[96:97]
	v_mov_b32_e32 v7, v99
	v_mov_b32_e32 v23, v20
	v_pk_add_f32 v[100:101], v[22:23], v[6:7] neg_lo:[0,1] neg_hi:[0,1]
	v_pk_add_f32 v[6:7], v[22:23], v[6:7]
	v_mov_b32_e32 v22, v7
	v_pk_add_f32 v[102:103], v[22:23], v[20:21] neg_lo:[0,1] neg_hi:[0,1]
	v_mov_b32_e32 v3, v102
	v_pk_add_f32 v[112:113], v[98:99], v[2:3] neg_lo:[0,1] neg_hi:[0,1]
	v_mov_b32_e32 v6, v99
	v_mov_b32_e32 v98, v21
	;; [unrolled: 1-line block ×4, first 2 shown]
	v_pk_add_f32 v[6:7], v[6:7], v[98:99] neg_lo:[0,1] neg_hi:[0,1]
	v_mov_b32_e32 v96, v97
	v_mov_b32_e32 v97, v20
	v_pk_add_f32 v[6:7], v[96:97], v[6:7] neg_lo:[0,1] neg_hi:[0,1]
	v_mov_b32_e32 v112, v100
	v_pk_add_f32 v[20:21], v[112:113], v[6:7]
	v_mov_b32_e32 v96, v21
	v_pk_add_f32 v[96:97], v[20:21], v[96:97]
	v_pk_add_f32 v[22:23], v[22:23], v[96:97]
	v_mov_b32_e32 v21, v22
	v_pk_add_f32 v[98:99], v[20:21], v[100:101] neg_lo:[0,1] neg_hi:[0,1]
	v_mov_b32_e32 v7, v96
	v_sub_f32_e32 v3, v20, v98
	v_pk_add_f32 v[6:7], v[6:7], v[98:99] neg_lo:[0,1] neg_hi:[0,1]
	v_sub_f32_e32 v3, v100, v3
	s_mov_b32 s10, 0x7f800000
	v_add_f32_e32 v3, v6, v3
	s_mov_b32 s9, 0x33800000
	v_add_f32_e32 v3, v3, v7
	v_cmp_eq_f32_e32 vcc, s10, v35
	v_cmp_lt_f32_e64 s[10:11], |v35|, s9
	v_add_f32_e32 v3, v22, v3
	s_or_b64 vcc, vcc, s[10:11]
	v_cndmask_b32_e32 v3, v3, v35, vcc
	v_add_f32_e32 v3, v2, v3
.LBB492_348:
	s_or_b64 exec, exec, s[6:7]
	v_bfe_u32 v2, v3, 16, 1
	s_movk_i32 s9, 0x7fff
	v_add3_u32 v2, v3, v2, s9
	v_lshrrev_b32_e32 v6, 16, v2
	v_mov_b32_e32 v2, 0x7fc0
	v_cmp_o_f32_e32 vcc, v3, v3
	v_cndmask_b32_e32 v35, v2, v6, vcc
	v_lshlrev_b32_e32 v6, 16, v35
	v_max_f32_e32 v3, v6, v6
	v_min_f32_e32 v7, v3, v50
	v_cmp_u_f32_e32 vcc, v6, v6
	v_max_f32_e32 v3, v3, v50
	v_cndmask_b32_e32 v7, v7, v6, vcc
	v_cndmask_b32_e32 v3, v3, v6, vcc
	v_cndmask_b32_e64 v7, v7, v48, s[20:21]
	v_cndmask_b32_e64 v3, v3, v48, s[20:21]
	v_cmp_neq_f32_e32 vcc, v7, v3
	v_cmp_class_f32_e64 s[6:7], v7, s8
	s_or_b64 s[10:11], vcc, s[6:7]
	s_and_saveexec_b64 s[6:7], s[10:11]
	s_cbranch_execz .LBB492_350
; %bb.349:
	v_sub_f32_e32 v6, v7, v3
	s_mov_b32 s8, 0x3fb8aa3b
	v_mul_f32_e32 v7, 0x3fb8aa3b, v6
	v_fma_f32 v20, v6, s8, -v7
	v_rndne_f32_e32 v21, v7
	v_fmac_f32_e32 v20, 0x32a5705f, v6
	v_sub_f32_e32 v7, v7, v21
	v_add_f32_e32 v7, v7, v20
	v_exp_f32_e32 v7, v7
	v_cvt_i32_f32_e32 v20, v21
	s_mov_b32 s8, 0xc2ce8ed0
	v_cmp_ngt_f32_e32 vcc, s8, v6
	s_mov_b32 s8, 0x42b17218
	v_ldexp_f32 v7, v7, v20
	v_cndmask_b32_e32 v7, 0, v7, vcc
	v_mov_b32_e32 v20, 0x7f800000
	v_cmp_nlt_f32_e32 vcc, s8, v6
	v_cndmask_b32_e32 v50, v20, v7, vcc
	v_add_f32_e32 v20, 1.0, v50
	v_add_f32_e32 v6, -1.0, v20
	v_sub_f32_e32 v7, v6, v20
	v_add_f32_e32 v7, 1.0, v7
	v_sub_f32_e32 v6, v50, v6
	v_add_f32_e32 v21, v6, v7
	v_frexp_mant_f32_e32 v22, v20
	s_mov_b32 s8, 0x3f2aaaab
	v_cvt_f64_f32_e32 v[6:7], v20
	v_frexp_exp_i32_f64_e32 v6, v[6:7]
	v_cmp_gt_f32_e32 vcc, s8, v22
	v_subbrev_co_u32_e32 v48, vcc, 0, v6, vcc
	v_sub_u32_e32 v6, 0, v48
	v_ldexp_f32 v7, v20, v6
	v_add_f32_e32 v20, -1.0, v7
	v_add_f32_e32 v22, 1.0, v7
	v_ldexp_f32 v6, v21, v6
	v_add_f32_e32 v21, 1.0, v20
	v_add_f32_e32 v23, -1.0, v22
	v_sub_f32_e32 v21, v7, v21
	v_sub_f32_e32 v7, v7, v23
	v_add_f32_e32 v21, v6, v21
	v_add_f32_e32 v6, v6, v7
	;; [unrolled: 1-line block ×3, first 2 shown]
	v_rcp_f32_e32 v100, v98
	v_sub_f32_e32 v7, v22, v98
	v_add_f32_e32 v99, v6, v7
	v_add_f32_e32 v7, v20, v21
	v_mul_f32_e32 v102, v7, v100
	v_sub_f32_e32 v6, v20, v7
	v_mul_f32_e32 v20, v98, v102
	v_fma_f32 v22, v102, v98, -v20
	v_fmac_f32_e32 v22, v102, v99
	v_add_f32_e32 v101, v21, v6
	v_add_f32_e32 v6, v20, v22
	v_sub_f32_e32 v21, v7, v6
	v_pk_add_f32 v[96:97], v[6:7], v[20:21] neg_lo:[0,1] neg_hi:[0,1]
	v_mov_b32_e32 v23, v6
	v_pk_add_f32 v[6:7], v[96:97], v[22:23] neg_lo:[0,1] neg_hi:[0,1]
	v_add_f32_e32 v7, v101, v7
	v_add_f32_e32 v6, v6, v7
	;; [unrolled: 1-line block ×3, first 2 shown]
	v_mul_f32_e32 v101, v100, v7
	v_mul_f32_e32 v20, v98, v101
	v_fma_f32 v22, v101, v98, -v20
	v_fmac_f32_e32 v22, v101, v99
	v_sub_f32_e32 v21, v21, v7
	v_add_f32_e32 v98, v6, v21
	v_add_f32_e32 v6, v20, v22
	v_sub_f32_e32 v21, v7, v6
	v_pk_add_f32 v[96:97], v[6:7], v[20:21] neg_lo:[0,1] neg_hi:[0,1]
	v_mov_b32_e32 v23, v6
	v_pk_add_f32 v[6:7], v[96:97], v[22:23] neg_lo:[0,1] neg_hi:[0,1]
	v_add_f32_e32 v7, v98, v7
	v_add_f32_e32 v6, v6, v7
	;; [unrolled: 1-line block ×4, first 2 shown]
	v_sub_f32_e32 v7, v21, v102
	v_mul_f32_e32 v6, v100, v6
	v_sub_f32_e32 v7, v101, v7
	v_add_f32_e32 v6, v7, v6
	v_add_f32_e32 v22, v21, v6
	v_mul_f32_e32 v96, v22, v22
	v_mov_b32_e32 v20, 0x3ecc95a3
	v_fmac_f32_e32 v20, 0x3e9b6dac, v96
	v_mov_b32_e32 v7, 0x3f2aaada
	v_fmac_f32_e32 v7, v96, v20
	v_cvt_f32_i32_e32 v20, v48
	v_sub_f32_e32 v21, v22, v21
	v_sub_f32_e32 v6, v6, v21
	v_ldexp_f32 v48, v6, 1
	v_mul_f32_e32 v21, v22, v96
	v_mov_b32_e32 v6, 0x3f317218
	s_mov_b32 s8, 0x3f317218
	v_pk_mul_f32 v[6:7], v[20:21], v[6:7]
	v_ldexp_f32 v23, v22, 1
	v_fma_f32 v22, v20, s8, -v6
	v_fmac_f32_e32 v22, 0xb102e308, v20
	v_pk_add_f32 v[20:21], v[6:7], v[22:23]
	v_sub_f32_e32 v23, v21, v23
	v_sub_f32_e32 v23, v7, v23
	v_add_f32_e32 v97, v48, v23
	v_mov_b32_e32 v96, v6
	v_pk_add_f32 v[6:7], v[20:21], v[6:7] neg_lo:[0,1] neg_hi:[0,1]
	v_pk_add_f32 v[98:99], v[20:21], v[96:97]
	v_mov_b32_e32 v7, v99
	v_mov_b32_e32 v23, v20
	v_pk_add_f32 v[100:101], v[22:23], v[6:7] neg_lo:[0,1] neg_hi:[0,1]
	v_pk_add_f32 v[6:7], v[22:23], v[6:7]
	v_mov_b32_e32 v22, v7
	v_pk_add_f32 v[102:103], v[22:23], v[20:21] neg_lo:[0,1] neg_hi:[0,1]
	v_mov_b32_e32 v23, v102
	v_pk_add_f32 v[112:113], v[98:99], v[22:23] neg_lo:[0,1] neg_hi:[0,1]
	v_mov_b32_e32 v6, v99
	v_mov_b32_e32 v98, v21
	v_mov_b32_e32 v99, v102
	v_mov_b32_e32 v101, v7
	v_pk_add_f32 v[6:7], v[6:7], v[98:99] neg_lo:[0,1] neg_hi:[0,1]
	v_mov_b32_e32 v96, v97
	v_mov_b32_e32 v97, v20
	v_pk_add_f32 v[6:7], v[96:97], v[6:7] neg_lo:[0,1] neg_hi:[0,1]
	v_mov_b32_e32 v112, v100
	v_pk_add_f32 v[20:21], v[112:113], v[6:7]
	v_mov_b32_e32 v48, v21
	v_pk_add_f32 v[96:97], v[20:21], v[48:49]
	v_pk_add_f32 v[22:23], v[22:23], v[96:97]
	v_mov_b32_e32 v21, v22
	v_pk_add_f32 v[98:99], v[20:21], v[100:101] neg_lo:[0,1] neg_hi:[0,1]
	v_mov_b32_e32 v7, v96
	v_sub_f32_e32 v20, v20, v98
	v_pk_add_f32 v[6:7], v[6:7], v[98:99] neg_lo:[0,1] neg_hi:[0,1]
	v_sub_f32_e32 v20, v100, v20
	s_mov_b32 s10, 0x7f800000
	v_add_f32_e32 v6, v6, v20
	s_mov_b32 s8, 0x33800000
	v_add_f32_e32 v6, v6, v7
	v_cmp_eq_f32_e32 vcc, s10, v50
	v_cmp_lt_f32_e64 s[10:11], |v50|, s8
	v_add_f32_e32 v6, v22, v6
	s_or_b64 vcc, vcc, s[10:11]
	v_cndmask_b32_e32 v6, v6, v50, vcc
	v_add_f32_e32 v6, v3, v6
.LBB492_350:
	s_or_b64 exec, exec, s[6:7]
	v_bfe_u32 v3, v6, 16, 1
	v_add3_u32 v3, v6, v3, s9
	v_lshrrev_b32_e32 v3, 16, v3
	v_cmp_o_f32_e32 vcc, v6, v6
	v_cndmask_b32_e32 v48, v2, v3, vcc
	v_lshlrev_b32_e32 v3, 16, v48
	v_max_f32_e32 v2, v3, v3
	v_min_f32_e32 v6, v2, v51
	v_cmp_u_f32_e32 vcc, v3, v3
	v_max_f32_e32 v2, v2, v51
	v_cndmask_b32_e32 v6, v6, v3, vcc
	v_cndmask_b32_e32 v2, v2, v3, vcc
	v_cndmask_b32_e64 v6, v6, v16, s[22:23]
	v_cndmask_b32_e64 v2, v2, v16, s[22:23]
	s_movk_i32 s8, 0x1f8
	v_cmp_neq_f32_e32 vcc, v6, v2
	v_cmp_class_f32_e64 s[6:7], v6, s8
	s_or_b64 s[10:11], vcc, s[6:7]
	s_and_saveexec_b64 s[6:7], s[10:11]
	s_cbranch_execz .LBB492_352
; %bb.351:
	v_sub_f32_e32 v3, v6, v2
	s_mov_b32 s9, 0x3fb8aa3b
	v_mul_f32_e32 v6, 0x3fb8aa3b, v3
	v_fma_f32 v7, v3, s9, -v6
	v_rndne_f32_e32 v16, v6
	v_fmac_f32_e32 v7, 0x32a5705f, v3
	v_sub_f32_e32 v6, v6, v16
	v_add_f32_e32 v6, v6, v7
	v_exp_f32_e32 v6, v6
	v_cvt_i32_f32_e32 v7, v16
	s_mov_b32 s9, 0xc2ce8ed0
	v_cmp_ngt_f32_e32 vcc, s9, v3
	s_mov_b32 s9, 0x42b17218
	v_ldexp_f32 v6, v6, v7
	v_cndmask_b32_e32 v6, 0, v6, vcc
	v_mov_b32_e32 v7, 0x7f800000
	v_cmp_nlt_f32_e32 vcc, s9, v3
	v_cndmask_b32_e32 v102, v7, v6, vcc
	v_add_f32_e32 v3, 1.0, v102
	v_add_f32_e32 v6, -1.0, v3
	v_sub_f32_e32 v7, v6, v3
	v_add_f32_e32 v7, 1.0, v7
	v_sub_f32_e32 v6, v102, v6
	v_add_f32_e32 v16, v6, v7
	v_frexp_mant_f32_e32 v20, v3
	s_mov_b32 s9, 0x3f2aaaab
	v_cvt_f64_f32_e32 v[6:7], v3
	v_frexp_exp_i32_f64_e32 v6, v[6:7]
	v_cmp_gt_f32_e32 vcc, s9, v20
	v_subbrev_co_u32_e32 v96, vcc, 0, v6, vcc
	v_sub_u32_e32 v6, 0, v96
	v_ldexp_f32 v3, v3, v6
	v_ldexp_f32 v6, v16, v6
	v_add_f32_e32 v16, -1.0, v3
	v_add_f32_e32 v7, 1.0, v16
	v_sub_f32_e32 v7, v3, v7
	v_add_f32_e32 v20, v6, v7
	v_add_f32_e32 v7, 1.0, v3
	v_add_f32_e32 v21, -1.0, v7
	v_sub_f32_e32 v3, v3, v21
	v_add_f32_e32 v3, v6, v3
	v_add_f32_e32 v97, v7, v3
	v_rcp_f32_e32 v98, v97
	v_sub_f32_e32 v6, v7, v97
	v_add_f32_e32 v7, v16, v20
	v_add_f32_e32 v3, v3, v6
	v_sub_f32_e32 v6, v16, v7
	v_mul_f32_e32 v99, v7, v98
	v_add_f32_e32 v16, v20, v6
	v_mul_f32_e32 v20, v97, v99
	v_fma_f32 v22, v99, v97, -v20
	v_fmac_f32_e32 v22, v99, v3
	v_add_f32_e32 v6, v20, v22
	v_sub_f32_e32 v21, v7, v6
	v_pk_add_f32 v[50:51], v[6:7], v[20:21] neg_lo:[0,1] neg_hi:[0,1]
	v_mov_b32_e32 v23, v6
	v_pk_add_f32 v[6:7], v[50:51], v[22:23] neg_lo:[0,1] neg_hi:[0,1]
	v_add_f32_e32 v7, v16, v7
	v_add_f32_e32 v6, v6, v7
	;; [unrolled: 1-line block ×3, first 2 shown]
	v_mul_f32_e32 v16, v98, v7
	v_mul_f32_e32 v20, v97, v16
	v_fma_f32 v22, v16, v97, -v20
	v_fmac_f32_e32 v22, v16, v3
	v_sub_f32_e32 v3, v21, v7
	v_add_f32_e32 v3, v6, v3
	v_add_f32_e32 v6, v20, v22
	v_sub_f32_e32 v21, v7, v6
	v_pk_add_f32 v[50:51], v[6:7], v[20:21] neg_lo:[0,1] neg_hi:[0,1]
	v_mov_b32_e32 v23, v6
	v_pk_add_f32 v[6:7], v[50:51], v[22:23] neg_lo:[0,1] neg_hi:[0,1]
	v_add_f32_e32 v3, v3, v7
	v_add_f32_e32 v3, v6, v3
	;; [unrolled: 1-line block ×4, first 2 shown]
	v_sub_f32_e32 v7, v6, v99
	v_mul_f32_e32 v3, v98, v3
	v_sub_f32_e32 v7, v16, v7
	v_add_f32_e32 v3, v7, v3
	v_add_f32_e32 v16, v6, v3
	v_mul_f32_e32 v21, v16, v16
	v_mov_b32_e32 v20, 0x3ecc95a3
	v_fmac_f32_e32 v20, 0x3e9b6dac, v21
	v_mov_b32_e32 v7, 0x3f2aaada
	v_fmac_f32_e32 v7, v21, v20
	v_cvt_f32_i32_e32 v20, v96
	v_sub_f32_e32 v6, v16, v6
	v_sub_f32_e32 v3, v3, v6
	v_mul_f32_e32 v21, v16, v21
	v_mov_b32_e32 v6, 0x3f317218
	s_mov_b32 s9, 0x3f317218
	v_pk_mul_f32 v[6:7], v[20:21], v[6:7]
	v_fma_f32 v22, v20, s9, -v6
	v_ldexp_f32 v23, v16, 1
	v_fmac_f32_e32 v22, 0xb102e308, v20
	v_pk_add_f32 v[20:21], v[6:7], v[22:23]
	v_sub_f32_e32 v16, v21, v23
	v_ldexp_f32 v3, v3, 1
	v_sub_f32_e32 v16, v7, v16
	v_add_f32_e32 v51, v3, v16
	v_mov_b32_e32 v50, v6
	v_pk_add_f32 v[6:7], v[20:21], v[6:7] neg_lo:[0,1] neg_hi:[0,1]
	v_pk_add_f32 v[96:97], v[20:21], v[50:51]
	v_mov_b32_e32 v7, v97
	v_mov_b32_e32 v23, v20
	v_pk_add_f32 v[98:99], v[22:23], v[6:7] neg_lo:[0,1] neg_hi:[0,1]
	v_pk_add_f32 v[6:7], v[22:23], v[6:7]
	v_mov_b32_e32 v16, v7
	v_pk_add_f32 v[22:23], v[16:17], v[20:21] neg_lo:[0,1] neg_hi:[0,1]
	v_mov_b32_e32 v3, v22
	v_pk_add_f32 v[100:101], v[96:97], v[2:3] neg_lo:[0,1] neg_hi:[0,1]
	v_mov_b32_e32 v6, v97
	v_mov_b32_e32 v96, v21
	;; [unrolled: 1-line block ×4, first 2 shown]
	v_pk_add_f32 v[6:7], v[6:7], v[96:97] neg_lo:[0,1] neg_hi:[0,1]
	v_mov_b32_e32 v22, v51
	v_mov_b32_e32 v23, v20
	v_pk_add_f32 v[6:7], v[22:23], v[6:7] neg_lo:[0,1] neg_hi:[0,1]
	v_mov_b32_e32 v100, v98
	v_pk_add_f32 v[20:21], v[100:101], v[6:7]
	v_mov_b32_e32 v22, v21
	v_pk_add_f32 v[22:23], v[20:21], v[22:23]
	v_pk_add_f32 v[50:51], v[16:17], v[22:23]
	v_mov_b32_e32 v21, v50
	v_pk_add_f32 v[96:97], v[20:21], v[98:99] neg_lo:[0,1] neg_hi:[0,1]
	v_mov_b32_e32 v7, v22
	v_sub_f32_e32 v3, v20, v96
	v_pk_add_f32 v[6:7], v[6:7], v[96:97] neg_lo:[0,1] neg_hi:[0,1]
	v_sub_f32_e32 v3, v98, v3
	s_mov_b32 s10, 0x7f800000
	v_add_f32_e32 v3, v6, v3
	s_mov_b32 s9, 0x33800000
	v_add_f32_e32 v3, v3, v7
	v_cmp_eq_f32_e32 vcc, s10, v102
	v_cmp_lt_f32_e64 s[10:11], |v102|, s9
	v_add_f32_e32 v3, v50, v3
	s_or_b64 vcc, vcc, s[10:11]
	v_cndmask_b32_e32 v3, v3, v102, vcc
	v_add_f32_e32 v3, v2, v3
.LBB492_352:
	s_or_b64 exec, exec, s[6:7]
	v_bfe_u32 v2, v3, 16, 1
	s_movk_i32 s9, 0x7fff
	v_add3_u32 v2, v3, v2, s9
	v_lshrrev_b32_e32 v6, 16, v2
	v_mov_b32_e32 v2, 0x7fc0
	v_cmp_o_f32_e32 vcc, v3, v3
	v_cndmask_b32_e32 v50, v2, v6, vcc
	v_lshlrev_b32_e32 v6, 16, v50
	v_max_f32_e32 v3, v6, v6
	v_min_f32_e32 v7, v3, v53
	v_cmp_u_f32_e32 vcc, v6, v6
	v_max_f32_e32 v3, v3, v53
	v_cndmask_b32_e32 v7, v7, v6, vcc
	v_cndmask_b32_e32 v3, v3, v6, vcc
	v_cndmask_b32_e64 v7, v7, v49, s[24:25]
	v_cndmask_b32_e64 v3, v3, v49, s[24:25]
	v_cmp_neq_f32_e32 vcc, v7, v3
	v_cmp_class_f32_e64 s[6:7], v7, s8
	s_or_b64 s[10:11], vcc, s[6:7]
	s_and_saveexec_b64 s[6:7], s[10:11]
	s_cbranch_execz .LBB492_354
; %bb.353:
	v_sub_f32_e32 v6, v7, v3
	s_mov_b32 s8, 0x3fb8aa3b
	v_mul_f32_e32 v7, 0x3fb8aa3b, v6
	v_fma_f32 v16, v6, s8, -v7
	v_rndne_f32_e32 v20, v7
	v_fmac_f32_e32 v16, 0x32a5705f, v6
	v_sub_f32_e32 v7, v7, v20
	v_add_f32_e32 v7, v7, v16
	v_exp_f32_e32 v7, v7
	v_cvt_i32_f32_e32 v16, v20
	s_mov_b32 s8, 0xc2ce8ed0
	v_cmp_ngt_f32_e32 vcc, s8, v6
	s_mov_b32 s8, 0x42b17218
	v_ldexp_f32 v7, v7, v16
	v_cndmask_b32_e32 v7, 0, v7, vcc
	v_mov_b32_e32 v16, 0x7f800000
	v_cmp_nlt_f32_e32 vcc, s8, v6
	v_cndmask_b32_e32 v49, v16, v7, vcc
	v_add_f32_e32 v16, 1.0, v49
	v_add_f32_e32 v6, -1.0, v16
	v_sub_f32_e32 v7, v6, v16
	v_add_f32_e32 v7, 1.0, v7
	v_sub_f32_e32 v6, v49, v6
	v_add_f32_e32 v20, v6, v7
	v_frexp_mant_f32_e32 v21, v16
	s_mov_b32 s8, 0x3f2aaaab
	v_cvt_f64_f32_e32 v[6:7], v16
	v_frexp_exp_i32_f64_e32 v6, v[6:7]
	v_cmp_gt_f32_e32 vcc, s8, v21
	v_subbrev_co_u32_e32 v51, vcc, 0, v6, vcc
	v_sub_u32_e32 v6, 0, v51
	v_ldexp_f32 v7, v16, v6
	v_add_f32_e32 v16, -1.0, v7
	v_add_f32_e32 v21, 1.0, v7
	v_ldexp_f32 v6, v20, v6
	v_add_f32_e32 v20, 1.0, v16
	v_add_f32_e32 v22, -1.0, v21
	v_sub_f32_e32 v20, v7, v20
	v_sub_f32_e32 v7, v7, v22
	v_add_f32_e32 v20, v6, v20
	v_add_f32_e32 v6, v6, v7
	;; [unrolled: 1-line block ×3, first 2 shown]
	v_rcp_f32_e32 v99, v53
	v_sub_f32_e32 v7, v21, v53
	v_add_f32_e32 v98, v6, v7
	v_add_f32_e32 v7, v16, v20
	v_sub_f32_e32 v6, v16, v7
	v_mul_f32_e32 v100, v7, v99
	v_add_f32_e32 v16, v20, v6
	v_mul_f32_e32 v20, v53, v100
	v_fma_f32 v22, v100, v53, -v20
	v_fmac_f32_e32 v22, v100, v98
	v_add_f32_e32 v6, v20, v22
	v_sub_f32_e32 v21, v7, v6
	v_pk_add_f32 v[96:97], v[6:7], v[20:21] neg_lo:[0,1] neg_hi:[0,1]
	v_mov_b32_e32 v23, v6
	v_pk_add_f32 v[6:7], v[96:97], v[22:23] neg_lo:[0,1] neg_hi:[0,1]
	v_add_f32_e32 v7, v16, v7
	v_add_f32_e32 v6, v6, v7
	;; [unrolled: 1-line block ×3, first 2 shown]
	v_mul_f32_e32 v16, v99, v7
	v_mul_f32_e32 v20, v53, v16
	v_fma_f32 v22, v16, v53, -v20
	v_fmac_f32_e32 v22, v16, v98
	v_sub_f32_e32 v21, v21, v7
	v_add_f32_e32 v53, v6, v21
	v_add_f32_e32 v6, v20, v22
	v_sub_f32_e32 v21, v7, v6
	v_pk_add_f32 v[96:97], v[6:7], v[20:21] neg_lo:[0,1] neg_hi:[0,1]
	v_mov_b32_e32 v23, v6
	v_pk_add_f32 v[6:7], v[96:97], v[22:23] neg_lo:[0,1] neg_hi:[0,1]
	v_add_f32_e32 v7, v53, v7
	v_add_f32_e32 v6, v6, v7
	;; [unrolled: 1-line block ×4, first 2 shown]
	v_sub_f32_e32 v7, v21, v100
	v_mul_f32_e32 v6, v99, v6
	v_sub_f32_e32 v7, v16, v7
	v_add_f32_e32 v6, v7, v6
	v_add_f32_e32 v16, v21, v6
	v_mul_f32_e32 v22, v16, v16
	v_mov_b32_e32 v20, 0x3ecc95a3
	v_fmac_f32_e32 v20, 0x3e9b6dac, v22
	v_mov_b32_e32 v7, 0x3f2aaada
	v_fmac_f32_e32 v7, v22, v20
	v_cvt_f32_i32_e32 v20, v51
	v_sub_f32_e32 v21, v16, v21
	v_sub_f32_e32 v6, v6, v21
	v_ldexp_f32 v51, v6, 1
	v_mul_f32_e32 v21, v16, v22
	v_mov_b32_e32 v6, 0x3f317218
	s_mov_b32 s8, 0x3f317218
	v_pk_mul_f32 v[6:7], v[20:21], v[6:7]
	v_fma_f32 v22, v20, s8, -v6
	v_ldexp_f32 v23, v16, 1
	v_fmac_f32_e32 v22, 0xb102e308, v20
	v_pk_add_f32 v[20:21], v[6:7], v[22:23]
	v_sub_f32_e32 v16, v21, v23
	v_sub_f32_e32 v16, v7, v16
	v_add_f32_e32 v97, v51, v16
	v_mov_b32_e32 v96, v6
	v_pk_add_f32 v[6:7], v[20:21], v[6:7] neg_lo:[0,1] neg_hi:[0,1]
	v_pk_add_f32 v[98:99], v[20:21], v[96:97]
	v_mov_b32_e32 v7, v99
	v_mov_b32_e32 v23, v20
	v_pk_add_f32 v[100:101], v[22:23], v[6:7] neg_lo:[0,1] neg_hi:[0,1]
	v_pk_add_f32 v[6:7], v[22:23], v[6:7]
	v_mov_b32_e32 v16, v7
	v_pk_add_f32 v[22:23], v[16:17], v[20:21] neg_lo:[0,1] neg_hi:[0,1]
	v_mov_b32_e32 v23, v22
	v_pk_add_f32 v[102:103], v[98:99], v[22:23] neg_lo:[0,1] neg_hi:[0,1]
	v_mov_b32_e32 v6, v99
	v_mov_b32_e32 v98, v21
	;; [unrolled: 1-line block ×4, first 2 shown]
	v_pk_add_f32 v[6:7], v[6:7], v[98:99] neg_lo:[0,1] neg_hi:[0,1]
	v_mov_b32_e32 v22, v97
	v_mov_b32_e32 v23, v20
	v_pk_add_f32 v[6:7], v[22:23], v[6:7] neg_lo:[0,1] neg_hi:[0,1]
	v_mov_b32_e32 v102, v100
	v_pk_add_f32 v[20:21], v[102:103], v[6:7]
	v_mov_b32_e32 v22, v21
	v_pk_add_f32 v[22:23], v[20:21], v[22:23]
	v_pk_add_f32 v[96:97], v[16:17], v[22:23]
	v_mov_b32_e32 v21, v96
	v_pk_add_f32 v[98:99], v[20:21], v[100:101] neg_lo:[0,1] neg_hi:[0,1]
	v_mov_b32_e32 v7, v22
	v_sub_f32_e32 v16, v20, v98
	v_pk_add_f32 v[6:7], v[6:7], v[98:99] neg_lo:[0,1] neg_hi:[0,1]
	v_sub_f32_e32 v16, v100, v16
	s_mov_b32 s10, 0x7f800000
	v_add_f32_e32 v6, v6, v16
	s_mov_b32 s8, 0x33800000
	v_add_f32_e32 v6, v6, v7
	v_cmp_eq_f32_e32 vcc, s10, v49
	v_cmp_lt_f32_e64 s[10:11], |v49|, s8
	v_add_f32_e32 v6, v96, v6
	s_or_b64 vcc, vcc, s[10:11]
	v_cndmask_b32_e32 v6, v6, v49, vcc
	v_add_f32_e32 v6, v3, v6
.LBB492_354:
	s_or_b64 exec, exec, s[6:7]
	v_bfe_u32 v3, v6, 16, 1
	v_add3_u32 v3, v6, v3, s9
	v_lshrrev_b32_e32 v3, 16, v3
	v_cmp_o_f32_e32 vcc, v6, v6
	v_cndmask_b32_e32 v49, v2, v3, vcc
	v_lshlrev_b32_e32 v3, 16, v49
	v_max_f32_e32 v2, v3, v3
	v_min_f32_e32 v6, v2, v54
	v_cmp_u_f32_e32 vcc, v3, v3
	v_max_f32_e32 v2, v2, v54
	v_cndmask_b32_e32 v6, v6, v3, vcc
	v_cndmask_b32_e32 v2, v2, v3, vcc
	v_cndmask_b32_e64 v6, v6, v17, s[26:27]
	v_cndmask_b32_e64 v2, v2, v17, s[26:27]
	s_movk_i32 s8, 0x1f8
	v_cmp_neq_f32_e32 vcc, v6, v2
	v_cmp_class_f32_e64 s[6:7], v6, s8
	s_or_b64 s[10:11], vcc, s[6:7]
	s_and_saveexec_b64 s[6:7], s[10:11]
	s_cbranch_execz .LBB492_356
; %bb.355:
	v_sub_f32_e32 v3, v6, v2
	s_mov_b32 s9, 0x3fb8aa3b
	v_mul_f32_e32 v6, 0x3fb8aa3b, v3
	v_fma_f32 v7, v3, s9, -v6
	v_rndne_f32_e32 v16, v6
	v_fmac_f32_e32 v7, 0x32a5705f, v3
	v_sub_f32_e32 v6, v6, v16
	v_add_f32_e32 v6, v6, v7
	v_exp_f32_e32 v6, v6
	v_cvt_i32_f32_e32 v7, v16
	s_mov_b32 s9, 0xc2ce8ed0
	v_cmp_ngt_f32_e32 vcc, s9, v3
	s_mov_b32 s9, 0x42b17218
	v_ldexp_f32 v6, v6, v7
	v_cndmask_b32_e32 v6, 0, v6, vcc
	v_mov_b32_e32 v7, 0x7f800000
	v_cmp_nlt_f32_e32 vcc, s9, v3
	v_cndmask_b32_e32 v51, v7, v6, vcc
	v_add_f32_e32 v3, 1.0, v51
	v_add_f32_e32 v6, -1.0, v3
	v_sub_f32_e32 v7, v6, v3
	v_add_f32_e32 v7, 1.0, v7
	v_sub_f32_e32 v6, v51, v6
	v_add_f32_e32 v16, v6, v7
	v_frexp_mant_f32_e32 v17, v3
	s_mov_b32 s9, 0x3f2aaaab
	v_cvt_f64_f32_e32 v[6:7], v3
	v_frexp_exp_i32_f64_e32 v6, v[6:7]
	v_cmp_gt_f32_e32 vcc, s9, v17
	v_subbrev_co_u32_e32 v53, vcc, 0, v6, vcc
	v_sub_u32_e32 v6, 0, v53
	v_ldexp_f32 v3, v3, v6
	v_ldexp_f32 v6, v16, v6
	v_add_f32_e32 v16, -1.0, v3
	v_add_f32_e32 v7, 1.0, v16
	v_sub_f32_e32 v7, v3, v7
	v_add_f32_e32 v17, v6, v7
	v_add_f32_e32 v7, 1.0, v3
	v_add_f32_e32 v20, -1.0, v7
	v_sub_f32_e32 v3, v3, v20
	v_add_f32_e32 v3, v6, v3
	v_add_f32_e32 v54, v7, v3
	v_rcp_f32_e32 v96, v54
	v_sub_f32_e32 v6, v7, v54
	v_add_f32_e32 v7, v16, v17
	v_add_f32_e32 v3, v3, v6
	v_mul_f32_e32 v98, v7, v96
	v_sub_f32_e32 v6, v16, v7
	v_mul_f32_e32 v16, v54, v98
	v_fma_f32 v20, v98, v54, -v16
	v_fmac_f32_e32 v20, v98, v3
	v_add_f32_e32 v97, v17, v6
	v_add_f32_e32 v6, v16, v20
	v_sub_f32_e32 v17, v7, v6
	v_pk_add_f32 v[22:23], v[6:7], v[16:17] neg_lo:[0,1] neg_hi:[0,1]
	v_mov_b32_e32 v21, v6
	v_pk_add_f32 v[6:7], v[22:23], v[20:21] neg_lo:[0,1] neg_hi:[0,1]
	v_add_f32_e32 v7, v97, v7
	v_add_f32_e32 v6, v6, v7
	;; [unrolled: 1-line block ×3, first 2 shown]
	v_mul_f32_e32 v97, v96, v7
	v_mul_f32_e32 v16, v54, v97
	v_fma_f32 v20, v97, v54, -v16
	v_fmac_f32_e32 v20, v97, v3
	v_sub_f32_e32 v3, v17, v7
	v_add_f32_e32 v3, v6, v3
	v_add_f32_e32 v6, v16, v20
	v_sub_f32_e32 v17, v7, v6
	v_pk_add_f32 v[22:23], v[6:7], v[16:17] neg_lo:[0,1] neg_hi:[0,1]
	v_mov_b32_e32 v21, v6
	v_pk_add_f32 v[6:7], v[22:23], v[20:21] neg_lo:[0,1] neg_hi:[0,1]
	v_add_f32_e32 v3, v3, v7
	v_add_f32_e32 v3, v6, v3
	;; [unrolled: 1-line block ×4, first 2 shown]
	v_sub_f32_e32 v7, v6, v98
	v_mul_f32_e32 v3, v96, v3
	v_sub_f32_e32 v7, v97, v7
	v_add_f32_e32 v3, v7, v3
	v_add_f32_e32 v17, v6, v3
	v_mul_f32_e32 v20, v17, v17
	v_mov_b32_e32 v16, 0x3ecc95a3
	v_fmac_f32_e32 v16, 0x3e9b6dac, v20
	v_mov_b32_e32 v7, 0x3f2aaada
	v_fmac_f32_e32 v7, v20, v16
	v_cvt_f32_i32_e32 v16, v53
	v_sub_f32_e32 v6, v17, v6
	v_sub_f32_e32 v3, v3, v6
	v_ldexp_f32 v21, v17, 1
	v_mul_f32_e32 v17, v17, v20
	v_mov_b32_e32 v6, 0x3f317218
	s_mov_b32 s9, 0x3f317218
	v_pk_mul_f32 v[6:7], v[16:17], v[6:7]
	v_fma_f32 v20, v16, s9, -v6
	v_fmac_f32_e32 v20, 0xb102e308, v16
	v_pk_add_f32 v[16:17], v[6:7], v[20:21]
	v_sub_f32_e32 v21, v17, v21
	v_ldexp_f32 v3, v3, 1
	v_sub_f32_e32 v21, v7, v21
	v_add_f32_e32 v23, v3, v21
	v_mov_b32_e32 v22, v6
	v_pk_add_f32 v[6:7], v[16:17], v[6:7] neg_lo:[0,1] neg_hi:[0,1]
	v_pk_add_f32 v[96:97], v[16:17], v[22:23]
	v_mov_b32_e32 v7, v97
	v_mov_b32_e32 v21, v16
	v_pk_add_f32 v[98:99], v[20:21], v[6:7] neg_lo:[0,1] neg_hi:[0,1]
	v_pk_add_f32 v[6:7], v[20:21], v[6:7]
	v_mov_b32_e32 v20, v7
	v_pk_add_f32 v[100:101], v[20:21], v[16:17] neg_lo:[0,1] neg_hi:[0,1]
	v_mov_b32_e32 v3, v100
	v_pk_add_f32 v[102:103], v[96:97], v[2:3] neg_lo:[0,1] neg_hi:[0,1]
	v_mov_b32_e32 v6, v97
	v_mov_b32_e32 v96, v17
	;; [unrolled: 1-line block ×4, first 2 shown]
	v_pk_add_f32 v[6:7], v[6:7], v[96:97] neg_lo:[0,1] neg_hi:[0,1]
	v_mov_b32_e32 v22, v23
	v_mov_b32_e32 v23, v16
	v_pk_add_f32 v[6:7], v[22:23], v[6:7] neg_lo:[0,1] neg_hi:[0,1]
	v_mov_b32_e32 v102, v98
	v_pk_add_f32 v[16:17], v[102:103], v[6:7]
	v_mov_b32_e32 v22, v17
	v_pk_add_f32 v[22:23], v[16:17], v[22:23]
	v_pk_add_f32 v[20:21], v[20:21], v[22:23]
	v_mov_b32_e32 v17, v20
	v_pk_add_f32 v[96:97], v[16:17], v[98:99] neg_lo:[0,1] neg_hi:[0,1]
	v_mov_b32_e32 v7, v22
	v_sub_f32_e32 v3, v16, v96
	v_pk_add_f32 v[6:7], v[6:7], v[96:97] neg_lo:[0,1] neg_hi:[0,1]
	v_sub_f32_e32 v3, v98, v3
	s_mov_b32 s10, 0x7f800000
	v_add_f32_e32 v3, v6, v3
	s_mov_b32 s9, 0x33800000
	v_add_f32_e32 v3, v3, v7
	v_cmp_eq_f32_e32 vcc, s10, v51
	v_cmp_lt_f32_e64 s[10:11], |v51|, s9
	v_add_f32_e32 v3, v20, v3
	s_or_b64 vcc, vcc, s[10:11]
	v_cndmask_b32_e32 v3, v3, v51, vcc
	v_add_f32_e32 v3, v2, v3
.LBB492_356:
	s_or_b64 exec, exec, s[6:7]
	v_bfe_u32 v2, v3, 16, 1
	s_movk_i32 s9, 0x7fff
	v_add3_u32 v2, v3, v2, s9
	v_lshrrev_b32_e32 v6, 16, v2
	v_mov_b32_e32 v2, 0x7fc0
	v_cmp_o_f32_e32 vcc, v3, v3
	v_cndmask_b32_e32 v51, v2, v6, vcc
	v_lshlrev_b32_e32 v6, 16, v51
	v_max_f32_e32 v3, v6, v6
	v_min_f32_e32 v7, v3, v64
	v_cmp_u_f32_e32 vcc, v6, v6
	v_max_f32_e32 v3, v3, v64
	v_cndmask_b32_e32 v7, v7, v6, vcc
	v_cndmask_b32_e32 v3, v3, v6, vcc
	v_cndmask_b32_e64 v7, v7, v52, s[28:29]
	v_cndmask_b32_e64 v3, v3, v52, s[28:29]
	v_cmp_neq_f32_e32 vcc, v7, v3
	v_cmp_class_f32_e64 s[6:7], v7, s8
	s_or_b64 s[10:11], vcc, s[6:7]
	s_and_saveexec_b64 s[6:7], s[10:11]
	s_cbranch_execz .LBB492_358
; %bb.357:
	v_sub_f32_e32 v6, v7, v3
	s_mov_b32 s8, 0x3fb8aa3b
	v_mul_f32_e32 v7, 0x3fb8aa3b, v6
	v_fma_f32 v16, v6, s8, -v7
	v_rndne_f32_e32 v17, v7
	v_fmac_f32_e32 v16, 0x32a5705f, v6
	v_sub_f32_e32 v7, v7, v17
	v_add_f32_e32 v7, v7, v16
	v_exp_f32_e32 v7, v7
	v_cvt_i32_f32_e32 v16, v17
	s_mov_b32 s8, 0xc2ce8ed0
	v_cmp_ngt_f32_e32 vcc, s8, v6
	s_mov_b32 s8, 0x42b17218
	v_ldexp_f32 v7, v7, v16
	v_cndmask_b32_e32 v7, 0, v7, vcc
	v_mov_b32_e32 v16, 0x7f800000
	v_cmp_nlt_f32_e32 vcc, s8, v6
	v_cndmask_b32_e32 v54, v16, v7, vcc
	v_add_f32_e32 v16, 1.0, v54
	v_add_f32_e32 v6, -1.0, v16
	v_sub_f32_e32 v7, v6, v16
	v_add_f32_e32 v7, 1.0, v7
	v_sub_f32_e32 v6, v54, v6
	v_add_f32_e32 v17, v6, v7
	v_frexp_mant_f32_e32 v20, v16
	s_mov_b32 s8, 0x3f2aaaab
	v_cvt_f64_f32_e32 v[6:7], v16
	v_frexp_exp_i32_f64_e32 v6, v[6:7]
	v_cmp_gt_f32_e32 vcc, s8, v20
	v_subbrev_co_u32_e32 v52, vcc, 0, v6, vcc
	v_sub_u32_e32 v6, 0, v52
	v_ldexp_f32 v7, v16, v6
	v_add_f32_e32 v16, -1.0, v7
	v_add_f32_e32 v20, 1.0, v7
	v_ldexp_f32 v6, v17, v6
	v_add_f32_e32 v17, 1.0, v16
	v_add_f32_e32 v21, -1.0, v20
	v_sub_f32_e32 v17, v7, v17
	v_sub_f32_e32 v7, v7, v21
	v_add_f32_e32 v17, v6, v17
	v_add_f32_e32 v6, v6, v7
	;; [unrolled: 1-line block ×3, first 2 shown]
	v_rcp_f32_e32 v96, v53
	v_sub_f32_e32 v7, v20, v53
	v_add_f32_e32 v64, v6, v7
	v_add_f32_e32 v7, v16, v17
	v_mul_f32_e32 v98, v7, v96
	v_sub_f32_e32 v6, v16, v7
	v_mul_f32_e32 v16, v53, v98
	v_fma_f32 v20, v98, v53, -v16
	v_fmac_f32_e32 v20, v98, v64
	v_add_f32_e32 v97, v17, v6
	v_add_f32_e32 v6, v16, v20
	v_sub_f32_e32 v17, v7, v6
	v_pk_add_f32 v[22:23], v[6:7], v[16:17] neg_lo:[0,1] neg_hi:[0,1]
	v_mov_b32_e32 v21, v6
	v_pk_add_f32 v[6:7], v[22:23], v[20:21] neg_lo:[0,1] neg_hi:[0,1]
	v_add_f32_e32 v7, v97, v7
	v_add_f32_e32 v6, v6, v7
	;; [unrolled: 1-line block ×3, first 2 shown]
	v_mul_f32_e32 v97, v96, v7
	v_mul_f32_e32 v16, v53, v97
	v_fma_f32 v20, v97, v53, -v16
	v_fmac_f32_e32 v20, v97, v64
	v_sub_f32_e32 v17, v17, v7
	v_add_f32_e32 v53, v6, v17
	v_add_f32_e32 v6, v16, v20
	v_sub_f32_e32 v17, v7, v6
	v_pk_add_f32 v[22:23], v[6:7], v[16:17] neg_lo:[0,1] neg_hi:[0,1]
	v_mov_b32_e32 v21, v6
	v_pk_add_f32 v[6:7], v[22:23], v[20:21] neg_lo:[0,1] neg_hi:[0,1]
	v_add_f32_e32 v7, v53, v7
	v_add_f32_e32 v6, v6, v7
	;; [unrolled: 1-line block ×4, first 2 shown]
	v_sub_f32_e32 v7, v17, v98
	v_mul_f32_e32 v6, v96, v6
	v_sub_f32_e32 v7, v97, v7
	v_add_f32_e32 v6, v7, v6
	v_add_f32_e32 v20, v17, v6
	v_mul_f32_e32 v22, v20, v20
	v_mov_b32_e32 v16, 0x3ecc95a3
	v_fmac_f32_e32 v16, 0x3e9b6dac, v22
	v_mov_b32_e32 v7, 0x3f2aaada
	v_fmac_f32_e32 v7, v22, v16
	v_cvt_f32_i32_e32 v16, v52
	v_sub_f32_e32 v17, v20, v17
	v_sub_f32_e32 v6, v6, v17
	v_ldexp_f32 v23, v6, 1
	v_mul_f32_e32 v17, v20, v22
	v_mov_b32_e32 v6, 0x3f317218
	s_mov_b32 s8, 0x3f317218
	v_pk_mul_f32 v[6:7], v[16:17], v[6:7]
	v_ldexp_f32 v21, v20, 1
	v_fma_f32 v20, v16, s8, -v6
	v_fmac_f32_e32 v20, 0xb102e308, v16
	v_pk_add_f32 v[16:17], v[6:7], v[20:21]
	v_sub_f32_e32 v21, v17, v21
	v_sub_f32_e32 v21, v7, v21
	v_add_f32_e32 v23, v23, v21
	v_mov_b32_e32 v22, v6
	v_pk_add_f32 v[6:7], v[16:17], v[6:7] neg_lo:[0,1] neg_hi:[0,1]
	v_pk_add_f32 v[52:53], v[16:17], v[22:23]
	v_mov_b32_e32 v7, v53
	v_mov_b32_e32 v21, v16
	v_pk_add_f32 v[96:97], v[20:21], v[6:7] neg_lo:[0,1] neg_hi:[0,1]
	v_pk_add_f32 v[6:7], v[20:21], v[6:7]
	v_mov_b32_e32 v20, v7
	v_pk_add_f32 v[98:99], v[20:21], v[16:17] neg_lo:[0,1] neg_hi:[0,1]
	v_mov_b32_e32 v21, v98
	v_pk_add_f32 v[100:101], v[52:53], v[20:21] neg_lo:[0,1] neg_hi:[0,1]
	v_mov_b32_e32 v6, v53
	v_mov_b32_e32 v52, v17
	;; [unrolled: 1-line block ×4, first 2 shown]
	v_pk_add_f32 v[6:7], v[6:7], v[52:53] neg_lo:[0,1] neg_hi:[0,1]
	v_mov_b32_e32 v22, v23
	v_mov_b32_e32 v23, v16
	v_pk_add_f32 v[6:7], v[22:23], v[6:7] neg_lo:[0,1] neg_hi:[0,1]
	v_mov_b32_e32 v100, v96
	v_pk_add_f32 v[16:17], v[100:101], v[6:7]
	v_mov_b32_e32 v22, v17
	v_pk_add_f32 v[22:23], v[16:17], v[22:23]
	v_pk_add_f32 v[20:21], v[20:21], v[22:23]
	v_mov_b32_e32 v17, v20
	v_pk_add_f32 v[52:53], v[16:17], v[96:97] neg_lo:[0,1] neg_hi:[0,1]
	v_mov_b32_e32 v7, v22
	v_sub_f32_e32 v16, v16, v52
	v_pk_add_f32 v[6:7], v[6:7], v[52:53] neg_lo:[0,1] neg_hi:[0,1]
	v_sub_f32_e32 v16, v96, v16
	s_mov_b32 s10, 0x7f800000
	v_add_f32_e32 v6, v6, v16
	s_mov_b32 s8, 0x33800000
	v_add_f32_e32 v6, v6, v7
	v_cmp_eq_f32_e32 vcc, s10, v54
	v_cmp_lt_f32_e64 s[10:11], |v54|, s8
	v_add_f32_e32 v6, v20, v6
	s_or_b64 vcc, vcc, s[10:11]
	v_cndmask_b32_e32 v6, v6, v54, vcc
	v_add_f32_e32 v6, v3, v6
.LBB492_358:
	s_or_b64 exec, exec, s[6:7]
	v_bfe_u32 v3, v6, 16, 1
	v_add3_u32 v3, v6, v3, s9
	v_lshrrev_b32_e32 v3, 16, v3
	v_cmp_o_f32_e32 vcc, v6, v6
	v_cndmask_b32_e32 v52, v2, v3, vcc
	v_lshlrev_b32_e32 v3, 16, v52
	v_max_f32_e32 v2, v3, v3
	v_min_f32_e32 v6, v2, v65
	v_cmp_u_f32_e32 vcc, v3, v3
	v_max_f32_e32 v2, v2, v65
	v_cndmask_b32_e32 v6, v6, v3, vcc
	v_cndmask_b32_e32 v2, v2, v3, vcc
	v_cndmask_b32_e64 v6, v6, v18, s[30:31]
	v_cndmask_b32_e64 v2, v2, v18, s[30:31]
	s_movk_i32 s8, 0x1f8
	v_cmp_neq_f32_e32 vcc, v6, v2
	v_cmp_class_f32_e64 s[6:7], v6, s8
	s_or_b64 s[10:11], vcc, s[6:7]
	s_and_saveexec_b64 s[6:7], s[10:11]
	s_cbranch_execz .LBB492_360
; %bb.359:
	v_sub_f32_e32 v3, v6, v2
	s_mov_b32 s9, 0x3fb8aa3b
	v_mul_f32_e32 v6, 0x3fb8aa3b, v3
	v_fma_f32 v7, v3, s9, -v6
	v_rndne_f32_e32 v16, v6
	v_fmac_f32_e32 v7, 0x32a5705f, v3
	v_sub_f32_e32 v6, v6, v16
	v_add_f32_e32 v6, v6, v7
	v_exp_f32_e32 v6, v6
	v_cvt_i32_f32_e32 v7, v16
	s_mov_b32 s9, 0xc2ce8ed0
	v_cmp_ngt_f32_e32 vcc, s9, v3
	s_mov_b32 s9, 0x42b17218
	v_ldexp_f32 v6, v6, v7
	v_cndmask_b32_e32 v6, 0, v6, vcc
	v_mov_b32_e32 v7, 0x7f800000
	v_cmp_nlt_f32_e32 vcc, s9, v3
	v_cndmask_b32_e32 v53, v7, v6, vcc
	v_add_f32_e32 v3, 1.0, v53
	v_add_f32_e32 v6, -1.0, v3
	v_sub_f32_e32 v7, v6, v3
	v_add_f32_e32 v7, 1.0, v7
	v_sub_f32_e32 v6, v53, v6
	v_add_f32_e32 v16, v6, v7
	v_frexp_mant_f32_e32 v17, v3
	s_mov_b32 s9, 0x3f2aaaab
	v_cvt_f64_f32_e32 v[6:7], v3
	v_frexp_exp_i32_f64_e32 v6, v[6:7]
	v_cmp_gt_f32_e32 vcc, s9, v17
	v_subbrev_co_u32_e32 v18, vcc, 0, v6, vcc
	v_sub_u32_e32 v6, 0, v18
	v_ldexp_f32 v3, v3, v6
	v_ldexp_f32 v6, v16, v6
	v_add_f32_e32 v16, -1.0, v3
	v_add_f32_e32 v7, 1.0, v16
	v_sub_f32_e32 v7, v3, v7
	v_add_f32_e32 v17, v6, v7
	v_add_f32_e32 v7, 1.0, v3
	v_add_f32_e32 v20, -1.0, v7
	v_sub_f32_e32 v3, v3, v20
	v_add_f32_e32 v3, v6, v3
	v_add_f32_e32 v54, v7, v3
	v_rcp_f32_e32 v64, v54
	v_sub_f32_e32 v6, v7, v54
	v_add_f32_e32 v7, v16, v17
	v_add_f32_e32 v3, v3, v6
	v_mul_f32_e32 v96, v7, v64
	v_sub_f32_e32 v6, v16, v7
	v_mul_f32_e32 v16, v54, v96
	v_fma_f32 v20, v96, v54, -v16
	v_fmac_f32_e32 v20, v96, v3
	v_add_f32_e32 v65, v17, v6
	v_add_f32_e32 v6, v16, v20
	v_sub_f32_e32 v17, v7, v6
	v_pk_add_f32 v[22:23], v[6:7], v[16:17] neg_lo:[0,1] neg_hi:[0,1]
	v_mov_b32_e32 v21, v6
	v_pk_add_f32 v[6:7], v[22:23], v[20:21] neg_lo:[0,1] neg_hi:[0,1]
	v_add_f32_e32 v7, v65, v7
	v_add_f32_e32 v6, v6, v7
	;; [unrolled: 1-line block ×3, first 2 shown]
	v_mul_f32_e32 v65, v64, v7
	v_mul_f32_e32 v16, v54, v65
	v_fma_f32 v20, v65, v54, -v16
	v_fmac_f32_e32 v20, v65, v3
	v_sub_f32_e32 v3, v17, v7
	v_add_f32_e32 v3, v6, v3
	v_add_f32_e32 v6, v16, v20
	v_sub_f32_e32 v17, v7, v6
	v_pk_add_f32 v[22:23], v[6:7], v[16:17] neg_lo:[0,1] neg_hi:[0,1]
	v_mov_b32_e32 v21, v6
	v_pk_add_f32 v[6:7], v[22:23], v[20:21] neg_lo:[0,1] neg_hi:[0,1]
	v_add_f32_e32 v3, v3, v7
	v_add_f32_e32 v3, v6, v3
	;; [unrolled: 1-line block ×4, first 2 shown]
	v_sub_f32_e32 v7, v6, v96
	v_mul_f32_e32 v3, v64, v3
	v_sub_f32_e32 v7, v65, v7
	v_add_f32_e32 v3, v7, v3
	v_add_f32_e32 v17, v6, v3
	v_mul_f32_e32 v20, v17, v17
	v_mov_b32_e32 v16, 0x3ecc95a3
	v_fmac_f32_e32 v16, 0x3e9b6dac, v20
	v_mov_b32_e32 v7, 0x3f2aaada
	v_fmac_f32_e32 v7, v20, v16
	v_cvt_f32_i32_e32 v16, v18
	v_sub_f32_e32 v6, v17, v6
	v_sub_f32_e32 v3, v3, v6
	v_ldexp_f32 v21, v17, 1
	v_mul_f32_e32 v17, v17, v20
	v_mov_b32_e32 v6, 0x3f317218
	s_mov_b32 s9, 0x3f317218
	v_pk_mul_f32 v[6:7], v[16:17], v[6:7]
	v_fma_f32 v20, v16, s9, -v6
	v_fmac_f32_e32 v20, 0xb102e308, v16
	v_pk_add_f32 v[16:17], v[6:7], v[20:21]
	v_sub_f32_e32 v18, v17, v21
	v_ldexp_f32 v3, v3, 1
	v_sub_f32_e32 v18, v7, v18
	v_add_f32_e32 v23, v3, v18
	v_mov_b32_e32 v22, v6
	v_pk_add_f32 v[6:7], v[16:17], v[6:7] neg_lo:[0,1] neg_hi:[0,1]
	v_pk_add_f32 v[64:65], v[16:17], v[22:23]
	v_mov_b32_e32 v7, v65
	v_mov_b32_e32 v21, v16
	v_pk_add_f32 v[96:97], v[20:21], v[6:7] neg_lo:[0,1] neg_hi:[0,1]
	v_pk_add_f32 v[6:7], v[20:21], v[6:7]
	v_mov_b32_e32 v18, v7
	v_pk_add_f32 v[20:21], v[18:19], v[16:17] neg_lo:[0,1] neg_hi:[0,1]
	v_mov_b32_e32 v3, v20
	v_pk_add_f32 v[98:99], v[64:65], v[2:3] neg_lo:[0,1] neg_hi:[0,1]
	v_mov_b32_e32 v6, v65
	v_mov_b32_e32 v64, v17
	;; [unrolled: 1-line block ×4, first 2 shown]
	v_pk_add_f32 v[6:7], v[6:7], v[64:65] neg_lo:[0,1] neg_hi:[0,1]
	v_mov_b32_e32 v20, v23
	v_mov_b32_e32 v21, v16
	v_pk_add_f32 v[6:7], v[20:21], v[6:7] neg_lo:[0,1] neg_hi:[0,1]
	v_mov_b32_e32 v98, v96
	v_pk_add_f32 v[16:17], v[98:99], v[6:7]
	v_mov_b32_e32 v20, v17
	v_pk_add_f32 v[20:21], v[16:17], v[20:21]
	v_pk_add_f32 v[22:23], v[18:19], v[20:21]
	v_mov_b32_e32 v17, v22
	v_pk_add_f32 v[64:65], v[16:17], v[96:97] neg_lo:[0,1] neg_hi:[0,1]
	v_mov_b32_e32 v7, v20
	v_sub_f32_e32 v3, v16, v64
	v_pk_add_f32 v[6:7], v[6:7], v[64:65] neg_lo:[0,1] neg_hi:[0,1]
	v_sub_f32_e32 v3, v96, v3
	s_mov_b32 s10, 0x7f800000
	v_add_f32_e32 v3, v6, v3
	s_mov_b32 s9, 0x33800000
	v_add_f32_e32 v3, v3, v7
	v_cmp_eq_f32_e32 vcc, s10, v53
	v_cmp_lt_f32_e64 s[10:11], |v53|, s9
	v_add_f32_e32 v3, v22, v3
	s_or_b64 vcc, vcc, s[10:11]
	v_cndmask_b32_e32 v3, v3, v53, vcc
	v_add_f32_e32 v3, v2, v3
.LBB492_360:
	s_or_b64 exec, exec, s[6:7]
	v_bfe_u32 v2, v3, 16, 1
	s_movk_i32 s9, 0x7fff
	v_add3_u32 v2, v3, v2, s9
	v_lshrrev_b32_e32 v6, 16, v2
	v_mov_b32_e32 v2, 0x7fc0
	v_cmp_o_f32_e32 vcc, v3, v3
	v_cndmask_b32_e32 v53, v2, v6, vcc
	v_lshlrev_b32_e32 v6, 16, v53
	v_max_f32_e32 v3, v6, v6
	v_min_f32_e32 v7, v3, v67
	v_cmp_u_f32_e32 vcc, v6, v6
	v_max_f32_e32 v3, v3, v67
	v_cndmask_b32_e32 v7, v7, v6, vcc
	v_cndmask_b32_e32 v3, v3, v6, vcc
	v_cndmask_b32_e64 v7, v7, v55, s[34:35]
	v_cndmask_b32_e64 v3, v3, v55, s[34:35]
	v_cmp_neq_f32_e32 vcc, v7, v3
	v_cmp_class_f32_e64 s[6:7], v7, s8
	s_or_b64 s[10:11], vcc, s[6:7]
	s_and_saveexec_b64 s[6:7], s[10:11]
	s_cbranch_execz .LBB492_362
; %bb.361:
	v_sub_f32_e32 v6, v7, v3
	s_mov_b32 s8, 0x3fb8aa3b
	v_mul_f32_e32 v7, 0x3fb8aa3b, v6
	v_fma_f32 v16, v6, s8, -v7
	v_rndne_f32_e32 v17, v7
	v_fmac_f32_e32 v16, 0x32a5705f, v6
	v_sub_f32_e32 v7, v7, v17
	v_add_f32_e32 v7, v7, v16
	v_exp_f32_e32 v7, v7
	v_cvt_i32_f32_e32 v16, v17
	s_mov_b32 s8, 0xc2ce8ed0
	v_cmp_ngt_f32_e32 vcc, s8, v6
	s_mov_b32 s8, 0x42b17218
	v_ldexp_f32 v7, v7, v16
	v_cndmask_b32_e32 v7, 0, v7, vcc
	v_mov_b32_e32 v16, 0x7f800000
	v_cmp_nlt_f32_e32 vcc, s8, v6
	v_cndmask_b32_e32 v67, v16, v7, vcc
	v_add_f32_e32 v16, 1.0, v67
	v_add_f32_e32 v6, -1.0, v16
	v_sub_f32_e32 v7, v6, v16
	v_add_f32_e32 v7, 1.0, v7
	v_sub_f32_e32 v6, v67, v6
	v_add_f32_e32 v17, v6, v7
	v_frexp_mant_f32_e32 v18, v16
	s_mov_b32 s8, 0x3f2aaaab
	v_cvt_f64_f32_e32 v[6:7], v16
	v_frexp_exp_i32_f64_e32 v6, v[6:7]
	v_cmp_gt_f32_e32 vcc, s8, v18
	v_subbrev_co_u32_e32 v18, vcc, 0, v6, vcc
	v_sub_u32_e32 v6, 0, v18
	v_ldexp_f32 v7, v16, v6
	v_add_f32_e32 v16, -1.0, v7
	v_add_f32_e32 v20, 1.0, v7
	v_ldexp_f32 v6, v17, v6
	v_add_f32_e32 v17, 1.0, v16
	v_add_f32_e32 v21, -1.0, v20
	v_sub_f32_e32 v17, v7, v17
	v_sub_f32_e32 v7, v7, v21
	v_add_f32_e32 v17, v6, v17
	v_add_f32_e32 v6, v6, v7
	;; [unrolled: 1-line block ×3, first 2 shown]
	v_rcp_f32_e32 v64, v54
	v_sub_f32_e32 v7, v20, v54
	v_add_f32_e32 v55, v6, v7
	v_add_f32_e32 v7, v16, v17
	v_mul_f32_e32 v96, v7, v64
	v_sub_f32_e32 v6, v16, v7
	v_mul_f32_e32 v16, v54, v96
	v_fma_f32 v20, v96, v54, -v16
	v_fmac_f32_e32 v20, v96, v55
	v_add_f32_e32 v65, v17, v6
	v_add_f32_e32 v6, v16, v20
	v_sub_f32_e32 v17, v7, v6
	v_pk_add_f32 v[22:23], v[6:7], v[16:17] neg_lo:[0,1] neg_hi:[0,1]
	v_mov_b32_e32 v21, v6
	v_pk_add_f32 v[6:7], v[22:23], v[20:21] neg_lo:[0,1] neg_hi:[0,1]
	v_add_f32_e32 v7, v65, v7
	v_add_f32_e32 v6, v6, v7
	;; [unrolled: 1-line block ×3, first 2 shown]
	v_mul_f32_e32 v65, v64, v7
	v_mul_f32_e32 v16, v54, v65
	v_fma_f32 v20, v65, v54, -v16
	v_fmac_f32_e32 v20, v65, v55
	v_sub_f32_e32 v17, v17, v7
	v_add_f32_e32 v54, v6, v17
	v_add_f32_e32 v6, v16, v20
	v_sub_f32_e32 v17, v7, v6
	v_pk_add_f32 v[22:23], v[6:7], v[16:17] neg_lo:[0,1] neg_hi:[0,1]
	v_mov_b32_e32 v21, v6
	v_pk_add_f32 v[6:7], v[22:23], v[20:21] neg_lo:[0,1] neg_hi:[0,1]
	v_add_f32_e32 v7, v54, v7
	v_add_f32_e32 v6, v6, v7
	v_add_f32_e32 v6, v17, v6
	v_add_f32_e32 v17, v96, v65
	v_sub_f32_e32 v7, v17, v96
	v_mul_f32_e32 v6, v64, v6
	v_sub_f32_e32 v7, v65, v7
	v_add_f32_e32 v6, v7, v6
	v_add_f32_e32 v20, v17, v6
	v_mul_f32_e32 v22, v20, v20
	v_mov_b32_e32 v16, 0x3ecc95a3
	v_fmac_f32_e32 v16, 0x3e9b6dac, v22
	v_mov_b32_e32 v7, 0x3f2aaada
	v_fmac_f32_e32 v7, v22, v16
	v_cvt_f32_i32_e32 v16, v18
	v_sub_f32_e32 v17, v20, v17
	v_sub_f32_e32 v6, v6, v17
	v_ldexp_f32 v18, v6, 1
	v_mul_f32_e32 v17, v20, v22
	v_mov_b32_e32 v6, 0x3f317218
	s_mov_b32 s8, 0x3f317218
	v_pk_mul_f32 v[6:7], v[16:17], v[6:7]
	v_ldexp_f32 v21, v20, 1
	v_fma_f32 v20, v16, s8, -v6
	v_fmac_f32_e32 v20, 0xb102e308, v16
	v_pk_add_f32 v[16:17], v[6:7], v[20:21]
	v_sub_f32_e32 v21, v17, v21
	v_sub_f32_e32 v21, v7, v21
	v_add_f32_e32 v23, v18, v21
	v_mov_b32_e32 v22, v6
	v_pk_add_f32 v[6:7], v[16:17], v[6:7] neg_lo:[0,1] neg_hi:[0,1]
	v_pk_add_f32 v[54:55], v[16:17], v[22:23]
	v_mov_b32_e32 v7, v55
	v_mov_b32_e32 v21, v16
	v_pk_add_f32 v[64:65], v[20:21], v[6:7] neg_lo:[0,1] neg_hi:[0,1]
	v_pk_add_f32 v[6:7], v[20:21], v[6:7]
	v_mov_b32_e32 v18, v7
	v_pk_add_f32 v[20:21], v[18:19], v[16:17] neg_lo:[0,1] neg_hi:[0,1]
	v_mov_b32_e32 v21, v20
	v_pk_add_f32 v[96:97], v[54:55], v[20:21] neg_lo:[0,1] neg_hi:[0,1]
	v_mov_b32_e32 v6, v55
	v_mov_b32_e32 v54, v17
	;; [unrolled: 1-line block ×4, first 2 shown]
	v_pk_add_f32 v[6:7], v[6:7], v[54:55] neg_lo:[0,1] neg_hi:[0,1]
	v_mov_b32_e32 v20, v23
	v_mov_b32_e32 v21, v16
	v_pk_add_f32 v[6:7], v[20:21], v[6:7] neg_lo:[0,1] neg_hi:[0,1]
	v_mov_b32_e32 v96, v64
	v_pk_add_f32 v[16:17], v[96:97], v[6:7]
	v_mov_b32_e32 v20, v17
	v_pk_add_f32 v[20:21], v[16:17], v[20:21]
	v_pk_add_f32 v[22:23], v[18:19], v[20:21]
	v_mov_b32_e32 v17, v22
	v_pk_add_f32 v[54:55], v[16:17], v[64:65] neg_lo:[0,1] neg_hi:[0,1]
	v_mov_b32_e32 v7, v20
	v_sub_f32_e32 v16, v16, v54
	v_pk_add_f32 v[6:7], v[6:7], v[54:55] neg_lo:[0,1] neg_hi:[0,1]
	v_sub_f32_e32 v16, v64, v16
	s_mov_b32 s10, 0x7f800000
	v_add_f32_e32 v6, v6, v16
	s_mov_b32 s8, 0x33800000
	v_add_f32_e32 v6, v6, v7
	v_cmp_eq_f32_e32 vcc, s10, v67
	v_cmp_lt_f32_e64 s[10:11], |v67|, s8
	v_add_f32_e32 v6, v22, v6
	s_or_b64 vcc, vcc, s[10:11]
	v_cndmask_b32_e32 v6, v6, v67, vcc
	v_add_f32_e32 v6, v3, v6
.LBB492_362:
	s_or_b64 exec, exec, s[6:7]
	v_bfe_u32 v3, v6, 16, 1
	v_add3_u32 v3, v6, v3, s9
	v_lshrrev_b32_e32 v3, 16, v3
	v_cmp_o_f32_e32 vcc, v6, v6
	v_cndmask_b32_e32 v54, v2, v3, vcc
	v_lshlrev_b32_e32 v3, 16, v54
	v_max_f32_e32 v2, v3, v3
	v_min_f32_e32 v6, v2, v68
	v_cmp_u_f32_e32 vcc, v3, v3
	v_max_f32_e32 v2, v2, v68
	v_cndmask_b32_e32 v6, v6, v3, vcc
	v_cndmask_b32_e32 v2, v2, v3, vcc
	v_cndmask_b32_e64 v6, v6, v19, s[36:37]
	v_cndmask_b32_e64 v2, v2, v19, s[36:37]
	s_movk_i32 s8, 0x1f8
	v_cmp_neq_f32_e32 vcc, v6, v2
	v_cmp_class_f32_e64 s[6:7], v6, s8
	s_or_b64 s[10:11], vcc, s[6:7]
	s_and_saveexec_b64 s[6:7], s[10:11]
	s_cbranch_execz .LBB492_364
; %bb.363:
	v_sub_f32_e32 v3, v6, v2
	s_mov_b32 s9, 0x3fb8aa3b
	v_mul_f32_e32 v6, 0x3fb8aa3b, v3
	v_fma_f32 v7, v3, s9, -v6
	v_rndne_f32_e32 v16, v6
	v_fmac_f32_e32 v7, 0x32a5705f, v3
	v_sub_f32_e32 v6, v6, v16
	v_add_f32_e32 v6, v6, v7
	v_exp_f32_e32 v6, v6
	v_cvt_i32_f32_e32 v7, v16
	s_mov_b32 s9, 0xc2ce8ed0
	v_cmp_ngt_f32_e32 vcc, s9, v3
	s_mov_b32 s9, 0x42b17218
	v_ldexp_f32 v6, v6, v7
	v_cndmask_b32_e32 v6, 0, v6, vcc
	v_mov_b32_e32 v7, 0x7f800000
	v_cmp_nlt_f32_e32 vcc, s9, v3
	v_cndmask_b32_e32 v55, v7, v6, vcc
	v_add_f32_e32 v3, 1.0, v55
	v_add_f32_e32 v6, -1.0, v3
	v_sub_f32_e32 v7, v6, v3
	v_add_f32_e32 v7, 1.0, v7
	v_sub_f32_e32 v6, v55, v6
	v_add_f32_e32 v16, v6, v7
	v_frexp_mant_f32_e32 v17, v3
	s_mov_b32 s9, 0x3f2aaaab
	v_cvt_f64_f32_e32 v[6:7], v3
	v_frexp_exp_i32_f64_e32 v6, v[6:7]
	v_cmp_gt_f32_e32 vcc, s9, v17
	v_subbrev_co_u32_e32 v22, vcc, 0, v6, vcc
	v_sub_u32_e32 v6, 0, v22
	v_ldexp_f32 v3, v3, v6
	v_ldexp_f32 v6, v16, v6
	v_add_f32_e32 v16, -1.0, v3
	v_add_f32_e32 v7, 1.0, v16
	v_sub_f32_e32 v7, v3, v7
	v_add_f32_e32 v17, v6, v7
	v_add_f32_e32 v7, 1.0, v3
	v_add_f32_e32 v18, -1.0, v7
	v_sub_f32_e32 v3, v3, v18
	v_add_f32_e32 v3, v6, v3
	v_add_f32_e32 v23, v7, v3
	v_rcp_f32_e32 v64, v23
	v_sub_f32_e32 v6, v7, v23
	v_add_f32_e32 v7, v16, v17
	v_add_f32_e32 v3, v3, v6
	v_mul_f32_e32 v67, v7, v64
	v_sub_f32_e32 v6, v16, v7
	v_mul_f32_e32 v16, v23, v67
	v_fma_f32 v18, v67, v23, -v16
	v_fmac_f32_e32 v18, v67, v3
	v_add_f32_e32 v65, v17, v6
	v_add_f32_e32 v6, v16, v18
	v_sub_f32_e32 v17, v7, v6
	v_pk_add_f32 v[20:21], v[6:7], v[16:17] neg_lo:[0,1] neg_hi:[0,1]
	v_mov_b32_e32 v19, v6
	v_pk_add_f32 v[6:7], v[20:21], v[18:19] neg_lo:[0,1] neg_hi:[0,1]
	v_add_f32_e32 v7, v65, v7
	v_add_f32_e32 v6, v6, v7
	;; [unrolled: 1-line block ×3, first 2 shown]
	v_mul_f32_e32 v65, v64, v7
	v_mul_f32_e32 v16, v23, v65
	v_fma_f32 v18, v65, v23, -v16
	v_fmac_f32_e32 v18, v65, v3
	v_sub_f32_e32 v3, v17, v7
	v_add_f32_e32 v3, v6, v3
	v_add_f32_e32 v6, v16, v18
	v_sub_f32_e32 v17, v7, v6
	v_pk_add_f32 v[20:21], v[6:7], v[16:17] neg_lo:[0,1] neg_hi:[0,1]
	v_mov_b32_e32 v19, v6
	v_pk_add_f32 v[6:7], v[20:21], v[18:19] neg_lo:[0,1] neg_hi:[0,1]
	v_add_f32_e32 v3, v3, v7
	v_add_f32_e32 v3, v6, v3
	;; [unrolled: 1-line block ×4, first 2 shown]
	v_sub_f32_e32 v7, v6, v67
	v_mul_f32_e32 v3, v64, v3
	v_sub_f32_e32 v7, v65, v7
	v_add_f32_e32 v3, v7, v3
	v_add_f32_e32 v17, v6, v3
	v_mul_f32_e32 v18, v17, v17
	v_mov_b32_e32 v16, 0x3ecc95a3
	v_fmac_f32_e32 v16, 0x3e9b6dac, v18
	v_mov_b32_e32 v7, 0x3f2aaada
	v_fmac_f32_e32 v7, v18, v16
	v_cvt_f32_i32_e32 v16, v22
	v_sub_f32_e32 v6, v17, v6
	v_sub_f32_e32 v3, v3, v6
	v_ldexp_f32 v19, v17, 1
	v_mul_f32_e32 v17, v17, v18
	v_mov_b32_e32 v6, 0x3f317218
	s_mov_b32 s9, 0x3f317218
	v_pk_mul_f32 v[6:7], v[16:17], v[6:7]
	v_fma_f32 v18, v16, s9, -v6
	v_fmac_f32_e32 v18, 0xb102e308, v16
	v_pk_add_f32 v[16:17], v[6:7], v[18:19]
	v_sub_f32_e32 v19, v17, v19
	v_ldexp_f32 v3, v3, 1
	v_sub_f32_e32 v19, v7, v19
	v_add_f32_e32 v21, v3, v19
	v_mov_b32_e32 v20, v6
	v_pk_add_f32 v[6:7], v[16:17], v[6:7] neg_lo:[0,1] neg_hi:[0,1]
	v_pk_add_f32 v[22:23], v[16:17], v[20:21]
	v_mov_b32_e32 v7, v23
	v_mov_b32_e32 v19, v16
	v_pk_add_f32 v[64:65], v[18:19], v[6:7] neg_lo:[0,1] neg_hi:[0,1]
	v_pk_add_f32 v[6:7], v[18:19], v[6:7]
	v_mov_b32_e32 v18, v7
	v_pk_add_f32 v[96:97], v[18:19], v[16:17] neg_lo:[0,1] neg_hi:[0,1]
	v_mov_b32_e32 v3, v96
	v_pk_add_f32 v[98:99], v[22:23], v[2:3] neg_lo:[0,1] neg_hi:[0,1]
	v_mov_b32_e32 v6, v23
	v_mov_b32_e32 v22, v17
	;; [unrolled: 1-line block ×4, first 2 shown]
	v_pk_add_f32 v[6:7], v[6:7], v[22:23] neg_lo:[0,1] neg_hi:[0,1]
	v_mov_b32_e32 v20, v21
	v_mov_b32_e32 v21, v16
	v_pk_add_f32 v[6:7], v[20:21], v[6:7] neg_lo:[0,1] neg_hi:[0,1]
	v_mov_b32_e32 v98, v64
	v_pk_add_f32 v[16:17], v[98:99], v[6:7]
	v_mov_b32_e32 v20, v17
	v_pk_add_f32 v[20:21], v[16:17], v[20:21]
	v_pk_add_f32 v[18:19], v[18:19], v[20:21]
	v_mov_b32_e32 v17, v18
	v_pk_add_f32 v[22:23], v[16:17], v[64:65] neg_lo:[0,1] neg_hi:[0,1]
	v_mov_b32_e32 v7, v20
	v_sub_f32_e32 v3, v16, v22
	v_pk_add_f32 v[6:7], v[6:7], v[22:23] neg_lo:[0,1] neg_hi:[0,1]
	v_sub_f32_e32 v3, v64, v3
	s_mov_b32 s10, 0x7f800000
	v_add_f32_e32 v3, v6, v3
	s_mov_b32 s9, 0x33800000
	v_add_f32_e32 v3, v3, v7
	v_cmp_eq_f32_e32 vcc, s10, v55
	v_cmp_lt_f32_e64 s[10:11], |v55|, s9
	v_add_f32_e32 v3, v18, v3
	s_or_b64 vcc, vcc, s[10:11]
	v_cndmask_b32_e32 v3, v3, v55, vcc
	v_add_f32_e32 v3, v2, v3
.LBB492_364:
	s_or_b64 exec, exec, s[6:7]
	v_bfe_u32 v2, v3, 16, 1
	s_movk_i32 s9, 0x7fff
	v_add3_u32 v2, v3, v2, s9
	v_lshrrev_b32_e32 v6, 16, v2
	v_mov_b32_e32 v2, 0x7fc0
	v_cmp_o_f32_e32 vcc, v3, v3
	v_cndmask_b32_e32 v55, v2, v6, vcc
	v_lshlrev_b32_e32 v6, 16, v55
	v_max_f32_e32 v3, v6, v6
	v_min_f32_e32 v7, v3, v70
	v_cmp_u_f32_e32 vcc, v6, v6
	v_max_f32_e32 v3, v3, v70
	v_cndmask_b32_e32 v7, v7, v6, vcc
	v_cndmask_b32_e32 v3, v3, v6, vcc
	v_cndmask_b32_e64 v7, v7, v66, s[38:39]
	v_cndmask_b32_e64 v3, v3, v66, s[38:39]
	v_cmp_neq_f32_e32 vcc, v7, v3
	v_cmp_class_f32_e64 s[6:7], v7, s8
	s_or_b64 s[10:11], vcc, s[6:7]
	s_and_saveexec_b64 s[6:7], s[10:11]
	s_cbranch_execz .LBB492_366
; %bb.365:
	v_sub_f32_e32 v6, v7, v3
	s_mov_b32 s8, 0x3fb8aa3b
	v_mul_f32_e32 v7, 0x3fb8aa3b, v6
	v_fma_f32 v16, v6, s8, -v7
	v_rndne_f32_e32 v17, v7
	v_fmac_f32_e32 v16, 0x32a5705f, v6
	v_sub_f32_e32 v7, v7, v17
	v_add_f32_e32 v7, v7, v16
	v_exp_f32_e32 v7, v7
	v_cvt_i32_f32_e32 v16, v17
	s_mov_b32 s8, 0xc2ce8ed0
	v_cmp_ngt_f32_e32 vcc, s8, v6
	s_mov_b32 s8, 0x42b17218
	v_ldexp_f32 v7, v7, v16
	v_cndmask_b32_e32 v7, 0, v7, vcc
	v_mov_b32_e32 v16, 0x7f800000
	v_cmp_nlt_f32_e32 vcc, s8, v6
	v_cndmask_b32_e32 v68, v16, v7, vcc
	v_add_f32_e32 v16, 1.0, v68
	v_add_f32_e32 v6, -1.0, v16
	v_sub_f32_e32 v7, v6, v16
	v_add_f32_e32 v7, 1.0, v7
	v_sub_f32_e32 v6, v68, v6
	v_add_f32_e32 v17, v6, v7
	v_frexp_mant_f32_e32 v18, v16
	s_mov_b32 s8, 0x3f2aaaab
	v_cvt_f64_f32_e32 v[6:7], v16
	v_frexp_exp_i32_f64_e32 v6, v[6:7]
	v_cmp_gt_f32_e32 vcc, s8, v18
	v_subbrev_co_u32_e32 v22, vcc, 0, v6, vcc
	v_sub_u32_e32 v6, 0, v22
	v_ldexp_f32 v7, v16, v6
	v_add_f32_e32 v16, -1.0, v7
	v_add_f32_e32 v18, 1.0, v7
	v_ldexp_f32 v6, v17, v6
	v_add_f32_e32 v17, 1.0, v16
	v_add_f32_e32 v19, -1.0, v18
	v_sub_f32_e32 v17, v7, v17
	v_sub_f32_e32 v7, v7, v19
	v_add_f32_e32 v17, v6, v17
	v_add_f32_e32 v6, v6, v7
	;; [unrolled: 1-line block ×3, first 2 shown]
	v_rcp_f32_e32 v65, v23
	v_sub_f32_e32 v7, v18, v23
	v_add_f32_e32 v64, v6, v7
	v_add_f32_e32 v7, v16, v17
	v_mul_f32_e32 v67, v7, v65
	v_sub_f32_e32 v6, v16, v7
	v_mul_f32_e32 v16, v23, v67
	v_fma_f32 v18, v67, v23, -v16
	v_fmac_f32_e32 v18, v67, v64
	v_add_f32_e32 v66, v17, v6
	v_add_f32_e32 v6, v16, v18
	v_sub_f32_e32 v17, v7, v6
	v_pk_add_f32 v[20:21], v[6:7], v[16:17] neg_lo:[0,1] neg_hi:[0,1]
	v_mov_b32_e32 v19, v6
	v_pk_add_f32 v[6:7], v[20:21], v[18:19] neg_lo:[0,1] neg_hi:[0,1]
	v_add_f32_e32 v7, v66, v7
	v_add_f32_e32 v6, v6, v7
	;; [unrolled: 1-line block ×3, first 2 shown]
	v_mul_f32_e32 v66, v65, v7
	v_mul_f32_e32 v16, v23, v66
	v_fma_f32 v18, v66, v23, -v16
	v_fmac_f32_e32 v18, v66, v64
	v_sub_f32_e32 v17, v17, v7
	v_add_f32_e32 v23, v6, v17
	v_add_f32_e32 v6, v16, v18
	v_sub_f32_e32 v17, v7, v6
	v_pk_add_f32 v[20:21], v[6:7], v[16:17] neg_lo:[0,1] neg_hi:[0,1]
	v_mov_b32_e32 v19, v6
	v_pk_add_f32 v[6:7], v[20:21], v[18:19] neg_lo:[0,1] neg_hi:[0,1]
	v_add_f32_e32 v7, v23, v7
	v_add_f32_e32 v6, v6, v7
	;; [unrolled: 1-line block ×4, first 2 shown]
	v_sub_f32_e32 v7, v17, v67
	v_mul_f32_e32 v6, v65, v6
	v_sub_f32_e32 v7, v66, v7
	v_add_f32_e32 v6, v7, v6
	v_add_f32_e32 v18, v17, v6
	v_mul_f32_e32 v20, v18, v18
	v_mov_b32_e32 v16, 0x3ecc95a3
	v_fmac_f32_e32 v16, 0x3e9b6dac, v20
	v_mov_b32_e32 v7, 0x3f2aaada
	v_fmac_f32_e32 v7, v20, v16
	v_cvt_f32_i32_e32 v16, v22
	v_sub_f32_e32 v17, v18, v17
	v_sub_f32_e32 v6, v6, v17
	v_ldexp_f32 v21, v6, 1
	v_mul_f32_e32 v17, v18, v20
	v_mov_b32_e32 v6, 0x3f317218
	s_mov_b32 s8, 0x3f317218
	v_pk_mul_f32 v[6:7], v[16:17], v[6:7]
	v_ldexp_f32 v19, v18, 1
	v_fma_f32 v18, v16, s8, -v6
	v_fmac_f32_e32 v18, 0xb102e308, v16
	v_pk_add_f32 v[16:17], v[6:7], v[18:19]
	v_sub_f32_e32 v19, v17, v19
	v_sub_f32_e32 v19, v7, v19
	v_add_f32_e32 v21, v21, v19
	v_mov_b32_e32 v20, v6
	v_pk_add_f32 v[6:7], v[16:17], v[6:7] neg_lo:[0,1] neg_hi:[0,1]
	v_pk_add_f32 v[22:23], v[16:17], v[20:21]
	v_mov_b32_e32 v7, v23
	v_mov_b32_e32 v19, v16
	v_pk_add_f32 v[64:65], v[18:19], v[6:7] neg_lo:[0,1] neg_hi:[0,1]
	v_pk_add_f32 v[6:7], v[18:19], v[6:7]
	v_mov_b32_e32 v18, v7
	v_pk_add_f32 v[66:67], v[18:19], v[16:17] neg_lo:[0,1] neg_hi:[0,1]
	v_mov_b32_e32 v19, v66
	v_pk_add_f32 v[96:97], v[22:23], v[18:19] neg_lo:[0,1] neg_hi:[0,1]
	v_mov_b32_e32 v6, v23
	v_mov_b32_e32 v22, v17
	;; [unrolled: 1-line block ×4, first 2 shown]
	v_pk_add_f32 v[6:7], v[6:7], v[22:23] neg_lo:[0,1] neg_hi:[0,1]
	v_mov_b32_e32 v20, v21
	v_mov_b32_e32 v21, v16
	v_pk_add_f32 v[6:7], v[20:21], v[6:7] neg_lo:[0,1] neg_hi:[0,1]
	v_mov_b32_e32 v96, v64
	v_pk_add_f32 v[16:17], v[96:97], v[6:7]
	v_mov_b32_e32 v20, v17
	v_pk_add_f32 v[20:21], v[16:17], v[20:21]
	v_pk_add_f32 v[18:19], v[18:19], v[20:21]
	v_mov_b32_e32 v17, v18
	v_pk_add_f32 v[22:23], v[16:17], v[64:65] neg_lo:[0,1] neg_hi:[0,1]
	v_mov_b32_e32 v7, v20
	v_sub_f32_e32 v16, v16, v22
	v_pk_add_f32 v[6:7], v[6:7], v[22:23] neg_lo:[0,1] neg_hi:[0,1]
	v_sub_f32_e32 v16, v64, v16
	s_mov_b32 s10, 0x7f800000
	v_add_f32_e32 v6, v6, v16
	s_mov_b32 s8, 0x33800000
	v_add_f32_e32 v6, v6, v7
	v_cmp_eq_f32_e32 vcc, s10, v68
	v_cmp_lt_f32_e64 s[10:11], |v68|, s8
	v_add_f32_e32 v6, v18, v6
	s_or_b64 vcc, vcc, s[10:11]
	v_cndmask_b32_e32 v6, v6, v68, vcc
	v_add_f32_e32 v6, v3, v6
.LBB492_366:
	s_or_b64 exec, exec, s[6:7]
	v_bfe_u32 v3, v6, 16, 1
	v_add3_u32 v3, v6, v3, s9
	v_lshrrev_b32_e32 v3, 16, v3
	v_cmp_o_f32_e32 vcc, v6, v6
	v_cndmask_b32_e32 v64, v2, v3, vcc
	v_lshlrev_b32_e32 v3, 16, v64
	v_max_f32_e32 v2, v3, v3
	v_min_f32_e32 v6, v2, v71
	v_cmp_u_f32_e32 vcc, v3, v3
	v_max_f32_e32 v2, v2, v71
	v_cndmask_b32_e32 v6, v6, v3, vcc
	v_cndmask_b32_e32 v2, v2, v3, vcc
	v_cndmask_b32_e64 v6, v6, v12, s[40:41]
	v_cndmask_b32_e64 v2, v2, v12, s[40:41]
	s_movk_i32 s8, 0x1f8
	v_cmp_neq_f32_e32 vcc, v6, v2
	v_cmp_class_f32_e64 s[6:7], v6, s8
	s_or_b64 s[10:11], vcc, s[6:7]
	s_and_saveexec_b64 s[6:7], s[10:11]
	s_cbranch_execz .LBB492_368
; %bb.367:
	v_sub_f32_e32 v3, v6, v2
	s_mov_b32 s9, 0x3fb8aa3b
	v_mul_f32_e32 v6, 0x3fb8aa3b, v3
	v_fma_f32 v7, v3, s9, -v6
	v_rndne_f32_e32 v12, v6
	v_fmac_f32_e32 v7, 0x32a5705f, v3
	v_sub_f32_e32 v6, v6, v12
	v_add_f32_e32 v6, v6, v7
	v_exp_f32_e32 v6, v6
	v_cvt_i32_f32_e32 v7, v12
	s_mov_b32 s9, 0xc2ce8ed0
	v_cmp_ngt_f32_e32 vcc, s9, v3
	s_mov_b32 s9, 0x42b17218
	v_ldexp_f32 v6, v6, v7
	v_cndmask_b32_e32 v6, 0, v6, vcc
	v_mov_b32_e32 v7, 0x7f800000
	v_cmp_nlt_f32_e32 vcc, s9, v3
	v_cndmask_b32_e32 v65, v7, v6, vcc
	v_add_f32_e32 v3, 1.0, v65
	v_add_f32_e32 v6, -1.0, v3
	v_sub_f32_e32 v7, v6, v3
	v_add_f32_e32 v7, 1.0, v7
	v_sub_f32_e32 v6, v65, v6
	v_add_f32_e32 v12, v6, v7
	v_frexp_mant_f32_e32 v16, v3
	s_mov_b32 s9, 0x3f2aaaab
	v_cvt_f64_f32_e32 v[6:7], v3
	v_frexp_exp_i32_f64_e32 v6, v[6:7]
	v_cmp_gt_f32_e32 vcc, s9, v16
	v_subbrev_co_u32_e32 v22, vcc, 0, v6, vcc
	v_sub_u32_e32 v6, 0, v22
	v_ldexp_f32 v3, v3, v6
	v_ldexp_f32 v6, v12, v6
	v_add_f32_e32 v12, -1.0, v3
	v_add_f32_e32 v7, 1.0, v12
	v_sub_f32_e32 v7, v3, v7
	v_add_f32_e32 v16, v6, v7
	v_add_f32_e32 v7, 1.0, v3
	v_add_f32_e32 v17, -1.0, v7
	v_sub_f32_e32 v3, v3, v17
	v_add_f32_e32 v3, v6, v3
	v_add_f32_e32 v23, v7, v3
	v_rcp_f32_e32 v66, v23
	v_sub_f32_e32 v6, v7, v23
	v_add_f32_e32 v7, v12, v16
	v_add_f32_e32 v3, v3, v6
	v_sub_f32_e32 v6, v12, v7
	v_mul_f32_e32 v67, v7, v66
	v_add_f32_e32 v12, v16, v6
	v_mul_f32_e32 v16, v23, v67
	v_fma_f32 v18, v67, v23, -v16
	v_fmac_f32_e32 v18, v67, v3
	v_add_f32_e32 v6, v16, v18
	v_sub_f32_e32 v17, v7, v6
	v_pk_add_f32 v[20:21], v[6:7], v[16:17] neg_lo:[0,1] neg_hi:[0,1]
	v_mov_b32_e32 v19, v6
	v_pk_add_f32 v[6:7], v[20:21], v[18:19] neg_lo:[0,1] neg_hi:[0,1]
	v_add_f32_e32 v7, v12, v7
	v_add_f32_e32 v6, v6, v7
	;; [unrolled: 1-line block ×3, first 2 shown]
	v_mul_f32_e32 v12, v66, v7
	v_mul_f32_e32 v16, v23, v12
	v_fma_f32 v18, v12, v23, -v16
	v_fmac_f32_e32 v18, v12, v3
	v_sub_f32_e32 v3, v17, v7
	v_add_f32_e32 v3, v6, v3
	v_add_f32_e32 v6, v16, v18
	v_sub_f32_e32 v17, v7, v6
	v_pk_add_f32 v[20:21], v[6:7], v[16:17] neg_lo:[0,1] neg_hi:[0,1]
	v_mov_b32_e32 v19, v6
	v_pk_add_f32 v[6:7], v[20:21], v[18:19] neg_lo:[0,1] neg_hi:[0,1]
	v_add_f32_e32 v3, v3, v7
	v_add_f32_e32 v3, v6, v3
	v_add_f32_e32 v6, v67, v12
	v_add_f32_e32 v3, v17, v3
	v_sub_f32_e32 v7, v6, v67
	v_mul_f32_e32 v3, v66, v3
	v_sub_f32_e32 v7, v12, v7
	v_add_f32_e32 v3, v7, v3
	v_add_f32_e32 v12, v6, v3
	v_mul_f32_e32 v17, v12, v12
	v_mov_b32_e32 v16, 0x3ecc95a3
	v_fmac_f32_e32 v16, 0x3e9b6dac, v17
	v_mov_b32_e32 v7, 0x3f2aaada
	v_fmac_f32_e32 v7, v17, v16
	v_cvt_f32_i32_e32 v16, v22
	v_sub_f32_e32 v6, v12, v6
	v_sub_f32_e32 v3, v3, v6
	v_mul_f32_e32 v17, v12, v17
	v_mov_b32_e32 v6, 0x3f317218
	s_mov_b32 s9, 0x3f317218
	v_pk_mul_f32 v[6:7], v[16:17], v[6:7]
	v_fma_f32 v18, v16, s9, -v6
	v_ldexp_f32 v19, v12, 1
	v_fmac_f32_e32 v18, 0xb102e308, v16
	v_pk_add_f32 v[16:17], v[6:7], v[18:19]
	v_sub_f32_e32 v12, v17, v19
	v_ldexp_f32 v3, v3, 1
	v_sub_f32_e32 v12, v7, v12
	v_add_f32_e32 v21, v3, v12
	v_mov_b32_e32 v20, v6
	v_pk_add_f32 v[6:7], v[16:17], v[6:7] neg_lo:[0,1] neg_hi:[0,1]
	v_pk_add_f32 v[22:23], v[16:17], v[20:21]
	v_mov_b32_e32 v7, v23
	v_mov_b32_e32 v19, v16
	v_pk_add_f32 v[66:67], v[18:19], v[6:7] neg_lo:[0,1] neg_hi:[0,1]
	v_pk_add_f32 v[6:7], v[18:19], v[6:7]
	v_mov_b32_e32 v12, v7
	v_pk_add_f32 v[18:19], v[12:13], v[16:17] neg_lo:[0,1] neg_hi:[0,1]
	v_mov_b32_e32 v3, v18
	v_pk_add_f32 v[70:71], v[22:23], v[2:3] neg_lo:[0,1] neg_hi:[0,1]
	v_mov_b32_e32 v6, v23
	v_mov_b32_e32 v22, v17
	;; [unrolled: 1-line block ×4, first 2 shown]
	v_pk_add_f32 v[6:7], v[6:7], v[22:23] neg_lo:[0,1] neg_hi:[0,1]
	v_mov_b32_e32 v18, v21
	v_mov_b32_e32 v19, v16
	v_pk_add_f32 v[6:7], v[18:19], v[6:7] neg_lo:[0,1] neg_hi:[0,1]
	v_mov_b32_e32 v70, v66
	v_pk_add_f32 v[16:17], v[70:71], v[6:7]
	v_mov_b32_e32 v18, v17
	v_pk_add_f32 v[18:19], v[16:17], v[18:19]
	v_pk_add_f32 v[20:21], v[12:13], v[18:19]
	v_mov_b32_e32 v17, v20
	v_pk_add_f32 v[22:23], v[16:17], v[66:67] neg_lo:[0,1] neg_hi:[0,1]
	v_mov_b32_e32 v7, v18
	v_sub_f32_e32 v3, v16, v22
	v_pk_add_f32 v[6:7], v[6:7], v[22:23] neg_lo:[0,1] neg_hi:[0,1]
	v_sub_f32_e32 v3, v66, v3
	s_mov_b32 s10, 0x7f800000
	v_add_f32_e32 v3, v6, v3
	s_mov_b32 s9, 0x33800000
	v_add_f32_e32 v3, v3, v7
	v_cmp_eq_f32_e32 vcc, s10, v65
	v_cmp_lt_f32_e64 s[10:11], |v65|, s9
	v_add_f32_e32 v3, v20, v3
	s_or_b64 vcc, vcc, s[10:11]
	v_cndmask_b32_e32 v3, v3, v65, vcc
	v_add_f32_e32 v3, v2, v3
.LBB492_368:
	s_or_b64 exec, exec, s[6:7]
	v_bfe_u32 v2, v3, 16, 1
	s_movk_i32 s9, 0x7fff
	v_add3_u32 v2, v3, v2, s9
	v_lshrrev_b32_e32 v6, 16, v2
	v_mov_b32_e32 v2, 0x7fc0
	v_cmp_o_f32_e32 vcc, v3, v3
	v_cndmask_b32_e32 v65, v2, v6, vcc
	v_lshlrev_b32_e32 v6, 16, v65
	v_max_f32_e32 v3, v6, v6
	v_min_f32_e32 v7, v3, v81
	v_cmp_u_f32_e32 vcc, v6, v6
	v_max_f32_e32 v3, v3, v81
	v_cndmask_b32_e32 v7, v7, v6, vcc
	v_cndmask_b32_e32 v3, v3, v6, vcc
	v_cndmask_b32_e64 v7, v7, v69, s[42:43]
	v_cndmask_b32_e64 v3, v3, v69, s[42:43]
	v_cmp_neq_f32_e32 vcc, v7, v3
	v_cmp_class_f32_e64 s[6:7], v7, s8
	s_or_b64 s[10:11], vcc, s[6:7]
	s_and_saveexec_b64 s[6:7], s[10:11]
	s_cbranch_execz .LBB492_370
; %bb.369:
	v_sub_f32_e32 v6, v7, v3
	s_mov_b32 s8, 0x3fb8aa3b
	v_mul_f32_e32 v7, 0x3fb8aa3b, v6
	v_fma_f32 v12, v6, s8, -v7
	v_rndne_f32_e32 v16, v7
	v_fmac_f32_e32 v12, 0x32a5705f, v6
	v_sub_f32_e32 v7, v7, v16
	v_add_f32_e32 v7, v7, v12
	v_exp_f32_e32 v7, v7
	v_cvt_i32_f32_e32 v12, v16
	s_mov_b32 s8, 0xc2ce8ed0
	v_cmp_ngt_f32_e32 vcc, s8, v6
	s_mov_b32 s8, 0x42b17218
	v_ldexp_f32 v7, v7, v12
	v_cndmask_b32_e32 v7, 0, v7, vcc
	v_mov_b32_e32 v12, 0x7f800000
	v_cmp_nlt_f32_e32 vcc, s8, v6
	v_cndmask_b32_e32 v70, v12, v7, vcc
	v_add_f32_e32 v12, 1.0, v70
	v_add_f32_e32 v6, -1.0, v12
	v_sub_f32_e32 v7, v6, v12
	v_add_f32_e32 v7, 1.0, v7
	v_sub_f32_e32 v6, v70, v6
	v_add_f32_e32 v16, v6, v7
	v_frexp_mant_f32_e32 v17, v12
	s_mov_b32 s8, 0x3f2aaaab
	v_cvt_f64_f32_e32 v[6:7], v12
	v_frexp_exp_i32_f64_e32 v6, v[6:7]
	v_cmp_gt_f32_e32 vcc, s8, v17
	v_subbrev_co_u32_e32 v22, vcc, 0, v6, vcc
	v_sub_u32_e32 v6, 0, v22
	v_ldexp_f32 v7, v12, v6
	v_add_f32_e32 v12, -1.0, v7
	v_add_f32_e32 v17, 1.0, v7
	v_ldexp_f32 v6, v16, v6
	v_add_f32_e32 v16, 1.0, v12
	v_add_f32_e32 v18, -1.0, v17
	v_sub_f32_e32 v16, v7, v16
	v_sub_f32_e32 v7, v7, v18
	v_add_f32_e32 v16, v6, v16
	v_add_f32_e32 v6, v6, v7
	;; [unrolled: 1-line block ×3, first 2 shown]
	v_rcp_f32_e32 v67, v23
	v_sub_f32_e32 v7, v17, v23
	v_add_f32_e32 v66, v6, v7
	v_add_f32_e32 v7, v12, v16
	v_sub_f32_e32 v6, v12, v7
	v_mul_f32_e32 v68, v7, v67
	v_add_f32_e32 v12, v16, v6
	v_mul_f32_e32 v16, v23, v68
	v_fma_f32 v18, v68, v23, -v16
	v_fmac_f32_e32 v18, v68, v66
	v_add_f32_e32 v6, v16, v18
	v_sub_f32_e32 v17, v7, v6
	v_pk_add_f32 v[20:21], v[6:7], v[16:17] neg_lo:[0,1] neg_hi:[0,1]
	v_mov_b32_e32 v19, v6
	v_pk_add_f32 v[6:7], v[20:21], v[18:19] neg_lo:[0,1] neg_hi:[0,1]
	v_add_f32_e32 v7, v12, v7
	v_add_f32_e32 v6, v6, v7
	;; [unrolled: 1-line block ×3, first 2 shown]
	v_mul_f32_e32 v12, v67, v7
	v_mul_f32_e32 v16, v23, v12
	v_fma_f32 v18, v12, v23, -v16
	v_fmac_f32_e32 v18, v12, v66
	v_sub_f32_e32 v17, v17, v7
	v_add_f32_e32 v23, v6, v17
	v_add_f32_e32 v6, v16, v18
	v_sub_f32_e32 v17, v7, v6
	v_pk_add_f32 v[20:21], v[6:7], v[16:17] neg_lo:[0,1] neg_hi:[0,1]
	v_mov_b32_e32 v19, v6
	v_pk_add_f32 v[6:7], v[20:21], v[18:19] neg_lo:[0,1] neg_hi:[0,1]
	v_add_f32_e32 v7, v23, v7
	v_add_f32_e32 v6, v6, v7
	;; [unrolled: 1-line block ×4, first 2 shown]
	v_sub_f32_e32 v7, v17, v68
	v_mul_f32_e32 v6, v67, v6
	v_sub_f32_e32 v7, v12, v7
	v_add_f32_e32 v6, v7, v6
	v_add_f32_e32 v12, v17, v6
	v_mul_f32_e32 v18, v12, v12
	v_mov_b32_e32 v16, 0x3ecc95a3
	v_fmac_f32_e32 v16, 0x3e9b6dac, v18
	v_mov_b32_e32 v7, 0x3f2aaada
	v_fmac_f32_e32 v7, v18, v16
	v_cvt_f32_i32_e32 v16, v22
	v_sub_f32_e32 v17, v12, v17
	v_sub_f32_e32 v6, v6, v17
	v_ldexp_f32 v20, v6, 1
	v_mul_f32_e32 v17, v12, v18
	v_mov_b32_e32 v6, 0x3f317218
	s_mov_b32 s8, 0x3f317218
	v_pk_mul_f32 v[6:7], v[16:17], v[6:7]
	v_fma_f32 v18, v16, s8, -v6
	v_ldexp_f32 v19, v12, 1
	v_fmac_f32_e32 v18, 0xb102e308, v16
	v_pk_add_f32 v[16:17], v[6:7], v[18:19]
	v_sub_f32_e32 v12, v17, v19
	v_sub_f32_e32 v12, v7, v12
	v_add_f32_e32 v21, v20, v12
	v_mov_b32_e32 v20, v6
	v_pk_add_f32 v[6:7], v[16:17], v[6:7] neg_lo:[0,1] neg_hi:[0,1]
	v_pk_add_f32 v[22:23], v[16:17], v[20:21]
	v_mov_b32_e32 v7, v23
	v_mov_b32_e32 v19, v16
	v_pk_add_f32 v[66:67], v[18:19], v[6:7] neg_lo:[0,1] neg_hi:[0,1]
	v_pk_add_f32 v[6:7], v[18:19], v[6:7]
	v_mov_b32_e32 v12, v7
	v_pk_add_f32 v[18:19], v[12:13], v[16:17] neg_lo:[0,1] neg_hi:[0,1]
	v_mov_b32_e32 v19, v18
	v_pk_add_f32 v[68:69], v[22:23], v[18:19] neg_lo:[0,1] neg_hi:[0,1]
	v_mov_b32_e32 v6, v23
	v_mov_b32_e32 v22, v17
	;; [unrolled: 1-line block ×4, first 2 shown]
	v_pk_add_f32 v[6:7], v[6:7], v[22:23] neg_lo:[0,1] neg_hi:[0,1]
	v_mov_b32_e32 v18, v21
	v_mov_b32_e32 v19, v16
	v_pk_add_f32 v[6:7], v[18:19], v[6:7] neg_lo:[0,1] neg_hi:[0,1]
	v_mov_b32_e32 v68, v66
	v_pk_add_f32 v[16:17], v[68:69], v[6:7]
	v_mov_b32_e32 v18, v17
	v_pk_add_f32 v[18:19], v[16:17], v[18:19]
	v_pk_add_f32 v[20:21], v[12:13], v[18:19]
	v_mov_b32_e32 v17, v20
	v_pk_add_f32 v[22:23], v[16:17], v[66:67] neg_lo:[0,1] neg_hi:[0,1]
	v_mov_b32_e32 v7, v18
	v_sub_f32_e32 v12, v16, v22
	v_pk_add_f32 v[6:7], v[6:7], v[22:23] neg_lo:[0,1] neg_hi:[0,1]
	v_sub_f32_e32 v12, v66, v12
	s_mov_b32 s10, 0x7f800000
	v_add_f32_e32 v6, v6, v12
	s_mov_b32 s8, 0x33800000
	v_add_f32_e32 v6, v6, v7
	v_cmp_eq_f32_e32 vcc, s10, v70
	v_cmp_lt_f32_e64 s[10:11], |v70|, s8
	v_add_f32_e32 v6, v20, v6
	s_or_b64 vcc, vcc, s[10:11]
	v_cndmask_b32_e32 v6, v6, v70, vcc
	v_add_f32_e32 v6, v3, v6
.LBB492_370:
	s_or_b64 exec, exec, s[6:7]
	v_bfe_u32 v3, v6, 16, 1
	v_add3_u32 v3, v6, v3, s9
	v_lshrrev_b32_e32 v3, 16, v3
	v_cmp_o_f32_e32 vcc, v6, v6
	v_cndmask_b32_e32 v66, v2, v3, vcc
	v_lshlrev_b32_e32 v3, 16, v66
	v_max_f32_e32 v2, v3, v3
	v_min_f32_e32 v6, v2, v82
	v_cmp_u_f32_e32 vcc, v3, v3
	v_max_f32_e32 v2, v2, v82
	v_cndmask_b32_e32 v6, v6, v3, vcc
	v_cndmask_b32_e32 v2, v2, v3, vcc
	v_cndmask_b32_e64 v6, v6, v13, s[44:45]
	v_cndmask_b32_e64 v2, v2, v13, s[44:45]
	s_movk_i32 s8, 0x1f8
	v_cmp_neq_f32_e32 vcc, v6, v2
	v_cmp_class_f32_e64 s[6:7], v6, s8
	s_or_b64 s[10:11], vcc, s[6:7]
	s_and_saveexec_b64 s[6:7], s[10:11]
	s_cbranch_execz .LBB492_372
; %bb.371:
	v_sub_f32_e32 v3, v6, v2
	s_mov_b32 s9, 0x3fb8aa3b
	v_mul_f32_e32 v6, 0x3fb8aa3b, v3
	v_fma_f32 v7, v3, s9, -v6
	v_rndne_f32_e32 v12, v6
	v_fmac_f32_e32 v7, 0x32a5705f, v3
	v_sub_f32_e32 v6, v6, v12
	v_add_f32_e32 v6, v6, v7
	v_exp_f32_e32 v6, v6
	v_cvt_i32_f32_e32 v7, v12
	s_mov_b32 s9, 0xc2ce8ed0
	v_cmp_ngt_f32_e32 vcc, s9, v3
	s_mov_b32 s9, 0x42b17218
	v_ldexp_f32 v6, v6, v7
	v_cndmask_b32_e32 v6, 0, v6, vcc
	v_mov_b32_e32 v7, 0x7f800000
	v_cmp_nlt_f32_e32 vcc, s9, v3
	v_cndmask_b32_e32 v67, v7, v6, vcc
	v_add_f32_e32 v3, 1.0, v67
	v_add_f32_e32 v6, -1.0, v3
	v_sub_f32_e32 v7, v6, v3
	v_add_f32_e32 v7, 1.0, v7
	v_sub_f32_e32 v6, v67, v6
	v_add_f32_e32 v12, v6, v7
	v_frexp_mant_f32_e32 v13, v3
	s_mov_b32 s9, 0x3f2aaaab
	v_cvt_f64_f32_e32 v[6:7], v3
	v_frexp_exp_i32_f64_e32 v6, v[6:7]
	v_cmp_gt_f32_e32 vcc, s9, v13
	v_subbrev_co_u32_e32 v20, vcc, 0, v6, vcc
	v_sub_u32_e32 v6, 0, v20
	v_ldexp_f32 v3, v3, v6
	v_ldexp_f32 v6, v12, v6
	v_add_f32_e32 v12, -1.0, v3
	v_add_f32_e32 v7, 1.0, v12
	v_sub_f32_e32 v7, v3, v7
	v_add_f32_e32 v13, v6, v7
	v_add_f32_e32 v7, 1.0, v3
	v_add_f32_e32 v16, -1.0, v7
	v_sub_f32_e32 v3, v3, v16
	v_add_f32_e32 v3, v6, v3
	v_add_f32_e32 v21, v7, v3
	v_rcp_f32_e32 v22, v21
	v_sub_f32_e32 v6, v7, v21
	v_add_f32_e32 v7, v12, v13
	v_add_f32_e32 v3, v3, v6
	v_mul_f32_e32 v68, v7, v22
	v_sub_f32_e32 v6, v12, v7
	v_mul_f32_e32 v12, v21, v68
	v_fma_f32 v16, v68, v21, -v12
	v_fmac_f32_e32 v16, v68, v3
	v_add_f32_e32 v23, v13, v6
	v_add_f32_e32 v6, v12, v16
	v_sub_f32_e32 v13, v7, v6
	v_pk_add_f32 v[18:19], v[6:7], v[12:13] neg_lo:[0,1] neg_hi:[0,1]
	v_mov_b32_e32 v17, v6
	v_pk_add_f32 v[6:7], v[18:19], v[16:17] neg_lo:[0,1] neg_hi:[0,1]
	v_add_f32_e32 v7, v23, v7
	v_add_f32_e32 v6, v6, v7
	;; [unrolled: 1-line block ×3, first 2 shown]
	v_mul_f32_e32 v23, v22, v7
	v_mul_f32_e32 v12, v21, v23
	v_fma_f32 v16, v23, v21, -v12
	v_fmac_f32_e32 v16, v23, v3
	v_sub_f32_e32 v3, v13, v7
	v_add_f32_e32 v3, v6, v3
	v_add_f32_e32 v6, v12, v16
	v_sub_f32_e32 v13, v7, v6
	v_pk_add_f32 v[18:19], v[6:7], v[12:13] neg_lo:[0,1] neg_hi:[0,1]
	v_mov_b32_e32 v17, v6
	v_pk_add_f32 v[6:7], v[18:19], v[16:17] neg_lo:[0,1] neg_hi:[0,1]
	v_add_f32_e32 v3, v3, v7
	v_add_f32_e32 v3, v6, v3
	;; [unrolled: 1-line block ×4, first 2 shown]
	v_sub_f32_e32 v7, v6, v68
	v_mul_f32_e32 v3, v22, v3
	v_sub_f32_e32 v7, v23, v7
	v_add_f32_e32 v3, v7, v3
	v_add_f32_e32 v13, v6, v3
	v_mul_f32_e32 v16, v13, v13
	v_mov_b32_e32 v12, 0x3ecc95a3
	v_fmac_f32_e32 v12, 0x3e9b6dac, v16
	v_mov_b32_e32 v7, 0x3f2aaada
	v_fmac_f32_e32 v7, v16, v12
	v_cvt_f32_i32_e32 v12, v20
	v_sub_f32_e32 v6, v13, v6
	v_sub_f32_e32 v3, v3, v6
	v_ldexp_f32 v17, v13, 1
	v_mul_f32_e32 v13, v13, v16
	v_mov_b32_e32 v6, 0x3f317218
	s_mov_b32 s9, 0x3f317218
	v_pk_mul_f32 v[6:7], v[12:13], v[6:7]
	v_fma_f32 v16, v12, s9, -v6
	v_fmac_f32_e32 v16, 0xb102e308, v12
	v_pk_add_f32 v[12:13], v[6:7], v[16:17]
	v_sub_f32_e32 v17, v13, v17
	v_ldexp_f32 v3, v3, 1
	v_sub_f32_e32 v17, v7, v17
	v_add_f32_e32 v19, v3, v17
	v_mov_b32_e32 v18, v6
	v_pk_add_f32 v[6:7], v[12:13], v[6:7] neg_lo:[0,1] neg_hi:[0,1]
	v_pk_add_f32 v[20:21], v[12:13], v[18:19]
	v_mov_b32_e32 v7, v21
	v_mov_b32_e32 v17, v12
	v_pk_add_f32 v[22:23], v[16:17], v[6:7] neg_lo:[0,1] neg_hi:[0,1]
	v_pk_add_f32 v[6:7], v[16:17], v[6:7]
	v_mov_b32_e32 v16, v7
	v_pk_add_f32 v[68:69], v[16:17], v[12:13] neg_lo:[0,1] neg_hi:[0,1]
	v_mov_b32_e32 v3, v68
	v_pk_add_f32 v[70:71], v[20:21], v[2:3] neg_lo:[0,1] neg_hi:[0,1]
	v_mov_b32_e32 v6, v21
	v_mov_b32_e32 v20, v13
	;; [unrolled: 1-line block ×4, first 2 shown]
	v_pk_add_f32 v[6:7], v[6:7], v[20:21] neg_lo:[0,1] neg_hi:[0,1]
	v_mov_b32_e32 v18, v19
	v_mov_b32_e32 v19, v12
	v_pk_add_f32 v[6:7], v[18:19], v[6:7] neg_lo:[0,1] neg_hi:[0,1]
	v_mov_b32_e32 v70, v22
	v_pk_add_f32 v[12:13], v[70:71], v[6:7]
	v_mov_b32_e32 v18, v13
	v_pk_add_f32 v[18:19], v[12:13], v[18:19]
	v_pk_add_f32 v[16:17], v[16:17], v[18:19]
	v_mov_b32_e32 v13, v16
	v_pk_add_f32 v[20:21], v[12:13], v[22:23] neg_lo:[0,1] neg_hi:[0,1]
	v_mov_b32_e32 v7, v18
	v_sub_f32_e32 v3, v12, v20
	v_pk_add_f32 v[6:7], v[6:7], v[20:21] neg_lo:[0,1] neg_hi:[0,1]
	v_sub_f32_e32 v3, v22, v3
	s_mov_b32 s10, 0x7f800000
	v_add_f32_e32 v3, v6, v3
	s_mov_b32 s9, 0x33800000
	v_add_f32_e32 v3, v3, v7
	v_cmp_eq_f32_e32 vcc, s10, v67
	v_cmp_lt_f32_e64 s[10:11], |v67|, s9
	v_add_f32_e32 v3, v16, v3
	s_or_b64 vcc, vcc, s[10:11]
	v_cndmask_b32_e32 v3, v3, v67, vcc
	v_add_f32_e32 v3, v2, v3
.LBB492_372:
	s_or_b64 exec, exec, s[6:7]
	v_bfe_u32 v2, v3, 16, 1
	s_movk_i32 s9, 0x7fff
	v_add3_u32 v2, v3, v2, s9
	v_lshrrev_b32_e32 v6, 16, v2
	v_mov_b32_e32 v2, 0x7fc0
	v_cmp_o_f32_e32 vcc, v3, v3
	v_cndmask_b32_e32 v67, v2, v6, vcc
	v_lshlrev_b32_e32 v6, 16, v67
	v_max_f32_e32 v3, v6, v6
	v_min_f32_e32 v7, v3, v84
	v_cmp_u_f32_e32 vcc, v6, v6
	v_max_f32_e32 v3, v3, v84
	v_cndmask_b32_e32 v7, v7, v6, vcc
	v_cndmask_b32_e32 v3, v3, v6, vcc
	v_cndmask_b32_e64 v7, v7, v80, s[46:47]
	v_cndmask_b32_e64 v3, v3, v80, s[46:47]
	v_cmp_neq_f32_e32 vcc, v7, v3
	v_cmp_class_f32_e64 s[6:7], v7, s8
	s_or_b64 s[10:11], vcc, s[6:7]
	s_and_saveexec_b64 s[6:7], s[10:11]
	s_cbranch_execz .LBB492_374
; %bb.373:
	v_sub_f32_e32 v6, v7, v3
	s_mov_b32 s8, 0x3fb8aa3b
	v_mul_f32_e32 v7, 0x3fb8aa3b, v6
	v_fma_f32 v12, v6, s8, -v7
	v_rndne_f32_e32 v13, v7
	v_fmac_f32_e32 v12, 0x32a5705f, v6
	v_sub_f32_e32 v7, v7, v13
	v_add_f32_e32 v7, v7, v12
	v_exp_f32_e32 v7, v7
	v_cvt_i32_f32_e32 v12, v13
	s_mov_b32 s8, 0xc2ce8ed0
	v_cmp_ngt_f32_e32 vcc, s8, v6
	s_mov_b32 s8, 0x42b17218
	v_ldexp_f32 v7, v7, v12
	v_cndmask_b32_e32 v7, 0, v7, vcc
	v_mov_b32_e32 v12, 0x7f800000
	v_cmp_nlt_f32_e32 vcc, s8, v6
	v_cndmask_b32_e32 v80, v12, v7, vcc
	v_add_f32_e32 v12, 1.0, v80
	v_add_f32_e32 v6, -1.0, v12
	v_sub_f32_e32 v7, v6, v12
	v_add_f32_e32 v7, 1.0, v7
	v_sub_f32_e32 v6, v80, v6
	v_add_f32_e32 v13, v6, v7
	v_frexp_mant_f32_e32 v16, v12
	s_mov_b32 s8, 0x3f2aaaab
	v_cvt_f64_f32_e32 v[6:7], v12
	v_frexp_exp_i32_f64_e32 v6, v[6:7]
	v_cmp_gt_f32_e32 vcc, s8, v16
	v_subbrev_co_u32_e32 v20, vcc, 0, v6, vcc
	v_sub_u32_e32 v6, 0, v20
	v_ldexp_f32 v7, v12, v6
	v_add_f32_e32 v12, -1.0, v7
	v_add_f32_e32 v16, 1.0, v7
	v_ldexp_f32 v6, v13, v6
	v_add_f32_e32 v13, 1.0, v12
	v_add_f32_e32 v17, -1.0, v16
	v_sub_f32_e32 v13, v7, v13
	v_sub_f32_e32 v7, v7, v17
	v_add_f32_e32 v13, v6, v13
	v_add_f32_e32 v6, v6, v7
	;; [unrolled: 1-line block ×3, first 2 shown]
	v_rcp_f32_e32 v23, v21
	v_sub_f32_e32 v7, v16, v21
	v_add_f32_e32 v22, v6, v7
	v_add_f32_e32 v7, v12, v13
	v_mul_f32_e32 v69, v7, v23
	v_sub_f32_e32 v6, v12, v7
	v_mul_f32_e32 v12, v21, v69
	v_fma_f32 v16, v69, v21, -v12
	v_fmac_f32_e32 v16, v69, v22
	v_add_f32_e32 v68, v13, v6
	v_add_f32_e32 v6, v12, v16
	v_sub_f32_e32 v13, v7, v6
	v_pk_add_f32 v[18:19], v[6:7], v[12:13] neg_lo:[0,1] neg_hi:[0,1]
	v_mov_b32_e32 v17, v6
	v_pk_add_f32 v[6:7], v[18:19], v[16:17] neg_lo:[0,1] neg_hi:[0,1]
	v_add_f32_e32 v7, v68, v7
	v_add_f32_e32 v6, v6, v7
	;; [unrolled: 1-line block ×3, first 2 shown]
	v_mul_f32_e32 v68, v23, v7
	v_mul_f32_e32 v12, v21, v68
	v_fma_f32 v16, v68, v21, -v12
	v_fmac_f32_e32 v16, v68, v22
	v_sub_f32_e32 v13, v13, v7
	v_add_f32_e32 v21, v6, v13
	v_add_f32_e32 v6, v12, v16
	v_sub_f32_e32 v13, v7, v6
	v_pk_add_f32 v[18:19], v[6:7], v[12:13] neg_lo:[0,1] neg_hi:[0,1]
	v_mov_b32_e32 v17, v6
	v_pk_add_f32 v[6:7], v[18:19], v[16:17] neg_lo:[0,1] neg_hi:[0,1]
	v_add_f32_e32 v7, v21, v7
	v_add_f32_e32 v6, v6, v7
	;; [unrolled: 1-line block ×4, first 2 shown]
	v_sub_f32_e32 v7, v13, v69
	v_mul_f32_e32 v6, v23, v6
	v_sub_f32_e32 v7, v68, v7
	v_add_f32_e32 v6, v7, v6
	v_add_f32_e32 v16, v13, v6
	v_mul_f32_e32 v18, v16, v16
	v_mov_b32_e32 v12, 0x3ecc95a3
	v_fmac_f32_e32 v12, 0x3e9b6dac, v18
	v_mov_b32_e32 v7, 0x3f2aaada
	v_fmac_f32_e32 v7, v18, v12
	v_cvt_f32_i32_e32 v12, v20
	v_sub_f32_e32 v13, v16, v13
	v_sub_f32_e32 v6, v6, v13
	v_ldexp_f32 v19, v6, 1
	v_mul_f32_e32 v13, v16, v18
	v_mov_b32_e32 v6, 0x3f317218
	s_mov_b32 s8, 0x3f317218
	v_pk_mul_f32 v[6:7], v[12:13], v[6:7]
	v_ldexp_f32 v17, v16, 1
	v_fma_f32 v16, v12, s8, -v6
	v_fmac_f32_e32 v16, 0xb102e308, v12
	v_pk_add_f32 v[12:13], v[6:7], v[16:17]
	v_sub_f32_e32 v17, v13, v17
	v_sub_f32_e32 v17, v7, v17
	v_add_f32_e32 v19, v19, v17
	v_mov_b32_e32 v18, v6
	v_pk_add_f32 v[6:7], v[12:13], v[6:7] neg_lo:[0,1] neg_hi:[0,1]
	v_pk_add_f32 v[20:21], v[12:13], v[18:19]
	v_mov_b32_e32 v7, v21
	v_mov_b32_e32 v17, v12
	v_pk_add_f32 v[22:23], v[16:17], v[6:7] neg_lo:[0,1] neg_hi:[0,1]
	v_pk_add_f32 v[6:7], v[16:17], v[6:7]
	v_mov_b32_e32 v16, v7
	v_pk_add_f32 v[68:69], v[16:17], v[12:13] neg_lo:[0,1] neg_hi:[0,1]
	v_mov_b32_e32 v17, v68
	v_pk_add_f32 v[70:71], v[20:21], v[16:17] neg_lo:[0,1] neg_hi:[0,1]
	v_mov_b32_e32 v6, v21
	v_mov_b32_e32 v20, v13
	;; [unrolled: 1-line block ×4, first 2 shown]
	v_pk_add_f32 v[6:7], v[6:7], v[20:21] neg_lo:[0,1] neg_hi:[0,1]
	v_mov_b32_e32 v18, v19
	v_mov_b32_e32 v19, v12
	v_pk_add_f32 v[6:7], v[18:19], v[6:7] neg_lo:[0,1] neg_hi:[0,1]
	v_mov_b32_e32 v70, v22
	v_pk_add_f32 v[12:13], v[70:71], v[6:7]
	v_mov_b32_e32 v18, v13
	v_pk_add_f32 v[18:19], v[12:13], v[18:19]
	v_pk_add_f32 v[16:17], v[16:17], v[18:19]
	v_mov_b32_e32 v13, v16
	v_pk_add_f32 v[20:21], v[12:13], v[22:23] neg_lo:[0,1] neg_hi:[0,1]
	v_mov_b32_e32 v7, v18
	v_sub_f32_e32 v12, v12, v20
	v_pk_add_f32 v[6:7], v[6:7], v[20:21] neg_lo:[0,1] neg_hi:[0,1]
	v_sub_f32_e32 v12, v22, v12
	s_mov_b32 s10, 0x7f800000
	v_add_f32_e32 v6, v6, v12
	s_mov_b32 s8, 0x33800000
	v_add_f32_e32 v6, v6, v7
	v_cmp_eq_f32_e32 vcc, s10, v80
	v_cmp_lt_f32_e64 s[10:11], |v80|, s8
	v_add_f32_e32 v6, v16, v6
	s_or_b64 vcc, vcc, s[10:11]
	v_cndmask_b32_e32 v6, v6, v80, vcc
	v_add_f32_e32 v6, v3, v6
.LBB492_374:
	s_or_b64 exec, exec, s[6:7]
	v_bfe_u32 v3, v6, 16, 1
	v_add3_u32 v3, v6, v3, s9
	v_lshrrev_b32_e32 v3, 16, v3
	v_cmp_o_f32_e32 vcc, v6, v6
	v_cndmask_b32_e32 v68, v2, v3, vcc
	v_lshlrev_b32_e32 v3, 16, v68
	v_max_f32_e32 v2, v3, v3
	v_min_f32_e32 v6, v2, v85
	v_cmp_u_f32_e32 vcc, v3, v3
	v_max_f32_e32 v2, v2, v85
	v_cndmask_b32_e32 v6, v6, v3, vcc
	v_cndmask_b32_e32 v2, v2, v3, vcc
	v_cndmask_b32_e64 v6, v6, v14, s[48:49]
	v_cndmask_b32_e64 v2, v2, v14, s[48:49]
	s_movk_i32 s8, 0x1f8
	v_cmp_neq_f32_e32 vcc, v6, v2
	v_cmp_class_f32_e64 s[6:7], v6, s8
	s_or_b64 s[10:11], vcc, s[6:7]
	s_and_saveexec_b64 s[6:7], s[10:11]
	s_cbranch_execz .LBB492_376
; %bb.375:
	v_sub_f32_e32 v3, v6, v2
	s_mov_b32 s9, 0x3fb8aa3b
	v_mul_f32_e32 v6, 0x3fb8aa3b, v3
	v_fma_f32 v7, v3, s9, -v6
	v_rndne_f32_e32 v12, v6
	v_fmac_f32_e32 v7, 0x32a5705f, v3
	v_sub_f32_e32 v6, v6, v12
	v_add_f32_e32 v6, v6, v7
	v_exp_f32_e32 v6, v6
	v_cvt_i32_f32_e32 v7, v12
	s_mov_b32 s9, 0xc2ce8ed0
	v_cmp_ngt_f32_e32 vcc, s9, v3
	s_mov_b32 s9, 0x42b17218
	v_ldexp_f32 v6, v6, v7
	v_cndmask_b32_e32 v6, 0, v6, vcc
	v_mov_b32_e32 v7, 0x7f800000
	v_cmp_nlt_f32_e32 vcc, s9, v3
	v_cndmask_b32_e32 v69, v7, v6, vcc
	v_add_f32_e32 v3, 1.0, v69
	v_add_f32_e32 v6, -1.0, v3
	v_sub_f32_e32 v7, v6, v3
	v_add_f32_e32 v7, 1.0, v7
	v_sub_f32_e32 v6, v69, v6
	v_add_f32_e32 v12, v6, v7
	v_frexp_mant_f32_e32 v13, v3
	s_mov_b32 s9, 0x3f2aaaab
	v_cvt_f64_f32_e32 v[6:7], v3
	v_frexp_exp_i32_f64_e32 v6, v[6:7]
	v_cmp_gt_f32_e32 vcc, s9, v13
	v_subbrev_co_u32_e32 v14, vcc, 0, v6, vcc
	v_sub_u32_e32 v6, 0, v14
	v_ldexp_f32 v3, v3, v6
	v_ldexp_f32 v6, v12, v6
	v_add_f32_e32 v12, -1.0, v3
	v_add_f32_e32 v7, 1.0, v12
	v_sub_f32_e32 v7, v3, v7
	v_add_f32_e32 v13, v6, v7
	v_add_f32_e32 v7, 1.0, v3
	v_add_f32_e32 v16, -1.0, v7
	v_sub_f32_e32 v3, v3, v16
	v_add_f32_e32 v3, v6, v3
	v_add_f32_e32 v20, v7, v3
	v_rcp_f32_e32 v21, v20
	v_sub_f32_e32 v6, v7, v20
	v_add_f32_e32 v7, v12, v13
	v_add_f32_e32 v3, v3, v6
	v_mul_f32_e32 v23, v7, v21
	v_sub_f32_e32 v6, v12, v7
	v_mul_f32_e32 v12, v20, v23
	v_fma_f32 v16, v23, v20, -v12
	v_fmac_f32_e32 v16, v23, v3
	v_add_f32_e32 v22, v13, v6
	v_add_f32_e32 v6, v12, v16
	v_sub_f32_e32 v13, v7, v6
	v_pk_add_f32 v[18:19], v[6:7], v[12:13] neg_lo:[0,1] neg_hi:[0,1]
	v_mov_b32_e32 v17, v6
	v_pk_add_f32 v[6:7], v[18:19], v[16:17] neg_lo:[0,1] neg_hi:[0,1]
	v_add_f32_e32 v7, v22, v7
	v_add_f32_e32 v6, v6, v7
	;; [unrolled: 1-line block ×3, first 2 shown]
	v_mul_f32_e32 v22, v21, v7
	v_mul_f32_e32 v12, v20, v22
	v_fma_f32 v16, v22, v20, -v12
	v_fmac_f32_e32 v16, v22, v3
	v_sub_f32_e32 v3, v13, v7
	v_add_f32_e32 v3, v6, v3
	v_add_f32_e32 v6, v12, v16
	v_sub_f32_e32 v13, v7, v6
	v_pk_add_f32 v[18:19], v[6:7], v[12:13] neg_lo:[0,1] neg_hi:[0,1]
	v_mov_b32_e32 v17, v6
	v_pk_add_f32 v[6:7], v[18:19], v[16:17] neg_lo:[0,1] neg_hi:[0,1]
	v_add_f32_e32 v3, v3, v7
	v_add_f32_e32 v3, v6, v3
	;; [unrolled: 1-line block ×4, first 2 shown]
	v_sub_f32_e32 v7, v6, v23
	v_mul_f32_e32 v3, v21, v3
	v_sub_f32_e32 v7, v22, v7
	v_add_f32_e32 v3, v7, v3
	v_add_f32_e32 v13, v6, v3
	v_mul_f32_e32 v16, v13, v13
	v_mov_b32_e32 v12, 0x3ecc95a3
	v_fmac_f32_e32 v12, 0x3e9b6dac, v16
	v_mov_b32_e32 v7, 0x3f2aaada
	v_fmac_f32_e32 v7, v16, v12
	v_cvt_f32_i32_e32 v12, v14
	v_sub_f32_e32 v6, v13, v6
	v_sub_f32_e32 v3, v3, v6
	v_ldexp_f32 v17, v13, 1
	v_mul_f32_e32 v13, v13, v16
	v_mov_b32_e32 v6, 0x3f317218
	s_mov_b32 s9, 0x3f317218
	v_pk_mul_f32 v[6:7], v[12:13], v[6:7]
	v_fma_f32 v16, v12, s9, -v6
	v_fmac_f32_e32 v16, 0xb102e308, v12
	v_pk_add_f32 v[12:13], v[6:7], v[16:17]
	v_sub_f32_e32 v14, v13, v17
	v_ldexp_f32 v3, v3, 1
	v_sub_f32_e32 v14, v7, v14
	v_add_f32_e32 v19, v3, v14
	v_mov_b32_e32 v18, v6
	v_pk_add_f32 v[6:7], v[12:13], v[6:7] neg_lo:[0,1] neg_hi:[0,1]
	v_pk_add_f32 v[20:21], v[12:13], v[18:19]
	v_mov_b32_e32 v7, v21
	v_mov_b32_e32 v17, v12
	v_pk_add_f32 v[22:23], v[16:17], v[6:7] neg_lo:[0,1] neg_hi:[0,1]
	v_pk_add_f32 v[6:7], v[16:17], v[6:7]
	v_mov_b32_e32 v14, v7
	v_pk_add_f32 v[16:17], v[14:15], v[12:13] neg_lo:[0,1] neg_hi:[0,1]
	v_mov_b32_e32 v3, v16
	v_pk_add_f32 v[70:71], v[20:21], v[2:3] neg_lo:[0,1] neg_hi:[0,1]
	v_mov_b32_e32 v6, v21
	v_mov_b32_e32 v20, v13
	;; [unrolled: 1-line block ×4, first 2 shown]
	v_pk_add_f32 v[6:7], v[6:7], v[20:21] neg_lo:[0,1] neg_hi:[0,1]
	v_mov_b32_e32 v16, v19
	v_mov_b32_e32 v17, v12
	v_pk_add_f32 v[6:7], v[16:17], v[6:7] neg_lo:[0,1] neg_hi:[0,1]
	v_mov_b32_e32 v70, v22
	v_pk_add_f32 v[12:13], v[70:71], v[6:7]
	v_mov_b32_e32 v16, v13
	v_pk_add_f32 v[16:17], v[12:13], v[16:17]
	v_pk_add_f32 v[18:19], v[14:15], v[16:17]
	v_mov_b32_e32 v13, v18
	v_pk_add_f32 v[20:21], v[12:13], v[22:23] neg_lo:[0,1] neg_hi:[0,1]
	v_mov_b32_e32 v7, v16
	v_sub_f32_e32 v3, v12, v20
	v_pk_add_f32 v[6:7], v[6:7], v[20:21] neg_lo:[0,1] neg_hi:[0,1]
	v_sub_f32_e32 v3, v22, v3
	s_mov_b32 s10, 0x7f800000
	v_add_f32_e32 v3, v6, v3
	s_mov_b32 s9, 0x33800000
	v_add_f32_e32 v3, v3, v7
	v_cmp_eq_f32_e32 vcc, s10, v69
	v_cmp_lt_f32_e64 s[10:11], |v69|, s9
	v_add_f32_e32 v3, v18, v3
	s_or_b64 vcc, vcc, s[10:11]
	v_cndmask_b32_e32 v3, v3, v69, vcc
	v_add_f32_e32 v3, v2, v3
.LBB492_376:
	s_or_b64 exec, exec, s[6:7]
	v_bfe_u32 v2, v3, 16, 1
	s_movk_i32 s9, 0x7fff
	v_add3_u32 v2, v3, v2, s9
	v_lshrrev_b32_e32 v6, 16, v2
	v_mov_b32_e32 v2, 0x7fc0
	v_cmp_o_f32_e32 vcc, v3, v3
	v_cndmask_b32_e32 v69, v2, v6, vcc
	v_lshlrev_b32_e32 v6, 16, v69
	v_max_f32_e32 v3, v6, v6
	v_min_f32_e32 v7, v3, v86
	v_cmp_u_f32_e32 vcc, v6, v6
	v_max_f32_e32 v3, v3, v86
	v_cndmask_b32_e32 v7, v7, v6, vcc
	v_cndmask_b32_e32 v3, v3, v6, vcc
	v_cndmask_b32_e64 v7, v7, v83, s[50:51]
	v_cndmask_b32_e64 v3, v3, v83, s[50:51]
	v_cmp_neq_f32_e32 vcc, v7, v3
	v_cmp_class_f32_e64 s[6:7], v7, s8
	s_or_b64 s[10:11], vcc, s[6:7]
	s_and_saveexec_b64 s[6:7], s[10:11]
	s_cbranch_execz .LBB492_378
; %bb.377:
	v_sub_f32_e32 v6, v7, v3
	s_mov_b32 s8, 0x3fb8aa3b
	v_mul_f32_e32 v7, 0x3fb8aa3b, v6
	v_fma_f32 v12, v6, s8, -v7
	v_rndne_f32_e32 v13, v7
	v_fmac_f32_e32 v12, 0x32a5705f, v6
	v_sub_f32_e32 v7, v7, v13
	v_add_f32_e32 v7, v7, v12
	v_exp_f32_e32 v7, v7
	v_cvt_i32_f32_e32 v12, v13
	s_mov_b32 s8, 0xc2ce8ed0
	v_cmp_ngt_f32_e32 vcc, s8, v6
	s_mov_b32 s8, 0x42b17218
	v_ldexp_f32 v7, v7, v12
	v_cndmask_b32_e32 v7, 0, v7, vcc
	v_mov_b32_e32 v12, 0x7f800000
	v_cmp_nlt_f32_e32 vcc, s8, v6
	v_cndmask_b32_e32 v80, v12, v7, vcc
	v_add_f32_e32 v12, 1.0, v80
	v_add_f32_e32 v6, -1.0, v12
	v_sub_f32_e32 v7, v6, v12
	v_add_f32_e32 v7, 1.0, v7
	v_sub_f32_e32 v6, v80, v6
	v_add_f32_e32 v13, v6, v7
	v_frexp_mant_f32_e32 v14, v12
	s_mov_b32 s8, 0x3f2aaaab
	v_cvt_f64_f32_e32 v[6:7], v12
	v_frexp_exp_i32_f64_e32 v6, v[6:7]
	v_cmp_gt_f32_e32 vcc, s8, v14
	v_subbrev_co_u32_e32 v14, vcc, 0, v6, vcc
	v_sub_u32_e32 v6, 0, v14
	v_ldexp_f32 v7, v12, v6
	v_add_f32_e32 v12, -1.0, v7
	v_add_f32_e32 v16, 1.0, v7
	v_ldexp_f32 v6, v13, v6
	v_add_f32_e32 v13, 1.0, v12
	v_add_f32_e32 v17, -1.0, v16
	v_sub_f32_e32 v13, v7, v13
	v_sub_f32_e32 v7, v7, v17
	v_add_f32_e32 v13, v6, v13
	v_add_f32_e32 v6, v6, v7
	;; [unrolled: 1-line block ×3, first 2 shown]
	v_rcp_f32_e32 v22, v20
	v_sub_f32_e32 v7, v16, v20
	v_add_f32_e32 v21, v6, v7
	v_add_f32_e32 v7, v12, v13
	v_mul_f32_e32 v70, v7, v22
	v_sub_f32_e32 v6, v12, v7
	v_mul_f32_e32 v12, v20, v70
	v_fma_f32 v16, v70, v20, -v12
	v_fmac_f32_e32 v16, v70, v21
	v_add_f32_e32 v23, v13, v6
	v_add_f32_e32 v6, v12, v16
	v_sub_f32_e32 v13, v7, v6
	v_pk_add_f32 v[18:19], v[6:7], v[12:13] neg_lo:[0,1] neg_hi:[0,1]
	v_mov_b32_e32 v17, v6
	v_pk_add_f32 v[6:7], v[18:19], v[16:17] neg_lo:[0,1] neg_hi:[0,1]
	v_add_f32_e32 v7, v23, v7
	v_add_f32_e32 v6, v6, v7
	;; [unrolled: 1-line block ×3, first 2 shown]
	v_mul_f32_e32 v23, v22, v7
	v_mul_f32_e32 v12, v20, v23
	v_fma_f32 v16, v23, v20, -v12
	v_fmac_f32_e32 v16, v23, v21
	v_sub_f32_e32 v13, v13, v7
	v_add_f32_e32 v20, v6, v13
	v_add_f32_e32 v6, v12, v16
	v_sub_f32_e32 v13, v7, v6
	v_pk_add_f32 v[18:19], v[6:7], v[12:13] neg_lo:[0,1] neg_hi:[0,1]
	v_mov_b32_e32 v17, v6
	v_pk_add_f32 v[6:7], v[18:19], v[16:17] neg_lo:[0,1] neg_hi:[0,1]
	v_add_f32_e32 v7, v20, v7
	v_add_f32_e32 v6, v6, v7
	v_add_f32_e32 v6, v13, v6
	v_add_f32_e32 v13, v70, v23
	v_sub_f32_e32 v7, v13, v70
	v_mul_f32_e32 v6, v22, v6
	v_sub_f32_e32 v7, v23, v7
	v_add_f32_e32 v6, v7, v6
	v_add_f32_e32 v16, v13, v6
	v_mul_f32_e32 v18, v16, v16
	v_mov_b32_e32 v12, 0x3ecc95a3
	v_fmac_f32_e32 v12, 0x3e9b6dac, v18
	v_mov_b32_e32 v7, 0x3f2aaada
	v_fmac_f32_e32 v7, v18, v12
	v_cvt_f32_i32_e32 v12, v14
	v_sub_f32_e32 v13, v16, v13
	v_sub_f32_e32 v6, v6, v13
	v_ldexp_f32 v14, v6, 1
	v_mul_f32_e32 v13, v16, v18
	v_mov_b32_e32 v6, 0x3f317218
	s_mov_b32 s8, 0x3f317218
	v_pk_mul_f32 v[6:7], v[12:13], v[6:7]
	v_ldexp_f32 v17, v16, 1
	v_fma_f32 v16, v12, s8, -v6
	v_fmac_f32_e32 v16, 0xb102e308, v12
	v_pk_add_f32 v[12:13], v[6:7], v[16:17]
	v_sub_f32_e32 v17, v13, v17
	v_sub_f32_e32 v17, v7, v17
	v_add_f32_e32 v19, v14, v17
	v_mov_b32_e32 v18, v6
	v_pk_add_f32 v[6:7], v[12:13], v[6:7] neg_lo:[0,1] neg_hi:[0,1]
	v_pk_add_f32 v[20:21], v[12:13], v[18:19]
	v_mov_b32_e32 v7, v21
	v_mov_b32_e32 v17, v12
	v_pk_add_f32 v[22:23], v[16:17], v[6:7] neg_lo:[0,1] neg_hi:[0,1]
	v_pk_add_f32 v[6:7], v[16:17], v[6:7]
	v_mov_b32_e32 v14, v7
	v_pk_add_f32 v[16:17], v[14:15], v[12:13] neg_lo:[0,1] neg_hi:[0,1]
	v_mov_b32_e32 v17, v16
	v_pk_add_f32 v[70:71], v[20:21], v[16:17] neg_lo:[0,1] neg_hi:[0,1]
	v_mov_b32_e32 v6, v21
	v_mov_b32_e32 v20, v13
	;; [unrolled: 1-line block ×4, first 2 shown]
	v_pk_add_f32 v[6:7], v[6:7], v[20:21] neg_lo:[0,1] neg_hi:[0,1]
	v_mov_b32_e32 v16, v19
	v_mov_b32_e32 v17, v12
	v_pk_add_f32 v[6:7], v[16:17], v[6:7] neg_lo:[0,1] neg_hi:[0,1]
	v_mov_b32_e32 v70, v22
	v_pk_add_f32 v[12:13], v[70:71], v[6:7]
	v_mov_b32_e32 v16, v13
	v_pk_add_f32 v[16:17], v[12:13], v[16:17]
	v_pk_add_f32 v[18:19], v[14:15], v[16:17]
	v_mov_b32_e32 v13, v18
	v_pk_add_f32 v[20:21], v[12:13], v[22:23] neg_lo:[0,1] neg_hi:[0,1]
	v_mov_b32_e32 v7, v16
	v_sub_f32_e32 v12, v12, v20
	v_pk_add_f32 v[6:7], v[6:7], v[20:21] neg_lo:[0,1] neg_hi:[0,1]
	v_sub_f32_e32 v12, v22, v12
	s_mov_b32 s10, 0x7f800000
	v_add_f32_e32 v6, v6, v12
	s_mov_b32 s8, 0x33800000
	v_add_f32_e32 v6, v6, v7
	v_cmp_eq_f32_e32 vcc, s10, v80
	v_cmp_lt_f32_e64 s[10:11], |v80|, s8
	v_add_f32_e32 v6, v18, v6
	s_or_b64 vcc, vcc, s[10:11]
	v_cndmask_b32_e32 v6, v6, v80, vcc
	v_add_f32_e32 v6, v3, v6
.LBB492_378:
	s_or_b64 exec, exec, s[6:7]
	v_bfe_u32 v3, v6, 16, 1
	v_add3_u32 v3, v6, v3, s9
	v_lshrrev_b32_e32 v3, 16, v3
	v_cmp_o_f32_e32 vcc, v6, v6
	v_cndmask_b32_e32 v70, v2, v3, vcc
	v_lshlrev_b32_e32 v3, 16, v70
	v_max_f32_e32 v2, v3, v3
	v_min_f32_e32 v6, v2, v87
	v_cmp_u_f32_e32 vcc, v3, v3
	v_max_f32_e32 v2, v2, v87
	v_cndmask_b32_e32 v6, v6, v3, vcc
	v_cndmask_b32_e32 v2, v2, v3, vcc
	v_cndmask_b32_e64 v6, v6, v15, s[52:53]
	v_cndmask_b32_e64 v2, v2, v15, s[52:53]
	s_movk_i32 s6, 0x1f8
	v_cmp_neq_f32_e32 vcc, v6, v2
	v_cmp_class_f32_e64 s[6:7], v6, s6
	s_or_b64 s[8:9], vcc, s[6:7]
	s_and_saveexec_b64 s[6:7], s[8:9]
	s_cbranch_execz .LBB492_380
; %bb.379:
	v_sub_f32_e32 v3, v6, v2
	s_mov_b32 s8, 0x3fb8aa3b
	v_mul_f32_e32 v6, 0x3fb8aa3b, v3
	v_fma_f32 v7, v3, s8, -v6
	v_rndne_f32_e32 v12, v6
	v_fmac_f32_e32 v7, 0x32a5705f, v3
	v_sub_f32_e32 v6, v6, v12
	v_add_f32_e32 v6, v6, v7
	v_exp_f32_e32 v6, v6
	v_cvt_i32_f32_e32 v7, v12
	s_mov_b32 s8, 0xc2ce8ed0
	v_cmp_ngt_f32_e32 vcc, s8, v3
	s_mov_b32 s8, 0x42b17218
	v_ldexp_f32 v6, v6, v7
	v_cndmask_b32_e32 v6, 0, v6, vcc
	v_mov_b32_e32 v7, 0x7f800000
	v_cmp_nlt_f32_e32 vcc, s8, v3
	v_cndmask_b32_e32 v71, v7, v6, vcc
	v_add_f32_e32 v3, 1.0, v71
	v_add_f32_e32 v6, -1.0, v3
	v_sub_f32_e32 v7, v6, v3
	v_add_f32_e32 v7, 1.0, v7
	v_sub_f32_e32 v6, v71, v6
	v_add_f32_e32 v12, v6, v7
	v_frexp_mant_f32_e32 v13, v3
	s_mov_b32 s8, 0x3f2aaaab
	v_cvt_f64_f32_e32 v[6:7], v3
	v_frexp_exp_i32_f64_e32 v6, v[6:7]
	v_cmp_gt_f32_e32 vcc, s8, v13
	v_subbrev_co_u32_e32 v18, vcc, 0, v6, vcc
	v_sub_u32_e32 v6, 0, v18
	v_ldexp_f32 v3, v3, v6
	v_ldexp_f32 v6, v12, v6
	v_add_f32_e32 v12, -1.0, v3
	v_add_f32_e32 v7, 1.0, v12
	v_sub_f32_e32 v7, v3, v7
	v_add_f32_e32 v13, v6, v7
	v_add_f32_e32 v7, 1.0, v3
	v_add_f32_e32 v14, -1.0, v7
	v_sub_f32_e32 v3, v3, v14
	v_add_f32_e32 v3, v6, v3
	v_add_f32_e32 v19, v7, v3
	v_rcp_f32_e32 v20, v19
	v_sub_f32_e32 v6, v7, v19
	v_add_f32_e32 v7, v12, v13
	v_add_f32_e32 v3, v3, v6
	v_mul_f32_e32 v22, v7, v20
	v_sub_f32_e32 v6, v12, v7
	v_mul_f32_e32 v12, v19, v22
	v_fma_f32 v14, v22, v19, -v12
	v_fmac_f32_e32 v14, v22, v3
	v_add_f32_e32 v21, v13, v6
	v_add_f32_e32 v6, v12, v14
	v_sub_f32_e32 v13, v7, v6
	v_pk_add_f32 v[16:17], v[6:7], v[12:13] neg_lo:[0,1] neg_hi:[0,1]
	v_mov_b32_e32 v15, v6
	v_pk_add_f32 v[6:7], v[16:17], v[14:15] neg_lo:[0,1] neg_hi:[0,1]
	v_add_f32_e32 v7, v21, v7
	v_add_f32_e32 v6, v6, v7
	;; [unrolled: 1-line block ×3, first 2 shown]
	v_mul_f32_e32 v21, v20, v7
	v_mul_f32_e32 v12, v19, v21
	v_fma_f32 v14, v21, v19, -v12
	v_fmac_f32_e32 v14, v21, v3
	v_sub_f32_e32 v3, v13, v7
	v_add_f32_e32 v3, v6, v3
	v_add_f32_e32 v6, v12, v14
	v_sub_f32_e32 v13, v7, v6
	v_pk_add_f32 v[16:17], v[6:7], v[12:13] neg_lo:[0,1] neg_hi:[0,1]
	v_mov_b32_e32 v15, v6
	v_pk_add_f32 v[6:7], v[16:17], v[14:15] neg_lo:[0,1] neg_hi:[0,1]
	v_add_f32_e32 v3, v3, v7
	v_add_f32_e32 v3, v6, v3
	;; [unrolled: 1-line block ×4, first 2 shown]
	v_sub_f32_e32 v7, v6, v22
	v_mul_f32_e32 v3, v20, v3
	v_sub_f32_e32 v7, v21, v7
	v_add_f32_e32 v3, v7, v3
	v_add_f32_e32 v13, v6, v3
	v_mul_f32_e32 v14, v13, v13
	v_mov_b32_e32 v12, 0x3ecc95a3
	v_fmac_f32_e32 v12, 0x3e9b6dac, v14
	v_mov_b32_e32 v7, 0x3f2aaada
	v_fmac_f32_e32 v7, v14, v12
	v_cvt_f32_i32_e32 v12, v18
	v_sub_f32_e32 v6, v13, v6
	v_sub_f32_e32 v3, v3, v6
	v_ldexp_f32 v15, v13, 1
	v_mul_f32_e32 v13, v13, v14
	v_mov_b32_e32 v6, 0x3f317218
	s_mov_b32 s8, 0x3f317218
	v_pk_mul_f32 v[6:7], v[12:13], v[6:7]
	v_fma_f32 v14, v12, s8, -v6
	v_fmac_f32_e32 v14, 0xb102e308, v12
	v_pk_add_f32 v[12:13], v[6:7], v[14:15]
	v_sub_f32_e32 v15, v13, v15
	v_ldexp_f32 v3, v3, 1
	v_sub_f32_e32 v15, v7, v15
	v_add_f32_e32 v17, v3, v15
	v_mov_b32_e32 v16, v6
	v_pk_add_f32 v[6:7], v[12:13], v[6:7] neg_lo:[0,1] neg_hi:[0,1]
	v_pk_add_f32 v[18:19], v[12:13], v[16:17]
	v_mov_b32_e32 v7, v19
	v_mov_b32_e32 v15, v12
	v_pk_add_f32 v[20:21], v[14:15], v[6:7] neg_lo:[0,1] neg_hi:[0,1]
	v_pk_add_f32 v[6:7], v[14:15], v[6:7]
	v_mov_b32_e32 v14, v7
	v_pk_add_f32 v[22:23], v[14:15], v[12:13] neg_lo:[0,1] neg_hi:[0,1]
	v_mov_b32_e32 v3, v22
	v_pk_add_f32 v[80:81], v[18:19], v[2:3] neg_lo:[0,1] neg_hi:[0,1]
	v_mov_b32_e32 v6, v19
	v_mov_b32_e32 v18, v13
	;; [unrolled: 1-line block ×4, first 2 shown]
	v_pk_add_f32 v[6:7], v[6:7], v[18:19] neg_lo:[0,1] neg_hi:[0,1]
	v_mov_b32_e32 v16, v17
	v_mov_b32_e32 v17, v12
	v_pk_add_f32 v[6:7], v[16:17], v[6:7] neg_lo:[0,1] neg_hi:[0,1]
	v_mov_b32_e32 v80, v20
	v_pk_add_f32 v[12:13], v[80:81], v[6:7]
	v_mov_b32_e32 v16, v13
	v_pk_add_f32 v[16:17], v[12:13], v[16:17]
	v_pk_add_f32 v[14:15], v[14:15], v[16:17]
	v_mov_b32_e32 v13, v14
	v_pk_add_f32 v[18:19], v[12:13], v[20:21] neg_lo:[0,1] neg_hi:[0,1]
	v_mov_b32_e32 v7, v16
	v_sub_f32_e32 v3, v12, v18
	v_pk_add_f32 v[6:7], v[6:7], v[18:19] neg_lo:[0,1] neg_hi:[0,1]
	v_sub_f32_e32 v3, v20, v3
	s_mov_b32 s9, 0x7f800000
	v_add_f32_e32 v3, v6, v3
	s_mov_b32 s8, 0x33800000
	v_add_f32_e32 v3, v3, v7
	v_cmp_eq_f32_e32 vcc, s9, v71
	v_cmp_lt_f32_e64 s[8:9], |v71|, s8
	v_add_f32_e32 v3, v14, v3
	s_or_b64 vcc, vcc, s[8:9]
	v_cndmask_b32_e32 v3, v3, v71, vcc
	v_add_f32_e32 v3, v2, v3
.LBB492_380:
	s_or_b64 exec, exec, s[6:7]
	v_bfe_u32 v2, v3, 16, 1
	s_movk_i32 s6, 0x7fff
	v_add3_u32 v2, v3, v2, s6
	v_lshrrev_b32_e32 v2, 16, v2
	v_mov_b32_e32 v6, 0x7fc0
	v_cmp_o_f32_e32 vcc, v3, v3
	v_cndmask_b32_e32 v71, v6, v2, vcc
	s_and_saveexec_b64 s[6:7], s[56:57]
	s_cbranch_execz .LBB492_382
; %bb.381:
	s_mov_b32 s8, 0x20000
	v_or_b32_sdwa v2, v71, s8 dst_sel:DWORD dst_unused:UNUSED_PAD src0_sel:WORD_0 src1_sel:DWORD
	flat_store_dword v[24:25], v2 offset:256
.LBB492_382:
	s_or_b64 exec, exec, s[6:7]
.LBB492_383:
	v_add_co_u32_e32 v2, vcc, v10, v28
	v_addc_co_u32_e32 v3, vcc, v11, v29, vcc
	v_mov_b32_e32 v6, s63
	v_add_co_u32_e32 v2, vcc, s62, v2
	v_addc_co_u32_e32 v3, vcc, v3, v6, vcc
	s_waitcnt lgkmcnt(0)
	; wave barrier
	s_waitcnt lgkmcnt(0)
	s_and_saveexec_b64 s[6:7], s[4:5]
	s_xor_b64 s[4:5], exec, s[6:7]
	s_cbranch_execz .LBB492_385
; %bb.384:
	s_mov_b32 s6, 0x5040100
	v_perm_b32 v7, v35, v34, s6
	v_perm_b32 v6, v33, v32, s6
	v_perm_b32 v5, v31, v30, s6
	v_perm_b32 v4, v27, v26, s6
	ds_write_b128 v1, v[4:7]
	v_perm_b32 v7, v55, v54, s6
	v_perm_b32 v6, v53, v52, s6
	;; [unrolled: 1-line block ×4, first 2 shown]
	ds_write_b128 v1, v[4:7] offset:16
	v_perm_b32 v7, v71, v70, s6
	v_perm_b32 v6, v69, v68, s6
	;; [unrolled: 1-line block ×4, first 2 shown]
	ds_write_b128 v1, v[4:7] offset:32
	s_waitcnt lgkmcnt(0)
	; wave barrier
	s_waitcnt lgkmcnt(0)
	ds_read_u16 v4, v38
	ds_read_u16 v5, v38 offset:128
	ds_read_u16 v6, v38 offset:256
	;; [unrolled: 1-line block ×23, first 2 shown]
	v_add_co_u32_e32 v0, vcc, v2, v38
	v_addc_co_u32_e32 v1, vcc, 0, v3, vcc
	s_waitcnt lgkmcnt(0)
	flat_store_short v[0:1], v4
	flat_store_short v[0:1], v5 offset:128
	flat_store_short v[0:1], v6 offset:256
	;; [unrolled: 1-line block ×23, first 2 shown]
                                        ; implicit-def: $vgpr2_vgpr3_vgpr4_vgpr5
                                        ; implicit-def: $vgpr6_vgpr7_vgpr8_vgpr9
                                        ; implicit-def: $vgpr0
                                        ; implicit-def: $vgpr1
                                        ; implicit-def: $vgpr26
                                        ; implicit-def: $vgpr27
                                        ; implicit-def: $vgpr30
                                        ; implicit-def: $vgpr31
                                        ; implicit-def: $vgpr32
                                        ; implicit-def: $vgpr33
                                        ; implicit-def: $vgpr34
                                        ; implicit-def: $vgpr35
                                        ; implicit-def: $vgpr48
                                        ; implicit-def: $vgpr50
                                        ; implicit-def: $vgpr49
                                        ; implicit-def: $vgpr51
                                        ; implicit-def: $vgpr52
                                        ; implicit-def: $vgpr53
                                        ; implicit-def: $vgpr54
                                        ; implicit-def: $vgpr55
                                        ; implicit-def: $vgpr64
                                        ; implicit-def: $vgpr65
                                        ; implicit-def: $vgpr66
                                        ; implicit-def: $vgpr67
                                        ; implicit-def: $vgpr68
                                        ; implicit-def: $vgpr69
                                        ; implicit-def: $vgpr70
                                        ; implicit-def: $vgpr71
                                        ; implicit-def: $vgpr39
                                        ; implicit-def: $vgpr36
                                        ; implicit-def: $vgpr37
                                        ; implicit-def: $vgpr2
                                        ; implicit-def: $vgpr3
                                        ; implicit-def: $vgpr38
.LBB492_385:
	s_andn2_saveexec_b64 s[6:7], s[4:5]
	s_cbranch_execz .LBB492_526
; %bb.386:
	s_mov_b32 s4, 0x5040100
	v_perm_b32 v13, v35, v34, s4
	v_perm_b32 v12, v33, v32, s4
	v_perm_b32 v11, v31, v30, s4
	v_perm_b32 v10, v27, v26, s4
	ds_write_b128 v1, v[10:13]
	v_perm_b32 v13, v55, v54, s4
	v_perm_b32 v12, v53, v52, s4
	;; [unrolled: 1-line block ×4, first 2 shown]
	ds_write_b128 v1, v[10:13] offset:16
	v_perm_b32 v13, v71, v70, s4
	v_perm_b32 v12, v69, v68, s4
	;; [unrolled: 1-line block ×4, first 2 shown]
	ds_write_b128 v1, v[10:13] offset:32
	s_waitcnt lgkmcnt(0)
	; wave barrier
	s_waitcnt lgkmcnt(0)
	ds_read_u16 v7, v38
	ds_read_u16 v6, v38 offset:128
	ds_read_u16 v11, v38 offset:256
	;; [unrolled: 1-line block ×23, first 2 shown]
	v_add_co_u32_e32 v2, vcc, v2, v38
	v_addc_co_u32_e32 v3, vcc, 0, v3, vcc
	v_mov_b32_e32 v1, 0
	v_cmp_lt_u32_e32 vcc, v0, v36
	s_and_saveexec_b64 s[4:5], vcc
	s_cbranch_execz .LBB492_388
; %bb.387:
	s_waitcnt lgkmcnt(0)
	flat_store_short v[2:3], v7
.LBB492_388:
	s_or_b64 exec, exec, s[4:5]
	v_add_u32_e32 v32, 64, v0
	v_cmp_lt_u32_e32 vcc, v32, v36
	s_and_saveexec_b64 s[4:5], vcc
	s_cbranch_execz .LBB492_390
; %bb.389:
	s_waitcnt lgkmcnt(0)
	flat_store_short v[2:3], v6 offset:128
.LBB492_390:
	s_or_b64 exec, exec, s[4:5]
	v_add_u32_e32 v32, 0x80, v0
	v_cmp_lt_u32_e32 vcc, v32, v36
	s_and_saveexec_b64 s[4:5], vcc
	s_cbranch_execz .LBB492_392
; %bb.391:
	s_waitcnt lgkmcnt(0)
	flat_store_short v[2:3], v11 offset:256
.LBB492_392:
	;; [unrolled: 9-line block ×15, first 2 shown]
	s_or_b64 exec, exec, s[4:5]
	v_or_b32_e32 v32, 0x400, v0
	v_cmp_lt_u32_e32 vcc, v32, v36
	s_and_saveexec_b64 s[4:5], vcc
	s_cbranch_execz .LBB492_420
; %bb.419:
	s_waitcnt lgkmcnt(0)
	flat_store_short v[2:3], v26 offset:2048
.LBB492_420:
	s_or_b64 exec, exec, s[4:5]
	v_add_u32_e32 v32, 0x440, v0
	v_cmp_lt_u32_e32 vcc, v32, v36
	s_and_saveexec_b64 s[4:5], vcc
	s_cbranch_execz .LBB492_422
; %bb.421:
	s_waitcnt lgkmcnt(0)
	flat_store_short v[2:3], v30 offset:2176
.LBB492_422:
	s_or_b64 exec, exec, s[4:5]
	v_add_u32_e32 v32, 0x480, v0
	;; [unrolled: 9-line block ×7, first 2 shown]
	v_cmp_lt_u32_e32 vcc, v32, v36
	s_and_saveexec_b64 s[4:5], vcc
	s_cbranch_execz .LBB492_434
; %bb.433:
	s_waitcnt lgkmcnt(0)
	flat_store_short v[2:3], v31 offset:2944
.LBB492_434:
	s_or_b64 exec, exec, s[4:5]
	v_cmp_lt_u64_e32 vcc, 1, v[8:9]
	s_and_saveexec_b64 s[8:9], vcc
	s_cbranch_execz .LBB492_525
; %bb.435:
	s_add_u32 s4, 0, 0xaaaa0000
	s_addc_u32 s5, 0, 42
	s_add_i32 s5, s5, 0xaaaaa80
	s_mul_hi_u32 s13, s4, 0xffffffe8
	s_sub_i32 s13, s13, s4
	s_mul_i32 s14, s5, 0xffffffe8
	s_mul_i32 s10, s4, 0xffffffe8
	s_add_i32 s13, s13, s14
	s_mul_hi_u32 s11, s5, s10
	s_mul_i32 s12, s5, s10
	s_mul_i32 s15, s4, s13
	s_mul_hi_u32 s10, s4, s10
	s_mul_hi_u32 s14, s4, s13
	s_add_u32 s10, s10, s15
	s_addc_u32 s14, 0, s14
	s_add_u32 s10, s10, s12
	s_mul_hi_u32 s15, s5, s13
	s_addc_u32 s10, s14, s11
	s_addc_u32 s11, s15, 0
	s_mul_i32 s12, s5, s13
	v_add_co_u32_e32 v2, vcc, -1, v36
	s_add_u32 s10, s10, s12
	v_addc_co_u32_e32 v3, vcc, -1, v37, vcc
	v_mov_b32_e32 v8, s10
	s_addc_u32 s11, 0, s11
	v_add_co_u32_e32 v32, vcc, s4, v8
	s_cmp_lg_u64 vcc, 0
	s_addc_u32 s10, s5, s11
	v_mad_u64_u32 v[8:9], s[4:5], v2, s10, 0
	v_mul_hi_u32 v33, v2, v32
	v_add_co_u32_e32 v34, vcc, v33, v8
	v_addc_co_u32_e32 v35, vcc, 0, v9, vcc
	v_mad_u64_u32 v[32:33], s[4:5], v3, v32, 0
	v_add_co_u32_e32 v32, vcc, v34, v32
	v_mad_u64_u32 v[8:9], s[4:5], v3, s10, 0
	v_addc_co_u32_e32 v32, vcc, v35, v33, vcc
	v_addc_co_u32_e32 v9, vcc, 0, v9, vcc
	v_add_co_u32_e32 v34, vcc, v32, v8
	v_addc_co_u32_e32 v35, vcc, 0, v9, vcc
	v_mad_u64_u32 v[8:9], s[4:5], v34, 24, 0
	v_mov_b32_e32 v32, v9
	v_mad_u64_u32 v[32:33], s[4:5], v35, 24, v[32:33]
	v_sub_co_u32_e32 v8, vcc, v2, v8
	v_subb_co_u32_e32 v9, vcc, v3, v32, vcc
	v_subrev_co_u32_e32 v32, vcc, 24, v8
	v_subbrev_co_u32_e32 v33, vcc, 0, v9, vcc
	v_cmp_lt_u32_e32 vcc, 23, v32
	v_cndmask_b32_e64 v32, 0, -1, vcc
	v_cmp_eq_u32_e32 vcc, 0, v33
	v_cndmask_b32_e32 v32, -1, v32, vcc
	v_add_co_u32_e32 v33, vcc, 2, v34
	v_addc_co_u32_e32 v36, vcc, 0, v35, vcc
	v_add_co_u32_e32 v37, vcc, 1, v34
	v_cmp_lt_u32_e64 s[4:5], 23, v8
	v_addc_co_u32_e32 v38, vcc, 0, v35, vcc
	v_cndmask_b32_e64 v8, 0, -1, s[4:5]
	v_cmp_eq_u32_e64 s[4:5], 0, v9
	v_cmp_ne_u32_e32 vcc, 0, v32
	v_cndmask_b32_e64 v8, -1, v8, s[4:5]
	v_cndmask_b32_e32 v32, v38, v36, vcc
	v_cmp_ne_u32_e64 s[4:5], 0, v8
	v_cndmask_b32_e32 v8, v37, v33, vcc
	v_cndmask_b32_e64 v9, v35, v32, s[4:5]
	v_cndmask_b32_e64 v8, v34, v8, s[4:5]
	v_cmp_eq_u64_e32 vcc, v[8:9], v[0:1]
	s_and_b64 exec, exec, vcc
	s_cbranch_execz .LBB492_525
; %bb.436:
	v_mul_hi_u32_u24_e32 v1, 24, v0
	v_sub_co_u32_e32 v0, vcc, v2, v39
	v_subb_co_u32_e32 v1, vcc, v3, v1, vcc
	v_cmp_lt_i64_e32 vcc, 11, v[0:1]
	s_mov_b64 s[4:5], 0
	s_mov_b64 s[16:17], 0
	;; [unrolled: 1-line block ×4, first 2 shown]
	s_and_saveexec_b64 s[10:11], vcc
	s_xor_b64 s[10:11], exec, s[10:11]
	s_cbranch_execnz .LBB492_442
; %bb.437:
	s_andn2_saveexec_b64 s[10:11], s[10:11]
	s_cbranch_execnz .LBB492_487
.LBB492_438:
	s_or_b64 exec, exec, s[10:11]
	s_and_saveexec_b64 s[10:11], s[16:17]
	s_cbranch_execnz .LBB492_504
.LBB492_439:
	s_or_b64 exec, exec, s[10:11]
	s_and_saveexec_b64 s[10:11], s[14:15]
	s_cbranch_execnz .LBB492_505
.LBB492_440:
	s_or_b64 exec, exec, s[10:11]
	s_and_saveexec_b64 s[10:11], s[12:13]
	s_xor_b64 s[10:11], exec, s[10:11]
	s_cbranch_execnz .LBB492_506
.LBB492_441:
	s_or_b64 exec, exec, s[10:11]
	s_and_b64 exec, exec, s[4:5]
	s_cbranch_execnz .LBB492_507
	s_branch .LBB492_525
.LBB492_442:
	v_cmp_lt_i64_e32 vcc, 17, v[0:1]
	s_and_saveexec_b64 s[18:19], vcc
	s_xor_b64 s[18:19], exec, s[18:19]
	s_cbranch_execz .LBB492_464
; %bb.443:
	v_cmp_lt_i64_e32 vcc, 20, v[0:1]
                                        ; implicit-def: $vgpr14
	s_and_saveexec_b64 s[20:21], vcc
	s_xor_b64 s[20:21], exec, s[20:21]
	s_cbranch_execz .LBB492_453
; %bb.444:
	v_cmp_lt_i64_e32 vcc, 21, v[0:1]
	s_mov_b64 s[22:23], 0
                                        ; implicit-def: $vgpr14
	s_and_saveexec_b64 s[12:13], vcc
	s_xor_b64 s[12:13], exec, s[12:13]
	s_cbranch_execz .LBB492_450
; %bb.445:
	v_cmp_lt_i64_e32 vcc, 22, v[0:1]
	s_and_saveexec_b64 s[22:23], vcc
	s_xor_b64 s[22:23], exec, s[22:23]
	s_cbranch_execz .LBB492_447
; %bb.446:
	s_waitcnt lgkmcnt(0)
	flat_store_short v[4:5], v31
                                        ; implicit-def: $vgpr29
.LBB492_447:
	s_or_saveexec_b64 s[22:23], s[22:23]
	s_mov_b64 s[24:25], 0
	s_xor_b64 exec, exec, s[22:23]
; %bb.448:
	s_mov_b64 s[24:25], exec
; %bb.449:
	s_or_b64 exec, exec, s[22:23]
	s_and_b64 s[22:23], s[24:25], exec
	s_waitcnt lgkmcnt(0)
	v_mov_b32_e32 v14, v29
                                        ; implicit-def: $vgpr15
.LBB492_450:
	s_andn2_saveexec_b64 s[12:13], s[12:13]
; %bb.451:
	s_mov_b64 s[14:15], exec
                                        ; implicit-def: $vgpr14
; %bb.452:
	s_or_b64 exec, exec, s[12:13]
	s_and_b64 s[12:13], s[22:23], exec
	s_and_b64 s[14:15], s[14:15], exec
                                        ; implicit-def: $vgpr28
                                        ; implicit-def: $vgpr16
                                        ; implicit-def: $vgpr25
.LBB492_453:
	s_andn2_saveexec_b64 s[20:21], s[20:21]
	s_cbranch_execz .LBB492_463
; %bb.454:
	v_cmp_lt_i64_e32 vcc, 18, v[0:1]
	s_mov_b64 s[22:23], 0
	s_and_saveexec_b64 s[16:17], vcc
	s_xor_b64 s[16:17], exec, s[16:17]
	s_cbranch_execz .LBB492_460
; %bb.455:
	v_cmp_lt_i64_e32 vcc, 19, v[0:1]
	s_and_saveexec_b64 s[24:25], vcc
	s_xor_b64 s[24:25], exec, s[24:25]
; %bb.456:
	s_mov_b64 s[22:23], exec
                                        ; implicit-def: $vgpr25
; %bb.457:
	s_andn2_saveexec_b64 s[24:25], s[24:25]
	s_cbranch_execz .LBB492_459
; %bb.458:
	s_waitcnt lgkmcnt(0)
	flat_store_short v[4:5], v25
                                        ; implicit-def: $vgpr16
.LBB492_459:
	s_or_b64 exec, exec, s[24:25]
	s_and_b64 s[22:23], s[22:23], exec
                                        ; implicit-def: $vgpr28
.LBB492_460:
	s_andn2_saveexec_b64 s[16:17], s[16:17]
	s_cbranch_execz .LBB492_462
; %bb.461:
	s_waitcnt lgkmcnt(0)
	flat_store_short v[4:5], v28
                                        ; implicit-def: $vgpr16
.LBB492_462:
	s_or_b64 exec, exec, s[16:17]
	s_and_b64 s[16:17], s[22:23], exec
                                        ; implicit-def: $vgpr14
                                        ; implicit-def: $vgpr15
.LBB492_463:
	s_or_b64 exec, exec, s[20:21]
	s_and_b64 s[12:13], s[12:13], exec
	s_and_b64 s[14:15], s[14:15], exec
	;; [unrolled: 1-line block ×3, first 2 shown]
                                        ; implicit-def: $vgpr22
                                        ; implicit-def: $vgpr17
                                        ; implicit-def: $vgpr18
                                        ; implicit-def: $vgpr26
                                        ; implicit-def: $vgpr30
.LBB492_464:
	s_andn2_saveexec_b64 s[18:19], s[18:19]
	s_cbranch_execz .LBB492_486
; %bb.465:
	v_cmp_lt_i64_e32 vcc, 14, v[0:1]
	s_mov_b64 s[20:21], s[12:13]
	s_and_saveexec_b64 s[22:23], vcc
	s_xor_b64 s[22:23], exec, s[22:23]
	s_cbranch_execz .LBB492_475
; %bb.466:
	v_cmp_lt_i64_e32 vcc, 15, v[0:1]
	s_and_saveexec_b64 s[20:21], vcc
	s_xor_b64 s[20:21], exec, s[20:21]
	s_cbranch_execz .LBB492_472
; %bb.467:
	v_cmp_lt_i64_e32 vcc, 16, v[0:1]
	s_and_saveexec_b64 s[24:25], vcc
	s_xor_b64 s[24:25], exec, s[24:25]
	s_cbranch_execz .LBB492_469
; %bb.468:
	s_waitcnt lgkmcnt(0)
	flat_store_short v[4:5], v30
                                        ; implicit-def: $vgpr26
.LBB492_469:
	s_andn2_saveexec_b64 s[24:25], s[24:25]
	s_cbranch_execz .LBB492_471
; %bb.470:
	s_waitcnt lgkmcnt(0)
	flat_store_short v[4:5], v26
.LBB492_471:
	s_or_b64 exec, exec, s[24:25]
                                        ; implicit-def: $vgpr14
.LBB492_472:
	s_or_saveexec_b64 s[20:21], s[20:21]
	s_mov_b64 s[24:25], s[12:13]
	s_xor_b64 exec, exec, s[20:21]
; %bb.473:
	s_or_b64 s[24:25], s[12:13], exec
; %bb.474:
	s_or_b64 exec, exec, s[20:21]
	s_andn2_b64 s[20:21], s[12:13], exec
	s_and_b64 s[24:25], s[24:25], exec
	s_or_b64 s[20:21], s[20:21], s[24:25]
                                        ; implicit-def: $vgpr22
                                        ; implicit-def: $vgpr17
                                        ; implicit-def: $vgpr18
.LBB492_475:
	s_or_saveexec_b64 s[22:23], s[22:23]
	s_mov_b64 s[24:25], s[14:15]
                                        ; implicit-def: $vgpr15
	s_xor_b64 exec, exec, s[22:23]
	s_cbranch_execz .LBB492_485
; %bb.476:
	v_cmp_lt_i64_e32 vcc, 12, v[0:1]
	s_mov_b64 s[26:27], s[14:15]
	s_mov_b64 s[28:29], s[20:21]
                                        ; implicit-def: $vgpr14
                                        ; implicit-def: $vgpr15
	s_and_saveexec_b64 s[24:25], vcc
	s_xor_b64 s[24:25], exec, s[24:25]
	s_cbranch_execz .LBB492_482
; %bb.477:
	v_cmp_lt_i64_e32 vcc, 13, v[0:1]
	s_mov_b64 s[26:27], s[20:21]
	s_and_saveexec_b64 s[28:29], vcc
	s_xor_b64 s[28:29], exec, s[28:29]
; %bb.478:
	s_or_b64 s[26:27], s[20:21], exec
                                        ; implicit-def: $vgpr17
; %bb.479:
	s_or_saveexec_b64 s[28:29], s[28:29]
	s_mov_b64 vcc, s[14:15]
	s_xor_b64 exec, exec, s[28:29]
; %bb.480:
	s_or_b64 vcc, s[14:15], exec
                                        ; implicit-def: $vgpr18
; %bb.481:
	s_or_b64 exec, exec, s[28:29]
	s_andn2_b64 s[28:29], s[20:21], exec
	s_and_b64 s[26:27], s[26:27], exec
	s_or_b64 s[28:29], s[28:29], s[26:27]
	s_andn2_b64 s[26:27], s[14:15], exec
	s_and_b64 vcc, vcc, exec
	s_or_b64 s[26:27], s[26:27], vcc
	s_waitcnt lgkmcnt(0)
	v_mov_b32_e32 v14, v18
	v_mov_b32_e32 v15, v17
                                        ; implicit-def: $vgpr22
.LBB492_482:
	s_andn2_saveexec_b64 s[24:25], s[24:25]
	s_cbranch_execz .LBB492_484
; %bb.483:
	s_or_b64 s[26:27], s[26:27], exec
                                        ; implicit-def: $vgpr14
	s_waitcnt lgkmcnt(0)
	v_mov_b32_e32 v15, v22
.LBB492_484:
	s_or_b64 exec, exec, s[24:25]
	s_andn2_b64 s[20:21], s[20:21], exec
	s_and_b64 s[24:25], s[28:29], exec
	s_or_b64 s[20:21], s[20:21], s[24:25]
	s_andn2_b64 s[24:25], s[14:15], exec
	s_and_b64 s[26:27], s[26:27], exec
	s_or_b64 s[24:25], s[24:25], s[26:27]
.LBB492_485:
	s_or_b64 exec, exec, s[22:23]
	s_andn2_b64 s[12:13], s[12:13], exec
	s_and_b64 s[20:21], s[20:21], exec
	s_or_b64 s[12:13], s[12:13], s[20:21]
	s_andn2_b64 s[14:15], s[14:15], exec
	s_and_b64 s[20:21], s[24:25], exec
	s_or_b64 s[14:15], s[14:15], s[20:21]
                                        ; implicit-def: $vgpr16
.LBB492_486:
	s_or_b64 exec, exec, s[18:19]
	s_and_b64 s[12:13], s[12:13], exec
	s_and_b64 s[14:15], s[14:15], exec
	;; [unrolled: 1-line block ×3, first 2 shown]
                                        ; implicit-def: $vgpr21
                                        ; implicit-def: $vgpr19
                                        ; implicit-def: $vgpr20
                                        ; implicit-def: $vgpr27
                                        ; implicit-def: $vgpr24
                                        ; implicit-def: $vgpr23
	s_andn2_saveexec_b64 s[10:11], s[10:11]
	s_cbranch_execz .LBB492_438
.LBB492_487:
	v_cmp_lt_i64_e32 vcc, 5, v[0:1]
	s_mov_b64 s[20:21], -1
	s_mov_b64 s[18:19], s[16:17]
	s_mov_b64 s[22:23], s[14:15]
	;; [unrolled: 1-line block ×3, first 2 shown]
                                        ; implicit-def: $vgpr14
                                        ; implicit-def: $vgpr15
                                        ; implicit-def: $vgpr16
	s_and_saveexec_b64 s[4:5], vcc
	s_cbranch_execz .LBB492_503
; %bb.488:
	v_cmp_lt_i64_e32 vcc, 8, v[0:1]
	s_mov_b64 s[18:19], s[16:17]
                                        ; implicit-def: $vgpr16
	s_and_saveexec_b64 s[20:21], vcc
	s_xor_b64 s[20:21], exec, s[20:21]
	s_cbranch_execz .LBB492_498
; %bb.489:
	v_cmp_lt_i64_e32 vcc, 9, v[0:1]
	s_and_saveexec_b64 s[18:19], vcc
	s_xor_b64 s[18:19], exec, s[18:19]
	s_cbranch_execz .LBB492_495
; %bb.490:
	v_cmp_lt_i64_e32 vcc, 10, v[0:1]
	s_and_saveexec_b64 s[22:23], vcc
	s_xor_b64 s[22:23], exec, s[22:23]
; %bb.491:
                                        ; implicit-def: $vgpr24
; %bb.492:
	s_andn2_saveexec_b64 s[22:23], s[22:23]
	s_cbranch_execz .LBB492_494
; %bb.493:
	s_waitcnt lgkmcnt(0)
	v_mov_b32_e32 v23, v24
.LBB492_494:
	s_or_b64 exec, exec, s[22:23]
                                        ; implicit-def: $vgpr27
.LBB492_495:
	s_andn2_saveexec_b64 s[18:19], s[18:19]
	s_cbranch_execz .LBB492_497
; %bb.496:
	s_waitcnt lgkmcnt(0)
	v_mov_b32_e32 v23, v27
.LBB492_497:
	s_or_b64 exec, exec, s[18:19]
	s_or_b64 s[18:19], s[16:17], exec
	s_waitcnt lgkmcnt(0)
	v_mov_b32_e32 v16, v23
                                        ; implicit-def: $vgpr21
                                        ; implicit-def: $vgpr19
                                        ; implicit-def: $vgpr20
.LBB492_498:
	s_or_saveexec_b64 s[20:21], s[20:21]
	s_mov_b64 s[22:23], s[14:15]
	s_mov_b64 s[26:27], s[12:13]
                                        ; implicit-def: $vgpr14
                                        ; implicit-def: $vgpr15
	s_xor_b64 exec, exec, s[20:21]
	s_cbranch_execz .LBB492_502
; %bb.499:
	v_cmp_lt_i64_e32 vcc, 6, v[0:1]
	s_mov_b64 s[26:27], -1
	s_mov_b64 s[24:25], s[18:19]
	s_mov_b64 s[22:23], s[14:15]
	s_and_saveexec_b64 s[28:29], vcc
; %bb.500:
	v_cmp_lt_i64_e32 vcc, 7, v[0:1]
	s_andn2_b64 s[24:25], s[18:19], exec
	s_and_b64 vcc, vcc, exec
	s_xor_b64 s[26:27], exec, -1
	s_or_b64 s[22:23], s[14:15], exec
	s_or_b64 s[24:25], s[24:25], vcc
                                        ; implicit-def: $vgpr21
; %bb.501:
	s_or_b64 exec, exec, s[28:29]
	s_andn2_b64 s[28:29], s[12:13], exec
	s_and_b64 s[26:27], s[26:27], exec
	s_or_b64 s[26:27], s[28:29], s[26:27]
	s_andn2_b64 s[28:29], s[14:15], exec
	s_and_b64 s[22:23], s[22:23], exec
	s_andn2_b64 s[18:19], s[18:19], exec
	s_and_b64 s[24:25], s[24:25], exec
	s_or_b64 s[22:23], s[28:29], s[22:23]
	s_or_b64 s[18:19], s[18:19], s[24:25]
	s_waitcnt lgkmcnt(0)
	v_mov_b32_e32 v14, v21
	v_mov_b32_e32 v15, v19
	;; [unrolled: 1-line block ×3, first 2 shown]
.LBB492_502:
	s_or_b64 exec, exec, s[20:21]
	s_andn2_b64 s[24:25], s[12:13], exec
	s_and_b64 s[26:27], s[26:27], exec
	s_or_b64 s[24:25], s[24:25], s[26:27]
	s_andn2_b64 s[26:27], s[14:15], exec
	s_and_b64 s[22:23], s[22:23], exec
	s_or_b64 s[22:23], s[26:27], s[22:23]
	s_andn2_b64 s[26:27], s[16:17], exec
	s_and_b64 s[18:19], s[18:19], exec
	s_xor_b64 s[20:21], exec, -1
	s_or_b64 s[18:19], s[26:27], s[18:19]
.LBB492_503:
	s_or_b64 exec, exec, s[4:5]
	s_and_b64 s[4:5], s[20:21], exec
	s_andn2_b64 s[12:13], s[12:13], exec
	s_and_b64 s[20:21], s[24:25], exec
	s_or_b64 s[12:13], s[12:13], s[20:21]
	s_andn2_b64 s[14:15], s[14:15], exec
	s_and_b64 s[20:21], s[22:23], exec
	s_andn2_b64 s[16:17], s[16:17], exec
	s_and_b64 s[18:19], s[18:19], exec
	s_or_b64 s[14:15], s[14:15], s[20:21]
	s_or_b64 s[16:17], s[16:17], s[18:19]
	s_or_b64 exec, exec, s[10:11]
	s_and_saveexec_b64 s[10:11], s[16:17]
	s_cbranch_execz .LBB492_439
.LBB492_504:
	s_andn2_b64 s[14:15], s[14:15], exec
	s_waitcnt lgkmcnt(0)
	flat_store_short v[4:5], v16
                                        ; implicit-def: $vgpr14
                                        ; implicit-def: $vgpr15
	s_or_b64 exec, exec, s[10:11]
	s_and_saveexec_b64 s[10:11], s[14:15]
	s_cbranch_execz .LBB492_440
.LBB492_505:
	s_waitcnt lgkmcnt(0)
	flat_store_short v[4:5], v15
                                        ; implicit-def: $vgpr14
	s_or_b64 exec, exec, s[10:11]
	s_and_saveexec_b64 s[10:11], s[12:13]
	s_xor_b64 s[10:11], exec, s[10:11]
	s_cbranch_execz .LBB492_441
.LBB492_506:
	s_waitcnt lgkmcnt(0)
	flat_store_short v[4:5], v14
	s_or_b64 exec, exec, s[10:11]
	s_and_b64 exec, exec, s[4:5]
	s_cbranch_execz .LBB492_525
.LBB492_507:
	v_cmp_lt_i64_e32 vcc, 2, v[0:1]
	s_and_saveexec_b64 s[4:5], vcc
	s_xor_b64 s[4:5], exec, s[4:5]
	s_cbranch_execz .LBB492_517
; %bb.508:
	v_cmp_lt_i64_e32 vcc, 3, v[0:1]
	s_and_saveexec_b64 s[10:11], vcc
	s_xor_b64 s[10:11], exec, s[10:11]
	s_cbranch_execz .LBB492_514
; %bb.509:
	;; [unrolled: 5-line block ×3, first 2 shown]
	s_waitcnt lgkmcnt(0)
	flat_store_short v[4:5], v13
                                        ; implicit-def: $vgpr4_vgpr5
                                        ; implicit-def: $vgpr10
.LBB492_511:
	s_andn2_saveexec_b64 s[12:13], s[12:13]
	s_cbranch_execz .LBB492_513
; %bb.512:
	s_waitcnt lgkmcnt(0)
	flat_store_short v[4:5], v10
.LBB492_513:
	s_or_b64 exec, exec, s[12:13]
                                        ; implicit-def: $vgpr4_vgpr5
                                        ; implicit-def: $vgpr12
.LBB492_514:
	s_andn2_saveexec_b64 s[10:11], s[10:11]
	s_cbranch_execz .LBB492_516
; %bb.515:
	s_waitcnt lgkmcnt(0)
	flat_store_short v[4:5], v12
.LBB492_516:
	s_or_b64 exec, exec, s[10:11]
                                        ; implicit-def: $vgpr0_vgpr1
                                        ; implicit-def: $vgpr4_vgpr5
                                        ; implicit-def: $vgpr11
                                        ; implicit-def: $vgpr6
                                        ; implicit-def: $vgpr7
.LBB492_517:
	s_andn2_saveexec_b64 s[4:5], s[4:5]
	s_cbranch_execz .LBB492_525
; %bb.518:
	v_cmp_lt_i64_e32 vcc, 1, v[0:1]
	s_and_saveexec_b64 s[4:5], vcc
	s_xor_b64 s[4:5], exec, s[4:5]
	s_cbranch_execz .LBB492_520
; %bb.519:
	s_waitcnt lgkmcnt(0)
	flat_store_short v[4:5], v11
                                        ; implicit-def: $vgpr4_vgpr5
                                        ; implicit-def: $vgpr6
                                        ; implicit-def: $vgpr0_vgpr1
                                        ; implicit-def: $vgpr7
.LBB492_520:
	s_andn2_saveexec_b64 s[4:5], s[4:5]
	s_cbranch_execz .LBB492_525
; %bb.521:
	v_cmp_ne_u64_e32 vcc, 1, v[0:1]
	s_and_saveexec_b64 s[4:5], vcc
	s_xor_b64 s[4:5], exec, s[4:5]
	s_cbranch_execz .LBB492_523
; %bb.522:
	s_waitcnt lgkmcnt(0)
	flat_store_short v[4:5], v7
                                        ; implicit-def: $vgpr4_vgpr5
                                        ; implicit-def: $vgpr6
.LBB492_523:
	s_andn2_saveexec_b64 s[4:5], s[4:5]
	s_cbranch_execz .LBB492_525
; %bb.524:
	s_waitcnt lgkmcnt(0)
	flat_store_short v[4:5], v6
.LBB492_525:
	s_or_b64 exec, exec, s[8:9]
.LBB492_526:
	s_or_b64 exec, exec, s[6:7]
	v_readlane_b32 s30, v40, 0
	v_readlane_b32 s31, v40, 1
	s_or_saveexec_b64 s[4:5], -1
	buffer_load_dword v40, off, s[0:3], s32 ; 4-byte Folded Reload
	s_mov_b64 exec, s[4:5]
	s_waitcnt vmcnt(0) lgkmcnt(0)
	s_setpc_b64 s[30:31]
.Lfunc_end492:
	.size	_ZZZN7rocprim17ROCPRIM_400000_NS6detail9scan_implILNS1_25lookback_scan_determinismE0ELb0ELb0ENS0_14default_configEPKN3c108BFloat16EPS6_S6_ZZZN2at6native31launch_logcumsumexp_cuda_kernelERKNSA_10TensorBaseESE_lENKUlvE_clEvENKUlvE4_clEvEUlS6_S6_E_S6_EEDaPvRmT3_T4_T5_mT6_P12ihipStream_tbENKUlT_T0_E_clISt17integral_constantIbLb1EESU_IbLb0EEEEDaSQ_SR_ENKUlSQ_E_clINS1_13target_configIS4_NS1_20scan_config_selectorIS6_EENS1_11comp_targetILNS1_3genE4ELNS1_11target_archE910ELNS1_3gpuE8ELNS1_3repE0EEELNS0_4arch9wavefront6targetE1EEEEEDaSQ_, .Lfunc_end492-_ZZZN7rocprim17ROCPRIM_400000_NS6detail9scan_implILNS1_25lookback_scan_determinismE0ELb0ELb0ENS0_14default_configEPKN3c108BFloat16EPS6_S6_ZZZN2at6native31launch_logcumsumexp_cuda_kernelERKNSA_10TensorBaseESE_lENKUlvE_clEvENKUlvE4_clEvEUlS6_S6_E_S6_EEDaPvRmT3_T4_T5_mT6_P12ihipStream_tbENKUlT_T0_E_clISt17integral_constantIbLb1EESU_IbLb0EEEEDaSQ_SR_ENKUlSQ_E_clINS1_13target_configIS4_NS1_20scan_config_selectorIS6_EENS1_11comp_targetILNS1_3genE4ELNS1_11target_archE910ELNS1_3gpuE8ELNS1_3repE0EEELNS0_4arch9wavefront6targetE1EEEEEDaSQ_
                                        ; -- End function
	.section	.AMDGPU.csdata,"",@progbits
; Function info:
; codeLenInByte = 113284
; NumSgprs: 82
; NumVgprs: 213
; NumAgprs: 0
; TotalNumVgprs: 213
; ScratchSize: 8
; MemoryBound: 0
	.section	.text._ZN7rocprim17ROCPRIM_400000_NS6detail17trampoline_kernelINS0_14default_configENS1_20scan_config_selectorIN3c108BFloat16EEEZZNS1_9scan_implILNS1_25lookback_scan_determinismE0ELb0ELb0ES3_PKS6_PS6_S6_ZZZN2at6native31launch_logcumsumexp_cuda_kernelERKNSD_10TensorBaseESH_lENKUlvE_clEvENKUlvE4_clEvEUlS6_S6_E_S6_EEDaPvRmT3_T4_T5_mT6_P12ihipStream_tbENKUlT_T0_E_clISt17integral_constantIbLb1EESX_IbLb0EEEEDaST_SU_EUlST_E_NS1_11comp_targetILNS1_3genE4ELNS1_11target_archE910ELNS1_3gpuE8ELNS1_3repE0EEENS1_30default_config_static_selectorELNS0_4arch9wavefront6targetE1EEEvT1_,"axG",@progbits,_ZN7rocprim17ROCPRIM_400000_NS6detail17trampoline_kernelINS0_14default_configENS1_20scan_config_selectorIN3c108BFloat16EEEZZNS1_9scan_implILNS1_25lookback_scan_determinismE0ELb0ELb0ES3_PKS6_PS6_S6_ZZZN2at6native31launch_logcumsumexp_cuda_kernelERKNSD_10TensorBaseESH_lENKUlvE_clEvENKUlvE4_clEvEUlS6_S6_E_S6_EEDaPvRmT3_T4_T5_mT6_P12ihipStream_tbENKUlT_T0_E_clISt17integral_constantIbLb1EESX_IbLb0EEEEDaST_SU_EUlST_E_NS1_11comp_targetILNS1_3genE4ELNS1_11target_archE910ELNS1_3gpuE8ELNS1_3repE0EEENS1_30default_config_static_selectorELNS0_4arch9wavefront6targetE1EEEvT1_,comdat
	.globl	_ZN7rocprim17ROCPRIM_400000_NS6detail17trampoline_kernelINS0_14default_configENS1_20scan_config_selectorIN3c108BFloat16EEEZZNS1_9scan_implILNS1_25lookback_scan_determinismE0ELb0ELb0ES3_PKS6_PS6_S6_ZZZN2at6native31launch_logcumsumexp_cuda_kernelERKNSD_10TensorBaseESH_lENKUlvE_clEvENKUlvE4_clEvEUlS6_S6_E_S6_EEDaPvRmT3_T4_T5_mT6_P12ihipStream_tbENKUlT_T0_E_clISt17integral_constantIbLb1EESX_IbLb0EEEEDaST_SU_EUlST_E_NS1_11comp_targetILNS1_3genE4ELNS1_11target_archE910ELNS1_3gpuE8ELNS1_3repE0EEENS1_30default_config_static_selectorELNS0_4arch9wavefront6targetE1EEEvT1_ ; -- Begin function _ZN7rocprim17ROCPRIM_400000_NS6detail17trampoline_kernelINS0_14default_configENS1_20scan_config_selectorIN3c108BFloat16EEEZZNS1_9scan_implILNS1_25lookback_scan_determinismE0ELb0ELb0ES3_PKS6_PS6_S6_ZZZN2at6native31launch_logcumsumexp_cuda_kernelERKNSD_10TensorBaseESH_lENKUlvE_clEvENKUlvE4_clEvEUlS6_S6_E_S6_EEDaPvRmT3_T4_T5_mT6_P12ihipStream_tbENKUlT_T0_E_clISt17integral_constantIbLb1EESX_IbLb0EEEEDaST_SU_EUlST_E_NS1_11comp_targetILNS1_3genE4ELNS1_11target_archE910ELNS1_3gpuE8ELNS1_3repE0EEENS1_30default_config_static_selectorELNS0_4arch9wavefront6targetE1EEEvT1_
	.p2align	8
	.type	_ZN7rocprim17ROCPRIM_400000_NS6detail17trampoline_kernelINS0_14default_configENS1_20scan_config_selectorIN3c108BFloat16EEEZZNS1_9scan_implILNS1_25lookback_scan_determinismE0ELb0ELb0ES3_PKS6_PS6_S6_ZZZN2at6native31launch_logcumsumexp_cuda_kernelERKNSD_10TensorBaseESH_lENKUlvE_clEvENKUlvE4_clEvEUlS6_S6_E_S6_EEDaPvRmT3_T4_T5_mT6_P12ihipStream_tbENKUlT_T0_E_clISt17integral_constantIbLb1EESX_IbLb0EEEEDaST_SU_EUlST_E_NS1_11comp_targetILNS1_3genE4ELNS1_11target_archE910ELNS1_3gpuE8ELNS1_3repE0EEENS1_30default_config_static_selectorELNS0_4arch9wavefront6targetE1EEEvT1_,@function
_ZN7rocprim17ROCPRIM_400000_NS6detail17trampoline_kernelINS0_14default_configENS1_20scan_config_selectorIN3c108BFloat16EEEZZNS1_9scan_implILNS1_25lookback_scan_determinismE0ELb0ELb0ES3_PKS6_PS6_S6_ZZZN2at6native31launch_logcumsumexp_cuda_kernelERKNSD_10TensorBaseESH_lENKUlvE_clEvENKUlvE4_clEvEUlS6_S6_E_S6_EEDaPvRmT3_T4_T5_mT6_P12ihipStream_tbENKUlT_T0_E_clISt17integral_constantIbLb1EESX_IbLb0EEEEDaST_SU_EUlST_E_NS1_11comp_targetILNS1_3genE4ELNS1_11target_archE910ELNS1_3gpuE8ELNS1_3repE0EEENS1_30default_config_static_selectorELNS0_4arch9wavefront6targetE1EEEvT1_: ; @_ZN7rocprim17ROCPRIM_400000_NS6detail17trampoline_kernelINS0_14default_configENS1_20scan_config_selectorIN3c108BFloat16EEEZZNS1_9scan_implILNS1_25lookback_scan_determinismE0ELb0ELb0ES3_PKS6_PS6_S6_ZZZN2at6native31launch_logcumsumexp_cuda_kernelERKNSD_10TensorBaseESH_lENKUlvE_clEvENKUlvE4_clEvEUlS6_S6_E_S6_EEDaPvRmT3_T4_T5_mT6_P12ihipStream_tbENKUlT_T0_E_clISt17integral_constantIbLb1EESX_IbLb0EEEEDaST_SU_EUlST_E_NS1_11comp_targetILNS1_3genE4ELNS1_11target_archE910ELNS1_3gpuE8ELNS1_3repE0EEENS1_30default_config_static_selectorELNS0_4arch9wavefront6targetE1EEEvT1_
; %bb.0:
	s_load_dwordx8 s[16:23], s[4:5], 0x0
	s_add_u32 flat_scratch_lo, s6, s9
	s_addc_u32 flat_scratch_hi, s7, 0
	s_add_u32 s0, s0, s9
	s_addc_u32 s1, s1, 0
	s_waitcnt lgkmcnt(0)
	v_mov_b32_e32 v1, s19
	buffer_store_dword v1, off, s[0:3], 0 offset:12
	v_mov_b32_e32 v1, s18
	buffer_store_dword v1, off, s[0:3], 0 offset:8
	v_mov_b32_e32 v1, s17
	s_load_dwordx8 s[24:31], s[4:5], 0x20
	buffer_store_dword v1, off, s[0:3], 0 offset:4
	v_mov_b32_e32 v1, s16
	buffer_store_dword v1, off, s[0:3], 0
	v_mov_b32_e32 v1, s23
	buffer_store_dword v1, off, s[0:3], 0 offset:28
	v_mov_b32_e32 v1, s22
	buffer_store_dword v1, off, s[0:3], 0 offset:24
	;; [unrolled: 2-line block ×4, first 2 shown]
	s_waitcnt lgkmcnt(0)
	v_mov_b32_e32 v1, s27
	buffer_store_dword v1, off, s[0:3], 0 offset:44
	v_mov_b32_e32 v1, s26
	buffer_store_dword v1, off, s[0:3], 0 offset:40
	;; [unrolled: 2-line block ×3, first 2 shown]
	v_mov_b32_e32 v1, s24
	s_load_dwordx8 s[16:23], s[4:5], 0x40
	buffer_store_dword v1, off, s[0:3], 0 offset:32
	v_mov_b32_e32 v1, s31
	buffer_store_dword v1, off, s[0:3], 0 offset:60
	v_mov_b32_e32 v1, s30
	;; [unrolled: 2-line block ×4, first 2 shown]
	buffer_store_dword v1, off, s[0:3], 0 offset:48
	s_waitcnt lgkmcnt(0)
	v_mov_b32_e32 v1, s19
	buffer_store_dword v1, off, s[0:3], 0 offset:76
	v_mov_b32_e32 v1, s18
	buffer_store_dword v1, off, s[0:3], 0 offset:72
	;; [unrolled: 2-line block ×6, first 2 shown]
	v_mov_b32_e32 v1, s21
	s_mov_b32 s12, s8
	s_mov_b64 s[6:7], src_private_base
	buffer_store_dword v1, off, s[0:3], 0 offset:84
	v_mov_b32_e32 v1, s20
	s_add_u32 s8, s4, 0x60
	buffer_store_dword v1, off, s[0:3], 0 offset:80
	s_addc_u32 s9, s5, 0
	v_mov_b32_e32 v31, v0
	v_mov_b32_e32 v0, 0
	;; [unrolled: 1-line block ×3, first 2 shown]
	s_movk_i32 s32, 0x1c00
	s_getpc_b64 s[4:5]
	s_add_u32 s4, s4, _ZZZN7rocprim17ROCPRIM_400000_NS6detail9scan_implILNS1_25lookback_scan_determinismE0ELb0ELb0ENS0_14default_configEPKN3c108BFloat16EPS6_S6_ZZZN2at6native31launch_logcumsumexp_cuda_kernelERKNSA_10TensorBaseESE_lENKUlvE_clEvENKUlvE4_clEvEUlS6_S6_E_S6_EEDaPvRmT3_T4_T5_mT6_P12ihipStream_tbENKUlT_T0_E_clISt17integral_constantIbLb1EESU_IbLb0EEEEDaSQ_SR_ENKUlSQ_E_clINS1_13target_configIS4_NS1_20scan_config_selectorIS6_EENS1_11comp_targetILNS1_3genE4ELNS1_11target_archE910ELNS1_3gpuE8ELNS1_3repE0EEELNS0_4arch9wavefront6targetE1EEEEEDaSQ_@rel32@lo+4
	s_addc_u32 s5, s5, _ZZZN7rocprim17ROCPRIM_400000_NS6detail9scan_implILNS1_25lookback_scan_determinismE0ELb0ELb0ENS0_14default_configEPKN3c108BFloat16EPS6_S6_ZZZN2at6native31launch_logcumsumexp_cuda_kernelERKNSA_10TensorBaseESE_lENKUlvE_clEvENKUlvE4_clEvEUlS6_S6_E_S6_EEDaPvRmT3_T4_T5_mT6_P12ihipStream_tbENKUlT_T0_E_clISt17integral_constantIbLb1EESU_IbLb0EEEEDaSQ_SR_ENKUlSQ_E_clINS1_13target_configIS4_NS1_20scan_config_selectorIS6_EENS1_11comp_targetILNS1_3genE4ELNS1_11target_archE910ELNS1_3gpuE8ELNS1_3repE0EEELNS0_4arch9wavefront6targetE1EEEEEDaSQ_@rel32@hi+12
	s_swappc_b64 s[30:31], s[4:5]
	s_endpgm
	.section	.rodata,"a",@progbits
	.p2align	6, 0x0
	.amdhsa_kernel _ZN7rocprim17ROCPRIM_400000_NS6detail17trampoline_kernelINS0_14default_configENS1_20scan_config_selectorIN3c108BFloat16EEEZZNS1_9scan_implILNS1_25lookback_scan_determinismE0ELb0ELb0ES3_PKS6_PS6_S6_ZZZN2at6native31launch_logcumsumexp_cuda_kernelERKNSD_10TensorBaseESH_lENKUlvE_clEvENKUlvE4_clEvEUlS6_S6_E_S6_EEDaPvRmT3_T4_T5_mT6_P12ihipStream_tbENKUlT_T0_E_clISt17integral_constantIbLb1EESX_IbLb0EEEEDaST_SU_EUlST_E_NS1_11comp_targetILNS1_3genE4ELNS1_11target_archE910ELNS1_3gpuE8ELNS1_3repE0EEENS1_30default_config_static_selectorELNS0_4arch9wavefront6targetE1EEEvT1_
		.amdhsa_group_segment_fixed_size 3072
		.amdhsa_private_segment_fixed_size 120
		.amdhsa_kernarg_size 352
		.amdhsa_user_sgpr_count 8
		.amdhsa_user_sgpr_private_segment_buffer 1
		.amdhsa_user_sgpr_dispatch_ptr 0
		.amdhsa_user_sgpr_queue_ptr 0
		.amdhsa_user_sgpr_kernarg_segment_ptr 1
		.amdhsa_user_sgpr_dispatch_id 0
		.amdhsa_user_sgpr_flat_scratch_init 1
		.amdhsa_user_sgpr_kernarg_preload_length 0
		.amdhsa_user_sgpr_kernarg_preload_offset 0
		.amdhsa_user_sgpr_private_segment_size 0
		.amdhsa_uses_dynamic_stack 0
		.amdhsa_system_sgpr_private_segment_wavefront_offset 1
		.amdhsa_system_sgpr_workgroup_id_x 1
		.amdhsa_system_sgpr_workgroup_id_y 0
		.amdhsa_system_sgpr_workgroup_id_z 0
		.amdhsa_system_sgpr_workgroup_info 0
		.amdhsa_system_vgpr_workitem_id 0
		.amdhsa_next_free_vgpr 213
		.amdhsa_next_free_sgpr 78
		.amdhsa_accum_offset 216
		.amdhsa_reserve_vcc 1
		.amdhsa_reserve_flat_scratch 1
		.amdhsa_float_round_mode_32 0
		.amdhsa_float_round_mode_16_64 0
		.amdhsa_float_denorm_mode_32 3
		.amdhsa_float_denorm_mode_16_64 3
		.amdhsa_dx10_clamp 1
		.amdhsa_ieee_mode 1
		.amdhsa_fp16_overflow 0
		.amdhsa_tg_split 0
		.amdhsa_exception_fp_ieee_invalid_op 0
		.amdhsa_exception_fp_denorm_src 0
		.amdhsa_exception_fp_ieee_div_zero 0
		.amdhsa_exception_fp_ieee_overflow 0
		.amdhsa_exception_fp_ieee_underflow 0
		.amdhsa_exception_fp_ieee_inexact 0
		.amdhsa_exception_int_div_zero 0
	.end_amdhsa_kernel
	.section	.text._ZN7rocprim17ROCPRIM_400000_NS6detail17trampoline_kernelINS0_14default_configENS1_20scan_config_selectorIN3c108BFloat16EEEZZNS1_9scan_implILNS1_25lookback_scan_determinismE0ELb0ELb0ES3_PKS6_PS6_S6_ZZZN2at6native31launch_logcumsumexp_cuda_kernelERKNSD_10TensorBaseESH_lENKUlvE_clEvENKUlvE4_clEvEUlS6_S6_E_S6_EEDaPvRmT3_T4_T5_mT6_P12ihipStream_tbENKUlT_T0_E_clISt17integral_constantIbLb1EESX_IbLb0EEEEDaST_SU_EUlST_E_NS1_11comp_targetILNS1_3genE4ELNS1_11target_archE910ELNS1_3gpuE8ELNS1_3repE0EEENS1_30default_config_static_selectorELNS0_4arch9wavefront6targetE1EEEvT1_,"axG",@progbits,_ZN7rocprim17ROCPRIM_400000_NS6detail17trampoline_kernelINS0_14default_configENS1_20scan_config_selectorIN3c108BFloat16EEEZZNS1_9scan_implILNS1_25lookback_scan_determinismE0ELb0ELb0ES3_PKS6_PS6_S6_ZZZN2at6native31launch_logcumsumexp_cuda_kernelERKNSD_10TensorBaseESH_lENKUlvE_clEvENKUlvE4_clEvEUlS6_S6_E_S6_EEDaPvRmT3_T4_T5_mT6_P12ihipStream_tbENKUlT_T0_E_clISt17integral_constantIbLb1EESX_IbLb0EEEEDaST_SU_EUlST_E_NS1_11comp_targetILNS1_3genE4ELNS1_11target_archE910ELNS1_3gpuE8ELNS1_3repE0EEENS1_30default_config_static_selectorELNS0_4arch9wavefront6targetE1EEEvT1_,comdat
.Lfunc_end493:
	.size	_ZN7rocprim17ROCPRIM_400000_NS6detail17trampoline_kernelINS0_14default_configENS1_20scan_config_selectorIN3c108BFloat16EEEZZNS1_9scan_implILNS1_25lookback_scan_determinismE0ELb0ELb0ES3_PKS6_PS6_S6_ZZZN2at6native31launch_logcumsumexp_cuda_kernelERKNSD_10TensorBaseESH_lENKUlvE_clEvENKUlvE4_clEvEUlS6_S6_E_S6_EEDaPvRmT3_T4_T5_mT6_P12ihipStream_tbENKUlT_T0_E_clISt17integral_constantIbLb1EESX_IbLb0EEEEDaST_SU_EUlST_E_NS1_11comp_targetILNS1_3genE4ELNS1_11target_archE910ELNS1_3gpuE8ELNS1_3repE0EEENS1_30default_config_static_selectorELNS0_4arch9wavefront6targetE1EEEvT1_, .Lfunc_end493-_ZN7rocprim17ROCPRIM_400000_NS6detail17trampoline_kernelINS0_14default_configENS1_20scan_config_selectorIN3c108BFloat16EEEZZNS1_9scan_implILNS1_25lookback_scan_determinismE0ELb0ELb0ES3_PKS6_PS6_S6_ZZZN2at6native31launch_logcumsumexp_cuda_kernelERKNSD_10TensorBaseESH_lENKUlvE_clEvENKUlvE4_clEvEUlS6_S6_E_S6_EEDaPvRmT3_T4_T5_mT6_P12ihipStream_tbENKUlT_T0_E_clISt17integral_constantIbLb1EESX_IbLb0EEEEDaST_SU_EUlST_E_NS1_11comp_targetILNS1_3genE4ELNS1_11target_archE910ELNS1_3gpuE8ELNS1_3repE0EEENS1_30default_config_static_selectorELNS0_4arch9wavefront6targetE1EEEvT1_
                                        ; -- End function
	.section	.AMDGPU.csdata,"",@progbits
; Kernel info:
; codeLenInByte = 404
; NumSgprs: 84
; NumVgprs: 213
; NumAgprs: 0
; TotalNumVgprs: 213
; ScratchSize: 120
; MemoryBound: 0
; FloatMode: 240
; IeeeMode: 1
; LDSByteSize: 3072 bytes/workgroup (compile time only)
; SGPRBlocks: 10
; VGPRBlocks: 26
; NumSGPRsForWavesPerEU: 84
; NumVGPRsForWavesPerEU: 213
; AccumOffset: 216
; Occupancy: 2
; WaveLimiterHint : 1
; COMPUTE_PGM_RSRC2:SCRATCH_EN: 1
; COMPUTE_PGM_RSRC2:USER_SGPR: 8
; COMPUTE_PGM_RSRC2:TRAP_HANDLER: 0
; COMPUTE_PGM_RSRC2:TGID_X_EN: 1
; COMPUTE_PGM_RSRC2:TGID_Y_EN: 0
; COMPUTE_PGM_RSRC2:TGID_Z_EN: 0
; COMPUTE_PGM_RSRC2:TIDIG_COMP_CNT: 0
; COMPUTE_PGM_RSRC3_GFX90A:ACCUM_OFFSET: 53
; COMPUTE_PGM_RSRC3_GFX90A:TG_SPLIT: 0
	.section	.text._ZN7rocprim17ROCPRIM_400000_NS6detail17trampoline_kernelINS0_14default_configENS1_20scan_config_selectorIN3c108BFloat16EEEZZNS1_9scan_implILNS1_25lookback_scan_determinismE0ELb0ELb0ES3_PKS6_PS6_S6_ZZZN2at6native31launch_logcumsumexp_cuda_kernelERKNSD_10TensorBaseESH_lENKUlvE_clEvENKUlvE4_clEvEUlS6_S6_E_S6_EEDaPvRmT3_T4_T5_mT6_P12ihipStream_tbENKUlT_T0_E_clISt17integral_constantIbLb1EESX_IbLb0EEEEDaST_SU_EUlST_E_NS1_11comp_targetILNS1_3genE3ELNS1_11target_archE908ELNS1_3gpuE7ELNS1_3repE0EEENS1_30default_config_static_selectorELNS0_4arch9wavefront6targetE1EEEvT1_,"axG",@progbits,_ZN7rocprim17ROCPRIM_400000_NS6detail17trampoline_kernelINS0_14default_configENS1_20scan_config_selectorIN3c108BFloat16EEEZZNS1_9scan_implILNS1_25lookback_scan_determinismE0ELb0ELb0ES3_PKS6_PS6_S6_ZZZN2at6native31launch_logcumsumexp_cuda_kernelERKNSD_10TensorBaseESH_lENKUlvE_clEvENKUlvE4_clEvEUlS6_S6_E_S6_EEDaPvRmT3_T4_T5_mT6_P12ihipStream_tbENKUlT_T0_E_clISt17integral_constantIbLb1EESX_IbLb0EEEEDaST_SU_EUlST_E_NS1_11comp_targetILNS1_3genE3ELNS1_11target_archE908ELNS1_3gpuE7ELNS1_3repE0EEENS1_30default_config_static_selectorELNS0_4arch9wavefront6targetE1EEEvT1_,comdat
	.globl	_ZN7rocprim17ROCPRIM_400000_NS6detail17trampoline_kernelINS0_14default_configENS1_20scan_config_selectorIN3c108BFloat16EEEZZNS1_9scan_implILNS1_25lookback_scan_determinismE0ELb0ELb0ES3_PKS6_PS6_S6_ZZZN2at6native31launch_logcumsumexp_cuda_kernelERKNSD_10TensorBaseESH_lENKUlvE_clEvENKUlvE4_clEvEUlS6_S6_E_S6_EEDaPvRmT3_T4_T5_mT6_P12ihipStream_tbENKUlT_T0_E_clISt17integral_constantIbLb1EESX_IbLb0EEEEDaST_SU_EUlST_E_NS1_11comp_targetILNS1_3genE3ELNS1_11target_archE908ELNS1_3gpuE7ELNS1_3repE0EEENS1_30default_config_static_selectorELNS0_4arch9wavefront6targetE1EEEvT1_ ; -- Begin function _ZN7rocprim17ROCPRIM_400000_NS6detail17trampoline_kernelINS0_14default_configENS1_20scan_config_selectorIN3c108BFloat16EEEZZNS1_9scan_implILNS1_25lookback_scan_determinismE0ELb0ELb0ES3_PKS6_PS6_S6_ZZZN2at6native31launch_logcumsumexp_cuda_kernelERKNSD_10TensorBaseESH_lENKUlvE_clEvENKUlvE4_clEvEUlS6_S6_E_S6_EEDaPvRmT3_T4_T5_mT6_P12ihipStream_tbENKUlT_T0_E_clISt17integral_constantIbLb1EESX_IbLb0EEEEDaST_SU_EUlST_E_NS1_11comp_targetILNS1_3genE3ELNS1_11target_archE908ELNS1_3gpuE7ELNS1_3repE0EEENS1_30default_config_static_selectorELNS0_4arch9wavefront6targetE1EEEvT1_
	.p2align	8
	.type	_ZN7rocprim17ROCPRIM_400000_NS6detail17trampoline_kernelINS0_14default_configENS1_20scan_config_selectorIN3c108BFloat16EEEZZNS1_9scan_implILNS1_25lookback_scan_determinismE0ELb0ELb0ES3_PKS6_PS6_S6_ZZZN2at6native31launch_logcumsumexp_cuda_kernelERKNSD_10TensorBaseESH_lENKUlvE_clEvENKUlvE4_clEvEUlS6_S6_E_S6_EEDaPvRmT3_T4_T5_mT6_P12ihipStream_tbENKUlT_T0_E_clISt17integral_constantIbLb1EESX_IbLb0EEEEDaST_SU_EUlST_E_NS1_11comp_targetILNS1_3genE3ELNS1_11target_archE908ELNS1_3gpuE7ELNS1_3repE0EEENS1_30default_config_static_selectorELNS0_4arch9wavefront6targetE1EEEvT1_,@function
_ZN7rocprim17ROCPRIM_400000_NS6detail17trampoline_kernelINS0_14default_configENS1_20scan_config_selectorIN3c108BFloat16EEEZZNS1_9scan_implILNS1_25lookback_scan_determinismE0ELb0ELb0ES3_PKS6_PS6_S6_ZZZN2at6native31launch_logcumsumexp_cuda_kernelERKNSD_10TensorBaseESH_lENKUlvE_clEvENKUlvE4_clEvEUlS6_S6_E_S6_EEDaPvRmT3_T4_T5_mT6_P12ihipStream_tbENKUlT_T0_E_clISt17integral_constantIbLb1EESX_IbLb0EEEEDaST_SU_EUlST_E_NS1_11comp_targetILNS1_3genE3ELNS1_11target_archE908ELNS1_3gpuE7ELNS1_3repE0EEENS1_30default_config_static_selectorELNS0_4arch9wavefront6targetE1EEEvT1_: ; @_ZN7rocprim17ROCPRIM_400000_NS6detail17trampoline_kernelINS0_14default_configENS1_20scan_config_selectorIN3c108BFloat16EEEZZNS1_9scan_implILNS1_25lookback_scan_determinismE0ELb0ELb0ES3_PKS6_PS6_S6_ZZZN2at6native31launch_logcumsumexp_cuda_kernelERKNSD_10TensorBaseESH_lENKUlvE_clEvENKUlvE4_clEvEUlS6_S6_E_S6_EEDaPvRmT3_T4_T5_mT6_P12ihipStream_tbENKUlT_T0_E_clISt17integral_constantIbLb1EESX_IbLb0EEEEDaST_SU_EUlST_E_NS1_11comp_targetILNS1_3genE3ELNS1_11target_archE908ELNS1_3gpuE7ELNS1_3repE0EEENS1_30default_config_static_selectorELNS0_4arch9wavefront6targetE1EEEvT1_
; %bb.0:
	.section	.rodata,"a",@progbits
	.p2align	6, 0x0
	.amdhsa_kernel _ZN7rocprim17ROCPRIM_400000_NS6detail17trampoline_kernelINS0_14default_configENS1_20scan_config_selectorIN3c108BFloat16EEEZZNS1_9scan_implILNS1_25lookback_scan_determinismE0ELb0ELb0ES3_PKS6_PS6_S6_ZZZN2at6native31launch_logcumsumexp_cuda_kernelERKNSD_10TensorBaseESH_lENKUlvE_clEvENKUlvE4_clEvEUlS6_S6_E_S6_EEDaPvRmT3_T4_T5_mT6_P12ihipStream_tbENKUlT_T0_E_clISt17integral_constantIbLb1EESX_IbLb0EEEEDaST_SU_EUlST_E_NS1_11comp_targetILNS1_3genE3ELNS1_11target_archE908ELNS1_3gpuE7ELNS1_3repE0EEENS1_30default_config_static_selectorELNS0_4arch9wavefront6targetE1EEEvT1_
		.amdhsa_group_segment_fixed_size 0
		.amdhsa_private_segment_fixed_size 0
		.amdhsa_kernarg_size 96
		.amdhsa_user_sgpr_count 6
		.amdhsa_user_sgpr_private_segment_buffer 1
		.amdhsa_user_sgpr_dispatch_ptr 0
		.amdhsa_user_sgpr_queue_ptr 0
		.amdhsa_user_sgpr_kernarg_segment_ptr 1
		.amdhsa_user_sgpr_dispatch_id 0
		.amdhsa_user_sgpr_flat_scratch_init 0
		.amdhsa_user_sgpr_kernarg_preload_length 0
		.amdhsa_user_sgpr_kernarg_preload_offset 0
		.amdhsa_user_sgpr_private_segment_size 0
		.amdhsa_uses_dynamic_stack 0
		.amdhsa_system_sgpr_private_segment_wavefront_offset 0
		.amdhsa_system_sgpr_workgroup_id_x 1
		.amdhsa_system_sgpr_workgroup_id_y 0
		.amdhsa_system_sgpr_workgroup_id_z 0
		.amdhsa_system_sgpr_workgroup_info 0
		.amdhsa_system_vgpr_workitem_id 0
		.amdhsa_next_free_vgpr 1
		.amdhsa_next_free_sgpr 0
		.amdhsa_accum_offset 4
		.amdhsa_reserve_vcc 0
		.amdhsa_reserve_flat_scratch 0
		.amdhsa_float_round_mode_32 0
		.amdhsa_float_round_mode_16_64 0
		.amdhsa_float_denorm_mode_32 3
		.amdhsa_float_denorm_mode_16_64 3
		.amdhsa_dx10_clamp 1
		.amdhsa_ieee_mode 1
		.amdhsa_fp16_overflow 0
		.amdhsa_tg_split 0
		.amdhsa_exception_fp_ieee_invalid_op 0
		.amdhsa_exception_fp_denorm_src 0
		.amdhsa_exception_fp_ieee_div_zero 0
		.amdhsa_exception_fp_ieee_overflow 0
		.amdhsa_exception_fp_ieee_underflow 0
		.amdhsa_exception_fp_ieee_inexact 0
		.amdhsa_exception_int_div_zero 0
	.end_amdhsa_kernel
	.section	.text._ZN7rocprim17ROCPRIM_400000_NS6detail17trampoline_kernelINS0_14default_configENS1_20scan_config_selectorIN3c108BFloat16EEEZZNS1_9scan_implILNS1_25lookback_scan_determinismE0ELb0ELb0ES3_PKS6_PS6_S6_ZZZN2at6native31launch_logcumsumexp_cuda_kernelERKNSD_10TensorBaseESH_lENKUlvE_clEvENKUlvE4_clEvEUlS6_S6_E_S6_EEDaPvRmT3_T4_T5_mT6_P12ihipStream_tbENKUlT_T0_E_clISt17integral_constantIbLb1EESX_IbLb0EEEEDaST_SU_EUlST_E_NS1_11comp_targetILNS1_3genE3ELNS1_11target_archE908ELNS1_3gpuE7ELNS1_3repE0EEENS1_30default_config_static_selectorELNS0_4arch9wavefront6targetE1EEEvT1_,"axG",@progbits,_ZN7rocprim17ROCPRIM_400000_NS6detail17trampoline_kernelINS0_14default_configENS1_20scan_config_selectorIN3c108BFloat16EEEZZNS1_9scan_implILNS1_25lookback_scan_determinismE0ELb0ELb0ES3_PKS6_PS6_S6_ZZZN2at6native31launch_logcumsumexp_cuda_kernelERKNSD_10TensorBaseESH_lENKUlvE_clEvENKUlvE4_clEvEUlS6_S6_E_S6_EEDaPvRmT3_T4_T5_mT6_P12ihipStream_tbENKUlT_T0_E_clISt17integral_constantIbLb1EESX_IbLb0EEEEDaST_SU_EUlST_E_NS1_11comp_targetILNS1_3genE3ELNS1_11target_archE908ELNS1_3gpuE7ELNS1_3repE0EEENS1_30default_config_static_selectorELNS0_4arch9wavefront6targetE1EEEvT1_,comdat
.Lfunc_end494:
	.size	_ZN7rocprim17ROCPRIM_400000_NS6detail17trampoline_kernelINS0_14default_configENS1_20scan_config_selectorIN3c108BFloat16EEEZZNS1_9scan_implILNS1_25lookback_scan_determinismE0ELb0ELb0ES3_PKS6_PS6_S6_ZZZN2at6native31launch_logcumsumexp_cuda_kernelERKNSD_10TensorBaseESH_lENKUlvE_clEvENKUlvE4_clEvEUlS6_S6_E_S6_EEDaPvRmT3_T4_T5_mT6_P12ihipStream_tbENKUlT_T0_E_clISt17integral_constantIbLb1EESX_IbLb0EEEEDaST_SU_EUlST_E_NS1_11comp_targetILNS1_3genE3ELNS1_11target_archE908ELNS1_3gpuE7ELNS1_3repE0EEENS1_30default_config_static_selectorELNS0_4arch9wavefront6targetE1EEEvT1_, .Lfunc_end494-_ZN7rocprim17ROCPRIM_400000_NS6detail17trampoline_kernelINS0_14default_configENS1_20scan_config_selectorIN3c108BFloat16EEEZZNS1_9scan_implILNS1_25lookback_scan_determinismE0ELb0ELb0ES3_PKS6_PS6_S6_ZZZN2at6native31launch_logcumsumexp_cuda_kernelERKNSD_10TensorBaseESH_lENKUlvE_clEvENKUlvE4_clEvEUlS6_S6_E_S6_EEDaPvRmT3_T4_T5_mT6_P12ihipStream_tbENKUlT_T0_E_clISt17integral_constantIbLb1EESX_IbLb0EEEEDaST_SU_EUlST_E_NS1_11comp_targetILNS1_3genE3ELNS1_11target_archE908ELNS1_3gpuE7ELNS1_3repE0EEENS1_30default_config_static_selectorELNS0_4arch9wavefront6targetE1EEEvT1_
                                        ; -- End function
	.section	.AMDGPU.csdata,"",@progbits
; Kernel info:
; codeLenInByte = 0
; NumSgprs: 4
; NumVgprs: 0
; NumAgprs: 0
; TotalNumVgprs: 0
; ScratchSize: 0
; MemoryBound: 0
; FloatMode: 240
; IeeeMode: 1
; LDSByteSize: 0 bytes/workgroup (compile time only)
; SGPRBlocks: 0
; VGPRBlocks: 0
; NumSGPRsForWavesPerEU: 4
; NumVGPRsForWavesPerEU: 1
; AccumOffset: 4
; Occupancy: 8
; WaveLimiterHint : 0
; COMPUTE_PGM_RSRC2:SCRATCH_EN: 0
; COMPUTE_PGM_RSRC2:USER_SGPR: 6
; COMPUTE_PGM_RSRC2:TRAP_HANDLER: 0
; COMPUTE_PGM_RSRC2:TGID_X_EN: 1
; COMPUTE_PGM_RSRC2:TGID_Y_EN: 0
; COMPUTE_PGM_RSRC2:TGID_Z_EN: 0
; COMPUTE_PGM_RSRC2:TIDIG_COMP_CNT: 0
; COMPUTE_PGM_RSRC3_GFX90A:ACCUM_OFFSET: 0
; COMPUTE_PGM_RSRC3_GFX90A:TG_SPLIT: 0
	.section	.text._ZN7rocprim17ROCPRIM_400000_NS6detail17trampoline_kernelINS0_14default_configENS1_20scan_config_selectorIN3c108BFloat16EEEZZNS1_9scan_implILNS1_25lookback_scan_determinismE0ELb0ELb0ES3_PKS6_PS6_S6_ZZZN2at6native31launch_logcumsumexp_cuda_kernelERKNSD_10TensorBaseESH_lENKUlvE_clEvENKUlvE4_clEvEUlS6_S6_E_S6_EEDaPvRmT3_T4_T5_mT6_P12ihipStream_tbENKUlT_T0_E_clISt17integral_constantIbLb1EESX_IbLb0EEEEDaST_SU_EUlST_E_NS1_11comp_targetILNS1_3genE2ELNS1_11target_archE906ELNS1_3gpuE6ELNS1_3repE0EEENS1_30default_config_static_selectorELNS0_4arch9wavefront6targetE1EEEvT1_,"axG",@progbits,_ZN7rocprim17ROCPRIM_400000_NS6detail17trampoline_kernelINS0_14default_configENS1_20scan_config_selectorIN3c108BFloat16EEEZZNS1_9scan_implILNS1_25lookback_scan_determinismE0ELb0ELb0ES3_PKS6_PS6_S6_ZZZN2at6native31launch_logcumsumexp_cuda_kernelERKNSD_10TensorBaseESH_lENKUlvE_clEvENKUlvE4_clEvEUlS6_S6_E_S6_EEDaPvRmT3_T4_T5_mT6_P12ihipStream_tbENKUlT_T0_E_clISt17integral_constantIbLb1EESX_IbLb0EEEEDaST_SU_EUlST_E_NS1_11comp_targetILNS1_3genE2ELNS1_11target_archE906ELNS1_3gpuE6ELNS1_3repE0EEENS1_30default_config_static_selectorELNS0_4arch9wavefront6targetE1EEEvT1_,comdat
	.globl	_ZN7rocprim17ROCPRIM_400000_NS6detail17trampoline_kernelINS0_14default_configENS1_20scan_config_selectorIN3c108BFloat16EEEZZNS1_9scan_implILNS1_25lookback_scan_determinismE0ELb0ELb0ES3_PKS6_PS6_S6_ZZZN2at6native31launch_logcumsumexp_cuda_kernelERKNSD_10TensorBaseESH_lENKUlvE_clEvENKUlvE4_clEvEUlS6_S6_E_S6_EEDaPvRmT3_T4_T5_mT6_P12ihipStream_tbENKUlT_T0_E_clISt17integral_constantIbLb1EESX_IbLb0EEEEDaST_SU_EUlST_E_NS1_11comp_targetILNS1_3genE2ELNS1_11target_archE906ELNS1_3gpuE6ELNS1_3repE0EEENS1_30default_config_static_selectorELNS0_4arch9wavefront6targetE1EEEvT1_ ; -- Begin function _ZN7rocprim17ROCPRIM_400000_NS6detail17trampoline_kernelINS0_14default_configENS1_20scan_config_selectorIN3c108BFloat16EEEZZNS1_9scan_implILNS1_25lookback_scan_determinismE0ELb0ELb0ES3_PKS6_PS6_S6_ZZZN2at6native31launch_logcumsumexp_cuda_kernelERKNSD_10TensorBaseESH_lENKUlvE_clEvENKUlvE4_clEvEUlS6_S6_E_S6_EEDaPvRmT3_T4_T5_mT6_P12ihipStream_tbENKUlT_T0_E_clISt17integral_constantIbLb1EESX_IbLb0EEEEDaST_SU_EUlST_E_NS1_11comp_targetILNS1_3genE2ELNS1_11target_archE906ELNS1_3gpuE6ELNS1_3repE0EEENS1_30default_config_static_selectorELNS0_4arch9wavefront6targetE1EEEvT1_
	.p2align	8
	.type	_ZN7rocprim17ROCPRIM_400000_NS6detail17trampoline_kernelINS0_14default_configENS1_20scan_config_selectorIN3c108BFloat16EEEZZNS1_9scan_implILNS1_25lookback_scan_determinismE0ELb0ELb0ES3_PKS6_PS6_S6_ZZZN2at6native31launch_logcumsumexp_cuda_kernelERKNSD_10TensorBaseESH_lENKUlvE_clEvENKUlvE4_clEvEUlS6_S6_E_S6_EEDaPvRmT3_T4_T5_mT6_P12ihipStream_tbENKUlT_T0_E_clISt17integral_constantIbLb1EESX_IbLb0EEEEDaST_SU_EUlST_E_NS1_11comp_targetILNS1_3genE2ELNS1_11target_archE906ELNS1_3gpuE6ELNS1_3repE0EEENS1_30default_config_static_selectorELNS0_4arch9wavefront6targetE1EEEvT1_,@function
_ZN7rocprim17ROCPRIM_400000_NS6detail17trampoline_kernelINS0_14default_configENS1_20scan_config_selectorIN3c108BFloat16EEEZZNS1_9scan_implILNS1_25lookback_scan_determinismE0ELb0ELb0ES3_PKS6_PS6_S6_ZZZN2at6native31launch_logcumsumexp_cuda_kernelERKNSD_10TensorBaseESH_lENKUlvE_clEvENKUlvE4_clEvEUlS6_S6_E_S6_EEDaPvRmT3_T4_T5_mT6_P12ihipStream_tbENKUlT_T0_E_clISt17integral_constantIbLb1EESX_IbLb0EEEEDaST_SU_EUlST_E_NS1_11comp_targetILNS1_3genE2ELNS1_11target_archE906ELNS1_3gpuE6ELNS1_3repE0EEENS1_30default_config_static_selectorELNS0_4arch9wavefront6targetE1EEEvT1_: ; @_ZN7rocprim17ROCPRIM_400000_NS6detail17trampoline_kernelINS0_14default_configENS1_20scan_config_selectorIN3c108BFloat16EEEZZNS1_9scan_implILNS1_25lookback_scan_determinismE0ELb0ELb0ES3_PKS6_PS6_S6_ZZZN2at6native31launch_logcumsumexp_cuda_kernelERKNSD_10TensorBaseESH_lENKUlvE_clEvENKUlvE4_clEvEUlS6_S6_E_S6_EEDaPvRmT3_T4_T5_mT6_P12ihipStream_tbENKUlT_T0_E_clISt17integral_constantIbLb1EESX_IbLb0EEEEDaST_SU_EUlST_E_NS1_11comp_targetILNS1_3genE2ELNS1_11target_archE906ELNS1_3gpuE6ELNS1_3repE0EEENS1_30default_config_static_selectorELNS0_4arch9wavefront6targetE1EEEvT1_
; %bb.0:
	.section	.rodata,"a",@progbits
	.p2align	6, 0x0
	.amdhsa_kernel _ZN7rocprim17ROCPRIM_400000_NS6detail17trampoline_kernelINS0_14default_configENS1_20scan_config_selectorIN3c108BFloat16EEEZZNS1_9scan_implILNS1_25lookback_scan_determinismE0ELb0ELb0ES3_PKS6_PS6_S6_ZZZN2at6native31launch_logcumsumexp_cuda_kernelERKNSD_10TensorBaseESH_lENKUlvE_clEvENKUlvE4_clEvEUlS6_S6_E_S6_EEDaPvRmT3_T4_T5_mT6_P12ihipStream_tbENKUlT_T0_E_clISt17integral_constantIbLb1EESX_IbLb0EEEEDaST_SU_EUlST_E_NS1_11comp_targetILNS1_3genE2ELNS1_11target_archE906ELNS1_3gpuE6ELNS1_3repE0EEENS1_30default_config_static_selectorELNS0_4arch9wavefront6targetE1EEEvT1_
		.amdhsa_group_segment_fixed_size 0
		.amdhsa_private_segment_fixed_size 0
		.amdhsa_kernarg_size 96
		.amdhsa_user_sgpr_count 6
		.amdhsa_user_sgpr_private_segment_buffer 1
		.amdhsa_user_sgpr_dispatch_ptr 0
		.amdhsa_user_sgpr_queue_ptr 0
		.amdhsa_user_sgpr_kernarg_segment_ptr 1
		.amdhsa_user_sgpr_dispatch_id 0
		.amdhsa_user_sgpr_flat_scratch_init 0
		.amdhsa_user_sgpr_kernarg_preload_length 0
		.amdhsa_user_sgpr_kernarg_preload_offset 0
		.amdhsa_user_sgpr_private_segment_size 0
		.amdhsa_uses_dynamic_stack 0
		.amdhsa_system_sgpr_private_segment_wavefront_offset 0
		.amdhsa_system_sgpr_workgroup_id_x 1
		.amdhsa_system_sgpr_workgroup_id_y 0
		.amdhsa_system_sgpr_workgroup_id_z 0
		.amdhsa_system_sgpr_workgroup_info 0
		.amdhsa_system_vgpr_workitem_id 0
		.amdhsa_next_free_vgpr 1
		.amdhsa_next_free_sgpr 0
		.amdhsa_accum_offset 4
		.amdhsa_reserve_vcc 0
		.amdhsa_reserve_flat_scratch 0
		.amdhsa_float_round_mode_32 0
		.amdhsa_float_round_mode_16_64 0
		.amdhsa_float_denorm_mode_32 3
		.amdhsa_float_denorm_mode_16_64 3
		.amdhsa_dx10_clamp 1
		.amdhsa_ieee_mode 1
		.amdhsa_fp16_overflow 0
		.amdhsa_tg_split 0
		.amdhsa_exception_fp_ieee_invalid_op 0
		.amdhsa_exception_fp_denorm_src 0
		.amdhsa_exception_fp_ieee_div_zero 0
		.amdhsa_exception_fp_ieee_overflow 0
		.amdhsa_exception_fp_ieee_underflow 0
		.amdhsa_exception_fp_ieee_inexact 0
		.amdhsa_exception_int_div_zero 0
	.end_amdhsa_kernel
	.section	.text._ZN7rocprim17ROCPRIM_400000_NS6detail17trampoline_kernelINS0_14default_configENS1_20scan_config_selectorIN3c108BFloat16EEEZZNS1_9scan_implILNS1_25lookback_scan_determinismE0ELb0ELb0ES3_PKS6_PS6_S6_ZZZN2at6native31launch_logcumsumexp_cuda_kernelERKNSD_10TensorBaseESH_lENKUlvE_clEvENKUlvE4_clEvEUlS6_S6_E_S6_EEDaPvRmT3_T4_T5_mT6_P12ihipStream_tbENKUlT_T0_E_clISt17integral_constantIbLb1EESX_IbLb0EEEEDaST_SU_EUlST_E_NS1_11comp_targetILNS1_3genE2ELNS1_11target_archE906ELNS1_3gpuE6ELNS1_3repE0EEENS1_30default_config_static_selectorELNS0_4arch9wavefront6targetE1EEEvT1_,"axG",@progbits,_ZN7rocprim17ROCPRIM_400000_NS6detail17trampoline_kernelINS0_14default_configENS1_20scan_config_selectorIN3c108BFloat16EEEZZNS1_9scan_implILNS1_25lookback_scan_determinismE0ELb0ELb0ES3_PKS6_PS6_S6_ZZZN2at6native31launch_logcumsumexp_cuda_kernelERKNSD_10TensorBaseESH_lENKUlvE_clEvENKUlvE4_clEvEUlS6_S6_E_S6_EEDaPvRmT3_T4_T5_mT6_P12ihipStream_tbENKUlT_T0_E_clISt17integral_constantIbLb1EESX_IbLb0EEEEDaST_SU_EUlST_E_NS1_11comp_targetILNS1_3genE2ELNS1_11target_archE906ELNS1_3gpuE6ELNS1_3repE0EEENS1_30default_config_static_selectorELNS0_4arch9wavefront6targetE1EEEvT1_,comdat
.Lfunc_end495:
	.size	_ZN7rocprim17ROCPRIM_400000_NS6detail17trampoline_kernelINS0_14default_configENS1_20scan_config_selectorIN3c108BFloat16EEEZZNS1_9scan_implILNS1_25lookback_scan_determinismE0ELb0ELb0ES3_PKS6_PS6_S6_ZZZN2at6native31launch_logcumsumexp_cuda_kernelERKNSD_10TensorBaseESH_lENKUlvE_clEvENKUlvE4_clEvEUlS6_S6_E_S6_EEDaPvRmT3_T4_T5_mT6_P12ihipStream_tbENKUlT_T0_E_clISt17integral_constantIbLb1EESX_IbLb0EEEEDaST_SU_EUlST_E_NS1_11comp_targetILNS1_3genE2ELNS1_11target_archE906ELNS1_3gpuE6ELNS1_3repE0EEENS1_30default_config_static_selectorELNS0_4arch9wavefront6targetE1EEEvT1_, .Lfunc_end495-_ZN7rocprim17ROCPRIM_400000_NS6detail17trampoline_kernelINS0_14default_configENS1_20scan_config_selectorIN3c108BFloat16EEEZZNS1_9scan_implILNS1_25lookback_scan_determinismE0ELb0ELb0ES3_PKS6_PS6_S6_ZZZN2at6native31launch_logcumsumexp_cuda_kernelERKNSD_10TensorBaseESH_lENKUlvE_clEvENKUlvE4_clEvEUlS6_S6_E_S6_EEDaPvRmT3_T4_T5_mT6_P12ihipStream_tbENKUlT_T0_E_clISt17integral_constantIbLb1EESX_IbLb0EEEEDaST_SU_EUlST_E_NS1_11comp_targetILNS1_3genE2ELNS1_11target_archE906ELNS1_3gpuE6ELNS1_3repE0EEENS1_30default_config_static_selectorELNS0_4arch9wavefront6targetE1EEEvT1_
                                        ; -- End function
	.section	.AMDGPU.csdata,"",@progbits
; Kernel info:
; codeLenInByte = 0
; NumSgprs: 4
; NumVgprs: 0
; NumAgprs: 0
; TotalNumVgprs: 0
; ScratchSize: 0
; MemoryBound: 0
; FloatMode: 240
; IeeeMode: 1
; LDSByteSize: 0 bytes/workgroup (compile time only)
; SGPRBlocks: 0
; VGPRBlocks: 0
; NumSGPRsForWavesPerEU: 4
; NumVGPRsForWavesPerEU: 1
; AccumOffset: 4
; Occupancy: 8
; WaveLimiterHint : 0
; COMPUTE_PGM_RSRC2:SCRATCH_EN: 0
; COMPUTE_PGM_RSRC2:USER_SGPR: 6
; COMPUTE_PGM_RSRC2:TRAP_HANDLER: 0
; COMPUTE_PGM_RSRC2:TGID_X_EN: 1
; COMPUTE_PGM_RSRC2:TGID_Y_EN: 0
; COMPUTE_PGM_RSRC2:TGID_Z_EN: 0
; COMPUTE_PGM_RSRC2:TIDIG_COMP_CNT: 0
; COMPUTE_PGM_RSRC3_GFX90A:ACCUM_OFFSET: 0
; COMPUTE_PGM_RSRC3_GFX90A:TG_SPLIT: 0
	.section	.text._ZN7rocprim17ROCPRIM_400000_NS6detail17trampoline_kernelINS0_14default_configENS1_20scan_config_selectorIN3c108BFloat16EEEZZNS1_9scan_implILNS1_25lookback_scan_determinismE0ELb0ELb0ES3_PKS6_PS6_S6_ZZZN2at6native31launch_logcumsumexp_cuda_kernelERKNSD_10TensorBaseESH_lENKUlvE_clEvENKUlvE4_clEvEUlS6_S6_E_S6_EEDaPvRmT3_T4_T5_mT6_P12ihipStream_tbENKUlT_T0_E_clISt17integral_constantIbLb1EESX_IbLb0EEEEDaST_SU_EUlST_E_NS1_11comp_targetILNS1_3genE10ELNS1_11target_archE1201ELNS1_3gpuE5ELNS1_3repE0EEENS1_30default_config_static_selectorELNS0_4arch9wavefront6targetE1EEEvT1_,"axG",@progbits,_ZN7rocprim17ROCPRIM_400000_NS6detail17trampoline_kernelINS0_14default_configENS1_20scan_config_selectorIN3c108BFloat16EEEZZNS1_9scan_implILNS1_25lookback_scan_determinismE0ELb0ELb0ES3_PKS6_PS6_S6_ZZZN2at6native31launch_logcumsumexp_cuda_kernelERKNSD_10TensorBaseESH_lENKUlvE_clEvENKUlvE4_clEvEUlS6_S6_E_S6_EEDaPvRmT3_T4_T5_mT6_P12ihipStream_tbENKUlT_T0_E_clISt17integral_constantIbLb1EESX_IbLb0EEEEDaST_SU_EUlST_E_NS1_11comp_targetILNS1_3genE10ELNS1_11target_archE1201ELNS1_3gpuE5ELNS1_3repE0EEENS1_30default_config_static_selectorELNS0_4arch9wavefront6targetE1EEEvT1_,comdat
	.globl	_ZN7rocprim17ROCPRIM_400000_NS6detail17trampoline_kernelINS0_14default_configENS1_20scan_config_selectorIN3c108BFloat16EEEZZNS1_9scan_implILNS1_25lookback_scan_determinismE0ELb0ELb0ES3_PKS6_PS6_S6_ZZZN2at6native31launch_logcumsumexp_cuda_kernelERKNSD_10TensorBaseESH_lENKUlvE_clEvENKUlvE4_clEvEUlS6_S6_E_S6_EEDaPvRmT3_T4_T5_mT6_P12ihipStream_tbENKUlT_T0_E_clISt17integral_constantIbLb1EESX_IbLb0EEEEDaST_SU_EUlST_E_NS1_11comp_targetILNS1_3genE10ELNS1_11target_archE1201ELNS1_3gpuE5ELNS1_3repE0EEENS1_30default_config_static_selectorELNS0_4arch9wavefront6targetE1EEEvT1_ ; -- Begin function _ZN7rocprim17ROCPRIM_400000_NS6detail17trampoline_kernelINS0_14default_configENS1_20scan_config_selectorIN3c108BFloat16EEEZZNS1_9scan_implILNS1_25lookback_scan_determinismE0ELb0ELb0ES3_PKS6_PS6_S6_ZZZN2at6native31launch_logcumsumexp_cuda_kernelERKNSD_10TensorBaseESH_lENKUlvE_clEvENKUlvE4_clEvEUlS6_S6_E_S6_EEDaPvRmT3_T4_T5_mT6_P12ihipStream_tbENKUlT_T0_E_clISt17integral_constantIbLb1EESX_IbLb0EEEEDaST_SU_EUlST_E_NS1_11comp_targetILNS1_3genE10ELNS1_11target_archE1201ELNS1_3gpuE5ELNS1_3repE0EEENS1_30default_config_static_selectorELNS0_4arch9wavefront6targetE1EEEvT1_
	.p2align	8
	.type	_ZN7rocprim17ROCPRIM_400000_NS6detail17trampoline_kernelINS0_14default_configENS1_20scan_config_selectorIN3c108BFloat16EEEZZNS1_9scan_implILNS1_25lookback_scan_determinismE0ELb0ELb0ES3_PKS6_PS6_S6_ZZZN2at6native31launch_logcumsumexp_cuda_kernelERKNSD_10TensorBaseESH_lENKUlvE_clEvENKUlvE4_clEvEUlS6_S6_E_S6_EEDaPvRmT3_T4_T5_mT6_P12ihipStream_tbENKUlT_T0_E_clISt17integral_constantIbLb1EESX_IbLb0EEEEDaST_SU_EUlST_E_NS1_11comp_targetILNS1_3genE10ELNS1_11target_archE1201ELNS1_3gpuE5ELNS1_3repE0EEENS1_30default_config_static_selectorELNS0_4arch9wavefront6targetE1EEEvT1_,@function
_ZN7rocprim17ROCPRIM_400000_NS6detail17trampoline_kernelINS0_14default_configENS1_20scan_config_selectorIN3c108BFloat16EEEZZNS1_9scan_implILNS1_25lookback_scan_determinismE0ELb0ELb0ES3_PKS6_PS6_S6_ZZZN2at6native31launch_logcumsumexp_cuda_kernelERKNSD_10TensorBaseESH_lENKUlvE_clEvENKUlvE4_clEvEUlS6_S6_E_S6_EEDaPvRmT3_T4_T5_mT6_P12ihipStream_tbENKUlT_T0_E_clISt17integral_constantIbLb1EESX_IbLb0EEEEDaST_SU_EUlST_E_NS1_11comp_targetILNS1_3genE10ELNS1_11target_archE1201ELNS1_3gpuE5ELNS1_3repE0EEENS1_30default_config_static_selectorELNS0_4arch9wavefront6targetE1EEEvT1_: ; @_ZN7rocprim17ROCPRIM_400000_NS6detail17trampoline_kernelINS0_14default_configENS1_20scan_config_selectorIN3c108BFloat16EEEZZNS1_9scan_implILNS1_25lookback_scan_determinismE0ELb0ELb0ES3_PKS6_PS6_S6_ZZZN2at6native31launch_logcumsumexp_cuda_kernelERKNSD_10TensorBaseESH_lENKUlvE_clEvENKUlvE4_clEvEUlS6_S6_E_S6_EEDaPvRmT3_T4_T5_mT6_P12ihipStream_tbENKUlT_T0_E_clISt17integral_constantIbLb1EESX_IbLb0EEEEDaST_SU_EUlST_E_NS1_11comp_targetILNS1_3genE10ELNS1_11target_archE1201ELNS1_3gpuE5ELNS1_3repE0EEENS1_30default_config_static_selectorELNS0_4arch9wavefront6targetE1EEEvT1_
; %bb.0:
	.section	.rodata,"a",@progbits
	.p2align	6, 0x0
	.amdhsa_kernel _ZN7rocprim17ROCPRIM_400000_NS6detail17trampoline_kernelINS0_14default_configENS1_20scan_config_selectorIN3c108BFloat16EEEZZNS1_9scan_implILNS1_25lookback_scan_determinismE0ELb0ELb0ES3_PKS6_PS6_S6_ZZZN2at6native31launch_logcumsumexp_cuda_kernelERKNSD_10TensorBaseESH_lENKUlvE_clEvENKUlvE4_clEvEUlS6_S6_E_S6_EEDaPvRmT3_T4_T5_mT6_P12ihipStream_tbENKUlT_T0_E_clISt17integral_constantIbLb1EESX_IbLb0EEEEDaST_SU_EUlST_E_NS1_11comp_targetILNS1_3genE10ELNS1_11target_archE1201ELNS1_3gpuE5ELNS1_3repE0EEENS1_30default_config_static_selectorELNS0_4arch9wavefront6targetE1EEEvT1_
		.amdhsa_group_segment_fixed_size 0
		.amdhsa_private_segment_fixed_size 0
		.amdhsa_kernarg_size 96
		.amdhsa_user_sgpr_count 6
		.amdhsa_user_sgpr_private_segment_buffer 1
		.amdhsa_user_sgpr_dispatch_ptr 0
		.amdhsa_user_sgpr_queue_ptr 0
		.amdhsa_user_sgpr_kernarg_segment_ptr 1
		.amdhsa_user_sgpr_dispatch_id 0
		.amdhsa_user_sgpr_flat_scratch_init 0
		.amdhsa_user_sgpr_kernarg_preload_length 0
		.amdhsa_user_sgpr_kernarg_preload_offset 0
		.amdhsa_user_sgpr_private_segment_size 0
		.amdhsa_uses_dynamic_stack 0
		.amdhsa_system_sgpr_private_segment_wavefront_offset 0
		.amdhsa_system_sgpr_workgroup_id_x 1
		.amdhsa_system_sgpr_workgroup_id_y 0
		.amdhsa_system_sgpr_workgroup_id_z 0
		.amdhsa_system_sgpr_workgroup_info 0
		.amdhsa_system_vgpr_workitem_id 0
		.amdhsa_next_free_vgpr 1
		.amdhsa_next_free_sgpr 0
		.amdhsa_accum_offset 4
		.amdhsa_reserve_vcc 0
		.amdhsa_reserve_flat_scratch 0
		.amdhsa_float_round_mode_32 0
		.amdhsa_float_round_mode_16_64 0
		.amdhsa_float_denorm_mode_32 3
		.amdhsa_float_denorm_mode_16_64 3
		.amdhsa_dx10_clamp 1
		.amdhsa_ieee_mode 1
		.amdhsa_fp16_overflow 0
		.amdhsa_tg_split 0
		.amdhsa_exception_fp_ieee_invalid_op 0
		.amdhsa_exception_fp_denorm_src 0
		.amdhsa_exception_fp_ieee_div_zero 0
		.amdhsa_exception_fp_ieee_overflow 0
		.amdhsa_exception_fp_ieee_underflow 0
		.amdhsa_exception_fp_ieee_inexact 0
		.amdhsa_exception_int_div_zero 0
	.end_amdhsa_kernel
	.section	.text._ZN7rocprim17ROCPRIM_400000_NS6detail17trampoline_kernelINS0_14default_configENS1_20scan_config_selectorIN3c108BFloat16EEEZZNS1_9scan_implILNS1_25lookback_scan_determinismE0ELb0ELb0ES3_PKS6_PS6_S6_ZZZN2at6native31launch_logcumsumexp_cuda_kernelERKNSD_10TensorBaseESH_lENKUlvE_clEvENKUlvE4_clEvEUlS6_S6_E_S6_EEDaPvRmT3_T4_T5_mT6_P12ihipStream_tbENKUlT_T0_E_clISt17integral_constantIbLb1EESX_IbLb0EEEEDaST_SU_EUlST_E_NS1_11comp_targetILNS1_3genE10ELNS1_11target_archE1201ELNS1_3gpuE5ELNS1_3repE0EEENS1_30default_config_static_selectorELNS0_4arch9wavefront6targetE1EEEvT1_,"axG",@progbits,_ZN7rocprim17ROCPRIM_400000_NS6detail17trampoline_kernelINS0_14default_configENS1_20scan_config_selectorIN3c108BFloat16EEEZZNS1_9scan_implILNS1_25lookback_scan_determinismE0ELb0ELb0ES3_PKS6_PS6_S6_ZZZN2at6native31launch_logcumsumexp_cuda_kernelERKNSD_10TensorBaseESH_lENKUlvE_clEvENKUlvE4_clEvEUlS6_S6_E_S6_EEDaPvRmT3_T4_T5_mT6_P12ihipStream_tbENKUlT_T0_E_clISt17integral_constantIbLb1EESX_IbLb0EEEEDaST_SU_EUlST_E_NS1_11comp_targetILNS1_3genE10ELNS1_11target_archE1201ELNS1_3gpuE5ELNS1_3repE0EEENS1_30default_config_static_selectorELNS0_4arch9wavefront6targetE1EEEvT1_,comdat
.Lfunc_end496:
	.size	_ZN7rocprim17ROCPRIM_400000_NS6detail17trampoline_kernelINS0_14default_configENS1_20scan_config_selectorIN3c108BFloat16EEEZZNS1_9scan_implILNS1_25lookback_scan_determinismE0ELb0ELb0ES3_PKS6_PS6_S6_ZZZN2at6native31launch_logcumsumexp_cuda_kernelERKNSD_10TensorBaseESH_lENKUlvE_clEvENKUlvE4_clEvEUlS6_S6_E_S6_EEDaPvRmT3_T4_T5_mT6_P12ihipStream_tbENKUlT_T0_E_clISt17integral_constantIbLb1EESX_IbLb0EEEEDaST_SU_EUlST_E_NS1_11comp_targetILNS1_3genE10ELNS1_11target_archE1201ELNS1_3gpuE5ELNS1_3repE0EEENS1_30default_config_static_selectorELNS0_4arch9wavefront6targetE1EEEvT1_, .Lfunc_end496-_ZN7rocprim17ROCPRIM_400000_NS6detail17trampoline_kernelINS0_14default_configENS1_20scan_config_selectorIN3c108BFloat16EEEZZNS1_9scan_implILNS1_25lookback_scan_determinismE0ELb0ELb0ES3_PKS6_PS6_S6_ZZZN2at6native31launch_logcumsumexp_cuda_kernelERKNSD_10TensorBaseESH_lENKUlvE_clEvENKUlvE4_clEvEUlS6_S6_E_S6_EEDaPvRmT3_T4_T5_mT6_P12ihipStream_tbENKUlT_T0_E_clISt17integral_constantIbLb1EESX_IbLb0EEEEDaST_SU_EUlST_E_NS1_11comp_targetILNS1_3genE10ELNS1_11target_archE1201ELNS1_3gpuE5ELNS1_3repE0EEENS1_30default_config_static_selectorELNS0_4arch9wavefront6targetE1EEEvT1_
                                        ; -- End function
	.section	.AMDGPU.csdata,"",@progbits
; Kernel info:
; codeLenInByte = 0
; NumSgprs: 4
; NumVgprs: 0
; NumAgprs: 0
; TotalNumVgprs: 0
; ScratchSize: 0
; MemoryBound: 0
; FloatMode: 240
; IeeeMode: 1
; LDSByteSize: 0 bytes/workgroup (compile time only)
; SGPRBlocks: 0
; VGPRBlocks: 0
; NumSGPRsForWavesPerEU: 4
; NumVGPRsForWavesPerEU: 1
; AccumOffset: 4
; Occupancy: 8
; WaveLimiterHint : 0
; COMPUTE_PGM_RSRC2:SCRATCH_EN: 0
; COMPUTE_PGM_RSRC2:USER_SGPR: 6
; COMPUTE_PGM_RSRC2:TRAP_HANDLER: 0
; COMPUTE_PGM_RSRC2:TGID_X_EN: 1
; COMPUTE_PGM_RSRC2:TGID_Y_EN: 0
; COMPUTE_PGM_RSRC2:TGID_Z_EN: 0
; COMPUTE_PGM_RSRC2:TIDIG_COMP_CNT: 0
; COMPUTE_PGM_RSRC3_GFX90A:ACCUM_OFFSET: 0
; COMPUTE_PGM_RSRC3_GFX90A:TG_SPLIT: 0
	.section	.text._ZN7rocprim17ROCPRIM_400000_NS6detail17trampoline_kernelINS0_14default_configENS1_20scan_config_selectorIN3c108BFloat16EEEZZNS1_9scan_implILNS1_25lookback_scan_determinismE0ELb0ELb0ES3_PKS6_PS6_S6_ZZZN2at6native31launch_logcumsumexp_cuda_kernelERKNSD_10TensorBaseESH_lENKUlvE_clEvENKUlvE4_clEvEUlS6_S6_E_S6_EEDaPvRmT3_T4_T5_mT6_P12ihipStream_tbENKUlT_T0_E_clISt17integral_constantIbLb1EESX_IbLb0EEEEDaST_SU_EUlST_E_NS1_11comp_targetILNS1_3genE10ELNS1_11target_archE1200ELNS1_3gpuE4ELNS1_3repE0EEENS1_30default_config_static_selectorELNS0_4arch9wavefront6targetE1EEEvT1_,"axG",@progbits,_ZN7rocprim17ROCPRIM_400000_NS6detail17trampoline_kernelINS0_14default_configENS1_20scan_config_selectorIN3c108BFloat16EEEZZNS1_9scan_implILNS1_25lookback_scan_determinismE0ELb0ELb0ES3_PKS6_PS6_S6_ZZZN2at6native31launch_logcumsumexp_cuda_kernelERKNSD_10TensorBaseESH_lENKUlvE_clEvENKUlvE4_clEvEUlS6_S6_E_S6_EEDaPvRmT3_T4_T5_mT6_P12ihipStream_tbENKUlT_T0_E_clISt17integral_constantIbLb1EESX_IbLb0EEEEDaST_SU_EUlST_E_NS1_11comp_targetILNS1_3genE10ELNS1_11target_archE1200ELNS1_3gpuE4ELNS1_3repE0EEENS1_30default_config_static_selectorELNS0_4arch9wavefront6targetE1EEEvT1_,comdat
	.globl	_ZN7rocprim17ROCPRIM_400000_NS6detail17trampoline_kernelINS0_14default_configENS1_20scan_config_selectorIN3c108BFloat16EEEZZNS1_9scan_implILNS1_25lookback_scan_determinismE0ELb0ELb0ES3_PKS6_PS6_S6_ZZZN2at6native31launch_logcumsumexp_cuda_kernelERKNSD_10TensorBaseESH_lENKUlvE_clEvENKUlvE4_clEvEUlS6_S6_E_S6_EEDaPvRmT3_T4_T5_mT6_P12ihipStream_tbENKUlT_T0_E_clISt17integral_constantIbLb1EESX_IbLb0EEEEDaST_SU_EUlST_E_NS1_11comp_targetILNS1_3genE10ELNS1_11target_archE1200ELNS1_3gpuE4ELNS1_3repE0EEENS1_30default_config_static_selectorELNS0_4arch9wavefront6targetE1EEEvT1_ ; -- Begin function _ZN7rocprim17ROCPRIM_400000_NS6detail17trampoline_kernelINS0_14default_configENS1_20scan_config_selectorIN3c108BFloat16EEEZZNS1_9scan_implILNS1_25lookback_scan_determinismE0ELb0ELb0ES3_PKS6_PS6_S6_ZZZN2at6native31launch_logcumsumexp_cuda_kernelERKNSD_10TensorBaseESH_lENKUlvE_clEvENKUlvE4_clEvEUlS6_S6_E_S6_EEDaPvRmT3_T4_T5_mT6_P12ihipStream_tbENKUlT_T0_E_clISt17integral_constantIbLb1EESX_IbLb0EEEEDaST_SU_EUlST_E_NS1_11comp_targetILNS1_3genE10ELNS1_11target_archE1200ELNS1_3gpuE4ELNS1_3repE0EEENS1_30default_config_static_selectorELNS0_4arch9wavefront6targetE1EEEvT1_
	.p2align	8
	.type	_ZN7rocprim17ROCPRIM_400000_NS6detail17trampoline_kernelINS0_14default_configENS1_20scan_config_selectorIN3c108BFloat16EEEZZNS1_9scan_implILNS1_25lookback_scan_determinismE0ELb0ELb0ES3_PKS6_PS6_S6_ZZZN2at6native31launch_logcumsumexp_cuda_kernelERKNSD_10TensorBaseESH_lENKUlvE_clEvENKUlvE4_clEvEUlS6_S6_E_S6_EEDaPvRmT3_T4_T5_mT6_P12ihipStream_tbENKUlT_T0_E_clISt17integral_constantIbLb1EESX_IbLb0EEEEDaST_SU_EUlST_E_NS1_11comp_targetILNS1_3genE10ELNS1_11target_archE1200ELNS1_3gpuE4ELNS1_3repE0EEENS1_30default_config_static_selectorELNS0_4arch9wavefront6targetE1EEEvT1_,@function
_ZN7rocprim17ROCPRIM_400000_NS6detail17trampoline_kernelINS0_14default_configENS1_20scan_config_selectorIN3c108BFloat16EEEZZNS1_9scan_implILNS1_25lookback_scan_determinismE0ELb0ELb0ES3_PKS6_PS6_S6_ZZZN2at6native31launch_logcumsumexp_cuda_kernelERKNSD_10TensorBaseESH_lENKUlvE_clEvENKUlvE4_clEvEUlS6_S6_E_S6_EEDaPvRmT3_T4_T5_mT6_P12ihipStream_tbENKUlT_T0_E_clISt17integral_constantIbLb1EESX_IbLb0EEEEDaST_SU_EUlST_E_NS1_11comp_targetILNS1_3genE10ELNS1_11target_archE1200ELNS1_3gpuE4ELNS1_3repE0EEENS1_30default_config_static_selectorELNS0_4arch9wavefront6targetE1EEEvT1_: ; @_ZN7rocprim17ROCPRIM_400000_NS6detail17trampoline_kernelINS0_14default_configENS1_20scan_config_selectorIN3c108BFloat16EEEZZNS1_9scan_implILNS1_25lookback_scan_determinismE0ELb0ELb0ES3_PKS6_PS6_S6_ZZZN2at6native31launch_logcumsumexp_cuda_kernelERKNSD_10TensorBaseESH_lENKUlvE_clEvENKUlvE4_clEvEUlS6_S6_E_S6_EEDaPvRmT3_T4_T5_mT6_P12ihipStream_tbENKUlT_T0_E_clISt17integral_constantIbLb1EESX_IbLb0EEEEDaST_SU_EUlST_E_NS1_11comp_targetILNS1_3genE10ELNS1_11target_archE1200ELNS1_3gpuE4ELNS1_3repE0EEENS1_30default_config_static_selectorELNS0_4arch9wavefront6targetE1EEEvT1_
; %bb.0:
	.section	.rodata,"a",@progbits
	.p2align	6, 0x0
	.amdhsa_kernel _ZN7rocprim17ROCPRIM_400000_NS6detail17trampoline_kernelINS0_14default_configENS1_20scan_config_selectorIN3c108BFloat16EEEZZNS1_9scan_implILNS1_25lookback_scan_determinismE0ELb0ELb0ES3_PKS6_PS6_S6_ZZZN2at6native31launch_logcumsumexp_cuda_kernelERKNSD_10TensorBaseESH_lENKUlvE_clEvENKUlvE4_clEvEUlS6_S6_E_S6_EEDaPvRmT3_T4_T5_mT6_P12ihipStream_tbENKUlT_T0_E_clISt17integral_constantIbLb1EESX_IbLb0EEEEDaST_SU_EUlST_E_NS1_11comp_targetILNS1_3genE10ELNS1_11target_archE1200ELNS1_3gpuE4ELNS1_3repE0EEENS1_30default_config_static_selectorELNS0_4arch9wavefront6targetE1EEEvT1_
		.amdhsa_group_segment_fixed_size 0
		.amdhsa_private_segment_fixed_size 0
		.amdhsa_kernarg_size 96
		.amdhsa_user_sgpr_count 6
		.amdhsa_user_sgpr_private_segment_buffer 1
		.amdhsa_user_sgpr_dispatch_ptr 0
		.amdhsa_user_sgpr_queue_ptr 0
		.amdhsa_user_sgpr_kernarg_segment_ptr 1
		.amdhsa_user_sgpr_dispatch_id 0
		.amdhsa_user_sgpr_flat_scratch_init 0
		.amdhsa_user_sgpr_kernarg_preload_length 0
		.amdhsa_user_sgpr_kernarg_preload_offset 0
		.amdhsa_user_sgpr_private_segment_size 0
		.amdhsa_uses_dynamic_stack 0
		.amdhsa_system_sgpr_private_segment_wavefront_offset 0
		.amdhsa_system_sgpr_workgroup_id_x 1
		.amdhsa_system_sgpr_workgroup_id_y 0
		.amdhsa_system_sgpr_workgroup_id_z 0
		.amdhsa_system_sgpr_workgroup_info 0
		.amdhsa_system_vgpr_workitem_id 0
		.amdhsa_next_free_vgpr 1
		.amdhsa_next_free_sgpr 0
		.amdhsa_accum_offset 4
		.amdhsa_reserve_vcc 0
		.amdhsa_reserve_flat_scratch 0
		.amdhsa_float_round_mode_32 0
		.amdhsa_float_round_mode_16_64 0
		.amdhsa_float_denorm_mode_32 3
		.amdhsa_float_denorm_mode_16_64 3
		.amdhsa_dx10_clamp 1
		.amdhsa_ieee_mode 1
		.amdhsa_fp16_overflow 0
		.amdhsa_tg_split 0
		.amdhsa_exception_fp_ieee_invalid_op 0
		.amdhsa_exception_fp_denorm_src 0
		.amdhsa_exception_fp_ieee_div_zero 0
		.amdhsa_exception_fp_ieee_overflow 0
		.amdhsa_exception_fp_ieee_underflow 0
		.amdhsa_exception_fp_ieee_inexact 0
		.amdhsa_exception_int_div_zero 0
	.end_amdhsa_kernel
	.section	.text._ZN7rocprim17ROCPRIM_400000_NS6detail17trampoline_kernelINS0_14default_configENS1_20scan_config_selectorIN3c108BFloat16EEEZZNS1_9scan_implILNS1_25lookback_scan_determinismE0ELb0ELb0ES3_PKS6_PS6_S6_ZZZN2at6native31launch_logcumsumexp_cuda_kernelERKNSD_10TensorBaseESH_lENKUlvE_clEvENKUlvE4_clEvEUlS6_S6_E_S6_EEDaPvRmT3_T4_T5_mT6_P12ihipStream_tbENKUlT_T0_E_clISt17integral_constantIbLb1EESX_IbLb0EEEEDaST_SU_EUlST_E_NS1_11comp_targetILNS1_3genE10ELNS1_11target_archE1200ELNS1_3gpuE4ELNS1_3repE0EEENS1_30default_config_static_selectorELNS0_4arch9wavefront6targetE1EEEvT1_,"axG",@progbits,_ZN7rocprim17ROCPRIM_400000_NS6detail17trampoline_kernelINS0_14default_configENS1_20scan_config_selectorIN3c108BFloat16EEEZZNS1_9scan_implILNS1_25lookback_scan_determinismE0ELb0ELb0ES3_PKS6_PS6_S6_ZZZN2at6native31launch_logcumsumexp_cuda_kernelERKNSD_10TensorBaseESH_lENKUlvE_clEvENKUlvE4_clEvEUlS6_S6_E_S6_EEDaPvRmT3_T4_T5_mT6_P12ihipStream_tbENKUlT_T0_E_clISt17integral_constantIbLb1EESX_IbLb0EEEEDaST_SU_EUlST_E_NS1_11comp_targetILNS1_3genE10ELNS1_11target_archE1200ELNS1_3gpuE4ELNS1_3repE0EEENS1_30default_config_static_selectorELNS0_4arch9wavefront6targetE1EEEvT1_,comdat
.Lfunc_end497:
	.size	_ZN7rocprim17ROCPRIM_400000_NS6detail17trampoline_kernelINS0_14default_configENS1_20scan_config_selectorIN3c108BFloat16EEEZZNS1_9scan_implILNS1_25lookback_scan_determinismE0ELb0ELb0ES3_PKS6_PS6_S6_ZZZN2at6native31launch_logcumsumexp_cuda_kernelERKNSD_10TensorBaseESH_lENKUlvE_clEvENKUlvE4_clEvEUlS6_S6_E_S6_EEDaPvRmT3_T4_T5_mT6_P12ihipStream_tbENKUlT_T0_E_clISt17integral_constantIbLb1EESX_IbLb0EEEEDaST_SU_EUlST_E_NS1_11comp_targetILNS1_3genE10ELNS1_11target_archE1200ELNS1_3gpuE4ELNS1_3repE0EEENS1_30default_config_static_selectorELNS0_4arch9wavefront6targetE1EEEvT1_, .Lfunc_end497-_ZN7rocprim17ROCPRIM_400000_NS6detail17trampoline_kernelINS0_14default_configENS1_20scan_config_selectorIN3c108BFloat16EEEZZNS1_9scan_implILNS1_25lookback_scan_determinismE0ELb0ELb0ES3_PKS6_PS6_S6_ZZZN2at6native31launch_logcumsumexp_cuda_kernelERKNSD_10TensorBaseESH_lENKUlvE_clEvENKUlvE4_clEvEUlS6_S6_E_S6_EEDaPvRmT3_T4_T5_mT6_P12ihipStream_tbENKUlT_T0_E_clISt17integral_constantIbLb1EESX_IbLb0EEEEDaST_SU_EUlST_E_NS1_11comp_targetILNS1_3genE10ELNS1_11target_archE1200ELNS1_3gpuE4ELNS1_3repE0EEENS1_30default_config_static_selectorELNS0_4arch9wavefront6targetE1EEEvT1_
                                        ; -- End function
	.section	.AMDGPU.csdata,"",@progbits
; Kernel info:
; codeLenInByte = 0
; NumSgprs: 4
; NumVgprs: 0
; NumAgprs: 0
; TotalNumVgprs: 0
; ScratchSize: 0
; MemoryBound: 0
; FloatMode: 240
; IeeeMode: 1
; LDSByteSize: 0 bytes/workgroup (compile time only)
; SGPRBlocks: 0
; VGPRBlocks: 0
; NumSGPRsForWavesPerEU: 4
; NumVGPRsForWavesPerEU: 1
; AccumOffset: 4
; Occupancy: 8
; WaveLimiterHint : 0
; COMPUTE_PGM_RSRC2:SCRATCH_EN: 0
; COMPUTE_PGM_RSRC2:USER_SGPR: 6
; COMPUTE_PGM_RSRC2:TRAP_HANDLER: 0
; COMPUTE_PGM_RSRC2:TGID_X_EN: 1
; COMPUTE_PGM_RSRC2:TGID_Y_EN: 0
; COMPUTE_PGM_RSRC2:TGID_Z_EN: 0
; COMPUTE_PGM_RSRC2:TIDIG_COMP_CNT: 0
; COMPUTE_PGM_RSRC3_GFX90A:ACCUM_OFFSET: 0
; COMPUTE_PGM_RSRC3_GFX90A:TG_SPLIT: 0
	.section	.text._ZN7rocprim17ROCPRIM_400000_NS6detail17trampoline_kernelINS0_14default_configENS1_20scan_config_selectorIN3c108BFloat16EEEZZNS1_9scan_implILNS1_25lookback_scan_determinismE0ELb0ELb0ES3_PKS6_PS6_S6_ZZZN2at6native31launch_logcumsumexp_cuda_kernelERKNSD_10TensorBaseESH_lENKUlvE_clEvENKUlvE4_clEvEUlS6_S6_E_S6_EEDaPvRmT3_T4_T5_mT6_P12ihipStream_tbENKUlT_T0_E_clISt17integral_constantIbLb1EESX_IbLb0EEEEDaST_SU_EUlST_E_NS1_11comp_targetILNS1_3genE9ELNS1_11target_archE1100ELNS1_3gpuE3ELNS1_3repE0EEENS1_30default_config_static_selectorELNS0_4arch9wavefront6targetE1EEEvT1_,"axG",@progbits,_ZN7rocprim17ROCPRIM_400000_NS6detail17trampoline_kernelINS0_14default_configENS1_20scan_config_selectorIN3c108BFloat16EEEZZNS1_9scan_implILNS1_25lookback_scan_determinismE0ELb0ELb0ES3_PKS6_PS6_S6_ZZZN2at6native31launch_logcumsumexp_cuda_kernelERKNSD_10TensorBaseESH_lENKUlvE_clEvENKUlvE4_clEvEUlS6_S6_E_S6_EEDaPvRmT3_T4_T5_mT6_P12ihipStream_tbENKUlT_T0_E_clISt17integral_constantIbLb1EESX_IbLb0EEEEDaST_SU_EUlST_E_NS1_11comp_targetILNS1_3genE9ELNS1_11target_archE1100ELNS1_3gpuE3ELNS1_3repE0EEENS1_30default_config_static_selectorELNS0_4arch9wavefront6targetE1EEEvT1_,comdat
	.globl	_ZN7rocprim17ROCPRIM_400000_NS6detail17trampoline_kernelINS0_14default_configENS1_20scan_config_selectorIN3c108BFloat16EEEZZNS1_9scan_implILNS1_25lookback_scan_determinismE0ELb0ELb0ES3_PKS6_PS6_S6_ZZZN2at6native31launch_logcumsumexp_cuda_kernelERKNSD_10TensorBaseESH_lENKUlvE_clEvENKUlvE4_clEvEUlS6_S6_E_S6_EEDaPvRmT3_T4_T5_mT6_P12ihipStream_tbENKUlT_T0_E_clISt17integral_constantIbLb1EESX_IbLb0EEEEDaST_SU_EUlST_E_NS1_11comp_targetILNS1_3genE9ELNS1_11target_archE1100ELNS1_3gpuE3ELNS1_3repE0EEENS1_30default_config_static_selectorELNS0_4arch9wavefront6targetE1EEEvT1_ ; -- Begin function _ZN7rocprim17ROCPRIM_400000_NS6detail17trampoline_kernelINS0_14default_configENS1_20scan_config_selectorIN3c108BFloat16EEEZZNS1_9scan_implILNS1_25lookback_scan_determinismE0ELb0ELb0ES3_PKS6_PS6_S6_ZZZN2at6native31launch_logcumsumexp_cuda_kernelERKNSD_10TensorBaseESH_lENKUlvE_clEvENKUlvE4_clEvEUlS6_S6_E_S6_EEDaPvRmT3_T4_T5_mT6_P12ihipStream_tbENKUlT_T0_E_clISt17integral_constantIbLb1EESX_IbLb0EEEEDaST_SU_EUlST_E_NS1_11comp_targetILNS1_3genE9ELNS1_11target_archE1100ELNS1_3gpuE3ELNS1_3repE0EEENS1_30default_config_static_selectorELNS0_4arch9wavefront6targetE1EEEvT1_
	.p2align	8
	.type	_ZN7rocprim17ROCPRIM_400000_NS6detail17trampoline_kernelINS0_14default_configENS1_20scan_config_selectorIN3c108BFloat16EEEZZNS1_9scan_implILNS1_25lookback_scan_determinismE0ELb0ELb0ES3_PKS6_PS6_S6_ZZZN2at6native31launch_logcumsumexp_cuda_kernelERKNSD_10TensorBaseESH_lENKUlvE_clEvENKUlvE4_clEvEUlS6_S6_E_S6_EEDaPvRmT3_T4_T5_mT6_P12ihipStream_tbENKUlT_T0_E_clISt17integral_constantIbLb1EESX_IbLb0EEEEDaST_SU_EUlST_E_NS1_11comp_targetILNS1_3genE9ELNS1_11target_archE1100ELNS1_3gpuE3ELNS1_3repE0EEENS1_30default_config_static_selectorELNS0_4arch9wavefront6targetE1EEEvT1_,@function
_ZN7rocprim17ROCPRIM_400000_NS6detail17trampoline_kernelINS0_14default_configENS1_20scan_config_selectorIN3c108BFloat16EEEZZNS1_9scan_implILNS1_25lookback_scan_determinismE0ELb0ELb0ES3_PKS6_PS6_S6_ZZZN2at6native31launch_logcumsumexp_cuda_kernelERKNSD_10TensorBaseESH_lENKUlvE_clEvENKUlvE4_clEvEUlS6_S6_E_S6_EEDaPvRmT3_T4_T5_mT6_P12ihipStream_tbENKUlT_T0_E_clISt17integral_constantIbLb1EESX_IbLb0EEEEDaST_SU_EUlST_E_NS1_11comp_targetILNS1_3genE9ELNS1_11target_archE1100ELNS1_3gpuE3ELNS1_3repE0EEENS1_30default_config_static_selectorELNS0_4arch9wavefront6targetE1EEEvT1_: ; @_ZN7rocprim17ROCPRIM_400000_NS6detail17trampoline_kernelINS0_14default_configENS1_20scan_config_selectorIN3c108BFloat16EEEZZNS1_9scan_implILNS1_25lookback_scan_determinismE0ELb0ELb0ES3_PKS6_PS6_S6_ZZZN2at6native31launch_logcumsumexp_cuda_kernelERKNSD_10TensorBaseESH_lENKUlvE_clEvENKUlvE4_clEvEUlS6_S6_E_S6_EEDaPvRmT3_T4_T5_mT6_P12ihipStream_tbENKUlT_T0_E_clISt17integral_constantIbLb1EESX_IbLb0EEEEDaST_SU_EUlST_E_NS1_11comp_targetILNS1_3genE9ELNS1_11target_archE1100ELNS1_3gpuE3ELNS1_3repE0EEENS1_30default_config_static_selectorELNS0_4arch9wavefront6targetE1EEEvT1_
; %bb.0:
	.section	.rodata,"a",@progbits
	.p2align	6, 0x0
	.amdhsa_kernel _ZN7rocprim17ROCPRIM_400000_NS6detail17trampoline_kernelINS0_14default_configENS1_20scan_config_selectorIN3c108BFloat16EEEZZNS1_9scan_implILNS1_25lookback_scan_determinismE0ELb0ELb0ES3_PKS6_PS6_S6_ZZZN2at6native31launch_logcumsumexp_cuda_kernelERKNSD_10TensorBaseESH_lENKUlvE_clEvENKUlvE4_clEvEUlS6_S6_E_S6_EEDaPvRmT3_T4_T5_mT6_P12ihipStream_tbENKUlT_T0_E_clISt17integral_constantIbLb1EESX_IbLb0EEEEDaST_SU_EUlST_E_NS1_11comp_targetILNS1_3genE9ELNS1_11target_archE1100ELNS1_3gpuE3ELNS1_3repE0EEENS1_30default_config_static_selectorELNS0_4arch9wavefront6targetE1EEEvT1_
		.amdhsa_group_segment_fixed_size 0
		.amdhsa_private_segment_fixed_size 0
		.amdhsa_kernarg_size 96
		.amdhsa_user_sgpr_count 6
		.amdhsa_user_sgpr_private_segment_buffer 1
		.amdhsa_user_sgpr_dispatch_ptr 0
		.amdhsa_user_sgpr_queue_ptr 0
		.amdhsa_user_sgpr_kernarg_segment_ptr 1
		.amdhsa_user_sgpr_dispatch_id 0
		.amdhsa_user_sgpr_flat_scratch_init 0
		.amdhsa_user_sgpr_kernarg_preload_length 0
		.amdhsa_user_sgpr_kernarg_preload_offset 0
		.amdhsa_user_sgpr_private_segment_size 0
		.amdhsa_uses_dynamic_stack 0
		.amdhsa_system_sgpr_private_segment_wavefront_offset 0
		.amdhsa_system_sgpr_workgroup_id_x 1
		.amdhsa_system_sgpr_workgroup_id_y 0
		.amdhsa_system_sgpr_workgroup_id_z 0
		.amdhsa_system_sgpr_workgroup_info 0
		.amdhsa_system_vgpr_workitem_id 0
		.amdhsa_next_free_vgpr 1
		.amdhsa_next_free_sgpr 0
		.amdhsa_accum_offset 4
		.amdhsa_reserve_vcc 0
		.amdhsa_reserve_flat_scratch 0
		.amdhsa_float_round_mode_32 0
		.amdhsa_float_round_mode_16_64 0
		.amdhsa_float_denorm_mode_32 3
		.amdhsa_float_denorm_mode_16_64 3
		.amdhsa_dx10_clamp 1
		.amdhsa_ieee_mode 1
		.amdhsa_fp16_overflow 0
		.amdhsa_tg_split 0
		.amdhsa_exception_fp_ieee_invalid_op 0
		.amdhsa_exception_fp_denorm_src 0
		.amdhsa_exception_fp_ieee_div_zero 0
		.amdhsa_exception_fp_ieee_overflow 0
		.amdhsa_exception_fp_ieee_underflow 0
		.amdhsa_exception_fp_ieee_inexact 0
		.amdhsa_exception_int_div_zero 0
	.end_amdhsa_kernel
	.section	.text._ZN7rocprim17ROCPRIM_400000_NS6detail17trampoline_kernelINS0_14default_configENS1_20scan_config_selectorIN3c108BFloat16EEEZZNS1_9scan_implILNS1_25lookback_scan_determinismE0ELb0ELb0ES3_PKS6_PS6_S6_ZZZN2at6native31launch_logcumsumexp_cuda_kernelERKNSD_10TensorBaseESH_lENKUlvE_clEvENKUlvE4_clEvEUlS6_S6_E_S6_EEDaPvRmT3_T4_T5_mT6_P12ihipStream_tbENKUlT_T0_E_clISt17integral_constantIbLb1EESX_IbLb0EEEEDaST_SU_EUlST_E_NS1_11comp_targetILNS1_3genE9ELNS1_11target_archE1100ELNS1_3gpuE3ELNS1_3repE0EEENS1_30default_config_static_selectorELNS0_4arch9wavefront6targetE1EEEvT1_,"axG",@progbits,_ZN7rocprim17ROCPRIM_400000_NS6detail17trampoline_kernelINS0_14default_configENS1_20scan_config_selectorIN3c108BFloat16EEEZZNS1_9scan_implILNS1_25lookback_scan_determinismE0ELb0ELb0ES3_PKS6_PS6_S6_ZZZN2at6native31launch_logcumsumexp_cuda_kernelERKNSD_10TensorBaseESH_lENKUlvE_clEvENKUlvE4_clEvEUlS6_S6_E_S6_EEDaPvRmT3_T4_T5_mT6_P12ihipStream_tbENKUlT_T0_E_clISt17integral_constantIbLb1EESX_IbLb0EEEEDaST_SU_EUlST_E_NS1_11comp_targetILNS1_3genE9ELNS1_11target_archE1100ELNS1_3gpuE3ELNS1_3repE0EEENS1_30default_config_static_selectorELNS0_4arch9wavefront6targetE1EEEvT1_,comdat
.Lfunc_end498:
	.size	_ZN7rocprim17ROCPRIM_400000_NS6detail17trampoline_kernelINS0_14default_configENS1_20scan_config_selectorIN3c108BFloat16EEEZZNS1_9scan_implILNS1_25lookback_scan_determinismE0ELb0ELb0ES3_PKS6_PS6_S6_ZZZN2at6native31launch_logcumsumexp_cuda_kernelERKNSD_10TensorBaseESH_lENKUlvE_clEvENKUlvE4_clEvEUlS6_S6_E_S6_EEDaPvRmT3_T4_T5_mT6_P12ihipStream_tbENKUlT_T0_E_clISt17integral_constantIbLb1EESX_IbLb0EEEEDaST_SU_EUlST_E_NS1_11comp_targetILNS1_3genE9ELNS1_11target_archE1100ELNS1_3gpuE3ELNS1_3repE0EEENS1_30default_config_static_selectorELNS0_4arch9wavefront6targetE1EEEvT1_, .Lfunc_end498-_ZN7rocprim17ROCPRIM_400000_NS6detail17trampoline_kernelINS0_14default_configENS1_20scan_config_selectorIN3c108BFloat16EEEZZNS1_9scan_implILNS1_25lookback_scan_determinismE0ELb0ELb0ES3_PKS6_PS6_S6_ZZZN2at6native31launch_logcumsumexp_cuda_kernelERKNSD_10TensorBaseESH_lENKUlvE_clEvENKUlvE4_clEvEUlS6_S6_E_S6_EEDaPvRmT3_T4_T5_mT6_P12ihipStream_tbENKUlT_T0_E_clISt17integral_constantIbLb1EESX_IbLb0EEEEDaST_SU_EUlST_E_NS1_11comp_targetILNS1_3genE9ELNS1_11target_archE1100ELNS1_3gpuE3ELNS1_3repE0EEENS1_30default_config_static_selectorELNS0_4arch9wavefront6targetE1EEEvT1_
                                        ; -- End function
	.section	.AMDGPU.csdata,"",@progbits
; Kernel info:
; codeLenInByte = 0
; NumSgprs: 4
; NumVgprs: 0
; NumAgprs: 0
; TotalNumVgprs: 0
; ScratchSize: 0
; MemoryBound: 0
; FloatMode: 240
; IeeeMode: 1
; LDSByteSize: 0 bytes/workgroup (compile time only)
; SGPRBlocks: 0
; VGPRBlocks: 0
; NumSGPRsForWavesPerEU: 4
; NumVGPRsForWavesPerEU: 1
; AccumOffset: 4
; Occupancy: 8
; WaveLimiterHint : 0
; COMPUTE_PGM_RSRC2:SCRATCH_EN: 0
; COMPUTE_PGM_RSRC2:USER_SGPR: 6
; COMPUTE_PGM_RSRC2:TRAP_HANDLER: 0
; COMPUTE_PGM_RSRC2:TGID_X_EN: 1
; COMPUTE_PGM_RSRC2:TGID_Y_EN: 0
; COMPUTE_PGM_RSRC2:TGID_Z_EN: 0
; COMPUTE_PGM_RSRC2:TIDIG_COMP_CNT: 0
; COMPUTE_PGM_RSRC3_GFX90A:ACCUM_OFFSET: 0
; COMPUTE_PGM_RSRC3_GFX90A:TG_SPLIT: 0
	.section	.text._ZN7rocprim17ROCPRIM_400000_NS6detail17trampoline_kernelINS0_14default_configENS1_20scan_config_selectorIN3c108BFloat16EEEZZNS1_9scan_implILNS1_25lookback_scan_determinismE0ELb0ELb0ES3_PKS6_PS6_S6_ZZZN2at6native31launch_logcumsumexp_cuda_kernelERKNSD_10TensorBaseESH_lENKUlvE_clEvENKUlvE4_clEvEUlS6_S6_E_S6_EEDaPvRmT3_T4_T5_mT6_P12ihipStream_tbENKUlT_T0_E_clISt17integral_constantIbLb1EESX_IbLb0EEEEDaST_SU_EUlST_E_NS1_11comp_targetILNS1_3genE8ELNS1_11target_archE1030ELNS1_3gpuE2ELNS1_3repE0EEENS1_30default_config_static_selectorELNS0_4arch9wavefront6targetE1EEEvT1_,"axG",@progbits,_ZN7rocprim17ROCPRIM_400000_NS6detail17trampoline_kernelINS0_14default_configENS1_20scan_config_selectorIN3c108BFloat16EEEZZNS1_9scan_implILNS1_25lookback_scan_determinismE0ELb0ELb0ES3_PKS6_PS6_S6_ZZZN2at6native31launch_logcumsumexp_cuda_kernelERKNSD_10TensorBaseESH_lENKUlvE_clEvENKUlvE4_clEvEUlS6_S6_E_S6_EEDaPvRmT3_T4_T5_mT6_P12ihipStream_tbENKUlT_T0_E_clISt17integral_constantIbLb1EESX_IbLb0EEEEDaST_SU_EUlST_E_NS1_11comp_targetILNS1_3genE8ELNS1_11target_archE1030ELNS1_3gpuE2ELNS1_3repE0EEENS1_30default_config_static_selectorELNS0_4arch9wavefront6targetE1EEEvT1_,comdat
	.globl	_ZN7rocprim17ROCPRIM_400000_NS6detail17trampoline_kernelINS0_14default_configENS1_20scan_config_selectorIN3c108BFloat16EEEZZNS1_9scan_implILNS1_25lookback_scan_determinismE0ELb0ELb0ES3_PKS6_PS6_S6_ZZZN2at6native31launch_logcumsumexp_cuda_kernelERKNSD_10TensorBaseESH_lENKUlvE_clEvENKUlvE4_clEvEUlS6_S6_E_S6_EEDaPvRmT3_T4_T5_mT6_P12ihipStream_tbENKUlT_T0_E_clISt17integral_constantIbLb1EESX_IbLb0EEEEDaST_SU_EUlST_E_NS1_11comp_targetILNS1_3genE8ELNS1_11target_archE1030ELNS1_3gpuE2ELNS1_3repE0EEENS1_30default_config_static_selectorELNS0_4arch9wavefront6targetE1EEEvT1_ ; -- Begin function _ZN7rocprim17ROCPRIM_400000_NS6detail17trampoline_kernelINS0_14default_configENS1_20scan_config_selectorIN3c108BFloat16EEEZZNS1_9scan_implILNS1_25lookback_scan_determinismE0ELb0ELb0ES3_PKS6_PS6_S6_ZZZN2at6native31launch_logcumsumexp_cuda_kernelERKNSD_10TensorBaseESH_lENKUlvE_clEvENKUlvE4_clEvEUlS6_S6_E_S6_EEDaPvRmT3_T4_T5_mT6_P12ihipStream_tbENKUlT_T0_E_clISt17integral_constantIbLb1EESX_IbLb0EEEEDaST_SU_EUlST_E_NS1_11comp_targetILNS1_3genE8ELNS1_11target_archE1030ELNS1_3gpuE2ELNS1_3repE0EEENS1_30default_config_static_selectorELNS0_4arch9wavefront6targetE1EEEvT1_
	.p2align	8
	.type	_ZN7rocprim17ROCPRIM_400000_NS6detail17trampoline_kernelINS0_14default_configENS1_20scan_config_selectorIN3c108BFloat16EEEZZNS1_9scan_implILNS1_25lookback_scan_determinismE0ELb0ELb0ES3_PKS6_PS6_S6_ZZZN2at6native31launch_logcumsumexp_cuda_kernelERKNSD_10TensorBaseESH_lENKUlvE_clEvENKUlvE4_clEvEUlS6_S6_E_S6_EEDaPvRmT3_T4_T5_mT6_P12ihipStream_tbENKUlT_T0_E_clISt17integral_constantIbLb1EESX_IbLb0EEEEDaST_SU_EUlST_E_NS1_11comp_targetILNS1_3genE8ELNS1_11target_archE1030ELNS1_3gpuE2ELNS1_3repE0EEENS1_30default_config_static_selectorELNS0_4arch9wavefront6targetE1EEEvT1_,@function
_ZN7rocprim17ROCPRIM_400000_NS6detail17trampoline_kernelINS0_14default_configENS1_20scan_config_selectorIN3c108BFloat16EEEZZNS1_9scan_implILNS1_25lookback_scan_determinismE0ELb0ELb0ES3_PKS6_PS6_S6_ZZZN2at6native31launch_logcumsumexp_cuda_kernelERKNSD_10TensorBaseESH_lENKUlvE_clEvENKUlvE4_clEvEUlS6_S6_E_S6_EEDaPvRmT3_T4_T5_mT6_P12ihipStream_tbENKUlT_T0_E_clISt17integral_constantIbLb1EESX_IbLb0EEEEDaST_SU_EUlST_E_NS1_11comp_targetILNS1_3genE8ELNS1_11target_archE1030ELNS1_3gpuE2ELNS1_3repE0EEENS1_30default_config_static_selectorELNS0_4arch9wavefront6targetE1EEEvT1_: ; @_ZN7rocprim17ROCPRIM_400000_NS6detail17trampoline_kernelINS0_14default_configENS1_20scan_config_selectorIN3c108BFloat16EEEZZNS1_9scan_implILNS1_25lookback_scan_determinismE0ELb0ELb0ES3_PKS6_PS6_S6_ZZZN2at6native31launch_logcumsumexp_cuda_kernelERKNSD_10TensorBaseESH_lENKUlvE_clEvENKUlvE4_clEvEUlS6_S6_E_S6_EEDaPvRmT3_T4_T5_mT6_P12ihipStream_tbENKUlT_T0_E_clISt17integral_constantIbLb1EESX_IbLb0EEEEDaST_SU_EUlST_E_NS1_11comp_targetILNS1_3genE8ELNS1_11target_archE1030ELNS1_3gpuE2ELNS1_3repE0EEENS1_30default_config_static_selectorELNS0_4arch9wavefront6targetE1EEEvT1_
; %bb.0:
	.section	.rodata,"a",@progbits
	.p2align	6, 0x0
	.amdhsa_kernel _ZN7rocprim17ROCPRIM_400000_NS6detail17trampoline_kernelINS0_14default_configENS1_20scan_config_selectorIN3c108BFloat16EEEZZNS1_9scan_implILNS1_25lookback_scan_determinismE0ELb0ELb0ES3_PKS6_PS6_S6_ZZZN2at6native31launch_logcumsumexp_cuda_kernelERKNSD_10TensorBaseESH_lENKUlvE_clEvENKUlvE4_clEvEUlS6_S6_E_S6_EEDaPvRmT3_T4_T5_mT6_P12ihipStream_tbENKUlT_T0_E_clISt17integral_constantIbLb1EESX_IbLb0EEEEDaST_SU_EUlST_E_NS1_11comp_targetILNS1_3genE8ELNS1_11target_archE1030ELNS1_3gpuE2ELNS1_3repE0EEENS1_30default_config_static_selectorELNS0_4arch9wavefront6targetE1EEEvT1_
		.amdhsa_group_segment_fixed_size 0
		.amdhsa_private_segment_fixed_size 0
		.amdhsa_kernarg_size 96
		.amdhsa_user_sgpr_count 6
		.amdhsa_user_sgpr_private_segment_buffer 1
		.amdhsa_user_sgpr_dispatch_ptr 0
		.amdhsa_user_sgpr_queue_ptr 0
		.amdhsa_user_sgpr_kernarg_segment_ptr 1
		.amdhsa_user_sgpr_dispatch_id 0
		.amdhsa_user_sgpr_flat_scratch_init 0
		.amdhsa_user_sgpr_kernarg_preload_length 0
		.amdhsa_user_sgpr_kernarg_preload_offset 0
		.amdhsa_user_sgpr_private_segment_size 0
		.amdhsa_uses_dynamic_stack 0
		.amdhsa_system_sgpr_private_segment_wavefront_offset 0
		.amdhsa_system_sgpr_workgroup_id_x 1
		.amdhsa_system_sgpr_workgroup_id_y 0
		.amdhsa_system_sgpr_workgroup_id_z 0
		.amdhsa_system_sgpr_workgroup_info 0
		.amdhsa_system_vgpr_workitem_id 0
		.amdhsa_next_free_vgpr 1
		.amdhsa_next_free_sgpr 0
		.amdhsa_accum_offset 4
		.amdhsa_reserve_vcc 0
		.amdhsa_reserve_flat_scratch 0
		.amdhsa_float_round_mode_32 0
		.amdhsa_float_round_mode_16_64 0
		.amdhsa_float_denorm_mode_32 3
		.amdhsa_float_denorm_mode_16_64 3
		.amdhsa_dx10_clamp 1
		.amdhsa_ieee_mode 1
		.amdhsa_fp16_overflow 0
		.amdhsa_tg_split 0
		.amdhsa_exception_fp_ieee_invalid_op 0
		.amdhsa_exception_fp_denorm_src 0
		.amdhsa_exception_fp_ieee_div_zero 0
		.amdhsa_exception_fp_ieee_overflow 0
		.amdhsa_exception_fp_ieee_underflow 0
		.amdhsa_exception_fp_ieee_inexact 0
		.amdhsa_exception_int_div_zero 0
	.end_amdhsa_kernel
	.section	.text._ZN7rocprim17ROCPRIM_400000_NS6detail17trampoline_kernelINS0_14default_configENS1_20scan_config_selectorIN3c108BFloat16EEEZZNS1_9scan_implILNS1_25lookback_scan_determinismE0ELb0ELb0ES3_PKS6_PS6_S6_ZZZN2at6native31launch_logcumsumexp_cuda_kernelERKNSD_10TensorBaseESH_lENKUlvE_clEvENKUlvE4_clEvEUlS6_S6_E_S6_EEDaPvRmT3_T4_T5_mT6_P12ihipStream_tbENKUlT_T0_E_clISt17integral_constantIbLb1EESX_IbLb0EEEEDaST_SU_EUlST_E_NS1_11comp_targetILNS1_3genE8ELNS1_11target_archE1030ELNS1_3gpuE2ELNS1_3repE0EEENS1_30default_config_static_selectorELNS0_4arch9wavefront6targetE1EEEvT1_,"axG",@progbits,_ZN7rocprim17ROCPRIM_400000_NS6detail17trampoline_kernelINS0_14default_configENS1_20scan_config_selectorIN3c108BFloat16EEEZZNS1_9scan_implILNS1_25lookback_scan_determinismE0ELb0ELb0ES3_PKS6_PS6_S6_ZZZN2at6native31launch_logcumsumexp_cuda_kernelERKNSD_10TensorBaseESH_lENKUlvE_clEvENKUlvE4_clEvEUlS6_S6_E_S6_EEDaPvRmT3_T4_T5_mT6_P12ihipStream_tbENKUlT_T0_E_clISt17integral_constantIbLb1EESX_IbLb0EEEEDaST_SU_EUlST_E_NS1_11comp_targetILNS1_3genE8ELNS1_11target_archE1030ELNS1_3gpuE2ELNS1_3repE0EEENS1_30default_config_static_selectorELNS0_4arch9wavefront6targetE1EEEvT1_,comdat
.Lfunc_end499:
	.size	_ZN7rocprim17ROCPRIM_400000_NS6detail17trampoline_kernelINS0_14default_configENS1_20scan_config_selectorIN3c108BFloat16EEEZZNS1_9scan_implILNS1_25lookback_scan_determinismE0ELb0ELb0ES3_PKS6_PS6_S6_ZZZN2at6native31launch_logcumsumexp_cuda_kernelERKNSD_10TensorBaseESH_lENKUlvE_clEvENKUlvE4_clEvEUlS6_S6_E_S6_EEDaPvRmT3_T4_T5_mT6_P12ihipStream_tbENKUlT_T0_E_clISt17integral_constantIbLb1EESX_IbLb0EEEEDaST_SU_EUlST_E_NS1_11comp_targetILNS1_3genE8ELNS1_11target_archE1030ELNS1_3gpuE2ELNS1_3repE0EEENS1_30default_config_static_selectorELNS0_4arch9wavefront6targetE1EEEvT1_, .Lfunc_end499-_ZN7rocprim17ROCPRIM_400000_NS6detail17trampoline_kernelINS0_14default_configENS1_20scan_config_selectorIN3c108BFloat16EEEZZNS1_9scan_implILNS1_25lookback_scan_determinismE0ELb0ELb0ES3_PKS6_PS6_S6_ZZZN2at6native31launch_logcumsumexp_cuda_kernelERKNSD_10TensorBaseESH_lENKUlvE_clEvENKUlvE4_clEvEUlS6_S6_E_S6_EEDaPvRmT3_T4_T5_mT6_P12ihipStream_tbENKUlT_T0_E_clISt17integral_constantIbLb1EESX_IbLb0EEEEDaST_SU_EUlST_E_NS1_11comp_targetILNS1_3genE8ELNS1_11target_archE1030ELNS1_3gpuE2ELNS1_3repE0EEENS1_30default_config_static_selectorELNS0_4arch9wavefront6targetE1EEEvT1_
                                        ; -- End function
	.section	.AMDGPU.csdata,"",@progbits
; Kernel info:
; codeLenInByte = 0
; NumSgprs: 4
; NumVgprs: 0
; NumAgprs: 0
; TotalNumVgprs: 0
; ScratchSize: 0
; MemoryBound: 0
; FloatMode: 240
; IeeeMode: 1
; LDSByteSize: 0 bytes/workgroup (compile time only)
; SGPRBlocks: 0
; VGPRBlocks: 0
; NumSGPRsForWavesPerEU: 4
; NumVGPRsForWavesPerEU: 1
; AccumOffset: 4
; Occupancy: 8
; WaveLimiterHint : 0
; COMPUTE_PGM_RSRC2:SCRATCH_EN: 0
; COMPUTE_PGM_RSRC2:USER_SGPR: 6
; COMPUTE_PGM_RSRC2:TRAP_HANDLER: 0
; COMPUTE_PGM_RSRC2:TGID_X_EN: 1
; COMPUTE_PGM_RSRC2:TGID_Y_EN: 0
; COMPUTE_PGM_RSRC2:TGID_Z_EN: 0
; COMPUTE_PGM_RSRC2:TIDIG_COMP_CNT: 0
; COMPUTE_PGM_RSRC3_GFX90A:ACCUM_OFFSET: 0
; COMPUTE_PGM_RSRC3_GFX90A:TG_SPLIT: 0
	.section	.text._ZN7rocprim17ROCPRIM_400000_NS6detail17trampoline_kernelINS0_14default_configENS1_20scan_config_selectorIN3c108BFloat16EEEZZNS1_9scan_implILNS1_25lookback_scan_determinismE0ELb0ELb0ES3_PKS6_PS6_S6_ZZZN2at6native31launch_logcumsumexp_cuda_kernelERKNSD_10TensorBaseESH_lENKUlvE_clEvENKUlvE4_clEvEUlS6_S6_E_S6_EEDaPvRmT3_T4_T5_mT6_P12ihipStream_tbENKUlT_T0_E_clISt17integral_constantIbLb1EESX_IbLb0EEEEDaST_SU_EUlST_E0_NS1_11comp_targetILNS1_3genE0ELNS1_11target_archE4294967295ELNS1_3gpuE0ELNS1_3repE0EEENS1_30default_config_static_selectorELNS0_4arch9wavefront6targetE1EEEvT1_,"axG",@progbits,_ZN7rocprim17ROCPRIM_400000_NS6detail17trampoline_kernelINS0_14default_configENS1_20scan_config_selectorIN3c108BFloat16EEEZZNS1_9scan_implILNS1_25lookback_scan_determinismE0ELb0ELb0ES3_PKS6_PS6_S6_ZZZN2at6native31launch_logcumsumexp_cuda_kernelERKNSD_10TensorBaseESH_lENKUlvE_clEvENKUlvE4_clEvEUlS6_S6_E_S6_EEDaPvRmT3_T4_T5_mT6_P12ihipStream_tbENKUlT_T0_E_clISt17integral_constantIbLb1EESX_IbLb0EEEEDaST_SU_EUlST_E0_NS1_11comp_targetILNS1_3genE0ELNS1_11target_archE4294967295ELNS1_3gpuE0ELNS1_3repE0EEENS1_30default_config_static_selectorELNS0_4arch9wavefront6targetE1EEEvT1_,comdat
	.globl	_ZN7rocprim17ROCPRIM_400000_NS6detail17trampoline_kernelINS0_14default_configENS1_20scan_config_selectorIN3c108BFloat16EEEZZNS1_9scan_implILNS1_25lookback_scan_determinismE0ELb0ELb0ES3_PKS6_PS6_S6_ZZZN2at6native31launch_logcumsumexp_cuda_kernelERKNSD_10TensorBaseESH_lENKUlvE_clEvENKUlvE4_clEvEUlS6_S6_E_S6_EEDaPvRmT3_T4_T5_mT6_P12ihipStream_tbENKUlT_T0_E_clISt17integral_constantIbLb1EESX_IbLb0EEEEDaST_SU_EUlST_E0_NS1_11comp_targetILNS1_3genE0ELNS1_11target_archE4294967295ELNS1_3gpuE0ELNS1_3repE0EEENS1_30default_config_static_selectorELNS0_4arch9wavefront6targetE1EEEvT1_ ; -- Begin function _ZN7rocprim17ROCPRIM_400000_NS6detail17trampoline_kernelINS0_14default_configENS1_20scan_config_selectorIN3c108BFloat16EEEZZNS1_9scan_implILNS1_25lookback_scan_determinismE0ELb0ELb0ES3_PKS6_PS6_S6_ZZZN2at6native31launch_logcumsumexp_cuda_kernelERKNSD_10TensorBaseESH_lENKUlvE_clEvENKUlvE4_clEvEUlS6_S6_E_S6_EEDaPvRmT3_T4_T5_mT6_P12ihipStream_tbENKUlT_T0_E_clISt17integral_constantIbLb1EESX_IbLb0EEEEDaST_SU_EUlST_E0_NS1_11comp_targetILNS1_3genE0ELNS1_11target_archE4294967295ELNS1_3gpuE0ELNS1_3repE0EEENS1_30default_config_static_selectorELNS0_4arch9wavefront6targetE1EEEvT1_
	.p2align	8
	.type	_ZN7rocprim17ROCPRIM_400000_NS6detail17trampoline_kernelINS0_14default_configENS1_20scan_config_selectorIN3c108BFloat16EEEZZNS1_9scan_implILNS1_25lookback_scan_determinismE0ELb0ELb0ES3_PKS6_PS6_S6_ZZZN2at6native31launch_logcumsumexp_cuda_kernelERKNSD_10TensorBaseESH_lENKUlvE_clEvENKUlvE4_clEvEUlS6_S6_E_S6_EEDaPvRmT3_T4_T5_mT6_P12ihipStream_tbENKUlT_T0_E_clISt17integral_constantIbLb1EESX_IbLb0EEEEDaST_SU_EUlST_E0_NS1_11comp_targetILNS1_3genE0ELNS1_11target_archE4294967295ELNS1_3gpuE0ELNS1_3repE0EEENS1_30default_config_static_selectorELNS0_4arch9wavefront6targetE1EEEvT1_,@function
_ZN7rocprim17ROCPRIM_400000_NS6detail17trampoline_kernelINS0_14default_configENS1_20scan_config_selectorIN3c108BFloat16EEEZZNS1_9scan_implILNS1_25lookback_scan_determinismE0ELb0ELb0ES3_PKS6_PS6_S6_ZZZN2at6native31launch_logcumsumexp_cuda_kernelERKNSD_10TensorBaseESH_lENKUlvE_clEvENKUlvE4_clEvEUlS6_S6_E_S6_EEDaPvRmT3_T4_T5_mT6_P12ihipStream_tbENKUlT_T0_E_clISt17integral_constantIbLb1EESX_IbLb0EEEEDaST_SU_EUlST_E0_NS1_11comp_targetILNS1_3genE0ELNS1_11target_archE4294967295ELNS1_3gpuE0ELNS1_3repE0EEENS1_30default_config_static_selectorELNS0_4arch9wavefront6targetE1EEEvT1_: ; @_ZN7rocprim17ROCPRIM_400000_NS6detail17trampoline_kernelINS0_14default_configENS1_20scan_config_selectorIN3c108BFloat16EEEZZNS1_9scan_implILNS1_25lookback_scan_determinismE0ELb0ELb0ES3_PKS6_PS6_S6_ZZZN2at6native31launch_logcumsumexp_cuda_kernelERKNSD_10TensorBaseESH_lENKUlvE_clEvENKUlvE4_clEvEUlS6_S6_E_S6_EEDaPvRmT3_T4_T5_mT6_P12ihipStream_tbENKUlT_T0_E_clISt17integral_constantIbLb1EESX_IbLb0EEEEDaST_SU_EUlST_E0_NS1_11comp_targetILNS1_3genE0ELNS1_11target_archE4294967295ELNS1_3gpuE0ELNS1_3repE0EEENS1_30default_config_static_selectorELNS0_4arch9wavefront6targetE1EEEvT1_
; %bb.0:
	.section	.rodata,"a",@progbits
	.p2align	6, 0x0
	.amdhsa_kernel _ZN7rocprim17ROCPRIM_400000_NS6detail17trampoline_kernelINS0_14default_configENS1_20scan_config_selectorIN3c108BFloat16EEEZZNS1_9scan_implILNS1_25lookback_scan_determinismE0ELb0ELb0ES3_PKS6_PS6_S6_ZZZN2at6native31launch_logcumsumexp_cuda_kernelERKNSD_10TensorBaseESH_lENKUlvE_clEvENKUlvE4_clEvEUlS6_S6_E_S6_EEDaPvRmT3_T4_T5_mT6_P12ihipStream_tbENKUlT_T0_E_clISt17integral_constantIbLb1EESX_IbLb0EEEEDaST_SU_EUlST_E0_NS1_11comp_targetILNS1_3genE0ELNS1_11target_archE4294967295ELNS1_3gpuE0ELNS1_3repE0EEENS1_30default_config_static_selectorELNS0_4arch9wavefront6targetE1EEEvT1_
		.amdhsa_group_segment_fixed_size 0
		.amdhsa_private_segment_fixed_size 0
		.amdhsa_kernarg_size 32
		.amdhsa_user_sgpr_count 6
		.amdhsa_user_sgpr_private_segment_buffer 1
		.amdhsa_user_sgpr_dispatch_ptr 0
		.amdhsa_user_sgpr_queue_ptr 0
		.amdhsa_user_sgpr_kernarg_segment_ptr 1
		.amdhsa_user_sgpr_dispatch_id 0
		.amdhsa_user_sgpr_flat_scratch_init 0
		.amdhsa_user_sgpr_kernarg_preload_length 0
		.amdhsa_user_sgpr_kernarg_preload_offset 0
		.amdhsa_user_sgpr_private_segment_size 0
		.amdhsa_uses_dynamic_stack 0
		.amdhsa_system_sgpr_private_segment_wavefront_offset 0
		.amdhsa_system_sgpr_workgroup_id_x 1
		.amdhsa_system_sgpr_workgroup_id_y 0
		.amdhsa_system_sgpr_workgroup_id_z 0
		.amdhsa_system_sgpr_workgroup_info 0
		.amdhsa_system_vgpr_workitem_id 0
		.amdhsa_next_free_vgpr 1
		.amdhsa_next_free_sgpr 0
		.amdhsa_accum_offset 4
		.amdhsa_reserve_vcc 0
		.amdhsa_reserve_flat_scratch 0
		.amdhsa_float_round_mode_32 0
		.amdhsa_float_round_mode_16_64 0
		.amdhsa_float_denorm_mode_32 3
		.amdhsa_float_denorm_mode_16_64 3
		.amdhsa_dx10_clamp 1
		.amdhsa_ieee_mode 1
		.amdhsa_fp16_overflow 0
		.amdhsa_tg_split 0
		.amdhsa_exception_fp_ieee_invalid_op 0
		.amdhsa_exception_fp_denorm_src 0
		.amdhsa_exception_fp_ieee_div_zero 0
		.amdhsa_exception_fp_ieee_overflow 0
		.amdhsa_exception_fp_ieee_underflow 0
		.amdhsa_exception_fp_ieee_inexact 0
		.amdhsa_exception_int_div_zero 0
	.end_amdhsa_kernel
	.section	.text._ZN7rocprim17ROCPRIM_400000_NS6detail17trampoline_kernelINS0_14default_configENS1_20scan_config_selectorIN3c108BFloat16EEEZZNS1_9scan_implILNS1_25lookback_scan_determinismE0ELb0ELb0ES3_PKS6_PS6_S6_ZZZN2at6native31launch_logcumsumexp_cuda_kernelERKNSD_10TensorBaseESH_lENKUlvE_clEvENKUlvE4_clEvEUlS6_S6_E_S6_EEDaPvRmT3_T4_T5_mT6_P12ihipStream_tbENKUlT_T0_E_clISt17integral_constantIbLb1EESX_IbLb0EEEEDaST_SU_EUlST_E0_NS1_11comp_targetILNS1_3genE0ELNS1_11target_archE4294967295ELNS1_3gpuE0ELNS1_3repE0EEENS1_30default_config_static_selectorELNS0_4arch9wavefront6targetE1EEEvT1_,"axG",@progbits,_ZN7rocprim17ROCPRIM_400000_NS6detail17trampoline_kernelINS0_14default_configENS1_20scan_config_selectorIN3c108BFloat16EEEZZNS1_9scan_implILNS1_25lookback_scan_determinismE0ELb0ELb0ES3_PKS6_PS6_S6_ZZZN2at6native31launch_logcumsumexp_cuda_kernelERKNSD_10TensorBaseESH_lENKUlvE_clEvENKUlvE4_clEvEUlS6_S6_E_S6_EEDaPvRmT3_T4_T5_mT6_P12ihipStream_tbENKUlT_T0_E_clISt17integral_constantIbLb1EESX_IbLb0EEEEDaST_SU_EUlST_E0_NS1_11comp_targetILNS1_3genE0ELNS1_11target_archE4294967295ELNS1_3gpuE0ELNS1_3repE0EEENS1_30default_config_static_selectorELNS0_4arch9wavefront6targetE1EEEvT1_,comdat
.Lfunc_end500:
	.size	_ZN7rocprim17ROCPRIM_400000_NS6detail17trampoline_kernelINS0_14default_configENS1_20scan_config_selectorIN3c108BFloat16EEEZZNS1_9scan_implILNS1_25lookback_scan_determinismE0ELb0ELb0ES3_PKS6_PS6_S6_ZZZN2at6native31launch_logcumsumexp_cuda_kernelERKNSD_10TensorBaseESH_lENKUlvE_clEvENKUlvE4_clEvEUlS6_S6_E_S6_EEDaPvRmT3_T4_T5_mT6_P12ihipStream_tbENKUlT_T0_E_clISt17integral_constantIbLb1EESX_IbLb0EEEEDaST_SU_EUlST_E0_NS1_11comp_targetILNS1_3genE0ELNS1_11target_archE4294967295ELNS1_3gpuE0ELNS1_3repE0EEENS1_30default_config_static_selectorELNS0_4arch9wavefront6targetE1EEEvT1_, .Lfunc_end500-_ZN7rocprim17ROCPRIM_400000_NS6detail17trampoline_kernelINS0_14default_configENS1_20scan_config_selectorIN3c108BFloat16EEEZZNS1_9scan_implILNS1_25lookback_scan_determinismE0ELb0ELb0ES3_PKS6_PS6_S6_ZZZN2at6native31launch_logcumsumexp_cuda_kernelERKNSD_10TensorBaseESH_lENKUlvE_clEvENKUlvE4_clEvEUlS6_S6_E_S6_EEDaPvRmT3_T4_T5_mT6_P12ihipStream_tbENKUlT_T0_E_clISt17integral_constantIbLb1EESX_IbLb0EEEEDaST_SU_EUlST_E0_NS1_11comp_targetILNS1_3genE0ELNS1_11target_archE4294967295ELNS1_3gpuE0ELNS1_3repE0EEENS1_30default_config_static_selectorELNS0_4arch9wavefront6targetE1EEEvT1_
                                        ; -- End function
	.section	.AMDGPU.csdata,"",@progbits
; Kernel info:
; codeLenInByte = 0
; NumSgprs: 4
; NumVgprs: 0
; NumAgprs: 0
; TotalNumVgprs: 0
; ScratchSize: 0
; MemoryBound: 0
; FloatMode: 240
; IeeeMode: 1
; LDSByteSize: 0 bytes/workgroup (compile time only)
; SGPRBlocks: 0
; VGPRBlocks: 0
; NumSGPRsForWavesPerEU: 4
; NumVGPRsForWavesPerEU: 1
; AccumOffset: 4
; Occupancy: 8
; WaveLimiterHint : 0
; COMPUTE_PGM_RSRC2:SCRATCH_EN: 0
; COMPUTE_PGM_RSRC2:USER_SGPR: 6
; COMPUTE_PGM_RSRC2:TRAP_HANDLER: 0
; COMPUTE_PGM_RSRC2:TGID_X_EN: 1
; COMPUTE_PGM_RSRC2:TGID_Y_EN: 0
; COMPUTE_PGM_RSRC2:TGID_Z_EN: 0
; COMPUTE_PGM_RSRC2:TIDIG_COMP_CNT: 0
; COMPUTE_PGM_RSRC3_GFX90A:ACCUM_OFFSET: 0
; COMPUTE_PGM_RSRC3_GFX90A:TG_SPLIT: 0
	.section	.text._ZN7rocprim17ROCPRIM_400000_NS6detail17trampoline_kernelINS0_14default_configENS1_20scan_config_selectorIN3c108BFloat16EEEZZNS1_9scan_implILNS1_25lookback_scan_determinismE0ELb0ELb0ES3_PKS6_PS6_S6_ZZZN2at6native31launch_logcumsumexp_cuda_kernelERKNSD_10TensorBaseESH_lENKUlvE_clEvENKUlvE4_clEvEUlS6_S6_E_S6_EEDaPvRmT3_T4_T5_mT6_P12ihipStream_tbENKUlT_T0_E_clISt17integral_constantIbLb1EESX_IbLb0EEEEDaST_SU_EUlST_E0_NS1_11comp_targetILNS1_3genE5ELNS1_11target_archE942ELNS1_3gpuE9ELNS1_3repE0EEENS1_30default_config_static_selectorELNS0_4arch9wavefront6targetE1EEEvT1_,"axG",@progbits,_ZN7rocprim17ROCPRIM_400000_NS6detail17trampoline_kernelINS0_14default_configENS1_20scan_config_selectorIN3c108BFloat16EEEZZNS1_9scan_implILNS1_25lookback_scan_determinismE0ELb0ELb0ES3_PKS6_PS6_S6_ZZZN2at6native31launch_logcumsumexp_cuda_kernelERKNSD_10TensorBaseESH_lENKUlvE_clEvENKUlvE4_clEvEUlS6_S6_E_S6_EEDaPvRmT3_T4_T5_mT6_P12ihipStream_tbENKUlT_T0_E_clISt17integral_constantIbLb1EESX_IbLb0EEEEDaST_SU_EUlST_E0_NS1_11comp_targetILNS1_3genE5ELNS1_11target_archE942ELNS1_3gpuE9ELNS1_3repE0EEENS1_30default_config_static_selectorELNS0_4arch9wavefront6targetE1EEEvT1_,comdat
	.globl	_ZN7rocprim17ROCPRIM_400000_NS6detail17trampoline_kernelINS0_14default_configENS1_20scan_config_selectorIN3c108BFloat16EEEZZNS1_9scan_implILNS1_25lookback_scan_determinismE0ELb0ELb0ES3_PKS6_PS6_S6_ZZZN2at6native31launch_logcumsumexp_cuda_kernelERKNSD_10TensorBaseESH_lENKUlvE_clEvENKUlvE4_clEvEUlS6_S6_E_S6_EEDaPvRmT3_T4_T5_mT6_P12ihipStream_tbENKUlT_T0_E_clISt17integral_constantIbLb1EESX_IbLb0EEEEDaST_SU_EUlST_E0_NS1_11comp_targetILNS1_3genE5ELNS1_11target_archE942ELNS1_3gpuE9ELNS1_3repE0EEENS1_30default_config_static_selectorELNS0_4arch9wavefront6targetE1EEEvT1_ ; -- Begin function _ZN7rocprim17ROCPRIM_400000_NS6detail17trampoline_kernelINS0_14default_configENS1_20scan_config_selectorIN3c108BFloat16EEEZZNS1_9scan_implILNS1_25lookback_scan_determinismE0ELb0ELb0ES3_PKS6_PS6_S6_ZZZN2at6native31launch_logcumsumexp_cuda_kernelERKNSD_10TensorBaseESH_lENKUlvE_clEvENKUlvE4_clEvEUlS6_S6_E_S6_EEDaPvRmT3_T4_T5_mT6_P12ihipStream_tbENKUlT_T0_E_clISt17integral_constantIbLb1EESX_IbLb0EEEEDaST_SU_EUlST_E0_NS1_11comp_targetILNS1_3genE5ELNS1_11target_archE942ELNS1_3gpuE9ELNS1_3repE0EEENS1_30default_config_static_selectorELNS0_4arch9wavefront6targetE1EEEvT1_
	.p2align	8
	.type	_ZN7rocprim17ROCPRIM_400000_NS6detail17trampoline_kernelINS0_14default_configENS1_20scan_config_selectorIN3c108BFloat16EEEZZNS1_9scan_implILNS1_25lookback_scan_determinismE0ELb0ELb0ES3_PKS6_PS6_S6_ZZZN2at6native31launch_logcumsumexp_cuda_kernelERKNSD_10TensorBaseESH_lENKUlvE_clEvENKUlvE4_clEvEUlS6_S6_E_S6_EEDaPvRmT3_T4_T5_mT6_P12ihipStream_tbENKUlT_T0_E_clISt17integral_constantIbLb1EESX_IbLb0EEEEDaST_SU_EUlST_E0_NS1_11comp_targetILNS1_3genE5ELNS1_11target_archE942ELNS1_3gpuE9ELNS1_3repE0EEENS1_30default_config_static_selectorELNS0_4arch9wavefront6targetE1EEEvT1_,@function
_ZN7rocprim17ROCPRIM_400000_NS6detail17trampoline_kernelINS0_14default_configENS1_20scan_config_selectorIN3c108BFloat16EEEZZNS1_9scan_implILNS1_25lookback_scan_determinismE0ELb0ELb0ES3_PKS6_PS6_S6_ZZZN2at6native31launch_logcumsumexp_cuda_kernelERKNSD_10TensorBaseESH_lENKUlvE_clEvENKUlvE4_clEvEUlS6_S6_E_S6_EEDaPvRmT3_T4_T5_mT6_P12ihipStream_tbENKUlT_T0_E_clISt17integral_constantIbLb1EESX_IbLb0EEEEDaST_SU_EUlST_E0_NS1_11comp_targetILNS1_3genE5ELNS1_11target_archE942ELNS1_3gpuE9ELNS1_3repE0EEENS1_30default_config_static_selectorELNS0_4arch9wavefront6targetE1EEEvT1_: ; @_ZN7rocprim17ROCPRIM_400000_NS6detail17trampoline_kernelINS0_14default_configENS1_20scan_config_selectorIN3c108BFloat16EEEZZNS1_9scan_implILNS1_25lookback_scan_determinismE0ELb0ELb0ES3_PKS6_PS6_S6_ZZZN2at6native31launch_logcumsumexp_cuda_kernelERKNSD_10TensorBaseESH_lENKUlvE_clEvENKUlvE4_clEvEUlS6_S6_E_S6_EEDaPvRmT3_T4_T5_mT6_P12ihipStream_tbENKUlT_T0_E_clISt17integral_constantIbLb1EESX_IbLb0EEEEDaST_SU_EUlST_E0_NS1_11comp_targetILNS1_3genE5ELNS1_11target_archE942ELNS1_3gpuE9ELNS1_3repE0EEENS1_30default_config_static_selectorELNS0_4arch9wavefront6targetE1EEEvT1_
; %bb.0:
	.section	.rodata,"a",@progbits
	.p2align	6, 0x0
	.amdhsa_kernel _ZN7rocprim17ROCPRIM_400000_NS6detail17trampoline_kernelINS0_14default_configENS1_20scan_config_selectorIN3c108BFloat16EEEZZNS1_9scan_implILNS1_25lookback_scan_determinismE0ELb0ELb0ES3_PKS6_PS6_S6_ZZZN2at6native31launch_logcumsumexp_cuda_kernelERKNSD_10TensorBaseESH_lENKUlvE_clEvENKUlvE4_clEvEUlS6_S6_E_S6_EEDaPvRmT3_T4_T5_mT6_P12ihipStream_tbENKUlT_T0_E_clISt17integral_constantIbLb1EESX_IbLb0EEEEDaST_SU_EUlST_E0_NS1_11comp_targetILNS1_3genE5ELNS1_11target_archE942ELNS1_3gpuE9ELNS1_3repE0EEENS1_30default_config_static_selectorELNS0_4arch9wavefront6targetE1EEEvT1_
		.amdhsa_group_segment_fixed_size 0
		.amdhsa_private_segment_fixed_size 0
		.amdhsa_kernarg_size 32
		.amdhsa_user_sgpr_count 6
		.amdhsa_user_sgpr_private_segment_buffer 1
		.amdhsa_user_sgpr_dispatch_ptr 0
		.amdhsa_user_sgpr_queue_ptr 0
		.amdhsa_user_sgpr_kernarg_segment_ptr 1
		.amdhsa_user_sgpr_dispatch_id 0
		.amdhsa_user_sgpr_flat_scratch_init 0
		.amdhsa_user_sgpr_kernarg_preload_length 0
		.amdhsa_user_sgpr_kernarg_preload_offset 0
		.amdhsa_user_sgpr_private_segment_size 0
		.amdhsa_uses_dynamic_stack 0
		.amdhsa_system_sgpr_private_segment_wavefront_offset 0
		.amdhsa_system_sgpr_workgroup_id_x 1
		.amdhsa_system_sgpr_workgroup_id_y 0
		.amdhsa_system_sgpr_workgroup_id_z 0
		.amdhsa_system_sgpr_workgroup_info 0
		.amdhsa_system_vgpr_workitem_id 0
		.amdhsa_next_free_vgpr 1
		.amdhsa_next_free_sgpr 0
		.amdhsa_accum_offset 4
		.amdhsa_reserve_vcc 0
		.amdhsa_reserve_flat_scratch 0
		.amdhsa_float_round_mode_32 0
		.amdhsa_float_round_mode_16_64 0
		.amdhsa_float_denorm_mode_32 3
		.amdhsa_float_denorm_mode_16_64 3
		.amdhsa_dx10_clamp 1
		.amdhsa_ieee_mode 1
		.amdhsa_fp16_overflow 0
		.amdhsa_tg_split 0
		.amdhsa_exception_fp_ieee_invalid_op 0
		.amdhsa_exception_fp_denorm_src 0
		.amdhsa_exception_fp_ieee_div_zero 0
		.amdhsa_exception_fp_ieee_overflow 0
		.amdhsa_exception_fp_ieee_underflow 0
		.amdhsa_exception_fp_ieee_inexact 0
		.amdhsa_exception_int_div_zero 0
	.end_amdhsa_kernel
	.section	.text._ZN7rocprim17ROCPRIM_400000_NS6detail17trampoline_kernelINS0_14default_configENS1_20scan_config_selectorIN3c108BFloat16EEEZZNS1_9scan_implILNS1_25lookback_scan_determinismE0ELb0ELb0ES3_PKS6_PS6_S6_ZZZN2at6native31launch_logcumsumexp_cuda_kernelERKNSD_10TensorBaseESH_lENKUlvE_clEvENKUlvE4_clEvEUlS6_S6_E_S6_EEDaPvRmT3_T4_T5_mT6_P12ihipStream_tbENKUlT_T0_E_clISt17integral_constantIbLb1EESX_IbLb0EEEEDaST_SU_EUlST_E0_NS1_11comp_targetILNS1_3genE5ELNS1_11target_archE942ELNS1_3gpuE9ELNS1_3repE0EEENS1_30default_config_static_selectorELNS0_4arch9wavefront6targetE1EEEvT1_,"axG",@progbits,_ZN7rocprim17ROCPRIM_400000_NS6detail17trampoline_kernelINS0_14default_configENS1_20scan_config_selectorIN3c108BFloat16EEEZZNS1_9scan_implILNS1_25lookback_scan_determinismE0ELb0ELb0ES3_PKS6_PS6_S6_ZZZN2at6native31launch_logcumsumexp_cuda_kernelERKNSD_10TensorBaseESH_lENKUlvE_clEvENKUlvE4_clEvEUlS6_S6_E_S6_EEDaPvRmT3_T4_T5_mT6_P12ihipStream_tbENKUlT_T0_E_clISt17integral_constantIbLb1EESX_IbLb0EEEEDaST_SU_EUlST_E0_NS1_11comp_targetILNS1_3genE5ELNS1_11target_archE942ELNS1_3gpuE9ELNS1_3repE0EEENS1_30default_config_static_selectorELNS0_4arch9wavefront6targetE1EEEvT1_,comdat
.Lfunc_end501:
	.size	_ZN7rocprim17ROCPRIM_400000_NS6detail17trampoline_kernelINS0_14default_configENS1_20scan_config_selectorIN3c108BFloat16EEEZZNS1_9scan_implILNS1_25lookback_scan_determinismE0ELb0ELb0ES3_PKS6_PS6_S6_ZZZN2at6native31launch_logcumsumexp_cuda_kernelERKNSD_10TensorBaseESH_lENKUlvE_clEvENKUlvE4_clEvEUlS6_S6_E_S6_EEDaPvRmT3_T4_T5_mT6_P12ihipStream_tbENKUlT_T0_E_clISt17integral_constantIbLb1EESX_IbLb0EEEEDaST_SU_EUlST_E0_NS1_11comp_targetILNS1_3genE5ELNS1_11target_archE942ELNS1_3gpuE9ELNS1_3repE0EEENS1_30default_config_static_selectorELNS0_4arch9wavefront6targetE1EEEvT1_, .Lfunc_end501-_ZN7rocprim17ROCPRIM_400000_NS6detail17trampoline_kernelINS0_14default_configENS1_20scan_config_selectorIN3c108BFloat16EEEZZNS1_9scan_implILNS1_25lookback_scan_determinismE0ELb0ELb0ES3_PKS6_PS6_S6_ZZZN2at6native31launch_logcumsumexp_cuda_kernelERKNSD_10TensorBaseESH_lENKUlvE_clEvENKUlvE4_clEvEUlS6_S6_E_S6_EEDaPvRmT3_T4_T5_mT6_P12ihipStream_tbENKUlT_T0_E_clISt17integral_constantIbLb1EESX_IbLb0EEEEDaST_SU_EUlST_E0_NS1_11comp_targetILNS1_3genE5ELNS1_11target_archE942ELNS1_3gpuE9ELNS1_3repE0EEENS1_30default_config_static_selectorELNS0_4arch9wavefront6targetE1EEEvT1_
                                        ; -- End function
	.section	.AMDGPU.csdata,"",@progbits
; Kernel info:
; codeLenInByte = 0
; NumSgprs: 4
; NumVgprs: 0
; NumAgprs: 0
; TotalNumVgprs: 0
; ScratchSize: 0
; MemoryBound: 0
; FloatMode: 240
; IeeeMode: 1
; LDSByteSize: 0 bytes/workgroup (compile time only)
; SGPRBlocks: 0
; VGPRBlocks: 0
; NumSGPRsForWavesPerEU: 4
; NumVGPRsForWavesPerEU: 1
; AccumOffset: 4
; Occupancy: 8
; WaveLimiterHint : 0
; COMPUTE_PGM_RSRC2:SCRATCH_EN: 0
; COMPUTE_PGM_RSRC2:USER_SGPR: 6
; COMPUTE_PGM_RSRC2:TRAP_HANDLER: 0
; COMPUTE_PGM_RSRC2:TGID_X_EN: 1
; COMPUTE_PGM_RSRC2:TGID_Y_EN: 0
; COMPUTE_PGM_RSRC2:TGID_Z_EN: 0
; COMPUTE_PGM_RSRC2:TIDIG_COMP_CNT: 0
; COMPUTE_PGM_RSRC3_GFX90A:ACCUM_OFFSET: 0
; COMPUTE_PGM_RSRC3_GFX90A:TG_SPLIT: 0
	.section	.text._ZN7rocprim17ROCPRIM_400000_NS6detail17trampoline_kernelINS0_14default_configENS1_20scan_config_selectorIN3c108BFloat16EEEZZNS1_9scan_implILNS1_25lookback_scan_determinismE0ELb0ELb0ES3_PKS6_PS6_S6_ZZZN2at6native31launch_logcumsumexp_cuda_kernelERKNSD_10TensorBaseESH_lENKUlvE_clEvENKUlvE4_clEvEUlS6_S6_E_S6_EEDaPvRmT3_T4_T5_mT6_P12ihipStream_tbENKUlT_T0_E_clISt17integral_constantIbLb1EESX_IbLb0EEEEDaST_SU_EUlST_E0_NS1_11comp_targetILNS1_3genE4ELNS1_11target_archE910ELNS1_3gpuE8ELNS1_3repE0EEENS1_30default_config_static_selectorELNS0_4arch9wavefront6targetE1EEEvT1_,"axG",@progbits,_ZN7rocprim17ROCPRIM_400000_NS6detail17trampoline_kernelINS0_14default_configENS1_20scan_config_selectorIN3c108BFloat16EEEZZNS1_9scan_implILNS1_25lookback_scan_determinismE0ELb0ELb0ES3_PKS6_PS6_S6_ZZZN2at6native31launch_logcumsumexp_cuda_kernelERKNSD_10TensorBaseESH_lENKUlvE_clEvENKUlvE4_clEvEUlS6_S6_E_S6_EEDaPvRmT3_T4_T5_mT6_P12ihipStream_tbENKUlT_T0_E_clISt17integral_constantIbLb1EESX_IbLb0EEEEDaST_SU_EUlST_E0_NS1_11comp_targetILNS1_3genE4ELNS1_11target_archE910ELNS1_3gpuE8ELNS1_3repE0EEENS1_30default_config_static_selectorELNS0_4arch9wavefront6targetE1EEEvT1_,comdat
	.globl	_ZN7rocprim17ROCPRIM_400000_NS6detail17trampoline_kernelINS0_14default_configENS1_20scan_config_selectorIN3c108BFloat16EEEZZNS1_9scan_implILNS1_25lookback_scan_determinismE0ELb0ELb0ES3_PKS6_PS6_S6_ZZZN2at6native31launch_logcumsumexp_cuda_kernelERKNSD_10TensorBaseESH_lENKUlvE_clEvENKUlvE4_clEvEUlS6_S6_E_S6_EEDaPvRmT3_T4_T5_mT6_P12ihipStream_tbENKUlT_T0_E_clISt17integral_constantIbLb1EESX_IbLb0EEEEDaST_SU_EUlST_E0_NS1_11comp_targetILNS1_3genE4ELNS1_11target_archE910ELNS1_3gpuE8ELNS1_3repE0EEENS1_30default_config_static_selectorELNS0_4arch9wavefront6targetE1EEEvT1_ ; -- Begin function _ZN7rocprim17ROCPRIM_400000_NS6detail17trampoline_kernelINS0_14default_configENS1_20scan_config_selectorIN3c108BFloat16EEEZZNS1_9scan_implILNS1_25lookback_scan_determinismE0ELb0ELb0ES3_PKS6_PS6_S6_ZZZN2at6native31launch_logcumsumexp_cuda_kernelERKNSD_10TensorBaseESH_lENKUlvE_clEvENKUlvE4_clEvEUlS6_S6_E_S6_EEDaPvRmT3_T4_T5_mT6_P12ihipStream_tbENKUlT_T0_E_clISt17integral_constantIbLb1EESX_IbLb0EEEEDaST_SU_EUlST_E0_NS1_11comp_targetILNS1_3genE4ELNS1_11target_archE910ELNS1_3gpuE8ELNS1_3repE0EEENS1_30default_config_static_selectorELNS0_4arch9wavefront6targetE1EEEvT1_
	.p2align	8
	.type	_ZN7rocprim17ROCPRIM_400000_NS6detail17trampoline_kernelINS0_14default_configENS1_20scan_config_selectorIN3c108BFloat16EEEZZNS1_9scan_implILNS1_25lookback_scan_determinismE0ELb0ELb0ES3_PKS6_PS6_S6_ZZZN2at6native31launch_logcumsumexp_cuda_kernelERKNSD_10TensorBaseESH_lENKUlvE_clEvENKUlvE4_clEvEUlS6_S6_E_S6_EEDaPvRmT3_T4_T5_mT6_P12ihipStream_tbENKUlT_T0_E_clISt17integral_constantIbLb1EESX_IbLb0EEEEDaST_SU_EUlST_E0_NS1_11comp_targetILNS1_3genE4ELNS1_11target_archE910ELNS1_3gpuE8ELNS1_3repE0EEENS1_30default_config_static_selectorELNS0_4arch9wavefront6targetE1EEEvT1_,@function
_ZN7rocprim17ROCPRIM_400000_NS6detail17trampoline_kernelINS0_14default_configENS1_20scan_config_selectorIN3c108BFloat16EEEZZNS1_9scan_implILNS1_25lookback_scan_determinismE0ELb0ELb0ES3_PKS6_PS6_S6_ZZZN2at6native31launch_logcumsumexp_cuda_kernelERKNSD_10TensorBaseESH_lENKUlvE_clEvENKUlvE4_clEvEUlS6_S6_E_S6_EEDaPvRmT3_T4_T5_mT6_P12ihipStream_tbENKUlT_T0_E_clISt17integral_constantIbLb1EESX_IbLb0EEEEDaST_SU_EUlST_E0_NS1_11comp_targetILNS1_3genE4ELNS1_11target_archE910ELNS1_3gpuE8ELNS1_3repE0EEENS1_30default_config_static_selectorELNS0_4arch9wavefront6targetE1EEEvT1_: ; @_ZN7rocprim17ROCPRIM_400000_NS6detail17trampoline_kernelINS0_14default_configENS1_20scan_config_selectorIN3c108BFloat16EEEZZNS1_9scan_implILNS1_25lookback_scan_determinismE0ELb0ELb0ES3_PKS6_PS6_S6_ZZZN2at6native31launch_logcumsumexp_cuda_kernelERKNSD_10TensorBaseESH_lENKUlvE_clEvENKUlvE4_clEvEUlS6_S6_E_S6_EEDaPvRmT3_T4_T5_mT6_P12ihipStream_tbENKUlT_T0_E_clISt17integral_constantIbLb1EESX_IbLb0EEEEDaST_SU_EUlST_E0_NS1_11comp_targetILNS1_3genE4ELNS1_11target_archE910ELNS1_3gpuE8ELNS1_3repE0EEENS1_30default_config_static_selectorELNS0_4arch9wavefront6targetE1EEEvT1_
; %bb.0:
	s_load_dwordx4 s[52:55], s[4:5], 0x0
	v_mov_b32_e32 v1, 0
	v_lshlrev_b32_e32 v14, 1, v0
	s_waitcnt lgkmcnt(0)
	global_load_ushort v2, v1, s[52:53]
	v_cmp_gt_u32_e64 s[2:3], s54, v0
	s_waitcnt vmcnt(0)
	v_mov_b32_e32 v3, v2
	s_mov_b64 s[0:1], exec
                                        ; implicit-def: $vgpr75 : SGPR spill to VGPR lane
	v_writelane_b32 v75, s2, 0
	v_writelane_b32 v75, s3, 1
	s_and_b64 s[2:3], s[0:1], s[2:3]
	s_mov_b64 exec, s[2:3]
	s_cbranch_execz .LBB502_2
; %bb.1:
	global_load_ushort v3, v14, s[52:53]
.LBB502_2:
	s_or_b64 exec, exec, s[0:1]
	v_or_b32_e32 v1, 64, v0
	v_mov_b32_e32 v4, v2
	v_cmp_gt_u32_e64 s[2:3], s54, v1
	s_mov_b64 s[0:1], exec
	v_writelane_b32 v75, s2, 2
	v_writelane_b32 v75, s3, 3
	s_and_b64 s[2:3], s[0:1], s[2:3]
	s_mov_b64 exec, s[2:3]
	s_cbranch_execz .LBB502_4
; %bb.3:
	global_load_ushort v4, v14, s[52:53] offset:128
.LBB502_4:
	s_or_b64 exec, exec, s[0:1]
	v_or_b32_e32 v1, 0x80, v0
	v_cmp_gt_u32_e64 s[2:3], s54, v1
	v_mov_b32_e32 v5, v2
	v_writelane_b32 v75, s2, 4
	v_writelane_b32 v75, s3, 5
	s_and_saveexec_b64 s[0:1], s[2:3]
	s_cbranch_execz .LBB502_6
; %bb.5:
	global_load_ushort v5, v14, s[52:53] offset:256
.LBB502_6:
	s_or_b64 exec, exec, s[0:1]
	v_or_b32_e32 v1, 0xc0, v0
	v_cmp_gt_u32_e64 s[46:47], s54, v1
	v_mov_b32_e32 v6, v2
	s_and_saveexec_b64 s[0:1], s[46:47]
	s_cbranch_execz .LBB502_8
; %bb.7:
	global_load_ushort v6, v14, s[52:53] offset:384
.LBB502_8:
	s_or_b64 exec, exec, s[0:1]
	v_or_b32_e32 v1, 0x100, v0
	v_cmp_gt_u32_e64 s[6:7], s54, v1
	v_mov_b32_e32 v7, v2
	;; [unrolled: 9-line block ×20, first 2 shown]
	s_and_saveexec_b64 s[0:1], s[44:45]
	s_cbranch_execz .LBB502_46
; %bb.45:
	global_load_ushort v26, v14, s[52:53] offset:2816
.LBB502_46:
	s_or_b64 exec, exec, s[0:1]
	v_or_b32_e32 v1, 0x5c0, v0
	v_cmp_gt_u32_e64 s[0:1], s54, v1
	v_writelane_b32 v75, s0, 6
	v_cmp_le_u32_e64 s[48:49], s54, v1
	v_writelane_b32 v75, s1, 7
	s_and_saveexec_b64 s[0:1], s[48:49]
	s_xor_b64 s[0:1], exec, s[0:1]
; %bb.47:
	v_mov_b32_e32 v1, 0
; %bb.48:
	s_andn2_saveexec_b64 s[0:1], s[0:1]
	s_cbranch_execz .LBB502_50
; %bb.49:
	global_load_ushort v2, v14, s[52:53] offset:2944
	v_mov_b32_e32 v1, 0
.LBB502_50:
	s_or_b64 exec, exec, s[0:1]
	s_waitcnt vmcnt(0)
	ds_write_b16 v14, v3
	ds_write_b16 v14, v4 offset:128
	ds_write_b16 v14, v5 offset:256
	;; [unrolled: 1-line block ×23, first 2 shown]
	v_mad_u32_u24 v6, v0, 46, v14
	s_waitcnt lgkmcnt(0)
	; wave barrier
	s_waitcnt lgkmcnt(0)
	ds_read_b128 v[2:5], v6
	ds_read_b128 v[10:13], v6 offset:16
	ds_read_b128 v[6:9], v6 offset:32
	s_movk_i32 s33, 0x1f8
	s_waitcnt lgkmcnt(0)
	v_lshlrev_b32_e32 v50, 16, v2
	v_and_b32_e32 v15, 0xffff0000, v2
	v_max_f32_e32 v25, v15, v15
	v_max_f32_e32 v53, v50, v50
	v_min_f32_e32 v51, v53, v25
	v_cmp_u_f32_e64 s[94:95], v50, v50
	v_cndmask_b32_e64 v16, v51, v50, s[94:95]
	v_cmp_u_f32_e64 s[48:49], v15, v15
	v_max_f32_e32 v52, v53, v25
	v_cndmask_b32_e64 v17, v16, v15, s[48:49]
	v_cndmask_b32_e64 v16, v52, v50, s[94:95]
	;; [unrolled: 1-line block ×3, first 2 shown]
	v_cmp_neq_f32_e64 s[50:51], v17, v16
	v_cmp_class_f32_e64 s[0:1], v17, s33
	s_or_b64 s[50:51], s[50:51], s[0:1]
	v_mov_b32_e32 v18, v50
	; wave barrier
	s_and_saveexec_b64 s[0:1], s[50:51]
	s_cbranch_execz .LBB502_52
; %bb.51:
	v_sub_f32_e32 v17, v17, v16
	s_mov_b32 s2, 0x3fb8aa3b
	v_mul_f32_e32 v18, 0x3fb8aa3b, v17
	v_fma_f32 v19, v17, s2, -v18
	v_rndne_f32_e32 v20, v18
	v_fmac_f32_e32 v19, 0x32a5705f, v17
	v_sub_f32_e32 v18, v18, v20
	v_add_f32_e32 v18, v18, v19
	v_exp_f32_e32 v18, v18
	v_cvt_i32_f32_e32 v19, v20
	s_mov_b32 s2, 0xc2ce8ed0
	v_cmp_ngt_f32_e64 s[50:51], s2, v17
	s_mov_b32 s2, 0x42b17218
	v_ldexp_f32 v18, v18, v19
	v_cndmask_b32_e64 v18, 0, v18, s[50:51]
	v_mov_b32_e32 v19, 0x7f800000
	v_cmp_nlt_f32_e64 s[50:51], s2, v17
	v_cndmask_b32_e64 v36, v19, v18, s[50:51]
	v_add_f32_e32 v17, 1.0, v36
	v_add_f32_e32 v18, -1.0, v17
	v_sub_f32_e32 v19, v18, v17
	v_add_f32_e32 v19, 1.0, v19
	v_sub_f32_e32 v18, v36, v18
	v_add_f32_e32 v20, v18, v19
	v_frexp_mant_f32_e32 v21, v17
	s_mov_b32 s2, 0x3f2aaaab
	v_cvt_f64_f32_e32 v[18:19], v17
	v_frexp_exp_i32_f64_e32 v18, v[18:19]
	v_cmp_gt_f32_e64 s[50:51], s2, v21
	v_subbrev_co_u32_e64 v24, s[50:51], 0, v18, s[50:51]
	v_sub_u32_e32 v18, 0, v24
	v_ldexp_f32 v17, v17, v18
	v_ldexp_f32 v18, v20, v18
	v_add_f32_e32 v20, -1.0, v17
	v_add_f32_e32 v19, 1.0, v20
	v_sub_f32_e32 v19, v17, v19
	v_add_f32_e32 v21, v18, v19
	v_add_f32_e32 v19, 1.0, v17
	v_add_f32_e32 v22, -1.0, v19
	v_sub_f32_e32 v17, v17, v22
	v_add_f32_e32 v17, v18, v17
	v_add_f32_e32 v28, v19, v17
	v_rcp_f32_e32 v29, v28
	v_sub_f32_e32 v18, v19, v28
	v_add_f32_e32 v19, v20, v21
	v_add_f32_e32 v17, v17, v18
	v_mul_f32_e32 v31, v19, v29
	v_sub_f32_e32 v18, v20, v19
	v_mul_f32_e32 v20, v28, v31
	v_fma_f32 v22, v31, v28, -v20
	v_fmac_f32_e32 v22, v31, v17
	v_add_f32_e32 v30, v21, v18
	v_add_f32_e32 v18, v20, v22
	v_sub_f32_e32 v21, v19, v18
	v_pk_add_f32 v[26:27], v[18:19], v[20:21] neg_lo:[0,1] neg_hi:[0,1]
	v_mov_b32_e32 v23, v18
	v_pk_add_f32 v[18:19], v[26:27], v[22:23] neg_lo:[0,1] neg_hi:[0,1]
	v_add_f32_e32 v19, v30, v19
	v_add_f32_e32 v18, v18, v19
	;; [unrolled: 1-line block ×3, first 2 shown]
	v_mul_f32_e32 v30, v29, v19
	v_mul_f32_e32 v20, v28, v30
	v_fma_f32 v22, v30, v28, -v20
	v_fmac_f32_e32 v22, v30, v17
	v_sub_f32_e32 v17, v21, v19
	v_add_f32_e32 v17, v18, v17
	v_add_f32_e32 v18, v20, v22
	v_sub_f32_e32 v21, v19, v18
	v_pk_add_f32 v[26:27], v[18:19], v[20:21] neg_lo:[0,1] neg_hi:[0,1]
	v_mov_b32_e32 v23, v18
	v_pk_add_f32 v[18:19], v[26:27], v[22:23] neg_lo:[0,1] neg_hi:[0,1]
	v_add_f32_e32 v17, v17, v19
	v_add_f32_e32 v17, v18, v17
	;; [unrolled: 1-line block ×4, first 2 shown]
	v_sub_f32_e32 v19, v18, v31
	v_mul_f32_e32 v17, v29, v17
	v_sub_f32_e32 v19, v30, v19
	v_add_f32_e32 v17, v19, v17
	v_add_f32_e32 v21, v18, v17
	v_mul_f32_e32 v22, v21, v21
	v_mov_b32_e32 v20, 0x3ecc95a3
	v_fmac_f32_e32 v20, 0x3e9b6dac, v22
	v_mov_b32_e32 v19, 0x3f2aaada
	v_fmac_f32_e32 v19, v22, v20
	v_cvt_f32_i32_e32 v20, v24
	v_sub_f32_e32 v18, v21, v18
	v_sub_f32_e32 v17, v17, v18
	v_ldexp_f32 v23, v21, 1
	v_mul_f32_e32 v21, v21, v22
	v_mov_b32_e32 v18, 0x3f317218
	s_mov_b32 s2, 0x3f317218
	v_pk_mul_f32 v[18:19], v[20:21], v[18:19]
	v_fma_f32 v22, v20, s2, -v18
	v_fmac_f32_e32 v22, 0xb102e308, v20
	v_pk_add_f32 v[20:21], v[18:19], v[22:23]
	v_sub_f32_e32 v23, v21, v23
	v_ldexp_f32 v17, v17, 1
	v_sub_f32_e32 v23, v19, v23
	v_add_f32_e32 v27, v17, v23
	v_mov_b32_e32 v26, v18
	v_pk_add_f32 v[18:19], v[20:21], v[18:19] neg_lo:[0,1] neg_hi:[0,1]
	v_pk_add_f32 v[28:29], v[20:21], v[26:27]
	v_mov_b32_e32 v19, v29
	v_mov_b32_e32 v23, v20
	v_pk_add_f32 v[30:31], v[22:23], v[18:19] neg_lo:[0,1] neg_hi:[0,1]
	v_pk_add_f32 v[18:19], v[22:23], v[18:19]
	v_mov_b32_e32 v22, v19
	v_pk_add_f32 v[32:33], v[22:23], v[20:21] neg_lo:[0,1] neg_hi:[0,1]
	v_mov_b32_e32 v17, v32
	v_pk_add_f32 v[34:35], v[28:29], v[16:17] neg_lo:[0,1] neg_hi:[0,1]
	v_mov_b32_e32 v18, v29
	v_mov_b32_e32 v28, v21
	v_mov_b32_e32 v29, v32
	v_mov_b32_e32 v31, v19
	v_pk_add_f32 v[18:19], v[18:19], v[28:29] neg_lo:[0,1] neg_hi:[0,1]
	v_mov_b32_e32 v26, v27
	v_mov_b32_e32 v27, v20
	v_pk_add_f32 v[18:19], v[26:27], v[18:19] neg_lo:[0,1] neg_hi:[0,1]
	v_mov_b32_e32 v34, v30
	v_pk_add_f32 v[20:21], v[34:35], v[18:19]
	v_mov_b32_e32 v24, v21
	v_pk_add_f32 v[26:27], v[20:21], v[24:25]
	v_pk_add_f32 v[22:23], v[22:23], v[26:27]
	v_mov_b32_e32 v21, v22
	v_pk_add_f32 v[28:29], v[20:21], v[30:31] neg_lo:[0,1] neg_hi:[0,1]
	v_mov_b32_e32 v19, v26
	v_sub_f32_e32 v17, v20, v28
	v_pk_add_f32 v[18:19], v[18:19], v[28:29] neg_lo:[0,1] neg_hi:[0,1]
	v_sub_f32_e32 v17, v30, v17
	s_mov_b32 s3, 0x7f800000
	v_add_f32_e32 v17, v18, v17
	s_mov_b32 s2, 0x33800000
	v_add_f32_e32 v17, v17, v19
	v_cmp_eq_f32_e64 s[50:51], s3, v36
	v_cmp_lt_f32_e64 s[52:53], |v36|, s2
	v_add_f32_e32 v17, v22, v17
	s_or_b64 s[50:51], s[50:51], s[52:53]
	v_cndmask_b32_e64 v17, v17, v36, s[50:51]
	v_add_f32_e32 v18, v16, v17
.LBB502_52:
	s_or_b64 exec, exec, s[0:1]
	v_bfe_u32 v16, v18, 16, 1
	s_movk_i32 s54, 0x7fff
	v_add3_u32 v16, v18, v16, s54
	v_and_b32_e32 v16, 0xffff0000, v16
	v_mov_b32_e32 v17, 0x7fc00000
	v_cmp_o_f32_e64 s[50:51], v18, v18
	v_cndmask_b32_e64 v20, v17, v16, s[50:51]
	v_lshlrev_b32_e32 v16, 16, v3
	v_max_f32_e32 v19, v20, v20
	v_max_f32_e32 v18, v16, v16
	v_min_f32_e32 v21, v19, v18
	v_cmp_u_f32_e64 s[52:53], v20, v20
	v_max_f32_e32 v19, v19, v18
	v_cndmask_b32_e64 v21, v21, v20, s[52:53]
	v_cmp_u_f32_e64 s[50:51], v16, v16
	v_cndmask_b32_e64 v19, v19, v20, s[52:53]
	v_cndmask_b32_e64 v21, v21, v16, s[50:51]
	;; [unrolled: 1-line block ×3, first 2 shown]
	v_cmp_neq_f32_e64 s[52:53], v21, v19
	v_cmp_class_f32_e64 s[0:1], v21, s33
	s_or_b64 s[52:53], s[52:53], s[0:1]
	s_and_saveexec_b64 s[0:1], s[52:53]
	s_cbranch_execz .LBB502_54
; %bb.53:
	v_sub_f32_e32 v20, v21, v19
	s_mov_b32 s2, 0x3fb8aa3b
	v_mul_f32_e32 v21, 0x3fb8aa3b, v20
	v_fma_f32 v22, v20, s2, -v21
	v_rndne_f32_e32 v23, v21
	v_fmac_f32_e32 v22, 0x32a5705f, v20
	v_sub_f32_e32 v21, v21, v23
	v_add_f32_e32 v21, v21, v22
	v_exp_f32_e32 v21, v21
	v_cvt_i32_f32_e32 v22, v23
	s_mov_b32 s2, 0xc2ce8ed0
	v_cmp_ngt_f32_e64 s[52:53], s2, v20
	s_mov_b32 s2, 0x42b17218
	v_ldexp_f32 v21, v21, v22
	v_cndmask_b32_e64 v21, 0, v21, s[52:53]
	v_mov_b32_e32 v22, 0x7f800000
	v_cmp_nlt_f32_e64 s[52:53], s2, v20
	v_cndmask_b32_e64 v36, v22, v21, s[52:53]
	v_add_f32_e32 v22, 1.0, v36
	v_add_f32_e32 v20, -1.0, v22
	v_sub_f32_e32 v21, v20, v22
	v_add_f32_e32 v21, 1.0, v21
	v_sub_f32_e32 v20, v36, v20
	v_add_f32_e32 v23, v20, v21
	v_frexp_mant_f32_e32 v24, v22
	s_mov_b32 s2, 0x3f2aaaab
	v_cvt_f64_f32_e32 v[20:21], v22
	v_frexp_exp_i32_f64_e32 v20, v[20:21]
	v_cmp_gt_f32_e64 s[52:53], s2, v24
	v_subbrev_co_u32_e64 v24, s[52:53], 0, v20, s[52:53]
	v_sub_u32_e32 v20, 0, v24
	v_ldexp_f32 v21, v22, v20
	v_add_f32_e32 v22, -1.0, v21
	v_add_f32_e32 v26, 1.0, v21
	v_ldexp_f32 v20, v23, v20
	v_add_f32_e32 v23, 1.0, v22
	v_add_f32_e32 v27, -1.0, v26
	v_sub_f32_e32 v23, v21, v23
	v_sub_f32_e32 v21, v21, v27
	v_add_f32_e32 v23, v20, v23
	v_add_f32_e32 v20, v20, v21
	;; [unrolled: 1-line block ×3, first 2 shown]
	v_rcp_f32_e32 v32, v30
	v_sub_f32_e32 v21, v26, v30
	v_add_f32_e32 v31, v20, v21
	v_add_f32_e32 v21, v22, v23
	v_mul_f32_e32 v34, v21, v32
	v_sub_f32_e32 v20, v22, v21
	v_mul_f32_e32 v22, v30, v34
	v_fma_f32 v26, v34, v30, -v22
	v_fmac_f32_e32 v26, v34, v31
	v_add_f32_e32 v33, v23, v20
	v_add_f32_e32 v20, v22, v26
	v_sub_f32_e32 v23, v21, v20
	v_pk_add_f32 v[28:29], v[20:21], v[22:23] neg_lo:[0,1] neg_hi:[0,1]
	v_mov_b32_e32 v27, v20
	v_pk_add_f32 v[20:21], v[28:29], v[26:27] neg_lo:[0,1] neg_hi:[0,1]
	v_add_f32_e32 v21, v33, v21
	v_add_f32_e32 v20, v20, v21
	;; [unrolled: 1-line block ×3, first 2 shown]
	v_mul_f32_e32 v33, v32, v21
	v_mul_f32_e32 v22, v30, v33
	v_fma_f32 v26, v33, v30, -v22
	v_fmac_f32_e32 v26, v33, v31
	v_sub_f32_e32 v23, v23, v21
	v_add_f32_e32 v30, v20, v23
	v_add_f32_e32 v20, v22, v26
	v_sub_f32_e32 v23, v21, v20
	v_pk_add_f32 v[28:29], v[20:21], v[22:23] neg_lo:[0,1] neg_hi:[0,1]
	v_mov_b32_e32 v27, v20
	v_pk_add_f32 v[20:21], v[28:29], v[26:27] neg_lo:[0,1] neg_hi:[0,1]
	v_add_f32_e32 v21, v30, v21
	v_add_f32_e32 v20, v20, v21
	;; [unrolled: 1-line block ×4, first 2 shown]
	v_sub_f32_e32 v21, v23, v34
	v_mul_f32_e32 v20, v32, v20
	v_sub_f32_e32 v21, v33, v21
	v_add_f32_e32 v20, v21, v20
	v_add_f32_e32 v26, v23, v20
	v_mul_f32_e32 v28, v26, v26
	v_mov_b32_e32 v22, 0x3ecc95a3
	v_fmac_f32_e32 v22, 0x3e9b6dac, v28
	v_mov_b32_e32 v21, 0x3f2aaada
	v_fmac_f32_e32 v21, v28, v22
	v_cvt_f32_i32_e32 v22, v24
	v_sub_f32_e32 v23, v26, v23
	v_sub_f32_e32 v20, v20, v23
	v_ldexp_f32 v24, v20, 1
	v_mul_f32_e32 v23, v26, v28
	v_mov_b32_e32 v20, 0x3f317218
	s_mov_b32 s2, 0x3f317218
	v_pk_mul_f32 v[20:21], v[22:23], v[20:21]
	v_ldexp_f32 v27, v26, 1
	v_fma_f32 v26, v22, s2, -v20
	v_fmac_f32_e32 v26, 0xb102e308, v22
	v_pk_add_f32 v[22:23], v[20:21], v[26:27]
	v_sub_f32_e32 v27, v23, v27
	v_sub_f32_e32 v27, v21, v27
	v_add_f32_e32 v29, v24, v27
	v_mov_b32_e32 v28, v20
	v_pk_add_f32 v[20:21], v[22:23], v[20:21] neg_lo:[0,1] neg_hi:[0,1]
	v_pk_add_f32 v[30:31], v[22:23], v[28:29]
	v_mov_b32_e32 v21, v31
	v_mov_b32_e32 v27, v22
	v_pk_add_f32 v[32:33], v[26:27], v[20:21] neg_lo:[0,1] neg_hi:[0,1]
	v_pk_add_f32 v[20:21], v[26:27], v[20:21]
	v_mov_b32_e32 v24, v21
	v_pk_add_f32 v[26:27], v[24:25], v[22:23] neg_lo:[0,1] neg_hi:[0,1]
	v_mov_b32_e32 v27, v26
	v_pk_add_f32 v[34:35], v[30:31], v[26:27] neg_lo:[0,1] neg_hi:[0,1]
	v_mov_b32_e32 v20, v31
	v_mov_b32_e32 v30, v23
	;; [unrolled: 1-line block ×4, first 2 shown]
	v_pk_add_f32 v[20:21], v[20:21], v[30:31] neg_lo:[0,1] neg_hi:[0,1]
	v_mov_b32_e32 v26, v29
	v_mov_b32_e32 v27, v22
	v_pk_add_f32 v[20:21], v[26:27], v[20:21] neg_lo:[0,1] neg_hi:[0,1]
	v_mov_b32_e32 v34, v32
	v_pk_add_f32 v[22:23], v[34:35], v[20:21]
	v_mov_b32_e32 v26, v23
	v_pk_add_f32 v[26:27], v[22:23], v[26:27]
	v_pk_add_f32 v[28:29], v[24:25], v[26:27]
	v_mov_b32_e32 v23, v28
	v_pk_add_f32 v[30:31], v[22:23], v[32:33] neg_lo:[0,1] neg_hi:[0,1]
	v_mov_b32_e32 v21, v26
	v_sub_f32_e32 v22, v22, v30
	v_pk_add_f32 v[20:21], v[20:21], v[30:31] neg_lo:[0,1] neg_hi:[0,1]
	v_sub_f32_e32 v22, v32, v22
	s_mov_b32 s3, 0x7f800000
	v_add_f32_e32 v20, v20, v22
	s_mov_b32 s2, 0x33800000
	v_add_f32_e32 v20, v20, v21
	v_cmp_eq_f32_e64 s[52:53], s3, v36
	v_cmp_lt_f32_e64 s[56:57], |v36|, s2
	v_add_f32_e32 v20, v28, v20
	s_or_b64 s[52:53], s[52:53], s[56:57]
	v_cndmask_b32_e64 v20, v20, v36, s[52:53]
	v_add_f32_e32 v20, v19, v20
.LBB502_54:
	s_or_b64 exec, exec, s[0:1]
	v_bfe_u32 v19, v20, 16, 1
	v_add3_u32 v19, v20, v19, s54
	v_and_b32_e32 v19, 0xffff0000, v19
	v_cmp_o_f32_e64 s[52:53], v20, v20
	v_cndmask_b32_e64 v21, v17, v19, s[52:53]
	v_and_b32_e32 v3, 0xffff0000, v3
	v_max_f32_e32 v17, v21, v21
	v_max_f32_e32 v19, v3, v3
	v_min_f32_e32 v20, v17, v19
	v_cmp_u_f32_e64 s[54:55], v21, v21
	v_max_f32_e32 v17, v17, v19
	v_cndmask_b32_e64 v20, v20, v21, s[54:55]
	v_cmp_u_f32_e64 s[52:53], v3, v3
	v_cndmask_b32_e64 v17, v17, v21, s[54:55]
	v_cndmask_b32_e64 v20, v20, v3, s[52:53]
	;; [unrolled: 1-line block ×3, first 2 shown]
	v_cmp_neq_f32_e64 s[54:55], v20, v17
	v_cmp_class_f32_e64 s[0:1], v20, s33
	s_or_b64 s[54:55], s[54:55], s[0:1]
	s_and_saveexec_b64 s[0:1], s[54:55]
	s_cbranch_execz .LBB502_56
; %bb.55:
	v_sub_f32_e32 v20, v20, v17
	s_mov_b32 s2, 0x3fb8aa3b
	v_mul_f32_e32 v21, 0x3fb8aa3b, v20
	v_fma_f32 v22, v20, s2, -v21
	v_rndne_f32_e32 v23, v21
	v_fmac_f32_e32 v22, 0x32a5705f, v20
	v_sub_f32_e32 v21, v21, v23
	v_add_f32_e32 v21, v21, v22
	v_exp_f32_e32 v21, v21
	v_cvt_i32_f32_e32 v22, v23
	s_mov_b32 s2, 0xc2ce8ed0
	v_cmp_ngt_f32_e64 s[54:55], s2, v20
	s_mov_b32 s2, 0x42b17218
	v_ldexp_f32 v21, v21, v22
	v_cndmask_b32_e64 v21, 0, v21, s[54:55]
	v_mov_b32_e32 v22, 0x7f800000
	v_cmp_nlt_f32_e64 s[54:55], s2, v20
	v_cndmask_b32_e64 v36, v22, v21, s[54:55]
	v_add_f32_e32 v22, 1.0, v36
	v_add_f32_e32 v20, -1.0, v22
	v_sub_f32_e32 v21, v20, v22
	v_add_f32_e32 v21, 1.0, v21
	v_sub_f32_e32 v20, v36, v20
	v_add_f32_e32 v23, v20, v21
	v_frexp_mant_f32_e32 v24, v22
	s_mov_b32 s2, 0x3f2aaaab
	v_cvt_f64_f32_e32 v[20:21], v22
	v_frexp_exp_i32_f64_e32 v20, v[20:21]
	v_cmp_gt_f32_e64 s[54:55], s2, v24
	v_subbrev_co_u32_e64 v24, s[54:55], 0, v20, s[54:55]
	v_sub_u32_e32 v20, 0, v24
	v_ldexp_f32 v21, v22, v20
	v_add_f32_e32 v22, -1.0, v21
	v_add_f32_e32 v26, 1.0, v21
	v_ldexp_f32 v20, v23, v20
	v_add_f32_e32 v23, 1.0, v22
	v_add_f32_e32 v27, -1.0, v26
	v_sub_f32_e32 v23, v21, v23
	v_sub_f32_e32 v21, v21, v27
	v_add_f32_e32 v23, v20, v23
	v_add_f32_e32 v20, v20, v21
	;; [unrolled: 1-line block ×3, first 2 shown]
	v_rcp_f32_e32 v32, v30
	v_sub_f32_e32 v21, v26, v30
	v_add_f32_e32 v31, v20, v21
	v_add_f32_e32 v21, v22, v23
	v_mul_f32_e32 v34, v21, v32
	v_sub_f32_e32 v20, v22, v21
	v_mul_f32_e32 v22, v30, v34
	v_fma_f32 v26, v34, v30, -v22
	v_fmac_f32_e32 v26, v34, v31
	v_add_f32_e32 v33, v23, v20
	v_add_f32_e32 v20, v22, v26
	v_sub_f32_e32 v23, v21, v20
	v_pk_add_f32 v[28:29], v[20:21], v[22:23] neg_lo:[0,1] neg_hi:[0,1]
	v_mov_b32_e32 v27, v20
	v_pk_add_f32 v[20:21], v[28:29], v[26:27] neg_lo:[0,1] neg_hi:[0,1]
	v_add_f32_e32 v21, v33, v21
	v_add_f32_e32 v20, v20, v21
	;; [unrolled: 1-line block ×3, first 2 shown]
	v_mul_f32_e32 v33, v32, v21
	v_mul_f32_e32 v22, v30, v33
	v_fma_f32 v26, v33, v30, -v22
	v_fmac_f32_e32 v26, v33, v31
	v_sub_f32_e32 v23, v23, v21
	v_add_f32_e32 v30, v20, v23
	v_add_f32_e32 v20, v22, v26
	v_sub_f32_e32 v23, v21, v20
	v_pk_add_f32 v[28:29], v[20:21], v[22:23] neg_lo:[0,1] neg_hi:[0,1]
	v_mov_b32_e32 v27, v20
	v_pk_add_f32 v[20:21], v[28:29], v[26:27] neg_lo:[0,1] neg_hi:[0,1]
	v_add_f32_e32 v21, v30, v21
	v_add_f32_e32 v20, v20, v21
	v_add_f32_e32 v20, v23, v20
	v_add_f32_e32 v23, v34, v33
	v_sub_f32_e32 v21, v23, v34
	v_mul_f32_e32 v20, v32, v20
	v_sub_f32_e32 v21, v33, v21
	v_add_f32_e32 v20, v21, v20
	v_add_f32_e32 v26, v23, v20
	v_mul_f32_e32 v28, v26, v26
	v_mov_b32_e32 v22, 0x3ecc95a3
	v_fmac_f32_e32 v22, 0x3e9b6dac, v28
	v_mov_b32_e32 v21, 0x3f2aaada
	v_fmac_f32_e32 v21, v28, v22
	v_cvt_f32_i32_e32 v22, v24
	v_sub_f32_e32 v23, v26, v23
	v_sub_f32_e32 v20, v20, v23
	v_ldexp_f32 v24, v20, 1
	v_mul_f32_e32 v23, v26, v28
	v_mov_b32_e32 v20, 0x3f317218
	s_mov_b32 s2, 0x3f317218
	v_pk_mul_f32 v[20:21], v[22:23], v[20:21]
	v_ldexp_f32 v27, v26, 1
	v_fma_f32 v26, v22, s2, -v20
	v_fmac_f32_e32 v26, 0xb102e308, v22
	v_pk_add_f32 v[22:23], v[20:21], v[26:27]
	v_sub_f32_e32 v27, v23, v27
	v_sub_f32_e32 v27, v21, v27
	v_add_f32_e32 v29, v24, v27
	v_mov_b32_e32 v28, v20
	v_pk_add_f32 v[20:21], v[22:23], v[20:21] neg_lo:[0,1] neg_hi:[0,1]
	v_pk_add_f32 v[30:31], v[22:23], v[28:29]
	v_mov_b32_e32 v21, v31
	v_mov_b32_e32 v27, v22
	v_pk_add_f32 v[32:33], v[26:27], v[20:21] neg_lo:[0,1] neg_hi:[0,1]
	v_pk_add_f32 v[20:21], v[26:27], v[20:21]
	v_mov_b32_e32 v24, v21
	v_pk_add_f32 v[26:27], v[24:25], v[22:23] neg_lo:[0,1] neg_hi:[0,1]
	v_mov_b32_e32 v27, v26
	v_pk_add_f32 v[34:35], v[30:31], v[26:27] neg_lo:[0,1] neg_hi:[0,1]
	v_mov_b32_e32 v20, v31
	v_mov_b32_e32 v30, v23
	;; [unrolled: 1-line block ×4, first 2 shown]
	v_pk_add_f32 v[20:21], v[20:21], v[30:31] neg_lo:[0,1] neg_hi:[0,1]
	v_mov_b32_e32 v26, v29
	v_mov_b32_e32 v27, v22
	v_pk_add_f32 v[20:21], v[26:27], v[20:21] neg_lo:[0,1] neg_hi:[0,1]
	v_mov_b32_e32 v34, v32
	v_pk_add_f32 v[22:23], v[34:35], v[20:21]
	v_mov_b32_e32 v26, v23
	v_pk_add_f32 v[26:27], v[22:23], v[26:27]
	v_pk_add_f32 v[28:29], v[24:25], v[26:27]
	v_mov_b32_e32 v23, v28
	v_pk_add_f32 v[30:31], v[22:23], v[32:33] neg_lo:[0,1] neg_hi:[0,1]
	v_mov_b32_e32 v21, v26
	v_sub_f32_e32 v22, v22, v30
	v_pk_add_f32 v[20:21], v[20:21], v[30:31] neg_lo:[0,1] neg_hi:[0,1]
	v_sub_f32_e32 v22, v32, v22
	s_mov_b32 s3, 0x7f800000
	v_add_f32_e32 v20, v20, v22
	s_mov_b32 s2, 0x33800000
	v_add_f32_e32 v20, v20, v21
	v_cmp_eq_f32_e64 s[54:55], s3, v36
	v_cmp_lt_f32_e64 s[56:57], |v36|, s2
	v_add_f32_e32 v20, v28, v20
	s_or_b64 s[54:55], s[54:55], s[56:57]
	v_cndmask_b32_e64 v20, v20, v36, s[54:55]
	v_add_f32_e32 v21, v17, v20
.LBB502_56:
	s_or_b64 exec, exec, s[0:1]
	v_bfe_u32 v17, v21, 16, 1
	s_movk_i32 s58, 0x7fff
	v_add3_u32 v17, v21, v17, s58
	v_and_b32_e32 v17, 0xffff0000, v17
	v_mov_b32_e32 v20, 0x7fc00000
	v_cmp_o_f32_e64 s[54:55], v21, v21
	v_cndmask_b32_e64 v23, v20, v17, s[54:55]
	v_lshlrev_b32_e32 v17, 16, v4
	v_max_f32_e32 v22, v23, v23
	v_max_f32_e32 v21, v17, v17
	v_min_f32_e32 v24, v22, v21
	v_cmp_u_f32_e64 s[56:57], v23, v23
	v_max_f32_e32 v22, v22, v21
	v_cndmask_b32_e64 v24, v24, v23, s[56:57]
	v_cmp_u_f32_e64 s[54:55], v17, v17
	v_cndmask_b32_e64 v22, v22, v23, s[56:57]
	v_cndmask_b32_e64 v24, v24, v17, s[54:55]
	;; [unrolled: 1-line block ×3, first 2 shown]
	v_cmp_neq_f32_e64 s[56:57], v24, v22
	v_cmp_class_f32_e64 s[0:1], v24, s33
	s_or_b64 s[56:57], s[56:57], s[0:1]
	s_and_saveexec_b64 s[0:1], s[56:57]
	s_cbranch_execz .LBB502_58
; %bb.57:
	v_sub_f32_e32 v23, v24, v22
	s_mov_b32 s2, 0x3fb8aa3b
	v_mul_f32_e32 v24, 0x3fb8aa3b, v23
	v_fma_f32 v26, v23, s2, -v24
	v_rndne_f32_e32 v27, v24
	v_fmac_f32_e32 v26, 0x32a5705f, v23
	v_sub_f32_e32 v24, v24, v27
	v_add_f32_e32 v24, v24, v26
	v_exp_f32_e32 v24, v24
	v_cvt_i32_f32_e32 v26, v27
	s_mov_b32 s2, 0xc2ce8ed0
	v_cmp_ngt_f32_e64 s[56:57], s2, v23
	s_mov_b32 s2, 0x42b17218
	v_ldexp_f32 v24, v24, v26
	v_cndmask_b32_e64 v24, 0, v24, s[56:57]
	v_mov_b32_e32 v26, 0x7f800000
	v_cmp_nlt_f32_e64 s[56:57], s2, v23
	v_cndmask_b32_e64 v40, v26, v24, s[56:57]
	v_add_f32_e32 v23, 1.0, v40
	v_add_f32_e32 v24, -1.0, v23
	v_sub_f32_e32 v26, v24, v23
	v_add_f32_e32 v26, 1.0, v26
	v_sub_f32_e32 v24, v40, v24
	v_add_f32_e32 v24, v24, v26
	v_frexp_mant_f32_e32 v28, v23
	s_mov_b32 s2, 0x3f2aaaab
	v_cvt_f64_f32_e32 v[26:27], v23
	v_frexp_exp_i32_f64_e32 v26, v[26:27]
	v_cmp_gt_f32_e64 s[56:57], s2, v28
	v_subbrev_co_u32_e64 v34, s[56:57], 0, v26, s[56:57]
	v_sub_u32_e32 v26, 0, v34
	v_ldexp_f32 v23, v23, v26
	v_ldexp_f32 v24, v24, v26
	v_add_f32_e32 v26, -1.0, v23
	v_add_f32_e32 v27, 1.0, v26
	v_sub_f32_e32 v27, v23, v27
	v_add_f32_e32 v28, v24, v27
	v_add_f32_e32 v27, 1.0, v23
	v_add_f32_e32 v29, -1.0, v27
	v_sub_f32_e32 v23, v23, v29
	v_add_f32_e32 v23, v24, v23
	v_add_f32_e32 v24, v27, v23
	v_rcp_f32_e32 v35, v24
	v_sub_f32_e32 v27, v27, v24
	v_add_f32_e32 v23, v23, v27
	v_add_f32_e32 v27, v26, v28
	v_sub_f32_e32 v26, v26, v27
	v_mul_f32_e32 v37, v27, v35
	v_add_f32_e32 v36, v28, v26
	v_mul_f32_e32 v28, v24, v37
	v_fma_f32 v30, v37, v24, -v28
	v_fmac_f32_e32 v30, v37, v23
	v_add_f32_e32 v26, v28, v30
	v_sub_f32_e32 v29, v27, v26
	v_pk_add_f32 v[32:33], v[26:27], v[28:29] neg_lo:[0,1] neg_hi:[0,1]
	v_mov_b32_e32 v31, v26
	v_pk_add_f32 v[26:27], v[32:33], v[30:31] neg_lo:[0,1] neg_hi:[0,1]
	v_add_f32_e32 v27, v36, v27
	v_add_f32_e32 v26, v26, v27
	;; [unrolled: 1-line block ×3, first 2 shown]
	v_mul_f32_e32 v36, v35, v27
	v_mul_f32_e32 v28, v24, v36
	v_fma_f32 v30, v36, v24, -v28
	v_fmac_f32_e32 v30, v36, v23
	v_sub_f32_e32 v23, v29, v27
	v_add_f32_e32 v23, v26, v23
	v_add_f32_e32 v26, v28, v30
	v_sub_f32_e32 v29, v27, v26
	v_pk_add_f32 v[32:33], v[26:27], v[28:29] neg_lo:[0,1] neg_hi:[0,1]
	v_mov_b32_e32 v31, v26
	v_pk_add_f32 v[26:27], v[32:33], v[30:31] neg_lo:[0,1] neg_hi:[0,1]
	v_add_f32_e32 v23, v23, v27
	v_add_f32_e32 v23, v26, v23
	;; [unrolled: 1-line block ×4, first 2 shown]
	v_sub_f32_e32 v26, v24, v37
	v_mul_f32_e32 v23, v35, v23
	v_sub_f32_e32 v26, v36, v26
	v_add_f32_e32 v23, v26, v23
	v_add_f32_e32 v26, v24, v23
	v_mul_f32_e32 v29, v26, v26
	v_mov_b32_e32 v28, 0x3ecc95a3
	v_fmac_f32_e32 v28, 0x3e9b6dac, v29
	v_mov_b32_e32 v27, 0x3f2aaada
	v_fmac_f32_e32 v27, v29, v28
	v_cvt_f32_i32_e32 v28, v34
	v_sub_f32_e32 v24, v26, v24
	v_ldexp_f32 v31, v26, 1
	v_mul_f32_e32 v29, v26, v29
	v_mov_b32_e32 v26, 0x3f317218
	s_mov_b32 s2, 0x3f317218
	v_pk_mul_f32 v[26:27], v[28:29], v[26:27]
	v_fma_f32 v30, v28, s2, -v26
	v_fmac_f32_e32 v30, 0xb102e308, v28
	v_pk_add_f32 v[28:29], v[26:27], v[30:31]
	v_sub_f32_e32 v23, v23, v24
	v_sub_f32_e32 v24, v29, v31
	v_ldexp_f32 v23, v23, 1
	v_sub_f32_e32 v24, v27, v24
	v_add_f32_e32 v33, v23, v24
	v_mov_b32_e32 v32, v26
	v_pk_add_f32 v[26:27], v[28:29], v[26:27] neg_lo:[0,1] neg_hi:[0,1]
	v_pk_add_f32 v[34:35], v[28:29], v[32:33]
	v_mov_b32_e32 v27, v35
	v_mov_b32_e32 v31, v28
	v_pk_add_f32 v[36:37], v[30:31], v[26:27] neg_lo:[0,1] neg_hi:[0,1]
	v_pk_add_f32 v[26:27], v[30:31], v[26:27]
	v_mov_b32_e32 v24, v27
	v_pk_add_f32 v[30:31], v[24:25], v[28:29] neg_lo:[0,1] neg_hi:[0,1]
	v_mov_b32_e32 v23, v30
	v_pk_add_f32 v[38:39], v[34:35], v[22:23] neg_lo:[0,1] neg_hi:[0,1]
	v_mov_b32_e32 v26, v35
	v_mov_b32_e32 v34, v29
	;; [unrolled: 1-line block ×4, first 2 shown]
	v_pk_add_f32 v[26:27], v[26:27], v[34:35] neg_lo:[0,1] neg_hi:[0,1]
	v_mov_b32_e32 v30, v33
	v_mov_b32_e32 v31, v28
	v_pk_add_f32 v[26:27], v[30:31], v[26:27] neg_lo:[0,1] neg_hi:[0,1]
	v_mov_b32_e32 v38, v36
	v_pk_add_f32 v[28:29], v[38:39], v[26:27]
	v_mov_b32_e32 v30, v29
	v_pk_add_f32 v[30:31], v[28:29], v[30:31]
	v_pk_add_f32 v[32:33], v[24:25], v[30:31]
	v_mov_b32_e32 v29, v32
	v_pk_add_f32 v[34:35], v[28:29], v[36:37] neg_lo:[0,1] neg_hi:[0,1]
	v_mov_b32_e32 v27, v30
	v_sub_f32_e32 v23, v28, v34
	v_pk_add_f32 v[26:27], v[26:27], v[34:35] neg_lo:[0,1] neg_hi:[0,1]
	v_sub_f32_e32 v23, v36, v23
	s_mov_b32 s3, 0x7f800000
	v_add_f32_e32 v23, v26, v23
	s_mov_b32 s2, 0x33800000
	v_add_f32_e32 v23, v23, v27
	v_cmp_eq_f32_e64 s[56:57], s3, v40
	v_cmp_lt_f32_e64 s[60:61], |v40|, s2
	v_add_f32_e32 v23, v32, v23
	s_or_b64 s[56:57], s[56:57], s[60:61]
	v_cndmask_b32_e64 v23, v23, v40, s[56:57]
	v_add_f32_e32 v23, v22, v23
.LBB502_58:
	s_or_b64 exec, exec, s[0:1]
	v_bfe_u32 v22, v23, 16, 1
	v_add3_u32 v22, v23, v22, s58
	v_and_b32_e32 v22, 0xffff0000, v22
	v_cmp_o_f32_e64 s[56:57], v23, v23
	v_cndmask_b32_e64 v24, v20, v22, s[56:57]
	v_and_b32_e32 v4, 0xffff0000, v4
	v_max_f32_e32 v20, v24, v24
	v_max_f32_e32 v22, v4, v4
	v_min_f32_e32 v23, v20, v22
	v_cmp_u_f32_e64 s[58:59], v24, v24
	v_max_f32_e32 v20, v20, v22
	v_cndmask_b32_e64 v23, v23, v24, s[58:59]
	v_cmp_u_f32_e64 s[56:57], v4, v4
	v_cndmask_b32_e64 v20, v20, v24, s[58:59]
	v_cndmask_b32_e64 v23, v23, v4, s[56:57]
	;; [unrolled: 1-line block ×3, first 2 shown]
	v_cmp_neq_f32_e64 s[58:59], v23, v20
	v_cmp_class_f32_e64 s[0:1], v23, s33
	s_or_b64 s[58:59], s[58:59], s[0:1]
	s_and_saveexec_b64 s[0:1], s[58:59]
	s_cbranch_execz .LBB502_60
; %bb.59:
	v_sub_f32_e32 v23, v23, v20
	s_mov_b32 s2, 0x3fb8aa3b
	v_mul_f32_e32 v24, 0x3fb8aa3b, v23
	v_fma_f32 v26, v23, s2, -v24
	v_rndne_f32_e32 v27, v24
	v_fmac_f32_e32 v26, 0x32a5705f, v23
	v_sub_f32_e32 v24, v24, v27
	v_add_f32_e32 v24, v24, v26
	v_exp_f32_e32 v24, v24
	v_cvt_i32_f32_e32 v26, v27
	s_mov_b32 s2, 0xc2ce8ed0
	v_cmp_ngt_f32_e64 s[58:59], s2, v23
	s_mov_b32 s2, 0x42b17218
	v_ldexp_f32 v24, v24, v26
	v_cndmask_b32_e64 v24, 0, v24, s[58:59]
	v_mov_b32_e32 v26, 0x7f800000
	v_cmp_nlt_f32_e64 s[58:59], s2, v23
	v_cndmask_b32_e64 v40, v26, v24, s[58:59]
	v_add_f32_e32 v23, 1.0, v40
	v_add_f32_e32 v24, -1.0, v23
	v_sub_f32_e32 v26, v24, v23
	v_add_f32_e32 v26, 1.0, v26
	v_sub_f32_e32 v24, v40, v24
	v_add_f32_e32 v24, v24, v26
	v_frexp_mant_f32_e32 v28, v23
	s_mov_b32 s2, 0x3f2aaaab
	v_cvt_f64_f32_e32 v[26:27], v23
	v_frexp_exp_i32_f64_e32 v26, v[26:27]
	v_cmp_gt_f32_e64 s[58:59], s2, v28
	v_subbrev_co_u32_e64 v34, s[58:59], 0, v26, s[58:59]
	v_sub_u32_e32 v26, 0, v34
	v_ldexp_f32 v23, v23, v26
	v_ldexp_f32 v24, v24, v26
	v_add_f32_e32 v26, -1.0, v23
	v_add_f32_e32 v27, 1.0, v26
	v_sub_f32_e32 v27, v23, v27
	v_add_f32_e32 v28, v24, v27
	v_add_f32_e32 v27, 1.0, v23
	v_add_f32_e32 v29, -1.0, v27
	v_sub_f32_e32 v23, v23, v29
	v_add_f32_e32 v23, v24, v23
	v_add_f32_e32 v24, v27, v23
	v_rcp_f32_e32 v35, v24
	v_sub_f32_e32 v27, v27, v24
	v_add_f32_e32 v23, v23, v27
	v_add_f32_e32 v27, v26, v28
	v_sub_f32_e32 v26, v26, v27
	v_mul_f32_e32 v37, v27, v35
	v_add_f32_e32 v36, v28, v26
	v_mul_f32_e32 v28, v24, v37
	v_fma_f32 v30, v37, v24, -v28
	v_fmac_f32_e32 v30, v37, v23
	v_add_f32_e32 v26, v28, v30
	v_sub_f32_e32 v29, v27, v26
	v_pk_add_f32 v[32:33], v[26:27], v[28:29] neg_lo:[0,1] neg_hi:[0,1]
	v_mov_b32_e32 v31, v26
	v_pk_add_f32 v[26:27], v[32:33], v[30:31] neg_lo:[0,1] neg_hi:[0,1]
	v_add_f32_e32 v27, v36, v27
	v_add_f32_e32 v26, v26, v27
	;; [unrolled: 1-line block ×3, first 2 shown]
	v_mul_f32_e32 v36, v35, v27
	v_mul_f32_e32 v28, v24, v36
	v_fma_f32 v30, v36, v24, -v28
	v_fmac_f32_e32 v30, v36, v23
	v_sub_f32_e32 v23, v29, v27
	v_add_f32_e32 v23, v26, v23
	v_add_f32_e32 v26, v28, v30
	v_sub_f32_e32 v29, v27, v26
	v_pk_add_f32 v[32:33], v[26:27], v[28:29] neg_lo:[0,1] neg_hi:[0,1]
	v_mov_b32_e32 v31, v26
	v_pk_add_f32 v[26:27], v[32:33], v[30:31] neg_lo:[0,1] neg_hi:[0,1]
	v_add_f32_e32 v23, v23, v27
	v_add_f32_e32 v23, v26, v23
	;; [unrolled: 1-line block ×4, first 2 shown]
	v_sub_f32_e32 v26, v24, v37
	v_mul_f32_e32 v23, v35, v23
	v_sub_f32_e32 v26, v36, v26
	v_add_f32_e32 v23, v26, v23
	v_add_f32_e32 v26, v24, v23
	v_mul_f32_e32 v29, v26, v26
	v_mov_b32_e32 v28, 0x3ecc95a3
	v_fmac_f32_e32 v28, 0x3e9b6dac, v29
	v_mov_b32_e32 v27, 0x3f2aaada
	v_fmac_f32_e32 v27, v29, v28
	v_cvt_f32_i32_e32 v28, v34
	v_sub_f32_e32 v24, v26, v24
	v_ldexp_f32 v31, v26, 1
	v_mul_f32_e32 v29, v26, v29
	v_mov_b32_e32 v26, 0x3f317218
	s_mov_b32 s2, 0x3f317218
	v_pk_mul_f32 v[26:27], v[28:29], v[26:27]
	v_fma_f32 v30, v28, s2, -v26
	v_fmac_f32_e32 v30, 0xb102e308, v28
	v_pk_add_f32 v[28:29], v[26:27], v[30:31]
	v_sub_f32_e32 v23, v23, v24
	v_sub_f32_e32 v24, v29, v31
	v_ldexp_f32 v23, v23, 1
	v_sub_f32_e32 v24, v27, v24
	v_add_f32_e32 v33, v23, v24
	v_mov_b32_e32 v32, v26
	v_pk_add_f32 v[26:27], v[28:29], v[26:27] neg_lo:[0,1] neg_hi:[0,1]
	v_pk_add_f32 v[34:35], v[28:29], v[32:33]
	v_mov_b32_e32 v27, v35
	v_mov_b32_e32 v31, v28
	v_pk_add_f32 v[36:37], v[30:31], v[26:27] neg_lo:[0,1] neg_hi:[0,1]
	v_pk_add_f32 v[26:27], v[30:31], v[26:27]
	v_mov_b32_e32 v24, v27
	v_pk_add_f32 v[30:31], v[24:25], v[28:29] neg_lo:[0,1] neg_hi:[0,1]
	v_mov_b32_e32 v23, v30
	v_pk_add_f32 v[38:39], v[34:35], v[22:23] neg_lo:[0,1] neg_hi:[0,1]
	v_mov_b32_e32 v26, v35
	v_mov_b32_e32 v34, v29
	;; [unrolled: 1-line block ×4, first 2 shown]
	v_pk_add_f32 v[26:27], v[26:27], v[34:35] neg_lo:[0,1] neg_hi:[0,1]
	v_mov_b32_e32 v30, v33
	v_mov_b32_e32 v31, v28
	v_pk_add_f32 v[26:27], v[30:31], v[26:27] neg_lo:[0,1] neg_hi:[0,1]
	v_mov_b32_e32 v38, v36
	v_pk_add_f32 v[28:29], v[38:39], v[26:27]
	v_mov_b32_e32 v30, v29
	v_pk_add_f32 v[30:31], v[28:29], v[30:31]
	v_pk_add_f32 v[32:33], v[24:25], v[30:31]
	v_mov_b32_e32 v29, v32
	v_pk_add_f32 v[34:35], v[28:29], v[36:37] neg_lo:[0,1] neg_hi:[0,1]
	v_mov_b32_e32 v27, v30
	v_sub_f32_e32 v23, v28, v34
	v_pk_add_f32 v[26:27], v[26:27], v[34:35] neg_lo:[0,1] neg_hi:[0,1]
	v_sub_f32_e32 v23, v36, v23
	s_mov_b32 s3, 0x7f800000
	v_add_f32_e32 v23, v26, v23
	s_mov_b32 s2, 0x33800000
	v_add_f32_e32 v23, v23, v27
	v_cmp_eq_f32_e64 s[58:59], s3, v40
	v_cmp_lt_f32_e64 s[60:61], |v40|, s2
	v_add_f32_e32 v23, v32, v23
	s_or_b64 s[58:59], s[58:59], s[60:61]
	v_cndmask_b32_e64 v23, v23, v40, s[58:59]
	v_add_f32_e32 v24, v20, v23
.LBB502_60:
	s_or_b64 exec, exec, s[0:1]
	v_bfe_u32 v20, v24, 16, 1
	s_movk_i32 s62, 0x7fff
	v_add3_u32 v20, v24, v20, s62
	v_and_b32_e32 v20, 0xffff0000, v20
	v_mov_b32_e32 v23, 0x7fc00000
	v_cmp_o_f32_e64 s[58:59], v24, v24
	v_cndmask_b32_e64 v27, v23, v20, s[58:59]
	v_lshlrev_b32_e32 v20, 16, v5
	v_max_f32_e32 v26, v27, v27
	v_max_f32_e32 v24, v20, v20
	v_min_f32_e32 v28, v26, v24
	v_cmp_u_f32_e64 s[60:61], v27, v27
	v_max_f32_e32 v26, v26, v24
	v_cndmask_b32_e64 v28, v28, v27, s[60:61]
	v_cmp_u_f32_e64 s[58:59], v20, v20
	v_cndmask_b32_e64 v26, v26, v27, s[60:61]
	v_cndmask_b32_e64 v28, v28, v20, s[58:59]
	;; [unrolled: 1-line block ×3, first 2 shown]
	v_cmp_neq_f32_e64 s[60:61], v28, v26
	v_cmp_class_f32_e64 s[0:1], v28, s33
	s_or_b64 s[60:61], s[60:61], s[0:1]
	s_and_saveexec_b64 s[0:1], s[60:61]
	s_cbranch_execz .LBB502_62
; %bb.61:
	v_sub_f32_e32 v27, v28, v26
	s_mov_b32 s2, 0x3fb8aa3b
	v_mul_f32_e32 v28, 0x3fb8aa3b, v27
	v_fma_f32 v29, v27, s2, -v28
	v_rndne_f32_e32 v30, v28
	v_fmac_f32_e32 v29, 0x32a5705f, v27
	v_sub_f32_e32 v28, v28, v30
	v_add_f32_e32 v28, v28, v29
	v_exp_f32_e32 v28, v28
	v_cvt_i32_f32_e32 v29, v30
	s_mov_b32 s2, 0xc2ce8ed0
	v_cmp_ngt_f32_e64 s[60:61], s2, v27
	s_mov_b32 s2, 0x42b17218
	v_ldexp_f32 v28, v28, v29
	v_cndmask_b32_e64 v28, 0, v28, s[60:61]
	v_mov_b32_e32 v29, 0x7f800000
	v_cmp_nlt_f32_e64 s[60:61], s2, v27
	v_cndmask_b32_e64 v44, v29, v28, s[60:61]
	v_add_f32_e32 v27, 1.0, v44
	v_add_f32_e32 v28, -1.0, v27
	v_sub_f32_e32 v29, v28, v27
	v_add_f32_e32 v29, 1.0, v29
	v_sub_f32_e32 v28, v44, v28
	v_add_f32_e32 v30, v28, v29
	v_frexp_mant_f32_e32 v31, v27
	s_mov_b32 s2, 0x3f2aaaab
	v_cvt_f64_f32_e32 v[28:29], v27
	v_frexp_exp_i32_f64_e32 v28, v[28:29]
	v_cmp_gt_f32_e64 s[60:61], s2, v31
	v_subbrev_co_u32_e64 v36, s[60:61], 0, v28, s[60:61]
	v_sub_u32_e32 v28, 0, v36
	v_ldexp_f32 v27, v27, v28
	v_ldexp_f32 v28, v30, v28
	v_add_f32_e32 v30, -1.0, v27
	v_add_f32_e32 v29, 1.0, v30
	v_sub_f32_e32 v29, v27, v29
	v_add_f32_e32 v31, v28, v29
	v_add_f32_e32 v29, 1.0, v27
	v_add_f32_e32 v32, -1.0, v29
	v_sub_f32_e32 v27, v27, v32
	v_add_f32_e32 v27, v28, v27
	v_add_f32_e32 v37, v29, v27
	v_rcp_f32_e32 v38, v37
	v_sub_f32_e32 v28, v29, v37
	v_add_f32_e32 v29, v30, v31
	v_add_f32_e32 v27, v27, v28
	v_mul_f32_e32 v40, v29, v38
	v_sub_f32_e32 v28, v30, v29
	v_mul_f32_e32 v30, v37, v40
	v_fma_f32 v32, v40, v37, -v30
	v_fmac_f32_e32 v32, v40, v27
	v_add_f32_e32 v39, v31, v28
	v_add_f32_e32 v28, v30, v32
	v_sub_f32_e32 v31, v29, v28
	v_pk_add_f32 v[34:35], v[28:29], v[30:31] neg_lo:[0,1] neg_hi:[0,1]
	v_mov_b32_e32 v33, v28
	v_pk_add_f32 v[28:29], v[34:35], v[32:33] neg_lo:[0,1] neg_hi:[0,1]
	v_add_f32_e32 v29, v39, v29
	v_add_f32_e32 v28, v28, v29
	;; [unrolled: 1-line block ×3, first 2 shown]
	v_mul_f32_e32 v39, v38, v29
	v_mul_f32_e32 v30, v37, v39
	v_fma_f32 v32, v39, v37, -v30
	v_fmac_f32_e32 v32, v39, v27
	v_sub_f32_e32 v27, v31, v29
	v_add_f32_e32 v27, v28, v27
	v_add_f32_e32 v28, v30, v32
	v_sub_f32_e32 v31, v29, v28
	v_pk_add_f32 v[34:35], v[28:29], v[30:31] neg_lo:[0,1] neg_hi:[0,1]
	v_mov_b32_e32 v33, v28
	v_pk_add_f32 v[28:29], v[34:35], v[32:33] neg_lo:[0,1] neg_hi:[0,1]
	v_add_f32_e32 v27, v27, v29
	v_add_f32_e32 v27, v28, v27
	;; [unrolled: 1-line block ×4, first 2 shown]
	v_sub_f32_e32 v29, v28, v40
	v_mul_f32_e32 v27, v38, v27
	v_sub_f32_e32 v29, v39, v29
	v_add_f32_e32 v27, v29, v27
	v_add_f32_e32 v31, v28, v27
	v_mul_f32_e32 v32, v31, v31
	v_mov_b32_e32 v30, 0x3ecc95a3
	v_fmac_f32_e32 v30, 0x3e9b6dac, v32
	v_mov_b32_e32 v29, 0x3f2aaada
	v_fmac_f32_e32 v29, v32, v30
	v_cvt_f32_i32_e32 v30, v36
	v_sub_f32_e32 v28, v31, v28
	v_sub_f32_e32 v27, v27, v28
	v_ldexp_f32 v33, v31, 1
	v_mul_f32_e32 v31, v31, v32
	v_mov_b32_e32 v28, 0x3f317218
	s_mov_b32 s2, 0x3f317218
	v_pk_mul_f32 v[28:29], v[30:31], v[28:29]
	v_fma_f32 v32, v30, s2, -v28
	v_fmac_f32_e32 v32, 0xb102e308, v30
	v_pk_add_f32 v[30:31], v[28:29], v[32:33]
	v_sub_f32_e32 v33, v31, v33
	v_ldexp_f32 v27, v27, 1
	v_sub_f32_e32 v33, v29, v33
	v_add_f32_e32 v35, v27, v33
	v_mov_b32_e32 v34, v28
	v_pk_add_f32 v[28:29], v[30:31], v[28:29] neg_lo:[0,1] neg_hi:[0,1]
	v_pk_add_f32 v[36:37], v[30:31], v[34:35]
	v_mov_b32_e32 v29, v37
	v_mov_b32_e32 v33, v30
	v_pk_add_f32 v[38:39], v[32:33], v[28:29] neg_lo:[0,1] neg_hi:[0,1]
	v_pk_add_f32 v[28:29], v[32:33], v[28:29]
	v_mov_b32_e32 v32, v29
	v_pk_add_f32 v[40:41], v[32:33], v[30:31] neg_lo:[0,1] neg_hi:[0,1]
	v_mov_b32_e32 v27, v40
	v_pk_add_f32 v[42:43], v[36:37], v[26:27] neg_lo:[0,1] neg_hi:[0,1]
	v_mov_b32_e32 v28, v37
	v_mov_b32_e32 v36, v31
	;; [unrolled: 1-line block ×4, first 2 shown]
	v_pk_add_f32 v[28:29], v[28:29], v[36:37] neg_lo:[0,1] neg_hi:[0,1]
	v_mov_b32_e32 v34, v35
	v_mov_b32_e32 v35, v30
	v_pk_add_f32 v[28:29], v[34:35], v[28:29] neg_lo:[0,1] neg_hi:[0,1]
	v_mov_b32_e32 v42, v38
	v_pk_add_f32 v[30:31], v[42:43], v[28:29]
	v_mov_b32_e32 v34, v31
	v_pk_add_f32 v[34:35], v[30:31], v[34:35]
	v_pk_add_f32 v[32:33], v[32:33], v[34:35]
	v_mov_b32_e32 v31, v32
	v_pk_add_f32 v[36:37], v[30:31], v[38:39] neg_lo:[0,1] neg_hi:[0,1]
	v_mov_b32_e32 v29, v34
	v_sub_f32_e32 v27, v30, v36
	v_pk_add_f32 v[28:29], v[28:29], v[36:37] neg_lo:[0,1] neg_hi:[0,1]
	v_sub_f32_e32 v27, v38, v27
	s_mov_b32 s3, 0x7f800000
	v_add_f32_e32 v27, v28, v27
	s_mov_b32 s2, 0x33800000
	v_add_f32_e32 v27, v27, v29
	v_cmp_eq_f32_e64 s[60:61], s3, v44
	v_cmp_lt_f32_e64 s[64:65], |v44|, s2
	v_add_f32_e32 v27, v32, v27
	s_or_b64 s[60:61], s[60:61], s[64:65]
	v_cndmask_b32_e64 v27, v27, v44, s[60:61]
	v_add_f32_e32 v27, v26, v27
.LBB502_62:
	s_or_b64 exec, exec, s[0:1]
	v_bfe_u32 v26, v27, 16, 1
	v_add3_u32 v26, v27, v26, s62
	v_and_b32_e32 v26, 0xffff0000, v26
	v_cmp_o_f32_e64 s[60:61], v27, v27
	v_cndmask_b32_e64 v28, v23, v26, s[60:61]
	v_and_b32_e32 v5, 0xffff0000, v5
	v_max_f32_e32 v23, v28, v28
	v_max_f32_e32 v26, v5, v5
	v_min_f32_e32 v27, v23, v26
	v_cmp_u_f32_e64 s[62:63], v28, v28
	v_max_f32_e32 v23, v23, v26
	v_cndmask_b32_e64 v27, v27, v28, s[62:63]
	v_cmp_u_f32_e64 s[60:61], v5, v5
	v_cndmask_b32_e64 v23, v23, v28, s[62:63]
	v_cndmask_b32_e64 v27, v27, v5, s[60:61]
	;; [unrolled: 1-line block ×3, first 2 shown]
	v_cmp_neq_f32_e64 s[62:63], v27, v23
	v_cmp_class_f32_e64 s[0:1], v27, s33
	s_or_b64 s[62:63], s[62:63], s[0:1]
	s_and_saveexec_b64 s[0:1], s[62:63]
	s_cbranch_execz .LBB502_64
; %bb.63:
	v_sub_f32_e32 v27, v27, v23
	s_mov_b32 s2, 0x3fb8aa3b
	v_mul_f32_e32 v28, 0x3fb8aa3b, v27
	v_fma_f32 v29, v27, s2, -v28
	v_rndne_f32_e32 v30, v28
	v_fmac_f32_e32 v29, 0x32a5705f, v27
	v_sub_f32_e32 v28, v28, v30
	v_add_f32_e32 v28, v28, v29
	v_exp_f32_e32 v28, v28
	v_cvt_i32_f32_e32 v29, v30
	s_mov_b32 s2, 0xc2ce8ed0
	v_cmp_ngt_f32_e64 s[62:63], s2, v27
	s_mov_b32 s2, 0x42b17218
	v_ldexp_f32 v28, v28, v29
	v_cndmask_b32_e64 v28, 0, v28, s[62:63]
	v_mov_b32_e32 v29, 0x7f800000
	v_cmp_nlt_f32_e64 s[62:63], s2, v27
	v_cndmask_b32_e64 v44, v29, v28, s[62:63]
	v_add_f32_e32 v27, 1.0, v44
	v_add_f32_e32 v28, -1.0, v27
	v_sub_f32_e32 v29, v28, v27
	v_add_f32_e32 v29, 1.0, v29
	v_sub_f32_e32 v28, v44, v28
	v_add_f32_e32 v30, v28, v29
	v_frexp_mant_f32_e32 v31, v27
	s_mov_b32 s2, 0x3f2aaaab
	v_cvt_f64_f32_e32 v[28:29], v27
	v_frexp_exp_i32_f64_e32 v28, v[28:29]
	v_cmp_gt_f32_e64 s[62:63], s2, v31
	v_subbrev_co_u32_e64 v36, s[62:63], 0, v28, s[62:63]
	v_sub_u32_e32 v28, 0, v36
	v_ldexp_f32 v27, v27, v28
	v_ldexp_f32 v28, v30, v28
	v_add_f32_e32 v30, -1.0, v27
	v_add_f32_e32 v29, 1.0, v30
	v_sub_f32_e32 v29, v27, v29
	v_add_f32_e32 v31, v28, v29
	v_add_f32_e32 v29, 1.0, v27
	v_add_f32_e32 v32, -1.0, v29
	v_sub_f32_e32 v27, v27, v32
	v_add_f32_e32 v27, v28, v27
	v_add_f32_e32 v37, v29, v27
	v_rcp_f32_e32 v38, v37
	v_sub_f32_e32 v28, v29, v37
	v_add_f32_e32 v29, v30, v31
	v_add_f32_e32 v27, v27, v28
	v_mul_f32_e32 v40, v29, v38
	v_sub_f32_e32 v28, v30, v29
	v_mul_f32_e32 v30, v37, v40
	v_fma_f32 v32, v40, v37, -v30
	v_fmac_f32_e32 v32, v40, v27
	v_add_f32_e32 v39, v31, v28
	v_add_f32_e32 v28, v30, v32
	v_sub_f32_e32 v31, v29, v28
	v_pk_add_f32 v[34:35], v[28:29], v[30:31] neg_lo:[0,1] neg_hi:[0,1]
	v_mov_b32_e32 v33, v28
	v_pk_add_f32 v[28:29], v[34:35], v[32:33] neg_lo:[0,1] neg_hi:[0,1]
	v_add_f32_e32 v29, v39, v29
	v_add_f32_e32 v28, v28, v29
	;; [unrolled: 1-line block ×3, first 2 shown]
	v_mul_f32_e32 v39, v38, v29
	v_mul_f32_e32 v30, v37, v39
	v_fma_f32 v32, v39, v37, -v30
	v_fmac_f32_e32 v32, v39, v27
	v_sub_f32_e32 v27, v31, v29
	v_add_f32_e32 v27, v28, v27
	v_add_f32_e32 v28, v30, v32
	v_sub_f32_e32 v31, v29, v28
	v_pk_add_f32 v[34:35], v[28:29], v[30:31] neg_lo:[0,1] neg_hi:[0,1]
	v_mov_b32_e32 v33, v28
	v_pk_add_f32 v[28:29], v[34:35], v[32:33] neg_lo:[0,1] neg_hi:[0,1]
	v_add_f32_e32 v27, v27, v29
	v_add_f32_e32 v27, v28, v27
	;; [unrolled: 1-line block ×4, first 2 shown]
	v_sub_f32_e32 v29, v28, v40
	v_mul_f32_e32 v27, v38, v27
	v_sub_f32_e32 v29, v39, v29
	v_add_f32_e32 v27, v29, v27
	v_add_f32_e32 v31, v28, v27
	v_mul_f32_e32 v32, v31, v31
	v_mov_b32_e32 v30, 0x3ecc95a3
	v_fmac_f32_e32 v30, 0x3e9b6dac, v32
	v_mov_b32_e32 v29, 0x3f2aaada
	v_fmac_f32_e32 v29, v32, v30
	v_cvt_f32_i32_e32 v30, v36
	v_sub_f32_e32 v28, v31, v28
	v_sub_f32_e32 v27, v27, v28
	v_ldexp_f32 v33, v31, 1
	v_mul_f32_e32 v31, v31, v32
	v_mov_b32_e32 v28, 0x3f317218
	s_mov_b32 s2, 0x3f317218
	v_pk_mul_f32 v[28:29], v[30:31], v[28:29]
	v_fma_f32 v32, v30, s2, -v28
	v_fmac_f32_e32 v32, 0xb102e308, v30
	v_pk_add_f32 v[30:31], v[28:29], v[32:33]
	v_sub_f32_e32 v33, v31, v33
	v_ldexp_f32 v27, v27, 1
	v_sub_f32_e32 v33, v29, v33
	v_add_f32_e32 v35, v27, v33
	v_mov_b32_e32 v34, v28
	v_pk_add_f32 v[28:29], v[30:31], v[28:29] neg_lo:[0,1] neg_hi:[0,1]
	v_pk_add_f32 v[36:37], v[30:31], v[34:35]
	v_mov_b32_e32 v29, v37
	v_mov_b32_e32 v33, v30
	v_pk_add_f32 v[38:39], v[32:33], v[28:29] neg_lo:[0,1] neg_hi:[0,1]
	v_pk_add_f32 v[28:29], v[32:33], v[28:29]
	v_mov_b32_e32 v32, v29
	v_pk_add_f32 v[40:41], v[32:33], v[30:31] neg_lo:[0,1] neg_hi:[0,1]
	v_mov_b32_e32 v27, v40
	v_pk_add_f32 v[42:43], v[36:37], v[26:27] neg_lo:[0,1] neg_hi:[0,1]
	v_mov_b32_e32 v28, v37
	v_mov_b32_e32 v36, v31
	v_mov_b32_e32 v37, v40
	v_mov_b32_e32 v39, v29
	v_pk_add_f32 v[28:29], v[28:29], v[36:37] neg_lo:[0,1] neg_hi:[0,1]
	v_mov_b32_e32 v34, v35
	v_mov_b32_e32 v35, v30
	v_pk_add_f32 v[28:29], v[34:35], v[28:29] neg_lo:[0,1] neg_hi:[0,1]
	v_mov_b32_e32 v42, v38
	v_pk_add_f32 v[30:31], v[42:43], v[28:29]
	v_mov_b32_e32 v34, v31
	v_pk_add_f32 v[34:35], v[30:31], v[34:35]
	v_pk_add_f32 v[32:33], v[32:33], v[34:35]
	v_mov_b32_e32 v31, v32
	v_pk_add_f32 v[36:37], v[30:31], v[38:39] neg_lo:[0,1] neg_hi:[0,1]
	v_mov_b32_e32 v29, v34
	v_sub_f32_e32 v27, v30, v36
	v_pk_add_f32 v[28:29], v[28:29], v[36:37] neg_lo:[0,1] neg_hi:[0,1]
	v_sub_f32_e32 v27, v38, v27
	s_mov_b32 s3, 0x7f800000
	v_add_f32_e32 v27, v28, v27
	s_mov_b32 s2, 0x33800000
	v_add_f32_e32 v27, v27, v29
	v_cmp_eq_f32_e64 s[62:63], s3, v44
	v_cmp_lt_f32_e64 s[64:65], |v44|, s2
	v_add_f32_e32 v27, v32, v27
	s_or_b64 s[62:63], s[62:63], s[64:65]
	v_cndmask_b32_e64 v27, v27, v44, s[62:63]
	v_add_f32_e32 v28, v23, v27
.LBB502_64:
	s_or_b64 exec, exec, s[0:1]
	v_bfe_u32 v23, v28, 16, 1
	s_movk_i32 s66, 0x7fff
	v_add3_u32 v23, v28, v23, s66
	v_and_b32_e32 v23, 0xffff0000, v23
	v_mov_b32_e32 v27, 0x7fc00000
	v_cmp_o_f32_e64 s[62:63], v28, v28
	v_cndmask_b32_e64 v30, v27, v23, s[62:63]
	v_lshlrev_b32_e32 v23, 16, v10
	v_max_f32_e32 v29, v30, v30
	v_max_f32_e32 v28, v23, v23
	v_min_f32_e32 v31, v29, v28
	v_cmp_u_f32_e64 s[64:65], v30, v30
	v_max_f32_e32 v29, v29, v28
	v_cndmask_b32_e64 v31, v31, v30, s[64:65]
	v_cmp_u_f32_e64 s[62:63], v23, v23
	v_cndmask_b32_e64 v29, v29, v30, s[64:65]
	v_cndmask_b32_e64 v31, v31, v23, s[62:63]
	;; [unrolled: 1-line block ×3, first 2 shown]
	v_cmp_neq_f32_e64 s[64:65], v31, v29
	v_cmp_class_f32_e64 s[0:1], v31, s33
	s_or_b64 s[64:65], s[64:65], s[0:1]
	s_and_saveexec_b64 s[0:1], s[64:65]
	s_cbranch_execz .LBB502_66
; %bb.65:
	v_sub_f32_e32 v30, v31, v29
	s_mov_b32 s2, 0x3fb8aa3b
	v_mul_f32_e32 v31, 0x3fb8aa3b, v30
	v_fma_f32 v32, v30, s2, -v31
	v_rndne_f32_e32 v33, v31
	v_fmac_f32_e32 v32, 0x32a5705f, v30
	v_sub_f32_e32 v31, v31, v33
	v_add_f32_e32 v31, v31, v32
	v_exp_f32_e32 v31, v31
	v_cvt_i32_f32_e32 v32, v33
	s_mov_b32 s2, 0xc2ce8ed0
	v_cmp_ngt_f32_e64 s[64:65], s2, v30
	s_mov_b32 s2, 0x42b17218
	v_ldexp_f32 v31, v31, v32
	v_cndmask_b32_e64 v31, 0, v31, s[64:65]
	v_mov_b32_e32 v32, 0x7f800000
	v_cmp_nlt_f32_e64 s[64:65], s2, v30
	v_cndmask_b32_e64 v46, v32, v31, s[64:65]
	v_add_f32_e32 v32, 1.0, v46
	v_add_f32_e32 v30, -1.0, v32
	v_sub_f32_e32 v31, v30, v32
	v_add_f32_e32 v31, 1.0, v31
	v_sub_f32_e32 v30, v46, v30
	v_add_f32_e32 v33, v30, v31
	v_frexp_mant_f32_e32 v34, v32
	s_mov_b32 s2, 0x3f2aaaab
	v_cvt_f64_f32_e32 v[30:31], v32
	v_frexp_exp_i32_f64_e32 v30, v[30:31]
	v_cmp_gt_f32_e64 s[64:65], s2, v34
	v_subbrev_co_u32_e64 v38, s[64:65], 0, v30, s[64:65]
	v_sub_u32_e32 v30, 0, v38
	v_ldexp_f32 v31, v32, v30
	v_add_f32_e32 v32, -1.0, v31
	v_add_f32_e32 v34, 1.0, v31
	v_ldexp_f32 v30, v33, v30
	v_add_f32_e32 v33, 1.0, v32
	v_add_f32_e32 v35, -1.0, v34
	v_sub_f32_e32 v33, v31, v33
	v_sub_f32_e32 v31, v31, v35
	v_add_f32_e32 v33, v30, v33
	v_add_f32_e32 v30, v30, v31
	;; [unrolled: 1-line block ×3, first 2 shown]
	v_rcp_f32_e32 v41, v39
	v_sub_f32_e32 v31, v34, v39
	v_add_f32_e32 v40, v30, v31
	v_add_f32_e32 v31, v32, v33
	v_mul_f32_e32 v43, v31, v41
	v_sub_f32_e32 v30, v32, v31
	v_mul_f32_e32 v32, v39, v43
	v_fma_f32 v34, v43, v39, -v32
	v_fmac_f32_e32 v34, v43, v40
	v_add_f32_e32 v42, v33, v30
	v_add_f32_e32 v30, v32, v34
	v_sub_f32_e32 v33, v31, v30
	v_pk_add_f32 v[36:37], v[30:31], v[32:33] neg_lo:[0,1] neg_hi:[0,1]
	v_mov_b32_e32 v35, v30
	v_pk_add_f32 v[30:31], v[36:37], v[34:35] neg_lo:[0,1] neg_hi:[0,1]
	v_add_f32_e32 v31, v42, v31
	v_add_f32_e32 v30, v30, v31
	;; [unrolled: 1-line block ×3, first 2 shown]
	v_mul_f32_e32 v42, v41, v31
	v_mul_f32_e32 v32, v39, v42
	v_fma_f32 v34, v42, v39, -v32
	v_fmac_f32_e32 v34, v42, v40
	v_sub_f32_e32 v33, v33, v31
	v_add_f32_e32 v39, v30, v33
	v_add_f32_e32 v30, v32, v34
	v_sub_f32_e32 v33, v31, v30
	v_pk_add_f32 v[36:37], v[30:31], v[32:33] neg_lo:[0,1] neg_hi:[0,1]
	v_mov_b32_e32 v35, v30
	v_pk_add_f32 v[30:31], v[36:37], v[34:35] neg_lo:[0,1] neg_hi:[0,1]
	v_add_f32_e32 v31, v39, v31
	v_add_f32_e32 v30, v30, v31
	;; [unrolled: 1-line block ×4, first 2 shown]
	v_sub_f32_e32 v31, v33, v43
	v_mul_f32_e32 v30, v41, v30
	v_sub_f32_e32 v31, v42, v31
	v_add_f32_e32 v30, v31, v30
	v_add_f32_e32 v34, v33, v30
	v_mul_f32_e32 v36, v34, v34
	v_mov_b32_e32 v32, 0x3ecc95a3
	v_fmac_f32_e32 v32, 0x3e9b6dac, v36
	v_mov_b32_e32 v31, 0x3f2aaada
	v_fmac_f32_e32 v31, v36, v32
	v_cvt_f32_i32_e32 v32, v38
	v_sub_f32_e32 v33, v34, v33
	v_sub_f32_e32 v30, v30, v33
	v_ldexp_f32 v37, v30, 1
	v_mul_f32_e32 v33, v34, v36
	v_mov_b32_e32 v30, 0x3f317218
	s_mov_b32 s2, 0x3f317218
	v_pk_mul_f32 v[30:31], v[32:33], v[30:31]
	v_ldexp_f32 v35, v34, 1
	v_fma_f32 v34, v32, s2, -v30
	v_fmac_f32_e32 v34, 0xb102e308, v32
	v_pk_add_f32 v[32:33], v[30:31], v[34:35]
	v_sub_f32_e32 v35, v33, v35
	v_sub_f32_e32 v35, v31, v35
	v_add_f32_e32 v37, v37, v35
	v_mov_b32_e32 v36, v30
	v_pk_add_f32 v[30:31], v[32:33], v[30:31] neg_lo:[0,1] neg_hi:[0,1]
	v_pk_add_f32 v[38:39], v[32:33], v[36:37]
	v_mov_b32_e32 v31, v39
	v_mov_b32_e32 v35, v32
	v_pk_add_f32 v[40:41], v[34:35], v[30:31] neg_lo:[0,1] neg_hi:[0,1]
	v_pk_add_f32 v[30:31], v[34:35], v[30:31]
	v_mov_b32_e32 v34, v31
	v_pk_add_f32 v[42:43], v[34:35], v[32:33] neg_lo:[0,1] neg_hi:[0,1]
	v_mov_b32_e32 v35, v42
	v_pk_add_f32 v[44:45], v[38:39], v[34:35] neg_lo:[0,1] neg_hi:[0,1]
	v_mov_b32_e32 v30, v39
	v_mov_b32_e32 v38, v33
	v_mov_b32_e32 v39, v42
	v_mov_b32_e32 v41, v31
	v_pk_add_f32 v[30:31], v[30:31], v[38:39] neg_lo:[0,1] neg_hi:[0,1]
	v_mov_b32_e32 v36, v37
	v_mov_b32_e32 v37, v32
	v_pk_add_f32 v[30:31], v[36:37], v[30:31] neg_lo:[0,1] neg_hi:[0,1]
	v_mov_b32_e32 v44, v40
	v_pk_add_f32 v[32:33], v[44:45], v[30:31]
	v_mov_b32_e32 v36, v33
	v_pk_add_f32 v[36:37], v[32:33], v[36:37]
	v_pk_add_f32 v[34:35], v[34:35], v[36:37]
	v_mov_b32_e32 v33, v34
	v_pk_add_f32 v[38:39], v[32:33], v[40:41] neg_lo:[0,1] neg_hi:[0,1]
	v_mov_b32_e32 v31, v36
	v_sub_f32_e32 v32, v32, v38
	v_pk_add_f32 v[30:31], v[30:31], v[38:39] neg_lo:[0,1] neg_hi:[0,1]
	v_sub_f32_e32 v32, v40, v32
	s_mov_b32 s3, 0x7f800000
	v_add_f32_e32 v30, v30, v32
	s_mov_b32 s2, 0x33800000
	v_add_f32_e32 v30, v30, v31
	v_cmp_eq_f32_e64 s[64:65], s3, v46
	v_cmp_lt_f32_e64 s[68:69], |v46|, s2
	v_add_f32_e32 v30, v34, v30
	s_or_b64 s[64:65], s[64:65], s[68:69]
	v_cndmask_b32_e64 v30, v30, v46, s[64:65]
	v_add_f32_e32 v30, v29, v30
.LBB502_66:
	s_or_b64 exec, exec, s[0:1]
	v_bfe_u32 v29, v30, 16, 1
	v_add3_u32 v29, v30, v29, s66
	v_and_b32_e32 v29, 0xffff0000, v29
	v_cmp_o_f32_e64 s[64:65], v30, v30
	v_cndmask_b32_e64 v31, v27, v29, s[64:65]
	v_and_b32_e32 v10, 0xffff0000, v10
	v_max_f32_e32 v27, v31, v31
	v_max_f32_e32 v29, v10, v10
	v_min_f32_e32 v30, v27, v29
	v_cmp_u_f32_e64 s[66:67], v31, v31
	v_max_f32_e32 v27, v27, v29
	v_cndmask_b32_e64 v30, v30, v31, s[66:67]
	v_cmp_u_f32_e64 s[64:65], v10, v10
	v_cndmask_b32_e64 v27, v27, v31, s[66:67]
	v_cndmask_b32_e64 v30, v30, v10, s[64:65]
	;; [unrolled: 1-line block ×3, first 2 shown]
	v_cmp_neq_f32_e64 s[66:67], v30, v27
	v_cmp_class_f32_e64 s[0:1], v30, s33
	s_or_b64 s[66:67], s[66:67], s[0:1]
	s_and_saveexec_b64 s[0:1], s[66:67]
	s_cbranch_execz .LBB502_68
; %bb.67:
	v_sub_f32_e32 v30, v30, v27
	s_mov_b32 s2, 0x3fb8aa3b
	v_mul_f32_e32 v31, 0x3fb8aa3b, v30
	v_fma_f32 v32, v30, s2, -v31
	v_rndne_f32_e32 v33, v31
	v_fmac_f32_e32 v32, 0x32a5705f, v30
	v_sub_f32_e32 v31, v31, v33
	v_add_f32_e32 v31, v31, v32
	v_exp_f32_e32 v31, v31
	v_cvt_i32_f32_e32 v32, v33
	s_mov_b32 s2, 0xc2ce8ed0
	v_cmp_ngt_f32_e64 s[66:67], s2, v30
	s_mov_b32 s2, 0x42b17218
	v_ldexp_f32 v31, v31, v32
	v_cndmask_b32_e64 v31, 0, v31, s[66:67]
	v_mov_b32_e32 v32, 0x7f800000
	v_cmp_nlt_f32_e64 s[66:67], s2, v30
	v_cndmask_b32_e64 v46, v32, v31, s[66:67]
	v_add_f32_e32 v32, 1.0, v46
	v_add_f32_e32 v30, -1.0, v32
	v_sub_f32_e32 v31, v30, v32
	v_add_f32_e32 v31, 1.0, v31
	v_sub_f32_e32 v30, v46, v30
	v_add_f32_e32 v33, v30, v31
	v_frexp_mant_f32_e32 v34, v32
	s_mov_b32 s2, 0x3f2aaaab
	v_cvt_f64_f32_e32 v[30:31], v32
	v_frexp_exp_i32_f64_e32 v30, v[30:31]
	v_cmp_gt_f32_e64 s[66:67], s2, v34
	v_subbrev_co_u32_e64 v38, s[66:67], 0, v30, s[66:67]
	v_sub_u32_e32 v30, 0, v38
	v_ldexp_f32 v31, v32, v30
	v_add_f32_e32 v32, -1.0, v31
	v_add_f32_e32 v34, 1.0, v31
	v_ldexp_f32 v30, v33, v30
	v_add_f32_e32 v33, 1.0, v32
	v_add_f32_e32 v35, -1.0, v34
	v_sub_f32_e32 v33, v31, v33
	v_sub_f32_e32 v31, v31, v35
	v_add_f32_e32 v33, v30, v33
	v_add_f32_e32 v30, v30, v31
	;; [unrolled: 1-line block ×3, first 2 shown]
	v_rcp_f32_e32 v41, v39
	v_sub_f32_e32 v31, v34, v39
	v_add_f32_e32 v40, v30, v31
	v_add_f32_e32 v31, v32, v33
	v_mul_f32_e32 v43, v31, v41
	v_sub_f32_e32 v30, v32, v31
	v_mul_f32_e32 v32, v39, v43
	v_fma_f32 v34, v43, v39, -v32
	v_fmac_f32_e32 v34, v43, v40
	v_add_f32_e32 v42, v33, v30
	v_add_f32_e32 v30, v32, v34
	v_sub_f32_e32 v33, v31, v30
	v_pk_add_f32 v[36:37], v[30:31], v[32:33] neg_lo:[0,1] neg_hi:[0,1]
	v_mov_b32_e32 v35, v30
	v_pk_add_f32 v[30:31], v[36:37], v[34:35] neg_lo:[0,1] neg_hi:[0,1]
	v_add_f32_e32 v31, v42, v31
	v_add_f32_e32 v30, v30, v31
	;; [unrolled: 1-line block ×3, first 2 shown]
	v_mul_f32_e32 v42, v41, v31
	v_mul_f32_e32 v32, v39, v42
	v_fma_f32 v34, v42, v39, -v32
	v_fmac_f32_e32 v34, v42, v40
	v_sub_f32_e32 v33, v33, v31
	v_add_f32_e32 v39, v30, v33
	v_add_f32_e32 v30, v32, v34
	v_sub_f32_e32 v33, v31, v30
	v_pk_add_f32 v[36:37], v[30:31], v[32:33] neg_lo:[0,1] neg_hi:[0,1]
	v_mov_b32_e32 v35, v30
	v_pk_add_f32 v[30:31], v[36:37], v[34:35] neg_lo:[0,1] neg_hi:[0,1]
	v_add_f32_e32 v31, v39, v31
	v_add_f32_e32 v30, v30, v31
	;; [unrolled: 1-line block ×4, first 2 shown]
	v_sub_f32_e32 v31, v33, v43
	v_mul_f32_e32 v30, v41, v30
	v_sub_f32_e32 v31, v42, v31
	v_add_f32_e32 v30, v31, v30
	v_add_f32_e32 v34, v33, v30
	v_mul_f32_e32 v36, v34, v34
	v_mov_b32_e32 v32, 0x3ecc95a3
	v_fmac_f32_e32 v32, 0x3e9b6dac, v36
	v_mov_b32_e32 v31, 0x3f2aaada
	v_fmac_f32_e32 v31, v36, v32
	v_cvt_f32_i32_e32 v32, v38
	v_sub_f32_e32 v33, v34, v33
	v_sub_f32_e32 v30, v30, v33
	v_ldexp_f32 v37, v30, 1
	v_mul_f32_e32 v33, v34, v36
	v_mov_b32_e32 v30, 0x3f317218
	s_mov_b32 s2, 0x3f317218
	v_pk_mul_f32 v[30:31], v[32:33], v[30:31]
	v_ldexp_f32 v35, v34, 1
	v_fma_f32 v34, v32, s2, -v30
	v_fmac_f32_e32 v34, 0xb102e308, v32
	v_pk_add_f32 v[32:33], v[30:31], v[34:35]
	v_sub_f32_e32 v35, v33, v35
	v_sub_f32_e32 v35, v31, v35
	v_add_f32_e32 v37, v37, v35
	v_mov_b32_e32 v36, v30
	v_pk_add_f32 v[30:31], v[32:33], v[30:31] neg_lo:[0,1] neg_hi:[0,1]
	v_pk_add_f32 v[38:39], v[32:33], v[36:37]
	v_mov_b32_e32 v31, v39
	v_mov_b32_e32 v35, v32
	v_pk_add_f32 v[40:41], v[34:35], v[30:31] neg_lo:[0,1] neg_hi:[0,1]
	v_pk_add_f32 v[30:31], v[34:35], v[30:31]
	v_mov_b32_e32 v34, v31
	v_pk_add_f32 v[42:43], v[34:35], v[32:33] neg_lo:[0,1] neg_hi:[0,1]
	v_mov_b32_e32 v35, v42
	v_pk_add_f32 v[44:45], v[38:39], v[34:35] neg_lo:[0,1] neg_hi:[0,1]
	v_mov_b32_e32 v30, v39
	v_mov_b32_e32 v38, v33
	;; [unrolled: 1-line block ×4, first 2 shown]
	v_pk_add_f32 v[30:31], v[30:31], v[38:39] neg_lo:[0,1] neg_hi:[0,1]
	v_mov_b32_e32 v36, v37
	v_mov_b32_e32 v37, v32
	v_pk_add_f32 v[30:31], v[36:37], v[30:31] neg_lo:[0,1] neg_hi:[0,1]
	v_mov_b32_e32 v44, v40
	v_pk_add_f32 v[32:33], v[44:45], v[30:31]
	v_mov_b32_e32 v36, v33
	v_pk_add_f32 v[36:37], v[32:33], v[36:37]
	v_pk_add_f32 v[34:35], v[34:35], v[36:37]
	v_mov_b32_e32 v33, v34
	v_pk_add_f32 v[38:39], v[32:33], v[40:41] neg_lo:[0,1] neg_hi:[0,1]
	v_mov_b32_e32 v31, v36
	v_sub_f32_e32 v32, v32, v38
	v_pk_add_f32 v[30:31], v[30:31], v[38:39] neg_lo:[0,1] neg_hi:[0,1]
	v_sub_f32_e32 v32, v40, v32
	s_mov_b32 s3, 0x7f800000
	v_add_f32_e32 v30, v30, v32
	s_mov_b32 s2, 0x33800000
	v_add_f32_e32 v30, v30, v31
	v_cmp_eq_f32_e64 s[66:67], s3, v46
	v_cmp_lt_f32_e64 s[68:69], |v46|, s2
	v_add_f32_e32 v30, v34, v30
	s_or_b64 s[66:67], s[66:67], s[68:69]
	v_cndmask_b32_e64 v30, v30, v46, s[66:67]
	v_add_f32_e32 v31, v27, v30
.LBB502_68:
	s_or_b64 exec, exec, s[0:1]
	v_bfe_u32 v27, v31, 16, 1
	s_movk_i32 s70, 0x7fff
	v_add3_u32 v27, v31, v27, s70
	v_and_b32_e32 v27, 0xffff0000, v27
	v_mov_b32_e32 v30, 0x7fc00000
	v_cmp_o_f32_e64 s[66:67], v31, v31
	v_cndmask_b32_e64 v33, v30, v27, s[66:67]
	v_lshlrev_b32_e32 v27, 16, v11
	v_max_f32_e32 v32, v33, v33
	v_max_f32_e32 v31, v27, v27
	v_min_f32_e32 v34, v32, v31
	v_cmp_u_f32_e64 s[68:69], v33, v33
	v_max_f32_e32 v32, v32, v31
	v_cndmask_b32_e64 v34, v34, v33, s[68:69]
	v_cmp_u_f32_e64 s[66:67], v27, v27
	v_cndmask_b32_e64 v32, v32, v33, s[68:69]
	v_cndmask_b32_e64 v34, v34, v27, s[66:67]
	;; [unrolled: 1-line block ×3, first 2 shown]
	v_cmp_neq_f32_e64 s[68:69], v34, v32
	v_cmp_class_f32_e64 s[0:1], v34, s33
	s_or_b64 s[68:69], s[68:69], s[0:1]
	s_and_saveexec_b64 s[0:1], s[68:69]
	s_cbranch_execz .LBB502_70
; %bb.69:
	v_sub_f32_e32 v33, v34, v32
	s_mov_b32 s2, 0x3fb8aa3b
	v_mul_f32_e32 v34, 0x3fb8aa3b, v33
	v_fma_f32 v35, v33, s2, -v34
	v_rndne_f32_e32 v36, v34
	v_fmac_f32_e32 v35, 0x32a5705f, v33
	v_sub_f32_e32 v34, v34, v36
	v_add_f32_e32 v34, v34, v35
	v_exp_f32_e32 v34, v34
	v_cvt_i32_f32_e32 v35, v36
	s_mov_b32 s2, 0xc2ce8ed0
	v_cmp_ngt_f32_e64 s[68:69], s2, v33
	s_mov_b32 s2, 0x42b17218
	v_ldexp_f32 v34, v34, v35
	v_cndmask_b32_e64 v34, 0, v34, s[68:69]
	v_mov_b32_e32 v35, 0x7f800000
	v_cmp_nlt_f32_e64 s[68:69], s2, v33
	v_cndmask_b32_e64 v54, v35, v34, s[68:69]
	v_add_f32_e32 v33, 1.0, v54
	v_add_f32_e32 v34, -1.0, v33
	v_sub_f32_e32 v35, v34, v33
	v_add_f32_e32 v35, 1.0, v35
	v_sub_f32_e32 v34, v54, v34
	v_add_f32_e32 v36, v34, v35
	v_frexp_mant_f32_e32 v37, v33
	s_mov_b32 s2, 0x3f2aaaab
	v_cvt_f64_f32_e32 v[34:35], v33
	v_frexp_exp_i32_f64_e32 v34, v[34:35]
	v_cmp_gt_f32_e64 s[68:69], s2, v37
	v_subbrev_co_u32_e64 v42, s[68:69], 0, v34, s[68:69]
	v_sub_u32_e32 v34, 0, v42
	v_ldexp_f32 v33, v33, v34
	v_ldexp_f32 v34, v36, v34
	v_add_f32_e32 v36, -1.0, v33
	v_add_f32_e32 v35, 1.0, v36
	v_sub_f32_e32 v35, v33, v35
	v_add_f32_e32 v37, v34, v35
	v_add_f32_e32 v35, 1.0, v33
	v_add_f32_e32 v38, -1.0, v35
	v_sub_f32_e32 v33, v33, v38
	v_add_f32_e32 v33, v34, v33
	v_add_f32_e32 v43, v35, v33
	v_rcp_f32_e32 v44, v43
	v_sub_f32_e32 v34, v35, v43
	v_add_f32_e32 v35, v36, v37
	v_add_f32_e32 v33, v33, v34
	v_mul_f32_e32 v46, v35, v44
	v_sub_f32_e32 v34, v36, v35
	v_mul_f32_e32 v36, v43, v46
	v_fma_f32 v38, v46, v43, -v36
	v_fmac_f32_e32 v38, v46, v33
	v_add_f32_e32 v45, v37, v34
	v_add_f32_e32 v34, v36, v38
	v_sub_f32_e32 v37, v35, v34
	v_pk_add_f32 v[40:41], v[34:35], v[36:37] neg_lo:[0,1] neg_hi:[0,1]
	v_mov_b32_e32 v39, v34
	v_pk_add_f32 v[34:35], v[40:41], v[38:39] neg_lo:[0,1] neg_hi:[0,1]
	v_add_f32_e32 v35, v45, v35
	v_add_f32_e32 v34, v34, v35
	;; [unrolled: 1-line block ×3, first 2 shown]
	v_mul_f32_e32 v45, v44, v35
	v_mul_f32_e32 v36, v43, v45
	v_fma_f32 v38, v45, v43, -v36
	v_fmac_f32_e32 v38, v45, v33
	v_sub_f32_e32 v33, v37, v35
	v_add_f32_e32 v33, v34, v33
	v_add_f32_e32 v34, v36, v38
	v_sub_f32_e32 v37, v35, v34
	v_pk_add_f32 v[40:41], v[34:35], v[36:37] neg_lo:[0,1] neg_hi:[0,1]
	v_mov_b32_e32 v39, v34
	v_pk_add_f32 v[34:35], v[40:41], v[38:39] neg_lo:[0,1] neg_hi:[0,1]
	v_add_f32_e32 v33, v33, v35
	v_add_f32_e32 v33, v34, v33
	;; [unrolled: 1-line block ×4, first 2 shown]
	v_sub_f32_e32 v35, v34, v46
	v_mul_f32_e32 v33, v44, v33
	v_sub_f32_e32 v35, v45, v35
	v_add_f32_e32 v33, v35, v33
	v_add_f32_e32 v37, v34, v33
	v_mul_f32_e32 v38, v37, v37
	v_mov_b32_e32 v36, 0x3ecc95a3
	v_fmac_f32_e32 v36, 0x3e9b6dac, v38
	v_mov_b32_e32 v35, 0x3f2aaada
	v_fmac_f32_e32 v35, v38, v36
	v_cvt_f32_i32_e32 v36, v42
	v_sub_f32_e32 v34, v37, v34
	v_sub_f32_e32 v33, v33, v34
	v_ldexp_f32 v39, v37, 1
	v_mul_f32_e32 v37, v37, v38
	v_mov_b32_e32 v34, 0x3f317218
	s_mov_b32 s2, 0x3f317218
	v_pk_mul_f32 v[34:35], v[36:37], v[34:35]
	v_fma_f32 v38, v36, s2, -v34
	v_fmac_f32_e32 v38, 0xb102e308, v36
	v_pk_add_f32 v[36:37], v[34:35], v[38:39]
	v_sub_f32_e32 v39, v37, v39
	v_ldexp_f32 v33, v33, 1
	v_sub_f32_e32 v39, v35, v39
	v_add_f32_e32 v41, v33, v39
	v_mov_b32_e32 v40, v34
	v_pk_add_f32 v[34:35], v[36:37], v[34:35] neg_lo:[0,1] neg_hi:[0,1]
	v_pk_add_f32 v[42:43], v[36:37], v[40:41]
	v_mov_b32_e32 v35, v43
	v_mov_b32_e32 v39, v36
	v_pk_add_f32 v[44:45], v[38:39], v[34:35] neg_lo:[0,1] neg_hi:[0,1]
	v_pk_add_f32 v[34:35], v[38:39], v[34:35]
	v_mov_b32_e32 v38, v35
	v_pk_add_f32 v[46:47], v[38:39], v[36:37] neg_lo:[0,1] neg_hi:[0,1]
	v_mov_b32_e32 v33, v46
	v_pk_add_f32 v[48:49], v[42:43], v[32:33] neg_lo:[0,1] neg_hi:[0,1]
	v_mov_b32_e32 v34, v43
	v_mov_b32_e32 v42, v37
	;; [unrolled: 1-line block ×4, first 2 shown]
	v_pk_add_f32 v[34:35], v[34:35], v[42:43] neg_lo:[0,1] neg_hi:[0,1]
	v_mov_b32_e32 v40, v41
	v_mov_b32_e32 v41, v36
	v_pk_add_f32 v[34:35], v[40:41], v[34:35] neg_lo:[0,1] neg_hi:[0,1]
	v_mov_b32_e32 v48, v44
	v_pk_add_f32 v[36:37], v[48:49], v[34:35]
	v_mov_b32_e32 v40, v37
	v_pk_add_f32 v[40:41], v[36:37], v[40:41]
	v_pk_add_f32 v[38:39], v[38:39], v[40:41]
	v_mov_b32_e32 v37, v38
	v_pk_add_f32 v[42:43], v[36:37], v[44:45] neg_lo:[0,1] neg_hi:[0,1]
	v_mov_b32_e32 v35, v40
	v_sub_f32_e32 v33, v36, v42
	v_pk_add_f32 v[34:35], v[34:35], v[42:43] neg_lo:[0,1] neg_hi:[0,1]
	v_sub_f32_e32 v33, v44, v33
	s_mov_b32 s3, 0x7f800000
	v_add_f32_e32 v33, v34, v33
	s_mov_b32 s2, 0x33800000
	v_add_f32_e32 v33, v33, v35
	v_cmp_eq_f32_e64 s[68:69], s3, v54
	v_cmp_lt_f32_e64 s[72:73], |v54|, s2
	v_add_f32_e32 v33, v38, v33
	s_or_b64 s[68:69], s[68:69], s[72:73]
	v_cndmask_b32_e64 v33, v33, v54, s[68:69]
	v_add_f32_e32 v33, v32, v33
.LBB502_70:
	s_or_b64 exec, exec, s[0:1]
	v_bfe_u32 v32, v33, 16, 1
	v_add3_u32 v32, v33, v32, s70
	v_and_b32_e32 v32, 0xffff0000, v32
	v_cmp_o_f32_e64 s[68:69], v33, v33
	v_cndmask_b32_e64 v34, v30, v32, s[68:69]
	v_and_b32_e32 v11, 0xffff0000, v11
	v_max_f32_e32 v30, v34, v34
	v_max_f32_e32 v32, v11, v11
	v_min_f32_e32 v33, v30, v32
	v_cmp_u_f32_e64 s[70:71], v34, v34
	v_max_f32_e32 v30, v30, v32
	v_cndmask_b32_e64 v33, v33, v34, s[70:71]
	v_cmp_u_f32_e64 s[68:69], v11, v11
	v_cndmask_b32_e64 v30, v30, v34, s[70:71]
	v_cndmask_b32_e64 v33, v33, v11, s[68:69]
	;; [unrolled: 1-line block ×3, first 2 shown]
	v_cmp_neq_f32_e64 s[70:71], v33, v30
	v_cmp_class_f32_e64 s[0:1], v33, s33
	s_or_b64 s[70:71], s[70:71], s[0:1]
	s_and_saveexec_b64 s[0:1], s[70:71]
	s_cbranch_execz .LBB502_72
; %bb.71:
	v_sub_f32_e32 v33, v33, v30
	s_mov_b32 s2, 0x3fb8aa3b
	v_mul_f32_e32 v34, 0x3fb8aa3b, v33
	v_fma_f32 v35, v33, s2, -v34
	v_rndne_f32_e32 v36, v34
	v_fmac_f32_e32 v35, 0x32a5705f, v33
	v_sub_f32_e32 v34, v34, v36
	v_add_f32_e32 v34, v34, v35
	v_exp_f32_e32 v34, v34
	v_cvt_i32_f32_e32 v35, v36
	s_mov_b32 s2, 0xc2ce8ed0
	v_cmp_ngt_f32_e64 s[70:71], s2, v33
	s_mov_b32 s2, 0x42b17218
	v_ldexp_f32 v34, v34, v35
	v_cndmask_b32_e64 v34, 0, v34, s[70:71]
	v_mov_b32_e32 v35, 0x7f800000
	v_cmp_nlt_f32_e64 s[70:71], s2, v33
	v_cndmask_b32_e64 v54, v35, v34, s[70:71]
	v_add_f32_e32 v33, 1.0, v54
	v_add_f32_e32 v34, -1.0, v33
	v_sub_f32_e32 v35, v34, v33
	v_add_f32_e32 v35, 1.0, v35
	v_sub_f32_e32 v34, v54, v34
	v_add_f32_e32 v36, v34, v35
	v_frexp_mant_f32_e32 v37, v33
	s_mov_b32 s2, 0x3f2aaaab
	v_cvt_f64_f32_e32 v[34:35], v33
	v_frexp_exp_i32_f64_e32 v34, v[34:35]
	v_cmp_gt_f32_e64 s[70:71], s2, v37
	v_subbrev_co_u32_e64 v42, s[70:71], 0, v34, s[70:71]
	v_sub_u32_e32 v34, 0, v42
	v_ldexp_f32 v33, v33, v34
	v_ldexp_f32 v34, v36, v34
	v_add_f32_e32 v36, -1.0, v33
	v_add_f32_e32 v35, 1.0, v36
	v_sub_f32_e32 v35, v33, v35
	v_add_f32_e32 v37, v34, v35
	v_add_f32_e32 v35, 1.0, v33
	v_add_f32_e32 v38, -1.0, v35
	v_sub_f32_e32 v33, v33, v38
	v_add_f32_e32 v33, v34, v33
	v_add_f32_e32 v43, v35, v33
	v_rcp_f32_e32 v44, v43
	v_sub_f32_e32 v34, v35, v43
	v_add_f32_e32 v35, v36, v37
	v_add_f32_e32 v33, v33, v34
	v_mul_f32_e32 v46, v35, v44
	v_sub_f32_e32 v34, v36, v35
	v_mul_f32_e32 v36, v43, v46
	v_fma_f32 v38, v46, v43, -v36
	v_fmac_f32_e32 v38, v46, v33
	v_add_f32_e32 v45, v37, v34
	v_add_f32_e32 v34, v36, v38
	v_sub_f32_e32 v37, v35, v34
	v_pk_add_f32 v[40:41], v[34:35], v[36:37] neg_lo:[0,1] neg_hi:[0,1]
	v_mov_b32_e32 v39, v34
	v_pk_add_f32 v[34:35], v[40:41], v[38:39] neg_lo:[0,1] neg_hi:[0,1]
	v_add_f32_e32 v35, v45, v35
	v_add_f32_e32 v34, v34, v35
	;; [unrolled: 1-line block ×3, first 2 shown]
	v_mul_f32_e32 v45, v44, v35
	v_mul_f32_e32 v36, v43, v45
	v_fma_f32 v38, v45, v43, -v36
	v_fmac_f32_e32 v38, v45, v33
	v_sub_f32_e32 v33, v37, v35
	v_add_f32_e32 v33, v34, v33
	v_add_f32_e32 v34, v36, v38
	v_sub_f32_e32 v37, v35, v34
	v_pk_add_f32 v[40:41], v[34:35], v[36:37] neg_lo:[0,1] neg_hi:[0,1]
	v_mov_b32_e32 v39, v34
	v_pk_add_f32 v[34:35], v[40:41], v[38:39] neg_lo:[0,1] neg_hi:[0,1]
	v_add_f32_e32 v33, v33, v35
	v_add_f32_e32 v33, v34, v33
	;; [unrolled: 1-line block ×4, first 2 shown]
	v_sub_f32_e32 v35, v34, v46
	v_mul_f32_e32 v33, v44, v33
	v_sub_f32_e32 v35, v45, v35
	v_add_f32_e32 v33, v35, v33
	v_add_f32_e32 v37, v34, v33
	v_mul_f32_e32 v38, v37, v37
	v_mov_b32_e32 v36, 0x3ecc95a3
	v_fmac_f32_e32 v36, 0x3e9b6dac, v38
	v_mov_b32_e32 v35, 0x3f2aaada
	v_fmac_f32_e32 v35, v38, v36
	v_cvt_f32_i32_e32 v36, v42
	v_sub_f32_e32 v34, v37, v34
	v_sub_f32_e32 v33, v33, v34
	v_ldexp_f32 v39, v37, 1
	v_mul_f32_e32 v37, v37, v38
	v_mov_b32_e32 v34, 0x3f317218
	s_mov_b32 s2, 0x3f317218
	v_pk_mul_f32 v[34:35], v[36:37], v[34:35]
	v_fma_f32 v38, v36, s2, -v34
	v_fmac_f32_e32 v38, 0xb102e308, v36
	v_pk_add_f32 v[36:37], v[34:35], v[38:39]
	v_sub_f32_e32 v39, v37, v39
	v_ldexp_f32 v33, v33, 1
	v_sub_f32_e32 v39, v35, v39
	v_add_f32_e32 v41, v33, v39
	v_mov_b32_e32 v40, v34
	v_pk_add_f32 v[34:35], v[36:37], v[34:35] neg_lo:[0,1] neg_hi:[0,1]
	v_pk_add_f32 v[42:43], v[36:37], v[40:41]
	v_mov_b32_e32 v35, v43
	v_mov_b32_e32 v39, v36
	v_pk_add_f32 v[44:45], v[38:39], v[34:35] neg_lo:[0,1] neg_hi:[0,1]
	v_pk_add_f32 v[34:35], v[38:39], v[34:35]
	v_mov_b32_e32 v38, v35
	v_pk_add_f32 v[46:47], v[38:39], v[36:37] neg_lo:[0,1] neg_hi:[0,1]
	v_mov_b32_e32 v33, v46
	v_pk_add_f32 v[48:49], v[42:43], v[32:33] neg_lo:[0,1] neg_hi:[0,1]
	v_mov_b32_e32 v34, v43
	v_mov_b32_e32 v42, v37
	;; [unrolled: 1-line block ×4, first 2 shown]
	v_pk_add_f32 v[34:35], v[34:35], v[42:43] neg_lo:[0,1] neg_hi:[0,1]
	v_mov_b32_e32 v40, v41
	v_mov_b32_e32 v41, v36
	v_pk_add_f32 v[34:35], v[40:41], v[34:35] neg_lo:[0,1] neg_hi:[0,1]
	v_mov_b32_e32 v48, v44
	v_pk_add_f32 v[36:37], v[48:49], v[34:35]
	v_mov_b32_e32 v40, v37
	v_pk_add_f32 v[40:41], v[36:37], v[40:41]
	v_pk_add_f32 v[38:39], v[38:39], v[40:41]
	v_mov_b32_e32 v37, v38
	v_pk_add_f32 v[42:43], v[36:37], v[44:45] neg_lo:[0,1] neg_hi:[0,1]
	v_mov_b32_e32 v35, v40
	v_sub_f32_e32 v33, v36, v42
	v_pk_add_f32 v[34:35], v[34:35], v[42:43] neg_lo:[0,1] neg_hi:[0,1]
	v_sub_f32_e32 v33, v44, v33
	s_mov_b32 s3, 0x7f800000
	v_add_f32_e32 v33, v34, v33
	s_mov_b32 s2, 0x33800000
	v_add_f32_e32 v33, v33, v35
	v_cmp_eq_f32_e64 s[70:71], s3, v54
	v_cmp_lt_f32_e64 s[72:73], |v54|, s2
	v_add_f32_e32 v33, v38, v33
	s_or_b64 s[70:71], s[70:71], s[72:73]
	v_cndmask_b32_e64 v33, v33, v54, s[70:71]
	v_add_f32_e32 v34, v30, v33
.LBB502_72:
	s_or_b64 exec, exec, s[0:1]
	v_bfe_u32 v30, v34, 16, 1
	s_movk_i32 s74, 0x7fff
	v_add3_u32 v30, v34, v30, s74
	v_and_b32_e32 v30, 0xffff0000, v30
	v_mov_b32_e32 v33, 0x7fc00000
	v_cmp_o_f32_e64 s[70:71], v34, v34
	v_cndmask_b32_e64 v36, v33, v30, s[70:71]
	v_lshlrev_b32_e32 v30, 16, v12
	v_max_f32_e32 v35, v36, v36
	v_max_f32_e32 v34, v30, v30
	v_min_f32_e32 v37, v35, v34
	v_cmp_u_f32_e64 s[72:73], v36, v36
	v_max_f32_e32 v35, v35, v34
	v_cndmask_b32_e64 v37, v37, v36, s[72:73]
	v_cmp_u_f32_e64 s[70:71], v30, v30
	v_cndmask_b32_e64 v35, v35, v36, s[72:73]
	v_cndmask_b32_e64 v37, v37, v30, s[70:71]
	;; [unrolled: 1-line block ×3, first 2 shown]
	v_cmp_neq_f32_e64 s[72:73], v37, v35
	v_cmp_class_f32_e64 s[0:1], v37, s33
	s_or_b64 s[72:73], s[72:73], s[0:1]
	s_and_saveexec_b64 s[0:1], s[72:73]
	s_cbranch_execz .LBB502_74
; %bb.73:
	v_sub_f32_e32 v36, v37, v35
	s_mov_b32 s2, 0x3fb8aa3b
	v_mul_f32_e32 v37, 0x3fb8aa3b, v36
	v_fma_f32 v38, v36, s2, -v37
	v_rndne_f32_e32 v39, v37
	v_fmac_f32_e32 v38, 0x32a5705f, v36
	v_sub_f32_e32 v37, v37, v39
	v_add_f32_e32 v37, v37, v38
	v_exp_f32_e32 v37, v37
	v_cvt_i32_f32_e32 v38, v39
	s_mov_b32 s2, 0xc2ce8ed0
	v_cmp_ngt_f32_e64 s[72:73], s2, v36
	s_mov_b32 s2, 0x42b17218
	v_ldexp_f32 v37, v37, v38
	v_cndmask_b32_e64 v37, 0, v37, s[72:73]
	v_mov_b32_e32 v38, 0x7f800000
	v_cmp_nlt_f32_e64 s[72:73], s2, v36
	v_cndmask_b32_e64 v56, v38, v37, s[72:73]
	v_add_f32_e32 v38, 1.0, v56
	v_add_f32_e32 v36, -1.0, v38
	v_sub_f32_e32 v37, v36, v38
	v_add_f32_e32 v37, 1.0, v37
	v_sub_f32_e32 v36, v56, v36
	v_add_f32_e32 v39, v36, v37
	v_frexp_mant_f32_e32 v40, v38
	s_mov_b32 s2, 0x3f2aaaab
	v_cvt_f64_f32_e32 v[36:37], v38
	v_frexp_exp_i32_f64_e32 v36, v[36:37]
	v_cmp_gt_f32_e64 s[72:73], s2, v40
	v_subbrev_co_u32_e64 v44, s[72:73], 0, v36, s[72:73]
	v_sub_u32_e32 v36, 0, v44
	v_ldexp_f32 v37, v38, v36
	v_add_f32_e32 v38, -1.0, v37
	v_add_f32_e32 v40, 1.0, v37
	v_ldexp_f32 v36, v39, v36
	v_add_f32_e32 v39, 1.0, v38
	v_add_f32_e32 v41, -1.0, v40
	v_sub_f32_e32 v39, v37, v39
	v_sub_f32_e32 v37, v37, v41
	v_add_f32_e32 v39, v36, v39
	v_add_f32_e32 v36, v36, v37
	;; [unrolled: 1-line block ×3, first 2 shown]
	v_rcp_f32_e32 v47, v45
	v_sub_f32_e32 v37, v40, v45
	v_add_f32_e32 v46, v36, v37
	v_add_f32_e32 v37, v38, v39
	v_mul_f32_e32 v49, v37, v47
	v_sub_f32_e32 v36, v38, v37
	v_mul_f32_e32 v38, v45, v49
	v_fma_f32 v40, v49, v45, -v38
	v_fmac_f32_e32 v40, v49, v46
	v_add_f32_e32 v48, v39, v36
	v_add_f32_e32 v36, v38, v40
	v_sub_f32_e32 v39, v37, v36
	v_pk_add_f32 v[42:43], v[36:37], v[38:39] neg_lo:[0,1] neg_hi:[0,1]
	v_mov_b32_e32 v41, v36
	v_pk_add_f32 v[36:37], v[42:43], v[40:41] neg_lo:[0,1] neg_hi:[0,1]
	v_add_f32_e32 v37, v48, v37
	v_add_f32_e32 v36, v36, v37
	;; [unrolled: 1-line block ×3, first 2 shown]
	v_mul_f32_e32 v48, v47, v37
	v_mul_f32_e32 v38, v45, v48
	v_fma_f32 v40, v48, v45, -v38
	v_fmac_f32_e32 v40, v48, v46
	v_sub_f32_e32 v39, v39, v37
	v_add_f32_e32 v45, v36, v39
	v_add_f32_e32 v36, v38, v40
	v_sub_f32_e32 v39, v37, v36
	v_pk_add_f32 v[42:43], v[36:37], v[38:39] neg_lo:[0,1] neg_hi:[0,1]
	v_mov_b32_e32 v41, v36
	v_pk_add_f32 v[36:37], v[42:43], v[40:41] neg_lo:[0,1] neg_hi:[0,1]
	v_add_f32_e32 v37, v45, v37
	v_add_f32_e32 v36, v36, v37
	;; [unrolled: 1-line block ×4, first 2 shown]
	v_sub_f32_e32 v37, v39, v49
	v_mul_f32_e32 v36, v47, v36
	v_sub_f32_e32 v37, v48, v37
	v_add_f32_e32 v36, v37, v36
	v_add_f32_e32 v40, v39, v36
	v_mul_f32_e32 v42, v40, v40
	v_mov_b32_e32 v38, 0x3ecc95a3
	v_fmac_f32_e32 v38, 0x3e9b6dac, v42
	v_mov_b32_e32 v37, 0x3f2aaada
	v_fmac_f32_e32 v37, v42, v38
	v_cvt_f32_i32_e32 v38, v44
	v_sub_f32_e32 v39, v40, v39
	v_sub_f32_e32 v36, v36, v39
	v_ldexp_f32 v43, v36, 1
	v_mul_f32_e32 v39, v40, v42
	v_mov_b32_e32 v36, 0x3f317218
	s_mov_b32 s2, 0x3f317218
	v_pk_mul_f32 v[36:37], v[38:39], v[36:37]
	v_ldexp_f32 v41, v40, 1
	v_fma_f32 v40, v38, s2, -v36
	v_fmac_f32_e32 v40, 0xb102e308, v38
	v_pk_add_f32 v[38:39], v[36:37], v[40:41]
	v_sub_f32_e32 v41, v39, v41
	v_sub_f32_e32 v41, v37, v41
	v_add_f32_e32 v43, v43, v41
	v_mov_b32_e32 v42, v36
	v_pk_add_f32 v[36:37], v[38:39], v[36:37] neg_lo:[0,1] neg_hi:[0,1]
	v_pk_add_f32 v[44:45], v[38:39], v[42:43]
	v_mov_b32_e32 v37, v45
	v_mov_b32_e32 v41, v38
	v_pk_add_f32 v[46:47], v[40:41], v[36:37] neg_lo:[0,1] neg_hi:[0,1]
	v_pk_add_f32 v[36:37], v[40:41], v[36:37]
	v_mov_b32_e32 v40, v37
	v_pk_add_f32 v[48:49], v[40:41], v[38:39] neg_lo:[0,1] neg_hi:[0,1]
	v_mov_b32_e32 v41, v48
	v_pk_add_f32 v[54:55], v[44:45], v[40:41] neg_lo:[0,1] neg_hi:[0,1]
	v_mov_b32_e32 v36, v45
	v_mov_b32_e32 v44, v39
	;; [unrolled: 1-line block ×4, first 2 shown]
	v_pk_add_f32 v[36:37], v[36:37], v[44:45] neg_lo:[0,1] neg_hi:[0,1]
	v_mov_b32_e32 v42, v43
	v_mov_b32_e32 v43, v38
	v_pk_add_f32 v[36:37], v[42:43], v[36:37] neg_lo:[0,1] neg_hi:[0,1]
	v_mov_b32_e32 v54, v46
	v_pk_add_f32 v[38:39], v[54:55], v[36:37]
	v_mov_b32_e32 v42, v39
	v_pk_add_f32 v[42:43], v[38:39], v[42:43]
	v_pk_add_f32 v[40:41], v[40:41], v[42:43]
	v_mov_b32_e32 v39, v40
	v_pk_add_f32 v[44:45], v[38:39], v[46:47] neg_lo:[0,1] neg_hi:[0,1]
	v_mov_b32_e32 v37, v42
	v_sub_f32_e32 v38, v38, v44
	v_pk_add_f32 v[36:37], v[36:37], v[44:45] neg_lo:[0,1] neg_hi:[0,1]
	v_sub_f32_e32 v38, v46, v38
	s_mov_b32 s3, 0x7f800000
	v_add_f32_e32 v36, v36, v38
	s_mov_b32 s2, 0x33800000
	v_add_f32_e32 v36, v36, v37
	v_cmp_eq_f32_e64 s[72:73], s3, v56
	v_cmp_lt_f32_e64 s[76:77], |v56|, s2
	v_add_f32_e32 v36, v40, v36
	s_or_b64 s[72:73], s[72:73], s[76:77]
	v_cndmask_b32_e64 v36, v36, v56, s[72:73]
	v_add_f32_e32 v36, v35, v36
.LBB502_74:
	s_or_b64 exec, exec, s[0:1]
	v_bfe_u32 v35, v36, 16, 1
	v_add3_u32 v35, v36, v35, s74
	v_and_b32_e32 v35, 0xffff0000, v35
	v_cmp_o_f32_e64 s[72:73], v36, v36
	v_cndmask_b32_e64 v37, v33, v35, s[72:73]
	v_and_b32_e32 v12, 0xffff0000, v12
	v_max_f32_e32 v33, v37, v37
	v_max_f32_e32 v35, v12, v12
	v_min_f32_e32 v36, v33, v35
	v_cmp_u_f32_e64 s[74:75], v37, v37
	v_max_f32_e32 v33, v33, v35
	v_cndmask_b32_e64 v36, v36, v37, s[74:75]
	v_cmp_u_f32_e64 s[72:73], v12, v12
	v_cndmask_b32_e64 v33, v33, v37, s[74:75]
	v_cndmask_b32_e64 v36, v36, v12, s[72:73]
	;; [unrolled: 1-line block ×3, first 2 shown]
	v_cmp_neq_f32_e64 s[74:75], v36, v33
	v_cmp_class_f32_e64 s[0:1], v36, s33
	s_or_b64 s[74:75], s[74:75], s[0:1]
	s_and_saveexec_b64 s[0:1], s[74:75]
	s_cbranch_execz .LBB502_76
; %bb.75:
	v_sub_f32_e32 v36, v36, v33
	s_mov_b32 s2, 0x3fb8aa3b
	v_mul_f32_e32 v37, 0x3fb8aa3b, v36
	v_fma_f32 v38, v36, s2, -v37
	v_rndne_f32_e32 v39, v37
	v_fmac_f32_e32 v38, 0x32a5705f, v36
	v_sub_f32_e32 v37, v37, v39
	v_add_f32_e32 v37, v37, v38
	v_exp_f32_e32 v37, v37
	v_cvt_i32_f32_e32 v38, v39
	s_mov_b32 s2, 0xc2ce8ed0
	v_cmp_ngt_f32_e64 s[74:75], s2, v36
	s_mov_b32 s2, 0x42b17218
	v_ldexp_f32 v37, v37, v38
	v_cndmask_b32_e64 v37, 0, v37, s[74:75]
	v_mov_b32_e32 v38, 0x7f800000
	v_cmp_nlt_f32_e64 s[74:75], s2, v36
	v_cndmask_b32_e64 v56, v38, v37, s[74:75]
	v_add_f32_e32 v38, 1.0, v56
	v_add_f32_e32 v36, -1.0, v38
	v_sub_f32_e32 v37, v36, v38
	v_add_f32_e32 v37, 1.0, v37
	v_sub_f32_e32 v36, v56, v36
	v_add_f32_e32 v39, v36, v37
	v_frexp_mant_f32_e32 v40, v38
	s_mov_b32 s2, 0x3f2aaaab
	v_cvt_f64_f32_e32 v[36:37], v38
	v_frexp_exp_i32_f64_e32 v36, v[36:37]
	v_cmp_gt_f32_e64 s[74:75], s2, v40
	v_subbrev_co_u32_e64 v44, s[74:75], 0, v36, s[74:75]
	v_sub_u32_e32 v36, 0, v44
	v_ldexp_f32 v37, v38, v36
	v_add_f32_e32 v38, -1.0, v37
	v_add_f32_e32 v40, 1.0, v37
	v_ldexp_f32 v36, v39, v36
	v_add_f32_e32 v39, 1.0, v38
	v_add_f32_e32 v41, -1.0, v40
	v_sub_f32_e32 v39, v37, v39
	v_sub_f32_e32 v37, v37, v41
	v_add_f32_e32 v39, v36, v39
	v_add_f32_e32 v36, v36, v37
	;; [unrolled: 1-line block ×3, first 2 shown]
	v_rcp_f32_e32 v47, v45
	v_sub_f32_e32 v37, v40, v45
	v_add_f32_e32 v46, v36, v37
	v_add_f32_e32 v37, v38, v39
	v_mul_f32_e32 v49, v37, v47
	v_sub_f32_e32 v36, v38, v37
	v_mul_f32_e32 v38, v45, v49
	v_fma_f32 v40, v49, v45, -v38
	v_fmac_f32_e32 v40, v49, v46
	v_add_f32_e32 v48, v39, v36
	v_add_f32_e32 v36, v38, v40
	v_sub_f32_e32 v39, v37, v36
	v_pk_add_f32 v[42:43], v[36:37], v[38:39] neg_lo:[0,1] neg_hi:[0,1]
	v_mov_b32_e32 v41, v36
	v_pk_add_f32 v[36:37], v[42:43], v[40:41] neg_lo:[0,1] neg_hi:[0,1]
	v_add_f32_e32 v37, v48, v37
	v_add_f32_e32 v36, v36, v37
	;; [unrolled: 1-line block ×3, first 2 shown]
	v_mul_f32_e32 v48, v47, v37
	v_mul_f32_e32 v38, v45, v48
	v_fma_f32 v40, v48, v45, -v38
	v_fmac_f32_e32 v40, v48, v46
	v_sub_f32_e32 v39, v39, v37
	v_add_f32_e32 v45, v36, v39
	v_add_f32_e32 v36, v38, v40
	v_sub_f32_e32 v39, v37, v36
	v_pk_add_f32 v[42:43], v[36:37], v[38:39] neg_lo:[0,1] neg_hi:[0,1]
	v_mov_b32_e32 v41, v36
	v_pk_add_f32 v[36:37], v[42:43], v[40:41] neg_lo:[0,1] neg_hi:[0,1]
	v_add_f32_e32 v37, v45, v37
	v_add_f32_e32 v36, v36, v37
	;; [unrolled: 1-line block ×4, first 2 shown]
	v_sub_f32_e32 v37, v39, v49
	v_mul_f32_e32 v36, v47, v36
	v_sub_f32_e32 v37, v48, v37
	v_add_f32_e32 v36, v37, v36
	v_add_f32_e32 v40, v39, v36
	v_mul_f32_e32 v42, v40, v40
	v_mov_b32_e32 v38, 0x3ecc95a3
	v_fmac_f32_e32 v38, 0x3e9b6dac, v42
	v_mov_b32_e32 v37, 0x3f2aaada
	v_fmac_f32_e32 v37, v42, v38
	v_cvt_f32_i32_e32 v38, v44
	v_sub_f32_e32 v39, v40, v39
	v_sub_f32_e32 v36, v36, v39
	v_ldexp_f32 v43, v36, 1
	v_mul_f32_e32 v39, v40, v42
	v_mov_b32_e32 v36, 0x3f317218
	s_mov_b32 s2, 0x3f317218
	v_pk_mul_f32 v[36:37], v[38:39], v[36:37]
	v_ldexp_f32 v41, v40, 1
	v_fma_f32 v40, v38, s2, -v36
	v_fmac_f32_e32 v40, 0xb102e308, v38
	v_pk_add_f32 v[38:39], v[36:37], v[40:41]
	v_sub_f32_e32 v41, v39, v41
	v_sub_f32_e32 v41, v37, v41
	v_add_f32_e32 v43, v43, v41
	v_mov_b32_e32 v42, v36
	v_pk_add_f32 v[36:37], v[38:39], v[36:37] neg_lo:[0,1] neg_hi:[0,1]
	v_pk_add_f32 v[44:45], v[38:39], v[42:43]
	v_mov_b32_e32 v37, v45
	v_mov_b32_e32 v41, v38
	v_pk_add_f32 v[46:47], v[40:41], v[36:37] neg_lo:[0,1] neg_hi:[0,1]
	v_pk_add_f32 v[36:37], v[40:41], v[36:37]
	v_mov_b32_e32 v40, v37
	v_pk_add_f32 v[48:49], v[40:41], v[38:39] neg_lo:[0,1] neg_hi:[0,1]
	v_mov_b32_e32 v41, v48
	v_pk_add_f32 v[54:55], v[44:45], v[40:41] neg_lo:[0,1] neg_hi:[0,1]
	v_mov_b32_e32 v36, v45
	v_mov_b32_e32 v44, v39
	;; [unrolled: 1-line block ×4, first 2 shown]
	v_pk_add_f32 v[36:37], v[36:37], v[44:45] neg_lo:[0,1] neg_hi:[0,1]
	v_mov_b32_e32 v42, v43
	v_mov_b32_e32 v43, v38
	v_pk_add_f32 v[36:37], v[42:43], v[36:37] neg_lo:[0,1] neg_hi:[0,1]
	v_mov_b32_e32 v54, v46
	v_pk_add_f32 v[38:39], v[54:55], v[36:37]
	v_mov_b32_e32 v42, v39
	v_pk_add_f32 v[42:43], v[38:39], v[42:43]
	v_pk_add_f32 v[40:41], v[40:41], v[42:43]
	v_mov_b32_e32 v39, v40
	v_pk_add_f32 v[44:45], v[38:39], v[46:47] neg_lo:[0,1] neg_hi:[0,1]
	v_mov_b32_e32 v37, v42
	v_sub_f32_e32 v38, v38, v44
	v_pk_add_f32 v[36:37], v[36:37], v[44:45] neg_lo:[0,1] neg_hi:[0,1]
	v_sub_f32_e32 v38, v46, v38
	s_mov_b32 s3, 0x7f800000
	v_add_f32_e32 v36, v36, v38
	s_mov_b32 s2, 0x33800000
	v_add_f32_e32 v36, v36, v37
	v_cmp_eq_f32_e64 s[74:75], s3, v56
	v_cmp_lt_f32_e64 s[76:77], |v56|, s2
	v_add_f32_e32 v36, v40, v36
	s_or_b64 s[74:75], s[74:75], s[76:77]
	v_cndmask_b32_e64 v36, v36, v56, s[74:75]
	v_add_f32_e32 v37, v33, v36
.LBB502_76:
	s_or_b64 exec, exec, s[0:1]
	v_bfe_u32 v33, v37, 16, 1
	s_movk_i32 s78, 0x7fff
	v_add3_u32 v33, v37, v33, s78
	v_and_b32_e32 v33, 0xffff0000, v33
	v_mov_b32_e32 v36, 0x7fc00000
	v_cmp_o_f32_e64 s[74:75], v37, v37
	v_cndmask_b32_e64 v39, v36, v33, s[74:75]
	v_lshlrev_b32_e32 v33, 16, v13
	v_max_f32_e32 v38, v39, v39
	v_max_f32_e32 v37, v33, v33
	v_min_f32_e32 v40, v38, v37
	v_cmp_u_f32_e64 s[76:77], v39, v39
	v_max_f32_e32 v38, v38, v37
	v_cndmask_b32_e64 v40, v40, v39, s[76:77]
	v_cmp_u_f32_e64 s[74:75], v33, v33
	v_cndmask_b32_e64 v38, v38, v39, s[76:77]
	v_cndmask_b32_e64 v40, v40, v33, s[74:75]
	;; [unrolled: 1-line block ×3, first 2 shown]
	v_cmp_neq_f32_e64 s[76:77], v40, v38
	v_cmp_class_f32_e64 s[0:1], v40, s33
	s_or_b64 s[76:77], s[76:77], s[0:1]
	s_and_saveexec_b64 s[0:1], s[76:77]
	s_cbranch_execz .LBB502_78
; %bb.77:
	v_sub_f32_e32 v39, v40, v38
	s_mov_b32 s2, 0x3fb8aa3b
	v_mul_f32_e32 v40, 0x3fb8aa3b, v39
	v_fma_f32 v41, v39, s2, -v40
	v_rndne_f32_e32 v42, v40
	v_fmac_f32_e32 v41, 0x32a5705f, v39
	v_sub_f32_e32 v40, v40, v42
	v_add_f32_e32 v40, v40, v41
	v_exp_f32_e32 v40, v40
	v_cvt_i32_f32_e32 v41, v42
	s_mov_b32 s2, 0xc2ce8ed0
	v_cmp_ngt_f32_e64 s[76:77], s2, v39
	s_mov_b32 s2, 0x42b17218
	v_ldexp_f32 v40, v40, v41
	v_cndmask_b32_e64 v40, 0, v40, s[76:77]
	v_mov_b32_e32 v41, 0x7f800000
	v_cmp_nlt_f32_e64 s[76:77], s2, v39
	v_cndmask_b32_e64 v60, v41, v40, s[76:77]
	v_add_f32_e32 v39, 1.0, v60
	v_add_f32_e32 v40, -1.0, v39
	v_sub_f32_e32 v41, v40, v39
	v_add_f32_e32 v41, 1.0, v41
	v_sub_f32_e32 v40, v60, v40
	v_add_f32_e32 v42, v40, v41
	v_frexp_mant_f32_e32 v43, v39
	s_mov_b32 s2, 0x3f2aaaab
	v_cvt_f64_f32_e32 v[40:41], v39
	v_frexp_exp_i32_f64_e32 v40, v[40:41]
	v_cmp_gt_f32_e64 s[76:77], s2, v43
	v_subbrev_co_u32_e64 v48, s[76:77], 0, v40, s[76:77]
	v_sub_u32_e32 v40, 0, v48
	v_ldexp_f32 v39, v39, v40
	v_ldexp_f32 v40, v42, v40
	v_add_f32_e32 v42, -1.0, v39
	v_add_f32_e32 v41, 1.0, v42
	v_sub_f32_e32 v41, v39, v41
	v_add_f32_e32 v43, v40, v41
	v_add_f32_e32 v41, 1.0, v39
	v_add_f32_e32 v44, -1.0, v41
	v_sub_f32_e32 v39, v39, v44
	v_add_f32_e32 v39, v40, v39
	v_add_f32_e32 v49, v41, v39
	v_rcp_f32_e32 v54, v49
	v_sub_f32_e32 v40, v41, v49
	v_add_f32_e32 v41, v42, v43
	v_add_f32_e32 v39, v39, v40
	v_mul_f32_e32 v56, v41, v54
	v_sub_f32_e32 v40, v42, v41
	v_mul_f32_e32 v42, v49, v56
	v_fma_f32 v44, v56, v49, -v42
	v_fmac_f32_e32 v44, v56, v39
	v_add_f32_e32 v55, v43, v40
	v_add_f32_e32 v40, v42, v44
	v_sub_f32_e32 v43, v41, v40
	v_pk_add_f32 v[46:47], v[40:41], v[42:43] neg_lo:[0,1] neg_hi:[0,1]
	v_mov_b32_e32 v45, v40
	v_pk_add_f32 v[40:41], v[46:47], v[44:45] neg_lo:[0,1] neg_hi:[0,1]
	v_add_f32_e32 v41, v55, v41
	v_add_f32_e32 v40, v40, v41
	;; [unrolled: 1-line block ×3, first 2 shown]
	v_mul_f32_e32 v55, v54, v41
	v_mul_f32_e32 v42, v49, v55
	v_fma_f32 v44, v55, v49, -v42
	v_fmac_f32_e32 v44, v55, v39
	v_sub_f32_e32 v39, v43, v41
	v_add_f32_e32 v39, v40, v39
	v_add_f32_e32 v40, v42, v44
	v_sub_f32_e32 v43, v41, v40
	v_pk_add_f32 v[46:47], v[40:41], v[42:43] neg_lo:[0,1] neg_hi:[0,1]
	v_mov_b32_e32 v45, v40
	v_pk_add_f32 v[40:41], v[46:47], v[44:45] neg_lo:[0,1] neg_hi:[0,1]
	v_add_f32_e32 v39, v39, v41
	v_add_f32_e32 v39, v40, v39
	;; [unrolled: 1-line block ×4, first 2 shown]
	v_sub_f32_e32 v41, v40, v56
	v_mul_f32_e32 v39, v54, v39
	v_sub_f32_e32 v41, v55, v41
	v_add_f32_e32 v39, v41, v39
	v_add_f32_e32 v43, v40, v39
	v_mul_f32_e32 v44, v43, v43
	v_mov_b32_e32 v42, 0x3ecc95a3
	v_fmac_f32_e32 v42, 0x3e9b6dac, v44
	v_mov_b32_e32 v41, 0x3f2aaada
	v_fmac_f32_e32 v41, v44, v42
	v_cvt_f32_i32_e32 v42, v48
	v_sub_f32_e32 v40, v43, v40
	v_sub_f32_e32 v39, v39, v40
	v_ldexp_f32 v45, v43, 1
	v_mul_f32_e32 v43, v43, v44
	v_mov_b32_e32 v40, 0x3f317218
	s_mov_b32 s2, 0x3f317218
	v_pk_mul_f32 v[40:41], v[42:43], v[40:41]
	v_fma_f32 v44, v42, s2, -v40
	v_fmac_f32_e32 v44, 0xb102e308, v42
	v_pk_add_f32 v[42:43], v[40:41], v[44:45]
	v_sub_f32_e32 v45, v43, v45
	v_ldexp_f32 v39, v39, 1
	v_sub_f32_e32 v45, v41, v45
	v_add_f32_e32 v47, v39, v45
	v_mov_b32_e32 v46, v40
	v_pk_add_f32 v[40:41], v[42:43], v[40:41] neg_lo:[0,1] neg_hi:[0,1]
	v_pk_add_f32 v[48:49], v[42:43], v[46:47]
	v_mov_b32_e32 v41, v49
	v_mov_b32_e32 v45, v42
	v_pk_add_f32 v[54:55], v[44:45], v[40:41] neg_lo:[0,1] neg_hi:[0,1]
	v_pk_add_f32 v[40:41], v[44:45], v[40:41]
	v_mov_b32_e32 v44, v41
	v_pk_add_f32 v[56:57], v[44:45], v[42:43] neg_lo:[0,1] neg_hi:[0,1]
	v_mov_b32_e32 v39, v56
	v_pk_add_f32 v[58:59], v[48:49], v[38:39] neg_lo:[0,1] neg_hi:[0,1]
	v_mov_b32_e32 v40, v49
	v_mov_b32_e32 v48, v43
	;; [unrolled: 1-line block ×4, first 2 shown]
	v_pk_add_f32 v[40:41], v[40:41], v[48:49] neg_lo:[0,1] neg_hi:[0,1]
	v_mov_b32_e32 v46, v47
	v_mov_b32_e32 v47, v42
	v_pk_add_f32 v[40:41], v[46:47], v[40:41] neg_lo:[0,1] neg_hi:[0,1]
	v_mov_b32_e32 v58, v54
	v_pk_add_f32 v[42:43], v[58:59], v[40:41]
	v_mov_b32_e32 v46, v43
	v_pk_add_f32 v[46:47], v[42:43], v[46:47]
	v_pk_add_f32 v[44:45], v[44:45], v[46:47]
	v_mov_b32_e32 v43, v44
	v_pk_add_f32 v[48:49], v[42:43], v[54:55] neg_lo:[0,1] neg_hi:[0,1]
	v_mov_b32_e32 v41, v46
	v_sub_f32_e32 v39, v42, v48
	v_pk_add_f32 v[40:41], v[40:41], v[48:49] neg_lo:[0,1] neg_hi:[0,1]
	v_sub_f32_e32 v39, v54, v39
	s_mov_b32 s3, 0x7f800000
	v_add_f32_e32 v39, v40, v39
	s_mov_b32 s2, 0x33800000
	v_add_f32_e32 v39, v39, v41
	v_cmp_eq_f32_e64 s[76:77], s3, v60
	v_cmp_lt_f32_e64 s[80:81], |v60|, s2
	v_add_f32_e32 v39, v44, v39
	s_or_b64 s[76:77], s[76:77], s[80:81]
	v_cndmask_b32_e64 v39, v39, v60, s[76:77]
	v_add_f32_e32 v39, v38, v39
.LBB502_78:
	s_or_b64 exec, exec, s[0:1]
	v_bfe_u32 v38, v39, 16, 1
	v_add3_u32 v38, v39, v38, s78
	v_and_b32_e32 v38, 0xffff0000, v38
	v_cmp_o_f32_e64 s[76:77], v39, v39
	v_cndmask_b32_e64 v40, v36, v38, s[76:77]
	v_and_b32_e32 v13, 0xffff0000, v13
	v_max_f32_e32 v36, v40, v40
	v_max_f32_e32 v38, v13, v13
	v_min_f32_e32 v39, v36, v38
	v_cmp_u_f32_e64 s[78:79], v40, v40
	v_max_f32_e32 v36, v36, v38
	v_cndmask_b32_e64 v39, v39, v40, s[78:79]
	v_cmp_u_f32_e64 s[76:77], v13, v13
	v_cndmask_b32_e64 v36, v36, v40, s[78:79]
	v_cndmask_b32_e64 v39, v39, v13, s[76:77]
	;; [unrolled: 1-line block ×3, first 2 shown]
	v_cmp_neq_f32_e64 s[78:79], v39, v36
	v_cmp_class_f32_e64 s[0:1], v39, s33
	s_or_b64 s[78:79], s[78:79], s[0:1]
	s_and_saveexec_b64 s[0:1], s[78:79]
	s_cbranch_execz .LBB502_80
; %bb.79:
	v_sub_f32_e32 v39, v39, v36
	s_mov_b32 s2, 0x3fb8aa3b
	v_mul_f32_e32 v40, 0x3fb8aa3b, v39
	v_fma_f32 v41, v39, s2, -v40
	v_rndne_f32_e32 v42, v40
	v_fmac_f32_e32 v41, 0x32a5705f, v39
	v_sub_f32_e32 v40, v40, v42
	v_add_f32_e32 v40, v40, v41
	v_exp_f32_e32 v40, v40
	v_cvt_i32_f32_e32 v41, v42
	s_mov_b32 s2, 0xc2ce8ed0
	v_cmp_ngt_f32_e64 s[78:79], s2, v39
	s_mov_b32 s2, 0x42b17218
	v_ldexp_f32 v40, v40, v41
	v_cndmask_b32_e64 v40, 0, v40, s[78:79]
	v_mov_b32_e32 v41, 0x7f800000
	v_cmp_nlt_f32_e64 s[78:79], s2, v39
	v_cndmask_b32_e64 v60, v41, v40, s[78:79]
	v_add_f32_e32 v39, 1.0, v60
	v_add_f32_e32 v40, -1.0, v39
	v_sub_f32_e32 v41, v40, v39
	v_add_f32_e32 v41, 1.0, v41
	v_sub_f32_e32 v40, v60, v40
	v_add_f32_e32 v42, v40, v41
	v_frexp_mant_f32_e32 v43, v39
	s_mov_b32 s2, 0x3f2aaaab
	v_cvt_f64_f32_e32 v[40:41], v39
	v_frexp_exp_i32_f64_e32 v40, v[40:41]
	v_cmp_gt_f32_e64 s[78:79], s2, v43
	v_subbrev_co_u32_e64 v48, s[78:79], 0, v40, s[78:79]
	v_sub_u32_e32 v40, 0, v48
	v_ldexp_f32 v39, v39, v40
	v_ldexp_f32 v40, v42, v40
	v_add_f32_e32 v42, -1.0, v39
	v_add_f32_e32 v41, 1.0, v42
	v_sub_f32_e32 v41, v39, v41
	v_add_f32_e32 v43, v40, v41
	v_add_f32_e32 v41, 1.0, v39
	v_add_f32_e32 v44, -1.0, v41
	v_sub_f32_e32 v39, v39, v44
	v_add_f32_e32 v39, v40, v39
	v_add_f32_e32 v49, v41, v39
	v_rcp_f32_e32 v54, v49
	v_sub_f32_e32 v40, v41, v49
	v_add_f32_e32 v41, v42, v43
	v_add_f32_e32 v39, v39, v40
	v_mul_f32_e32 v56, v41, v54
	v_sub_f32_e32 v40, v42, v41
	v_mul_f32_e32 v42, v49, v56
	v_fma_f32 v44, v56, v49, -v42
	v_fmac_f32_e32 v44, v56, v39
	v_add_f32_e32 v55, v43, v40
	v_add_f32_e32 v40, v42, v44
	v_sub_f32_e32 v43, v41, v40
	v_pk_add_f32 v[46:47], v[40:41], v[42:43] neg_lo:[0,1] neg_hi:[0,1]
	v_mov_b32_e32 v45, v40
	v_pk_add_f32 v[40:41], v[46:47], v[44:45] neg_lo:[0,1] neg_hi:[0,1]
	v_add_f32_e32 v41, v55, v41
	v_add_f32_e32 v40, v40, v41
	;; [unrolled: 1-line block ×3, first 2 shown]
	v_mul_f32_e32 v55, v54, v41
	v_mul_f32_e32 v42, v49, v55
	v_fma_f32 v44, v55, v49, -v42
	v_fmac_f32_e32 v44, v55, v39
	v_sub_f32_e32 v39, v43, v41
	v_add_f32_e32 v39, v40, v39
	v_add_f32_e32 v40, v42, v44
	v_sub_f32_e32 v43, v41, v40
	v_pk_add_f32 v[46:47], v[40:41], v[42:43] neg_lo:[0,1] neg_hi:[0,1]
	v_mov_b32_e32 v45, v40
	v_pk_add_f32 v[40:41], v[46:47], v[44:45] neg_lo:[0,1] neg_hi:[0,1]
	v_add_f32_e32 v39, v39, v41
	v_add_f32_e32 v39, v40, v39
	;; [unrolled: 1-line block ×4, first 2 shown]
	v_sub_f32_e32 v41, v40, v56
	v_mul_f32_e32 v39, v54, v39
	v_sub_f32_e32 v41, v55, v41
	v_add_f32_e32 v39, v41, v39
	v_add_f32_e32 v43, v40, v39
	v_mul_f32_e32 v44, v43, v43
	v_mov_b32_e32 v42, 0x3ecc95a3
	v_fmac_f32_e32 v42, 0x3e9b6dac, v44
	v_mov_b32_e32 v41, 0x3f2aaada
	v_fmac_f32_e32 v41, v44, v42
	v_cvt_f32_i32_e32 v42, v48
	v_sub_f32_e32 v40, v43, v40
	v_sub_f32_e32 v39, v39, v40
	v_ldexp_f32 v45, v43, 1
	v_mul_f32_e32 v43, v43, v44
	v_mov_b32_e32 v40, 0x3f317218
	s_mov_b32 s2, 0x3f317218
	v_pk_mul_f32 v[40:41], v[42:43], v[40:41]
	v_fma_f32 v44, v42, s2, -v40
	v_fmac_f32_e32 v44, 0xb102e308, v42
	v_pk_add_f32 v[42:43], v[40:41], v[44:45]
	v_sub_f32_e32 v45, v43, v45
	v_ldexp_f32 v39, v39, 1
	v_sub_f32_e32 v45, v41, v45
	v_add_f32_e32 v47, v39, v45
	v_mov_b32_e32 v46, v40
	v_pk_add_f32 v[40:41], v[42:43], v[40:41] neg_lo:[0,1] neg_hi:[0,1]
	v_pk_add_f32 v[48:49], v[42:43], v[46:47]
	v_mov_b32_e32 v41, v49
	v_mov_b32_e32 v45, v42
	v_pk_add_f32 v[54:55], v[44:45], v[40:41] neg_lo:[0,1] neg_hi:[0,1]
	v_pk_add_f32 v[40:41], v[44:45], v[40:41]
	v_mov_b32_e32 v44, v41
	v_pk_add_f32 v[56:57], v[44:45], v[42:43] neg_lo:[0,1] neg_hi:[0,1]
	v_mov_b32_e32 v39, v56
	v_pk_add_f32 v[58:59], v[48:49], v[38:39] neg_lo:[0,1] neg_hi:[0,1]
	v_mov_b32_e32 v40, v49
	v_mov_b32_e32 v48, v43
	;; [unrolled: 1-line block ×4, first 2 shown]
	v_pk_add_f32 v[40:41], v[40:41], v[48:49] neg_lo:[0,1] neg_hi:[0,1]
	v_mov_b32_e32 v46, v47
	v_mov_b32_e32 v47, v42
	v_pk_add_f32 v[40:41], v[46:47], v[40:41] neg_lo:[0,1] neg_hi:[0,1]
	v_mov_b32_e32 v58, v54
	v_pk_add_f32 v[42:43], v[58:59], v[40:41]
	v_mov_b32_e32 v46, v43
	v_pk_add_f32 v[46:47], v[42:43], v[46:47]
	v_pk_add_f32 v[44:45], v[44:45], v[46:47]
	v_mov_b32_e32 v43, v44
	v_pk_add_f32 v[48:49], v[42:43], v[54:55] neg_lo:[0,1] neg_hi:[0,1]
	v_mov_b32_e32 v41, v46
	v_sub_f32_e32 v39, v42, v48
	v_pk_add_f32 v[40:41], v[40:41], v[48:49] neg_lo:[0,1] neg_hi:[0,1]
	v_sub_f32_e32 v39, v54, v39
	s_mov_b32 s3, 0x7f800000
	v_add_f32_e32 v39, v40, v39
	s_mov_b32 s2, 0x33800000
	v_add_f32_e32 v39, v39, v41
	v_cmp_eq_f32_e64 s[78:79], s3, v60
	v_cmp_lt_f32_e64 s[80:81], |v60|, s2
	v_add_f32_e32 v39, v44, v39
	s_or_b64 s[78:79], s[78:79], s[80:81]
	v_cndmask_b32_e64 v39, v39, v60, s[78:79]
	v_add_f32_e32 v40, v36, v39
.LBB502_80:
	s_or_b64 exec, exec, s[0:1]
	v_bfe_u32 v36, v40, 16, 1
	s_movk_i32 s82, 0x7fff
	v_add3_u32 v36, v40, v36, s82
	v_and_b32_e32 v36, 0xffff0000, v36
	v_mov_b32_e32 v39, 0x7fc00000
	v_cmp_o_f32_e64 s[78:79], v40, v40
	v_cndmask_b32_e64 v42, v39, v36, s[78:79]
	v_lshlrev_b32_e32 v36, 16, v6
	v_max_f32_e32 v41, v42, v42
	v_max_f32_e32 v40, v36, v36
	v_min_f32_e32 v43, v41, v40
	v_cmp_u_f32_e64 s[80:81], v42, v42
	v_max_f32_e32 v41, v41, v40
	v_cndmask_b32_e64 v43, v43, v42, s[80:81]
	v_cmp_u_f32_e64 s[78:79], v36, v36
	v_cndmask_b32_e64 v41, v41, v42, s[80:81]
	v_cndmask_b32_e64 v43, v43, v36, s[78:79]
	;; [unrolled: 1-line block ×3, first 2 shown]
	v_cmp_neq_f32_e64 s[80:81], v43, v41
	v_cmp_class_f32_e64 s[0:1], v43, s33
	s_or_b64 s[80:81], s[80:81], s[0:1]
	s_and_saveexec_b64 s[0:1], s[80:81]
	s_cbranch_execz .LBB502_82
; %bb.81:
	v_sub_f32_e32 v42, v43, v41
	s_mov_b32 s2, 0x3fb8aa3b
	v_mul_f32_e32 v43, 0x3fb8aa3b, v42
	v_fma_f32 v44, v42, s2, -v43
	v_rndne_f32_e32 v45, v43
	v_fmac_f32_e32 v44, 0x32a5705f, v42
	v_sub_f32_e32 v43, v43, v45
	v_add_f32_e32 v43, v43, v44
	v_exp_f32_e32 v43, v43
	v_cvt_i32_f32_e32 v44, v45
	s_mov_b32 s2, 0xc2ce8ed0
	v_cmp_ngt_f32_e64 s[80:81], s2, v42
	s_mov_b32 s2, 0x42b17218
	v_ldexp_f32 v43, v43, v44
	v_cndmask_b32_e64 v43, 0, v43, s[80:81]
	v_mov_b32_e32 v44, 0x7f800000
	v_cmp_nlt_f32_e64 s[80:81], s2, v42
	v_cndmask_b32_e64 v62, v44, v43, s[80:81]
	v_add_f32_e32 v44, 1.0, v62
	v_add_f32_e32 v42, -1.0, v44
	v_sub_f32_e32 v43, v42, v44
	v_add_f32_e32 v43, 1.0, v43
	v_sub_f32_e32 v42, v62, v42
	v_add_f32_e32 v45, v42, v43
	v_frexp_mant_f32_e32 v46, v44
	s_mov_b32 s2, 0x3f2aaaab
	v_cvt_f64_f32_e32 v[42:43], v44
	v_frexp_exp_i32_f64_e32 v42, v[42:43]
	v_cmp_gt_f32_e64 s[80:81], s2, v46
	v_subbrev_co_u32_e64 v54, s[80:81], 0, v42, s[80:81]
	v_sub_u32_e32 v42, 0, v54
	v_ldexp_f32 v43, v44, v42
	v_add_f32_e32 v44, -1.0, v43
	v_add_f32_e32 v46, 1.0, v43
	v_ldexp_f32 v42, v45, v42
	v_add_f32_e32 v45, 1.0, v44
	v_add_f32_e32 v47, -1.0, v46
	v_sub_f32_e32 v45, v43, v45
	v_sub_f32_e32 v43, v43, v47
	v_add_f32_e32 v45, v42, v45
	v_add_f32_e32 v42, v42, v43
	;; [unrolled: 1-line block ×3, first 2 shown]
	v_rcp_f32_e32 v57, v55
	v_sub_f32_e32 v43, v46, v55
	v_add_f32_e32 v56, v42, v43
	v_add_f32_e32 v43, v44, v45
	v_mul_f32_e32 v59, v43, v57
	v_sub_f32_e32 v42, v44, v43
	v_mul_f32_e32 v44, v55, v59
	v_fma_f32 v46, v59, v55, -v44
	v_fmac_f32_e32 v46, v59, v56
	v_add_f32_e32 v58, v45, v42
	v_add_f32_e32 v42, v44, v46
	v_sub_f32_e32 v45, v43, v42
	v_pk_add_f32 v[48:49], v[42:43], v[44:45] neg_lo:[0,1] neg_hi:[0,1]
	v_mov_b32_e32 v47, v42
	v_pk_add_f32 v[42:43], v[48:49], v[46:47] neg_lo:[0,1] neg_hi:[0,1]
	v_add_f32_e32 v43, v58, v43
	v_add_f32_e32 v42, v42, v43
	;; [unrolled: 1-line block ×3, first 2 shown]
	v_mul_f32_e32 v58, v57, v43
	v_mul_f32_e32 v44, v55, v58
	v_fma_f32 v46, v58, v55, -v44
	v_fmac_f32_e32 v46, v58, v56
	v_sub_f32_e32 v45, v45, v43
	v_add_f32_e32 v55, v42, v45
	v_add_f32_e32 v42, v44, v46
	v_sub_f32_e32 v45, v43, v42
	v_pk_add_f32 v[48:49], v[42:43], v[44:45] neg_lo:[0,1] neg_hi:[0,1]
	v_mov_b32_e32 v47, v42
	v_pk_add_f32 v[42:43], v[48:49], v[46:47] neg_lo:[0,1] neg_hi:[0,1]
	v_add_f32_e32 v43, v55, v43
	v_add_f32_e32 v42, v42, v43
	;; [unrolled: 1-line block ×4, first 2 shown]
	v_sub_f32_e32 v43, v45, v59
	v_mul_f32_e32 v42, v57, v42
	v_sub_f32_e32 v43, v58, v43
	v_add_f32_e32 v42, v43, v42
	v_add_f32_e32 v46, v45, v42
	v_mul_f32_e32 v48, v46, v46
	v_mov_b32_e32 v44, 0x3ecc95a3
	v_fmac_f32_e32 v44, 0x3e9b6dac, v48
	v_mov_b32_e32 v43, 0x3f2aaada
	v_fmac_f32_e32 v43, v48, v44
	v_cvt_f32_i32_e32 v44, v54
	v_sub_f32_e32 v45, v46, v45
	v_sub_f32_e32 v42, v42, v45
	v_ldexp_f32 v49, v42, 1
	v_mul_f32_e32 v45, v46, v48
	v_mov_b32_e32 v42, 0x3f317218
	s_mov_b32 s2, 0x3f317218
	v_pk_mul_f32 v[42:43], v[44:45], v[42:43]
	v_ldexp_f32 v47, v46, 1
	v_fma_f32 v46, v44, s2, -v42
	v_fmac_f32_e32 v46, 0xb102e308, v44
	v_pk_add_f32 v[44:45], v[42:43], v[46:47]
	v_sub_f32_e32 v47, v45, v47
	v_sub_f32_e32 v47, v43, v47
	v_add_f32_e32 v49, v49, v47
	v_mov_b32_e32 v48, v42
	v_pk_add_f32 v[42:43], v[44:45], v[42:43] neg_lo:[0,1] neg_hi:[0,1]
	v_pk_add_f32 v[54:55], v[44:45], v[48:49]
	v_mov_b32_e32 v43, v55
	v_mov_b32_e32 v47, v44
	v_pk_add_f32 v[56:57], v[46:47], v[42:43] neg_lo:[0,1] neg_hi:[0,1]
	v_pk_add_f32 v[42:43], v[46:47], v[42:43]
	v_mov_b32_e32 v46, v43
	v_pk_add_f32 v[58:59], v[46:47], v[44:45] neg_lo:[0,1] neg_hi:[0,1]
	v_mov_b32_e32 v47, v58
	v_pk_add_f32 v[60:61], v[54:55], v[46:47] neg_lo:[0,1] neg_hi:[0,1]
	v_mov_b32_e32 v42, v55
	v_mov_b32_e32 v54, v45
	;; [unrolled: 1-line block ×4, first 2 shown]
	v_pk_add_f32 v[42:43], v[42:43], v[54:55] neg_lo:[0,1] neg_hi:[0,1]
	v_mov_b32_e32 v48, v49
	v_mov_b32_e32 v49, v44
	v_pk_add_f32 v[42:43], v[48:49], v[42:43] neg_lo:[0,1] neg_hi:[0,1]
	v_mov_b32_e32 v60, v56
	v_pk_add_f32 v[44:45], v[60:61], v[42:43]
	v_mov_b32_e32 v48, v45
	v_pk_add_f32 v[48:49], v[44:45], v[48:49]
	v_pk_add_f32 v[46:47], v[46:47], v[48:49]
	v_mov_b32_e32 v45, v46
	v_pk_add_f32 v[54:55], v[44:45], v[56:57] neg_lo:[0,1] neg_hi:[0,1]
	v_mov_b32_e32 v43, v48
	v_sub_f32_e32 v44, v44, v54
	v_pk_add_f32 v[42:43], v[42:43], v[54:55] neg_lo:[0,1] neg_hi:[0,1]
	v_sub_f32_e32 v44, v56, v44
	s_mov_b32 s3, 0x7f800000
	v_add_f32_e32 v42, v42, v44
	s_mov_b32 s2, 0x33800000
	v_add_f32_e32 v42, v42, v43
	v_cmp_eq_f32_e64 s[80:81], s3, v62
	v_cmp_lt_f32_e64 s[84:85], |v62|, s2
	v_add_f32_e32 v42, v46, v42
	s_or_b64 s[80:81], s[80:81], s[84:85]
	v_cndmask_b32_e64 v42, v42, v62, s[80:81]
	v_add_f32_e32 v42, v41, v42
.LBB502_82:
	s_or_b64 exec, exec, s[0:1]
	v_bfe_u32 v41, v42, 16, 1
	v_add3_u32 v41, v42, v41, s82
	v_and_b32_e32 v41, 0xffff0000, v41
	v_cmp_o_f32_e64 s[80:81], v42, v42
	v_cndmask_b32_e64 v43, v39, v41, s[80:81]
	v_and_b32_e32 v6, 0xffff0000, v6
	v_max_f32_e32 v39, v43, v43
	v_max_f32_e32 v41, v6, v6
	v_min_f32_e32 v42, v39, v41
	v_cmp_u_f32_e64 s[82:83], v43, v43
	v_max_f32_e32 v39, v39, v41
	v_cndmask_b32_e64 v42, v42, v43, s[82:83]
	v_cmp_u_f32_e64 s[80:81], v6, v6
	v_cndmask_b32_e64 v39, v39, v43, s[82:83]
	v_cndmask_b32_e64 v42, v42, v6, s[80:81]
	;; [unrolled: 1-line block ×3, first 2 shown]
	v_cmp_neq_f32_e64 s[82:83], v42, v39
	v_cmp_class_f32_e64 s[0:1], v42, s33
	s_or_b64 s[82:83], s[82:83], s[0:1]
	s_and_saveexec_b64 s[0:1], s[82:83]
	s_cbranch_execz .LBB502_84
; %bb.83:
	v_sub_f32_e32 v42, v42, v39
	s_mov_b32 s2, 0x3fb8aa3b
	v_mul_f32_e32 v43, 0x3fb8aa3b, v42
	v_fma_f32 v44, v42, s2, -v43
	v_rndne_f32_e32 v45, v43
	v_fmac_f32_e32 v44, 0x32a5705f, v42
	v_sub_f32_e32 v43, v43, v45
	v_add_f32_e32 v43, v43, v44
	v_exp_f32_e32 v43, v43
	v_cvt_i32_f32_e32 v44, v45
	s_mov_b32 s2, 0xc2ce8ed0
	v_cmp_ngt_f32_e64 s[82:83], s2, v42
	s_mov_b32 s2, 0x42b17218
	v_ldexp_f32 v43, v43, v44
	v_cndmask_b32_e64 v43, 0, v43, s[82:83]
	v_mov_b32_e32 v44, 0x7f800000
	v_cmp_nlt_f32_e64 s[82:83], s2, v42
	v_cndmask_b32_e64 v62, v44, v43, s[82:83]
	v_add_f32_e32 v44, 1.0, v62
	v_add_f32_e32 v42, -1.0, v44
	v_sub_f32_e32 v43, v42, v44
	v_add_f32_e32 v43, 1.0, v43
	v_sub_f32_e32 v42, v62, v42
	v_add_f32_e32 v45, v42, v43
	v_frexp_mant_f32_e32 v46, v44
	s_mov_b32 s2, 0x3f2aaaab
	v_cvt_f64_f32_e32 v[42:43], v44
	v_frexp_exp_i32_f64_e32 v42, v[42:43]
	v_cmp_gt_f32_e64 s[82:83], s2, v46
	v_subbrev_co_u32_e64 v54, s[82:83], 0, v42, s[82:83]
	v_sub_u32_e32 v42, 0, v54
	v_ldexp_f32 v43, v44, v42
	v_add_f32_e32 v44, -1.0, v43
	v_add_f32_e32 v46, 1.0, v43
	v_ldexp_f32 v42, v45, v42
	v_add_f32_e32 v45, 1.0, v44
	v_add_f32_e32 v47, -1.0, v46
	v_sub_f32_e32 v45, v43, v45
	v_sub_f32_e32 v43, v43, v47
	v_add_f32_e32 v45, v42, v45
	v_add_f32_e32 v42, v42, v43
	;; [unrolled: 1-line block ×3, first 2 shown]
	v_rcp_f32_e32 v57, v55
	v_sub_f32_e32 v43, v46, v55
	v_add_f32_e32 v56, v42, v43
	v_add_f32_e32 v43, v44, v45
	v_mul_f32_e32 v59, v43, v57
	v_sub_f32_e32 v42, v44, v43
	v_mul_f32_e32 v44, v55, v59
	v_fma_f32 v46, v59, v55, -v44
	v_fmac_f32_e32 v46, v59, v56
	v_add_f32_e32 v58, v45, v42
	v_add_f32_e32 v42, v44, v46
	v_sub_f32_e32 v45, v43, v42
	v_pk_add_f32 v[48:49], v[42:43], v[44:45] neg_lo:[0,1] neg_hi:[0,1]
	v_mov_b32_e32 v47, v42
	v_pk_add_f32 v[42:43], v[48:49], v[46:47] neg_lo:[0,1] neg_hi:[0,1]
	v_add_f32_e32 v43, v58, v43
	v_add_f32_e32 v42, v42, v43
	;; [unrolled: 1-line block ×3, first 2 shown]
	v_mul_f32_e32 v58, v57, v43
	v_mul_f32_e32 v44, v55, v58
	v_fma_f32 v46, v58, v55, -v44
	v_fmac_f32_e32 v46, v58, v56
	v_sub_f32_e32 v45, v45, v43
	v_add_f32_e32 v55, v42, v45
	v_add_f32_e32 v42, v44, v46
	v_sub_f32_e32 v45, v43, v42
	v_pk_add_f32 v[48:49], v[42:43], v[44:45] neg_lo:[0,1] neg_hi:[0,1]
	v_mov_b32_e32 v47, v42
	v_pk_add_f32 v[42:43], v[48:49], v[46:47] neg_lo:[0,1] neg_hi:[0,1]
	v_add_f32_e32 v43, v55, v43
	v_add_f32_e32 v42, v42, v43
	;; [unrolled: 1-line block ×4, first 2 shown]
	v_sub_f32_e32 v43, v45, v59
	v_mul_f32_e32 v42, v57, v42
	v_sub_f32_e32 v43, v58, v43
	v_add_f32_e32 v42, v43, v42
	v_add_f32_e32 v46, v45, v42
	v_mul_f32_e32 v48, v46, v46
	v_mov_b32_e32 v44, 0x3ecc95a3
	v_fmac_f32_e32 v44, 0x3e9b6dac, v48
	v_mov_b32_e32 v43, 0x3f2aaada
	v_fmac_f32_e32 v43, v48, v44
	v_cvt_f32_i32_e32 v44, v54
	v_sub_f32_e32 v45, v46, v45
	v_sub_f32_e32 v42, v42, v45
	v_ldexp_f32 v49, v42, 1
	v_mul_f32_e32 v45, v46, v48
	v_mov_b32_e32 v42, 0x3f317218
	s_mov_b32 s2, 0x3f317218
	v_pk_mul_f32 v[42:43], v[44:45], v[42:43]
	v_ldexp_f32 v47, v46, 1
	v_fma_f32 v46, v44, s2, -v42
	v_fmac_f32_e32 v46, 0xb102e308, v44
	v_pk_add_f32 v[44:45], v[42:43], v[46:47]
	v_sub_f32_e32 v47, v45, v47
	v_sub_f32_e32 v47, v43, v47
	v_add_f32_e32 v49, v49, v47
	v_mov_b32_e32 v48, v42
	v_pk_add_f32 v[42:43], v[44:45], v[42:43] neg_lo:[0,1] neg_hi:[0,1]
	v_pk_add_f32 v[54:55], v[44:45], v[48:49]
	v_mov_b32_e32 v43, v55
	v_mov_b32_e32 v47, v44
	v_pk_add_f32 v[56:57], v[46:47], v[42:43] neg_lo:[0,1] neg_hi:[0,1]
	v_pk_add_f32 v[42:43], v[46:47], v[42:43]
	v_mov_b32_e32 v46, v43
	v_pk_add_f32 v[58:59], v[46:47], v[44:45] neg_lo:[0,1] neg_hi:[0,1]
	v_mov_b32_e32 v47, v58
	v_pk_add_f32 v[60:61], v[54:55], v[46:47] neg_lo:[0,1] neg_hi:[0,1]
	v_mov_b32_e32 v42, v55
	v_mov_b32_e32 v54, v45
	;; [unrolled: 1-line block ×4, first 2 shown]
	v_pk_add_f32 v[42:43], v[42:43], v[54:55] neg_lo:[0,1] neg_hi:[0,1]
	v_mov_b32_e32 v48, v49
	v_mov_b32_e32 v49, v44
	v_pk_add_f32 v[42:43], v[48:49], v[42:43] neg_lo:[0,1] neg_hi:[0,1]
	v_mov_b32_e32 v60, v56
	v_pk_add_f32 v[44:45], v[60:61], v[42:43]
	v_mov_b32_e32 v48, v45
	v_pk_add_f32 v[48:49], v[44:45], v[48:49]
	v_pk_add_f32 v[46:47], v[46:47], v[48:49]
	v_mov_b32_e32 v45, v46
	v_pk_add_f32 v[54:55], v[44:45], v[56:57] neg_lo:[0,1] neg_hi:[0,1]
	v_mov_b32_e32 v43, v48
	v_sub_f32_e32 v44, v44, v54
	v_pk_add_f32 v[42:43], v[42:43], v[54:55] neg_lo:[0,1] neg_hi:[0,1]
	v_sub_f32_e32 v44, v56, v44
	s_mov_b32 s3, 0x7f800000
	v_add_f32_e32 v42, v42, v44
	s_mov_b32 s2, 0x33800000
	v_add_f32_e32 v42, v42, v43
	v_cmp_eq_f32_e64 s[82:83], s3, v62
	v_cmp_lt_f32_e64 s[84:85], |v62|, s2
	v_add_f32_e32 v42, v46, v42
	s_or_b64 s[82:83], s[82:83], s[84:85]
	v_cndmask_b32_e64 v42, v42, v62, s[82:83]
	v_add_f32_e32 v43, v39, v42
.LBB502_84:
	s_or_b64 exec, exec, s[0:1]
	v_bfe_u32 v39, v43, 16, 1
	s_movk_i32 s86, 0x7fff
	v_add3_u32 v39, v43, v39, s86
	v_and_b32_e32 v39, 0xffff0000, v39
	v_mov_b32_e32 v42, 0x7fc00000
	v_cmp_o_f32_e64 s[82:83], v43, v43
	v_cndmask_b32_e64 v45, v42, v39, s[82:83]
	v_lshlrev_b32_e32 v39, 16, v7
	v_max_f32_e32 v44, v45, v45
	v_max_f32_e32 v43, v39, v39
	v_min_f32_e32 v46, v44, v43
	v_cmp_u_f32_e64 s[84:85], v45, v45
	v_max_f32_e32 v44, v44, v43
	v_cndmask_b32_e64 v46, v46, v45, s[84:85]
	v_cmp_u_f32_e64 s[82:83], v39, v39
	v_cndmask_b32_e64 v44, v44, v45, s[84:85]
	v_cndmask_b32_e64 v46, v46, v39, s[82:83]
	;; [unrolled: 1-line block ×3, first 2 shown]
	v_cmp_neq_f32_e64 s[84:85], v46, v44
	v_cmp_class_f32_e64 s[0:1], v46, s33
	s_or_b64 s[84:85], s[84:85], s[0:1]
	s_and_saveexec_b64 s[0:1], s[84:85]
	s_cbranch_execz .LBB502_86
; %bb.85:
	v_sub_f32_e32 v45, v46, v44
	s_mov_b32 s2, 0x3fb8aa3b
	v_mul_f32_e32 v46, 0x3fb8aa3b, v45
	v_fma_f32 v47, v45, s2, -v46
	v_rndne_f32_e32 v48, v46
	v_fmac_f32_e32 v47, 0x32a5705f, v45
	v_sub_f32_e32 v46, v46, v48
	v_add_f32_e32 v46, v46, v47
	v_exp_f32_e32 v46, v46
	v_cvt_i32_f32_e32 v47, v48
	s_mov_b32 s2, 0xc2ce8ed0
	v_cmp_ngt_f32_e64 s[84:85], s2, v45
	s_mov_b32 s2, 0x42b17218
	v_ldexp_f32 v46, v46, v47
	v_cndmask_b32_e64 v46, 0, v46, s[84:85]
	v_mov_b32_e32 v47, 0x7f800000
	v_cmp_nlt_f32_e64 s[84:85], s2, v45
	v_cndmask_b32_e64 v66, v47, v46, s[84:85]
	v_add_f32_e32 v45, 1.0, v66
	v_add_f32_e32 v46, -1.0, v45
	v_sub_f32_e32 v47, v46, v45
	v_add_f32_e32 v47, 1.0, v47
	v_sub_f32_e32 v46, v66, v46
	v_add_f32_e32 v48, v46, v47
	v_frexp_mant_f32_e32 v49, v45
	s_mov_b32 s2, 0x3f2aaaab
	v_cvt_f64_f32_e32 v[46:47], v45
	v_frexp_exp_i32_f64_e32 v46, v[46:47]
	v_cmp_gt_f32_e64 s[84:85], s2, v49
	v_subbrev_co_u32_e64 v58, s[84:85], 0, v46, s[84:85]
	v_sub_u32_e32 v46, 0, v58
	v_ldexp_f32 v45, v45, v46
	v_ldexp_f32 v46, v48, v46
	v_add_f32_e32 v48, -1.0, v45
	v_add_f32_e32 v47, 1.0, v48
	v_sub_f32_e32 v47, v45, v47
	v_add_f32_e32 v49, v46, v47
	v_add_f32_e32 v47, 1.0, v45
	v_add_f32_e32 v54, -1.0, v47
	v_sub_f32_e32 v45, v45, v54
	v_add_f32_e32 v45, v46, v45
	v_add_f32_e32 v59, v47, v45
	v_rcp_f32_e32 v60, v59
	v_sub_f32_e32 v46, v47, v59
	v_add_f32_e32 v47, v48, v49
	v_add_f32_e32 v45, v45, v46
	v_mul_f32_e32 v62, v47, v60
	v_sub_f32_e32 v46, v48, v47
	v_mul_f32_e32 v48, v59, v62
	v_fma_f32 v54, v62, v59, -v48
	v_fmac_f32_e32 v54, v62, v45
	v_add_f32_e32 v61, v49, v46
	v_add_f32_e32 v46, v48, v54
	v_sub_f32_e32 v49, v47, v46
	v_pk_add_f32 v[56:57], v[46:47], v[48:49] neg_lo:[0,1] neg_hi:[0,1]
	v_mov_b32_e32 v55, v46
	v_pk_add_f32 v[46:47], v[56:57], v[54:55] neg_lo:[0,1] neg_hi:[0,1]
	v_add_f32_e32 v47, v61, v47
	v_add_f32_e32 v46, v46, v47
	;; [unrolled: 1-line block ×3, first 2 shown]
	v_mul_f32_e32 v61, v60, v47
	v_mul_f32_e32 v48, v59, v61
	v_fma_f32 v54, v61, v59, -v48
	v_fmac_f32_e32 v54, v61, v45
	v_sub_f32_e32 v45, v49, v47
	v_add_f32_e32 v45, v46, v45
	v_add_f32_e32 v46, v48, v54
	v_sub_f32_e32 v49, v47, v46
	v_pk_add_f32 v[56:57], v[46:47], v[48:49] neg_lo:[0,1] neg_hi:[0,1]
	v_mov_b32_e32 v55, v46
	v_pk_add_f32 v[46:47], v[56:57], v[54:55] neg_lo:[0,1] neg_hi:[0,1]
	v_add_f32_e32 v45, v45, v47
	v_add_f32_e32 v45, v46, v45
	;; [unrolled: 1-line block ×4, first 2 shown]
	v_sub_f32_e32 v47, v46, v62
	v_mul_f32_e32 v45, v60, v45
	v_sub_f32_e32 v47, v61, v47
	v_add_f32_e32 v45, v47, v45
	v_add_f32_e32 v49, v46, v45
	v_mul_f32_e32 v54, v49, v49
	v_mov_b32_e32 v48, 0x3ecc95a3
	v_fmac_f32_e32 v48, 0x3e9b6dac, v54
	v_mov_b32_e32 v47, 0x3f2aaada
	v_fmac_f32_e32 v47, v54, v48
	v_cvt_f32_i32_e32 v48, v58
	v_sub_f32_e32 v46, v49, v46
	v_sub_f32_e32 v45, v45, v46
	v_ldexp_f32 v55, v49, 1
	v_mul_f32_e32 v49, v49, v54
	v_mov_b32_e32 v46, 0x3f317218
	s_mov_b32 s2, 0x3f317218
	v_pk_mul_f32 v[46:47], v[48:49], v[46:47]
	v_fma_f32 v54, v48, s2, -v46
	v_fmac_f32_e32 v54, 0xb102e308, v48
	v_pk_add_f32 v[48:49], v[46:47], v[54:55]
	v_sub_f32_e32 v55, v49, v55
	v_ldexp_f32 v45, v45, 1
	v_sub_f32_e32 v55, v47, v55
	v_add_f32_e32 v57, v45, v55
	v_mov_b32_e32 v56, v46
	v_pk_add_f32 v[46:47], v[48:49], v[46:47] neg_lo:[0,1] neg_hi:[0,1]
	v_pk_add_f32 v[58:59], v[48:49], v[56:57]
	v_mov_b32_e32 v47, v59
	v_mov_b32_e32 v55, v48
	v_pk_add_f32 v[60:61], v[54:55], v[46:47] neg_lo:[0,1] neg_hi:[0,1]
	v_pk_add_f32 v[46:47], v[54:55], v[46:47]
	v_mov_b32_e32 v54, v47
	v_pk_add_f32 v[62:63], v[54:55], v[48:49] neg_lo:[0,1] neg_hi:[0,1]
	v_mov_b32_e32 v45, v62
	v_pk_add_f32 v[64:65], v[58:59], v[44:45] neg_lo:[0,1] neg_hi:[0,1]
	v_mov_b32_e32 v46, v59
	v_mov_b32_e32 v58, v49
	;; [unrolled: 1-line block ×4, first 2 shown]
	v_pk_add_f32 v[46:47], v[46:47], v[58:59] neg_lo:[0,1] neg_hi:[0,1]
	v_mov_b32_e32 v56, v57
	v_mov_b32_e32 v57, v48
	v_pk_add_f32 v[46:47], v[56:57], v[46:47] neg_lo:[0,1] neg_hi:[0,1]
	v_mov_b32_e32 v64, v60
	v_pk_add_f32 v[48:49], v[64:65], v[46:47]
	v_mov_b32_e32 v56, v49
	v_pk_add_f32 v[56:57], v[48:49], v[56:57]
	v_pk_add_f32 v[54:55], v[54:55], v[56:57]
	v_mov_b32_e32 v49, v54
	v_pk_add_f32 v[58:59], v[48:49], v[60:61] neg_lo:[0,1] neg_hi:[0,1]
	v_mov_b32_e32 v47, v56
	v_sub_f32_e32 v45, v48, v58
	v_pk_add_f32 v[46:47], v[46:47], v[58:59] neg_lo:[0,1] neg_hi:[0,1]
	v_sub_f32_e32 v45, v60, v45
	s_mov_b32 s3, 0x7f800000
	v_add_f32_e32 v45, v46, v45
	s_mov_b32 s2, 0x33800000
	v_add_f32_e32 v45, v45, v47
	v_cmp_eq_f32_e64 s[84:85], s3, v66
	v_cmp_lt_f32_e64 s[88:89], |v66|, s2
	v_add_f32_e32 v45, v54, v45
	s_or_b64 s[84:85], s[84:85], s[88:89]
	v_cndmask_b32_e64 v45, v45, v66, s[84:85]
	v_add_f32_e32 v45, v44, v45
.LBB502_86:
	s_or_b64 exec, exec, s[0:1]
	v_bfe_u32 v44, v45, 16, 1
	v_add3_u32 v44, v45, v44, s86
	v_and_b32_e32 v44, 0xffff0000, v44
	v_cmp_o_f32_e64 s[84:85], v45, v45
	v_cndmask_b32_e64 v46, v42, v44, s[84:85]
	v_and_b32_e32 v7, 0xffff0000, v7
	v_max_f32_e32 v42, v46, v46
	v_max_f32_e32 v44, v7, v7
	v_min_f32_e32 v45, v42, v44
	v_cmp_u_f32_e64 s[86:87], v46, v46
	v_max_f32_e32 v42, v42, v44
	v_cndmask_b32_e64 v45, v45, v46, s[86:87]
	v_cmp_u_f32_e64 s[84:85], v7, v7
	v_cndmask_b32_e64 v42, v42, v46, s[86:87]
	v_cndmask_b32_e64 v45, v45, v7, s[84:85]
	;; [unrolled: 1-line block ×3, first 2 shown]
	v_cmp_neq_f32_e64 s[86:87], v45, v42
	v_cmp_class_f32_e64 s[0:1], v45, s33
	s_or_b64 s[86:87], s[86:87], s[0:1]
	s_and_saveexec_b64 s[0:1], s[86:87]
	s_cbranch_execz .LBB502_88
; %bb.87:
	v_sub_f32_e32 v45, v45, v42
	s_mov_b32 s2, 0x3fb8aa3b
	v_mul_f32_e32 v46, 0x3fb8aa3b, v45
	v_fma_f32 v47, v45, s2, -v46
	v_rndne_f32_e32 v48, v46
	v_fmac_f32_e32 v47, 0x32a5705f, v45
	v_sub_f32_e32 v46, v46, v48
	v_add_f32_e32 v46, v46, v47
	v_exp_f32_e32 v46, v46
	v_cvt_i32_f32_e32 v47, v48
	s_mov_b32 s2, 0xc2ce8ed0
	v_cmp_ngt_f32_e64 s[86:87], s2, v45
	s_mov_b32 s2, 0x42b17218
	v_ldexp_f32 v46, v46, v47
	v_cndmask_b32_e64 v46, 0, v46, s[86:87]
	v_mov_b32_e32 v47, 0x7f800000
	v_cmp_nlt_f32_e64 s[86:87], s2, v45
	v_cndmask_b32_e64 v66, v47, v46, s[86:87]
	v_add_f32_e32 v45, 1.0, v66
	v_add_f32_e32 v46, -1.0, v45
	v_sub_f32_e32 v47, v46, v45
	v_add_f32_e32 v47, 1.0, v47
	v_sub_f32_e32 v46, v66, v46
	v_add_f32_e32 v48, v46, v47
	v_frexp_mant_f32_e32 v49, v45
	s_mov_b32 s2, 0x3f2aaaab
	v_cvt_f64_f32_e32 v[46:47], v45
	v_frexp_exp_i32_f64_e32 v46, v[46:47]
	v_cmp_gt_f32_e64 s[86:87], s2, v49
	v_subbrev_co_u32_e64 v58, s[86:87], 0, v46, s[86:87]
	v_sub_u32_e32 v46, 0, v58
	v_ldexp_f32 v45, v45, v46
	v_ldexp_f32 v46, v48, v46
	v_add_f32_e32 v48, -1.0, v45
	v_add_f32_e32 v47, 1.0, v48
	v_sub_f32_e32 v47, v45, v47
	v_add_f32_e32 v49, v46, v47
	v_add_f32_e32 v47, 1.0, v45
	v_add_f32_e32 v54, -1.0, v47
	v_sub_f32_e32 v45, v45, v54
	v_add_f32_e32 v45, v46, v45
	v_add_f32_e32 v59, v47, v45
	v_rcp_f32_e32 v60, v59
	v_sub_f32_e32 v46, v47, v59
	v_add_f32_e32 v47, v48, v49
	v_add_f32_e32 v45, v45, v46
	v_mul_f32_e32 v62, v47, v60
	v_sub_f32_e32 v46, v48, v47
	v_mul_f32_e32 v48, v59, v62
	v_fma_f32 v54, v62, v59, -v48
	v_fmac_f32_e32 v54, v62, v45
	v_add_f32_e32 v61, v49, v46
	v_add_f32_e32 v46, v48, v54
	v_sub_f32_e32 v49, v47, v46
	v_pk_add_f32 v[56:57], v[46:47], v[48:49] neg_lo:[0,1] neg_hi:[0,1]
	v_mov_b32_e32 v55, v46
	v_pk_add_f32 v[46:47], v[56:57], v[54:55] neg_lo:[0,1] neg_hi:[0,1]
	v_add_f32_e32 v47, v61, v47
	v_add_f32_e32 v46, v46, v47
	;; [unrolled: 1-line block ×3, first 2 shown]
	v_mul_f32_e32 v61, v60, v47
	v_mul_f32_e32 v48, v59, v61
	v_fma_f32 v54, v61, v59, -v48
	v_fmac_f32_e32 v54, v61, v45
	v_sub_f32_e32 v45, v49, v47
	v_add_f32_e32 v45, v46, v45
	v_add_f32_e32 v46, v48, v54
	v_sub_f32_e32 v49, v47, v46
	v_pk_add_f32 v[56:57], v[46:47], v[48:49] neg_lo:[0,1] neg_hi:[0,1]
	v_mov_b32_e32 v55, v46
	v_pk_add_f32 v[46:47], v[56:57], v[54:55] neg_lo:[0,1] neg_hi:[0,1]
	v_add_f32_e32 v45, v45, v47
	v_add_f32_e32 v45, v46, v45
	v_add_f32_e32 v46, v62, v61
	v_add_f32_e32 v45, v49, v45
	v_sub_f32_e32 v47, v46, v62
	v_mul_f32_e32 v45, v60, v45
	v_sub_f32_e32 v47, v61, v47
	v_add_f32_e32 v45, v47, v45
	v_add_f32_e32 v49, v46, v45
	v_mul_f32_e32 v54, v49, v49
	v_mov_b32_e32 v48, 0x3ecc95a3
	v_fmac_f32_e32 v48, 0x3e9b6dac, v54
	v_mov_b32_e32 v47, 0x3f2aaada
	v_fmac_f32_e32 v47, v54, v48
	v_cvt_f32_i32_e32 v48, v58
	v_sub_f32_e32 v46, v49, v46
	v_sub_f32_e32 v45, v45, v46
	v_ldexp_f32 v55, v49, 1
	v_mul_f32_e32 v49, v49, v54
	v_mov_b32_e32 v46, 0x3f317218
	s_mov_b32 s2, 0x3f317218
	v_pk_mul_f32 v[46:47], v[48:49], v[46:47]
	v_fma_f32 v54, v48, s2, -v46
	v_fmac_f32_e32 v54, 0xb102e308, v48
	v_pk_add_f32 v[48:49], v[46:47], v[54:55]
	v_sub_f32_e32 v55, v49, v55
	v_ldexp_f32 v45, v45, 1
	v_sub_f32_e32 v55, v47, v55
	v_add_f32_e32 v57, v45, v55
	v_mov_b32_e32 v56, v46
	v_pk_add_f32 v[46:47], v[48:49], v[46:47] neg_lo:[0,1] neg_hi:[0,1]
	v_pk_add_f32 v[58:59], v[48:49], v[56:57]
	v_mov_b32_e32 v47, v59
	v_mov_b32_e32 v55, v48
	v_pk_add_f32 v[60:61], v[54:55], v[46:47] neg_lo:[0,1] neg_hi:[0,1]
	v_pk_add_f32 v[46:47], v[54:55], v[46:47]
	v_mov_b32_e32 v54, v47
	v_pk_add_f32 v[62:63], v[54:55], v[48:49] neg_lo:[0,1] neg_hi:[0,1]
	v_mov_b32_e32 v45, v62
	v_pk_add_f32 v[64:65], v[58:59], v[44:45] neg_lo:[0,1] neg_hi:[0,1]
	v_mov_b32_e32 v46, v59
	v_mov_b32_e32 v58, v49
	;; [unrolled: 1-line block ×4, first 2 shown]
	v_pk_add_f32 v[46:47], v[46:47], v[58:59] neg_lo:[0,1] neg_hi:[0,1]
	v_mov_b32_e32 v56, v57
	v_mov_b32_e32 v57, v48
	v_pk_add_f32 v[46:47], v[56:57], v[46:47] neg_lo:[0,1] neg_hi:[0,1]
	v_mov_b32_e32 v64, v60
	v_pk_add_f32 v[48:49], v[64:65], v[46:47]
	v_mov_b32_e32 v56, v49
	v_pk_add_f32 v[56:57], v[48:49], v[56:57]
	v_pk_add_f32 v[54:55], v[54:55], v[56:57]
	v_mov_b32_e32 v49, v54
	v_pk_add_f32 v[58:59], v[48:49], v[60:61] neg_lo:[0,1] neg_hi:[0,1]
	v_mov_b32_e32 v47, v56
	v_sub_f32_e32 v45, v48, v58
	v_pk_add_f32 v[46:47], v[46:47], v[58:59] neg_lo:[0,1] neg_hi:[0,1]
	v_sub_f32_e32 v45, v60, v45
	s_mov_b32 s3, 0x7f800000
	v_add_f32_e32 v45, v46, v45
	s_mov_b32 s2, 0x33800000
	v_add_f32_e32 v45, v45, v47
	v_cmp_eq_f32_e64 s[86:87], s3, v66
	v_cmp_lt_f32_e64 s[88:89], |v66|, s2
	v_add_f32_e32 v45, v54, v45
	s_or_b64 s[86:87], s[86:87], s[88:89]
	v_cndmask_b32_e64 v45, v45, v66, s[86:87]
	v_add_f32_e32 v46, v42, v45
.LBB502_88:
	s_or_b64 exec, exec, s[0:1]
	v_bfe_u32 v42, v46, 16, 1
	s_movk_i32 s90, 0x7fff
	v_add3_u32 v42, v46, v42, s90
	v_and_b32_e32 v42, 0xffff0000, v42
	v_mov_b32_e32 v45, 0x7fc00000
	v_cmp_o_f32_e64 s[86:87], v46, v46
	v_cndmask_b32_e64 v48, v45, v42, s[86:87]
	v_lshlrev_b32_e32 v42, 16, v8
	v_max_f32_e32 v47, v48, v48
	v_max_f32_e32 v46, v42, v42
	v_min_f32_e32 v49, v47, v46
	v_cmp_u_f32_e64 s[88:89], v48, v48
	v_max_f32_e32 v47, v47, v46
	v_cndmask_b32_e64 v49, v49, v48, s[88:89]
	v_cmp_u_f32_e64 s[86:87], v42, v42
	v_cndmask_b32_e64 v47, v47, v48, s[88:89]
	v_cndmask_b32_e64 v49, v49, v42, s[86:87]
	;; [unrolled: 1-line block ×3, first 2 shown]
	v_cmp_neq_f32_e64 s[88:89], v49, v47
	v_cmp_class_f32_e64 s[0:1], v49, s33
	s_or_b64 s[88:89], s[88:89], s[0:1]
	s_and_saveexec_b64 s[0:1], s[88:89]
	s_cbranch_execz .LBB502_90
; %bb.89:
	v_sub_f32_e32 v48, v49, v47
	s_mov_b32 s2, 0x3fb8aa3b
	v_mul_f32_e32 v49, 0x3fb8aa3b, v48
	v_fma_f32 v54, v48, s2, -v49
	v_rndne_f32_e32 v55, v49
	v_fmac_f32_e32 v54, 0x32a5705f, v48
	v_sub_f32_e32 v49, v49, v55
	v_add_f32_e32 v49, v49, v54
	v_exp_f32_e32 v49, v49
	v_cvt_i32_f32_e32 v54, v55
	s_mov_b32 s2, 0xc2ce8ed0
	v_cmp_ngt_f32_e64 s[88:89], s2, v48
	s_mov_b32 s2, 0x42b17218
	v_ldexp_f32 v49, v49, v54
	v_cndmask_b32_e64 v49, 0, v49, s[88:89]
	v_mov_b32_e32 v54, 0x7f800000
	v_cmp_nlt_f32_e64 s[88:89], s2, v48
	v_cndmask_b32_e64 v68, v54, v49, s[88:89]
	v_add_f32_e32 v54, 1.0, v68
	v_add_f32_e32 v48, -1.0, v54
	v_sub_f32_e32 v49, v48, v54
	v_add_f32_e32 v49, 1.0, v49
	v_sub_f32_e32 v48, v68, v48
	v_add_f32_e32 v55, v48, v49
	v_frexp_mant_f32_e32 v56, v54
	s_mov_b32 s2, 0x3f2aaaab
	v_cvt_f64_f32_e32 v[48:49], v54
	v_frexp_exp_i32_f64_e32 v48, v[48:49]
	v_cmp_gt_f32_e64 s[88:89], s2, v56
	v_subbrev_co_u32_e64 v60, s[88:89], 0, v48, s[88:89]
	v_sub_u32_e32 v48, 0, v60
	v_ldexp_f32 v49, v54, v48
	v_add_f32_e32 v54, -1.0, v49
	v_add_f32_e32 v56, 1.0, v49
	v_ldexp_f32 v48, v55, v48
	v_add_f32_e32 v55, 1.0, v54
	v_add_f32_e32 v57, -1.0, v56
	v_sub_f32_e32 v55, v49, v55
	v_sub_f32_e32 v49, v49, v57
	v_add_f32_e32 v55, v48, v55
	v_add_f32_e32 v48, v48, v49
	;; [unrolled: 1-line block ×3, first 2 shown]
	v_rcp_f32_e32 v63, v61
	v_sub_f32_e32 v49, v56, v61
	v_add_f32_e32 v62, v48, v49
	v_add_f32_e32 v49, v54, v55
	v_mul_f32_e32 v65, v49, v63
	v_sub_f32_e32 v48, v54, v49
	v_mul_f32_e32 v54, v61, v65
	v_fma_f32 v56, v65, v61, -v54
	v_fmac_f32_e32 v56, v65, v62
	v_add_f32_e32 v64, v55, v48
	v_add_f32_e32 v48, v54, v56
	v_sub_f32_e32 v55, v49, v48
	v_pk_add_f32 v[58:59], v[48:49], v[54:55] neg_lo:[0,1] neg_hi:[0,1]
	v_mov_b32_e32 v57, v48
	v_pk_add_f32 v[48:49], v[58:59], v[56:57] neg_lo:[0,1] neg_hi:[0,1]
	v_add_f32_e32 v49, v64, v49
	v_add_f32_e32 v48, v48, v49
	;; [unrolled: 1-line block ×3, first 2 shown]
	v_mul_f32_e32 v64, v63, v49
	v_mul_f32_e32 v54, v61, v64
	v_fma_f32 v56, v64, v61, -v54
	v_fmac_f32_e32 v56, v64, v62
	v_sub_f32_e32 v55, v55, v49
	v_add_f32_e32 v61, v48, v55
	v_add_f32_e32 v48, v54, v56
	v_sub_f32_e32 v55, v49, v48
	v_pk_add_f32 v[58:59], v[48:49], v[54:55] neg_lo:[0,1] neg_hi:[0,1]
	v_mov_b32_e32 v57, v48
	v_pk_add_f32 v[48:49], v[58:59], v[56:57] neg_lo:[0,1] neg_hi:[0,1]
	v_add_f32_e32 v49, v61, v49
	v_add_f32_e32 v48, v48, v49
	;; [unrolled: 1-line block ×4, first 2 shown]
	v_sub_f32_e32 v49, v55, v65
	v_mul_f32_e32 v48, v63, v48
	v_sub_f32_e32 v49, v64, v49
	v_add_f32_e32 v48, v49, v48
	v_add_f32_e32 v56, v55, v48
	v_mul_f32_e32 v58, v56, v56
	v_mov_b32_e32 v54, 0x3ecc95a3
	v_fmac_f32_e32 v54, 0x3e9b6dac, v58
	v_mov_b32_e32 v49, 0x3f2aaada
	v_fmac_f32_e32 v49, v58, v54
	v_cvt_f32_i32_e32 v54, v60
	v_sub_f32_e32 v55, v56, v55
	v_sub_f32_e32 v48, v48, v55
	v_ldexp_f32 v59, v48, 1
	v_mul_f32_e32 v55, v56, v58
	v_mov_b32_e32 v48, 0x3f317218
	s_mov_b32 s2, 0x3f317218
	v_pk_mul_f32 v[48:49], v[54:55], v[48:49]
	v_ldexp_f32 v57, v56, 1
	v_fma_f32 v56, v54, s2, -v48
	v_fmac_f32_e32 v56, 0xb102e308, v54
	v_pk_add_f32 v[54:55], v[48:49], v[56:57]
	v_sub_f32_e32 v57, v55, v57
	v_sub_f32_e32 v57, v49, v57
	v_add_f32_e32 v59, v59, v57
	v_mov_b32_e32 v58, v48
	v_pk_add_f32 v[48:49], v[54:55], v[48:49] neg_lo:[0,1] neg_hi:[0,1]
	v_pk_add_f32 v[60:61], v[54:55], v[58:59]
	v_mov_b32_e32 v49, v61
	v_mov_b32_e32 v57, v54
	v_pk_add_f32 v[62:63], v[56:57], v[48:49] neg_lo:[0,1] neg_hi:[0,1]
	v_pk_add_f32 v[48:49], v[56:57], v[48:49]
	v_mov_b32_e32 v56, v49
	v_pk_add_f32 v[64:65], v[56:57], v[54:55] neg_lo:[0,1] neg_hi:[0,1]
	v_mov_b32_e32 v57, v64
	v_pk_add_f32 v[66:67], v[60:61], v[56:57] neg_lo:[0,1] neg_hi:[0,1]
	v_mov_b32_e32 v48, v61
	v_mov_b32_e32 v60, v55
	;; [unrolled: 1-line block ×4, first 2 shown]
	v_pk_add_f32 v[48:49], v[48:49], v[60:61] neg_lo:[0,1] neg_hi:[0,1]
	v_mov_b32_e32 v58, v59
	v_mov_b32_e32 v59, v54
	v_pk_add_f32 v[48:49], v[58:59], v[48:49] neg_lo:[0,1] neg_hi:[0,1]
	v_mov_b32_e32 v66, v62
	v_pk_add_f32 v[54:55], v[66:67], v[48:49]
	v_mov_b32_e32 v58, v55
	v_pk_add_f32 v[58:59], v[54:55], v[58:59]
	v_pk_add_f32 v[56:57], v[56:57], v[58:59]
	v_mov_b32_e32 v55, v56
	v_pk_add_f32 v[60:61], v[54:55], v[62:63] neg_lo:[0,1] neg_hi:[0,1]
	v_mov_b32_e32 v49, v58
	v_sub_f32_e32 v54, v54, v60
	v_pk_add_f32 v[48:49], v[48:49], v[60:61] neg_lo:[0,1] neg_hi:[0,1]
	v_sub_f32_e32 v54, v62, v54
	s_mov_b32 s3, 0x7f800000
	v_add_f32_e32 v48, v48, v54
	s_mov_b32 s2, 0x33800000
	v_add_f32_e32 v48, v48, v49
	v_cmp_eq_f32_e64 s[88:89], s3, v68
	v_cmp_lt_f32_e64 s[92:93], |v68|, s2
	v_add_f32_e32 v48, v56, v48
	s_or_b64 s[88:89], s[88:89], s[92:93]
	v_cndmask_b32_e64 v48, v48, v68, s[88:89]
	v_add_f32_e32 v48, v47, v48
.LBB502_90:
	s_or_b64 exec, exec, s[0:1]
	v_bfe_u32 v47, v48, 16, 1
	v_add3_u32 v47, v48, v47, s90
	v_and_b32_e32 v47, 0xffff0000, v47
	v_cmp_o_f32_e64 s[88:89], v48, v48
	v_cndmask_b32_e64 v48, v45, v47, s[88:89]
	v_and_b32_e32 v8, 0xffff0000, v8
	v_max_f32_e32 v45, v48, v48
	v_max_f32_e32 v47, v8, v8
	v_min_f32_e32 v49, v45, v47
	v_cmp_u_f32_e64 s[90:91], v48, v48
	v_max_f32_e32 v45, v45, v47
	v_cndmask_b32_e64 v49, v49, v48, s[90:91]
	v_cmp_u_f32_e64 s[88:89], v8, v8
	v_cndmask_b32_e64 v45, v45, v48, s[90:91]
	v_cndmask_b32_e64 v49, v49, v8, s[88:89]
	;; [unrolled: 1-line block ×3, first 2 shown]
	v_cmp_neq_f32_e64 s[90:91], v49, v45
	v_cmp_class_f32_e64 s[0:1], v49, s33
	s_or_b64 s[90:91], s[90:91], s[0:1]
	s_and_saveexec_b64 s[0:1], s[90:91]
	s_cbranch_execz .LBB502_92
; %bb.91:
	v_sub_f32_e32 v48, v49, v45
	s_mov_b32 s2, 0x3fb8aa3b
	v_mul_f32_e32 v49, 0x3fb8aa3b, v48
	v_fma_f32 v54, v48, s2, -v49
	v_rndne_f32_e32 v55, v49
	v_fmac_f32_e32 v54, 0x32a5705f, v48
	v_sub_f32_e32 v49, v49, v55
	v_add_f32_e32 v49, v49, v54
	v_exp_f32_e32 v49, v49
	v_cvt_i32_f32_e32 v54, v55
	s_mov_b32 s2, 0xc2ce8ed0
	v_cmp_ngt_f32_e64 s[90:91], s2, v48
	s_mov_b32 s2, 0x42b17218
	v_ldexp_f32 v49, v49, v54
	v_cndmask_b32_e64 v49, 0, v49, s[90:91]
	v_mov_b32_e32 v54, 0x7f800000
	v_cmp_nlt_f32_e64 s[90:91], s2, v48
	v_cndmask_b32_e64 v68, v54, v49, s[90:91]
	v_add_f32_e32 v54, 1.0, v68
	v_add_f32_e32 v48, -1.0, v54
	v_sub_f32_e32 v49, v48, v54
	v_add_f32_e32 v49, 1.0, v49
	v_sub_f32_e32 v48, v68, v48
	v_add_f32_e32 v55, v48, v49
	v_frexp_mant_f32_e32 v56, v54
	s_mov_b32 s2, 0x3f2aaaab
	v_cvt_f64_f32_e32 v[48:49], v54
	v_frexp_exp_i32_f64_e32 v48, v[48:49]
	v_cmp_gt_f32_e64 s[90:91], s2, v56
	v_subbrev_co_u32_e64 v60, s[90:91], 0, v48, s[90:91]
	v_sub_u32_e32 v48, 0, v60
	v_ldexp_f32 v49, v54, v48
	v_add_f32_e32 v54, -1.0, v49
	v_add_f32_e32 v56, 1.0, v49
	v_ldexp_f32 v48, v55, v48
	v_add_f32_e32 v55, 1.0, v54
	v_add_f32_e32 v57, -1.0, v56
	v_sub_f32_e32 v55, v49, v55
	v_sub_f32_e32 v49, v49, v57
	v_add_f32_e32 v55, v48, v55
	v_add_f32_e32 v48, v48, v49
	;; [unrolled: 1-line block ×3, first 2 shown]
	v_rcp_f32_e32 v63, v61
	v_sub_f32_e32 v49, v56, v61
	v_add_f32_e32 v62, v48, v49
	v_add_f32_e32 v49, v54, v55
	v_mul_f32_e32 v65, v49, v63
	v_sub_f32_e32 v48, v54, v49
	v_mul_f32_e32 v54, v61, v65
	v_fma_f32 v56, v65, v61, -v54
	v_fmac_f32_e32 v56, v65, v62
	v_add_f32_e32 v64, v55, v48
	v_add_f32_e32 v48, v54, v56
	v_sub_f32_e32 v55, v49, v48
	v_pk_add_f32 v[58:59], v[48:49], v[54:55] neg_lo:[0,1] neg_hi:[0,1]
	v_mov_b32_e32 v57, v48
	v_pk_add_f32 v[48:49], v[58:59], v[56:57] neg_lo:[0,1] neg_hi:[0,1]
	v_add_f32_e32 v49, v64, v49
	v_add_f32_e32 v48, v48, v49
	;; [unrolled: 1-line block ×3, first 2 shown]
	v_mul_f32_e32 v64, v63, v49
	v_mul_f32_e32 v54, v61, v64
	v_fma_f32 v56, v64, v61, -v54
	v_fmac_f32_e32 v56, v64, v62
	v_sub_f32_e32 v55, v55, v49
	v_add_f32_e32 v61, v48, v55
	v_add_f32_e32 v48, v54, v56
	v_sub_f32_e32 v55, v49, v48
	v_pk_add_f32 v[58:59], v[48:49], v[54:55] neg_lo:[0,1] neg_hi:[0,1]
	v_mov_b32_e32 v57, v48
	v_pk_add_f32 v[48:49], v[58:59], v[56:57] neg_lo:[0,1] neg_hi:[0,1]
	v_add_f32_e32 v49, v61, v49
	v_add_f32_e32 v48, v48, v49
	;; [unrolled: 1-line block ×4, first 2 shown]
	v_sub_f32_e32 v49, v55, v65
	v_mul_f32_e32 v48, v63, v48
	v_sub_f32_e32 v49, v64, v49
	v_add_f32_e32 v48, v49, v48
	v_add_f32_e32 v56, v55, v48
	v_mul_f32_e32 v58, v56, v56
	v_mov_b32_e32 v54, 0x3ecc95a3
	v_fmac_f32_e32 v54, 0x3e9b6dac, v58
	v_mov_b32_e32 v49, 0x3f2aaada
	v_fmac_f32_e32 v49, v58, v54
	v_cvt_f32_i32_e32 v54, v60
	v_sub_f32_e32 v55, v56, v55
	v_sub_f32_e32 v48, v48, v55
	v_ldexp_f32 v59, v48, 1
	v_mul_f32_e32 v55, v56, v58
	v_mov_b32_e32 v48, 0x3f317218
	s_mov_b32 s2, 0x3f317218
	v_pk_mul_f32 v[48:49], v[54:55], v[48:49]
	v_ldexp_f32 v57, v56, 1
	v_fma_f32 v56, v54, s2, -v48
	v_fmac_f32_e32 v56, 0xb102e308, v54
	v_pk_add_f32 v[54:55], v[48:49], v[56:57]
	v_sub_f32_e32 v57, v55, v57
	v_sub_f32_e32 v57, v49, v57
	v_add_f32_e32 v59, v59, v57
	v_mov_b32_e32 v58, v48
	v_pk_add_f32 v[48:49], v[54:55], v[48:49] neg_lo:[0,1] neg_hi:[0,1]
	v_pk_add_f32 v[60:61], v[54:55], v[58:59]
	v_mov_b32_e32 v49, v61
	v_mov_b32_e32 v57, v54
	v_pk_add_f32 v[62:63], v[56:57], v[48:49] neg_lo:[0,1] neg_hi:[0,1]
	v_pk_add_f32 v[48:49], v[56:57], v[48:49]
	v_mov_b32_e32 v56, v49
	v_pk_add_f32 v[64:65], v[56:57], v[54:55] neg_lo:[0,1] neg_hi:[0,1]
	v_mov_b32_e32 v57, v64
	v_pk_add_f32 v[66:67], v[60:61], v[56:57] neg_lo:[0,1] neg_hi:[0,1]
	v_mov_b32_e32 v48, v61
	v_mov_b32_e32 v60, v55
	;; [unrolled: 1-line block ×4, first 2 shown]
	v_pk_add_f32 v[48:49], v[48:49], v[60:61] neg_lo:[0,1] neg_hi:[0,1]
	v_mov_b32_e32 v58, v59
	v_mov_b32_e32 v59, v54
	v_pk_add_f32 v[48:49], v[58:59], v[48:49] neg_lo:[0,1] neg_hi:[0,1]
	v_mov_b32_e32 v66, v62
	v_pk_add_f32 v[54:55], v[66:67], v[48:49]
	v_mov_b32_e32 v58, v55
	v_pk_add_f32 v[58:59], v[54:55], v[58:59]
	v_pk_add_f32 v[56:57], v[56:57], v[58:59]
	v_mov_b32_e32 v55, v56
	v_pk_add_f32 v[60:61], v[54:55], v[62:63] neg_lo:[0,1] neg_hi:[0,1]
	v_mov_b32_e32 v49, v58
	v_sub_f32_e32 v54, v54, v60
	v_pk_add_f32 v[48:49], v[48:49], v[60:61] neg_lo:[0,1] neg_hi:[0,1]
	v_sub_f32_e32 v54, v62, v54
	s_mov_b32 s3, 0x7f800000
	v_add_f32_e32 v48, v48, v54
	s_mov_b32 s2, 0x33800000
	v_add_f32_e32 v48, v48, v49
	v_cmp_eq_f32_e64 s[90:91], s3, v68
	v_cmp_lt_f32_e64 s[92:93], |v68|, s2
	v_add_f32_e32 v48, v56, v48
	s_or_b64 s[90:91], s[90:91], s[92:93]
	v_cndmask_b32_e64 v48, v48, v68, s[90:91]
	v_add_f32_e32 v48, v45, v48
.LBB502_92:
	s_or_b64 exec, exec, s[0:1]
	v_bfe_u32 v45, v48, 16, 1
	s_movk_i32 vcc_lo, 0x7fff
	v_add3_u32 v45, v48, v45, vcc_lo
	v_and_b32_e32 v45, 0xffff0000, v45
	v_mov_b32_e32 v49, 0x7fc00000
	v_cmp_o_f32_e64 s[90:91], v48, v48
	v_cndmask_b32_e64 v55, v49, v45, s[90:91]
	v_lshlrev_b32_e32 v45, 16, v9
	v_max_f32_e32 v54, v55, v55
	v_max_f32_e32 v48, v45, v45
	v_min_f32_e32 v56, v54, v48
	v_cmp_u_f32_e64 s[92:93], v55, v55
	v_max_f32_e32 v54, v54, v48
	v_cndmask_b32_e64 v56, v56, v55, s[92:93]
	v_cmp_u_f32_e64 s[90:91], v45, v45
	v_cndmask_b32_e64 v54, v54, v55, s[92:93]
	v_cndmask_b32_e64 v56, v56, v45, s[90:91]
	v_cndmask_b32_e64 v54, v54, v45, s[90:91]
	v_cmp_neq_f32_e64 s[92:93], v56, v54
	v_cmp_class_f32_e64 s[0:1], v56, s33
	s_or_b64 s[92:93], s[92:93], s[0:1]
	s_and_saveexec_b64 s[0:1], s[92:93]
	s_cbranch_execz .LBB502_94
; %bb.93:
	v_sub_f32_e32 v55, v56, v54
	s_mov_b32 s2, 0x3fb8aa3b
	v_mul_f32_e32 v56, 0x3fb8aa3b, v55
	v_fma_f32 v57, v55, s2, -v56
	v_rndne_f32_e32 v58, v56
	v_fmac_f32_e32 v57, 0x32a5705f, v55
	v_sub_f32_e32 v56, v56, v58
	v_add_f32_e32 v56, v56, v57
	v_exp_f32_e32 v56, v56
	v_cvt_i32_f32_e32 v57, v58
	s_mov_b32 s2, 0xc2ce8ed0
	v_cmp_ngt_f32_e64 s[92:93], s2, v55
	s_mov_b32 s2, 0x42b17218
	v_ldexp_f32 v56, v56, v57
	v_cndmask_b32_e64 v56, 0, v56, s[92:93]
	v_mov_b32_e32 v57, 0x7f800000
	v_cmp_nlt_f32_e64 s[92:93], s2, v55
	v_cndmask_b32_e64 v72, v57, v56, s[92:93]
	v_add_f32_e32 v55, 1.0, v72
	v_add_f32_e32 v56, -1.0, v55
	v_sub_f32_e32 v57, v56, v55
	v_add_f32_e32 v57, 1.0, v57
	v_sub_f32_e32 v56, v72, v56
	v_add_f32_e32 v58, v56, v57
	v_frexp_mant_f32_e32 v59, v55
	s_mov_b32 s2, 0x3f2aaaab
	v_cvt_f64_f32_e32 v[56:57], v55
	v_frexp_exp_i32_f64_e32 v56, v[56:57]
	v_cmp_gt_f32_e64 s[92:93], s2, v59
	v_subbrev_co_u32_e64 v64, s[92:93], 0, v56, s[92:93]
	v_sub_u32_e32 v56, 0, v64
	v_ldexp_f32 v55, v55, v56
	v_ldexp_f32 v56, v58, v56
	v_add_f32_e32 v58, -1.0, v55
	v_add_f32_e32 v57, 1.0, v58
	v_sub_f32_e32 v57, v55, v57
	v_add_f32_e32 v59, v56, v57
	v_add_f32_e32 v57, 1.0, v55
	v_add_f32_e32 v60, -1.0, v57
	v_sub_f32_e32 v55, v55, v60
	v_add_f32_e32 v55, v56, v55
	v_add_f32_e32 v65, v57, v55
	v_rcp_f32_e32 v66, v65
	v_sub_f32_e32 v56, v57, v65
	v_add_f32_e32 v57, v58, v59
	v_add_f32_e32 v55, v55, v56
	v_mul_f32_e32 v68, v57, v66
	v_sub_f32_e32 v56, v58, v57
	v_mul_f32_e32 v58, v65, v68
	v_fma_f32 v60, v68, v65, -v58
	v_fmac_f32_e32 v60, v68, v55
	v_add_f32_e32 v67, v59, v56
	v_add_f32_e32 v56, v58, v60
	v_sub_f32_e32 v59, v57, v56
	v_pk_add_f32 v[62:63], v[56:57], v[58:59] neg_lo:[0,1] neg_hi:[0,1]
	v_mov_b32_e32 v61, v56
	v_pk_add_f32 v[56:57], v[62:63], v[60:61] neg_lo:[0,1] neg_hi:[0,1]
	v_add_f32_e32 v57, v67, v57
	v_add_f32_e32 v56, v56, v57
	;; [unrolled: 1-line block ×3, first 2 shown]
	v_mul_f32_e32 v67, v66, v57
	v_mul_f32_e32 v58, v65, v67
	v_fma_f32 v60, v67, v65, -v58
	v_fmac_f32_e32 v60, v67, v55
	v_sub_f32_e32 v55, v59, v57
	v_add_f32_e32 v55, v56, v55
	v_add_f32_e32 v56, v58, v60
	v_sub_f32_e32 v59, v57, v56
	v_pk_add_f32 v[62:63], v[56:57], v[58:59] neg_lo:[0,1] neg_hi:[0,1]
	v_mov_b32_e32 v61, v56
	v_pk_add_f32 v[56:57], v[62:63], v[60:61] neg_lo:[0,1] neg_hi:[0,1]
	v_add_f32_e32 v55, v55, v57
	v_add_f32_e32 v55, v56, v55
	;; [unrolled: 1-line block ×4, first 2 shown]
	v_sub_f32_e32 v57, v56, v68
	v_mul_f32_e32 v55, v66, v55
	v_sub_f32_e32 v57, v67, v57
	v_add_f32_e32 v55, v57, v55
	v_add_f32_e32 v59, v56, v55
	v_mul_f32_e32 v60, v59, v59
	v_mov_b32_e32 v58, 0x3ecc95a3
	v_fmac_f32_e32 v58, 0x3e9b6dac, v60
	v_mov_b32_e32 v57, 0x3f2aaada
	v_fmac_f32_e32 v57, v60, v58
	v_cvt_f32_i32_e32 v58, v64
	v_sub_f32_e32 v56, v59, v56
	v_sub_f32_e32 v55, v55, v56
	v_ldexp_f32 v61, v59, 1
	v_mul_f32_e32 v59, v59, v60
	v_mov_b32_e32 v56, 0x3f317218
	s_mov_b32 s2, 0x3f317218
	v_pk_mul_f32 v[56:57], v[58:59], v[56:57]
	v_fma_f32 v60, v58, s2, -v56
	v_fmac_f32_e32 v60, 0xb102e308, v58
	v_pk_add_f32 v[58:59], v[56:57], v[60:61]
	v_sub_f32_e32 v61, v59, v61
	v_ldexp_f32 v55, v55, 1
	v_sub_f32_e32 v61, v57, v61
	v_add_f32_e32 v63, v55, v61
	v_mov_b32_e32 v62, v56
	v_pk_add_f32 v[56:57], v[58:59], v[56:57] neg_lo:[0,1] neg_hi:[0,1]
	v_pk_add_f32 v[64:65], v[58:59], v[62:63]
	v_mov_b32_e32 v57, v65
	v_mov_b32_e32 v61, v58
	v_pk_add_f32 v[66:67], v[60:61], v[56:57] neg_lo:[0,1] neg_hi:[0,1]
	v_pk_add_f32 v[56:57], v[60:61], v[56:57]
	v_mov_b32_e32 v60, v57
	v_pk_add_f32 v[68:69], v[60:61], v[58:59] neg_lo:[0,1] neg_hi:[0,1]
	v_mov_b32_e32 v55, v68
	v_pk_add_f32 v[70:71], v[64:65], v[54:55] neg_lo:[0,1] neg_hi:[0,1]
	v_mov_b32_e32 v56, v65
	v_mov_b32_e32 v64, v59
	;; [unrolled: 1-line block ×4, first 2 shown]
	v_pk_add_f32 v[56:57], v[56:57], v[64:65] neg_lo:[0,1] neg_hi:[0,1]
	v_mov_b32_e32 v62, v63
	v_mov_b32_e32 v63, v58
	v_pk_add_f32 v[56:57], v[62:63], v[56:57] neg_lo:[0,1] neg_hi:[0,1]
	v_mov_b32_e32 v70, v66
	v_pk_add_f32 v[58:59], v[70:71], v[56:57]
	v_mov_b32_e32 v62, v59
	v_pk_add_f32 v[62:63], v[58:59], v[62:63]
	v_pk_add_f32 v[60:61], v[60:61], v[62:63]
	v_mov_b32_e32 v59, v60
	v_pk_add_f32 v[64:65], v[58:59], v[66:67] neg_lo:[0,1] neg_hi:[0,1]
	v_mov_b32_e32 v57, v62
	v_sub_f32_e32 v55, v58, v64
	v_pk_add_f32 v[56:57], v[56:57], v[64:65] neg_lo:[0,1] neg_hi:[0,1]
	v_sub_f32_e32 v55, v66, v55
	s_mov_b32 s3, 0x7f800000
	v_add_f32_e32 v55, v56, v55
	s_mov_b32 s2, 0x33800000
	v_add_f32_e32 v55, v55, v57
	v_cmp_eq_f32_e64 s[92:93], s3, v72
	v_cmp_lt_f32_e64 s[2:3], |v72|, s2
	v_add_f32_e32 v55, v60, v55
	s_or_b64 s[92:93], s[92:93], s[2:3]
	v_cndmask_b32_e64 v55, v55, v72, s[92:93]
	v_add_f32_e32 v55, v54, v55
.LBB502_94:
	s_or_b64 exec, exec, s[0:1]
	v_bfe_u32 v54, v55, 16, 1
	v_add3_u32 v54, v55, v54, vcc_lo
	v_and_b32_e32 v54, 0xffff0000, v54
	v_cmp_o_f32_e64 s[92:93], v55, v55
	v_cndmask_b32_e64 v55, v49, v54, s[92:93]
	v_and_b32_e32 v9, 0xffff0000, v9
	v_max_f32_e32 v54, v55, v55
	v_max_f32_e32 v49, v9, v9
	v_min_f32_e32 v56, v54, v49
	v_cmp_u_f32_e32 vcc, v55, v55
	v_max_f32_e32 v54, v54, v49
	v_cndmask_b32_e32 v56, v56, v55, vcc
	v_cmp_u_f32_e64 s[92:93], v9, v9
	v_cndmask_b32_e32 v54, v54, v55, vcc
	v_cndmask_b32_e64 v56, v56, v9, s[92:93]
	v_cndmask_b32_e64 v54, v54, v9, s[92:93]
	s_movk_i32 s0, 0x1f8
	v_cmp_neq_f32_e32 vcc, v56, v54
	v_cmp_class_f32_e64 s[0:1], v56, s0
	s_or_b64 s[2:3], vcc, s[0:1]
	s_and_saveexec_b64 s[0:1], s[2:3]
	s_cbranch_execz .LBB502_96
; %bb.95:
	v_sub_f32_e32 v55, v56, v54
	s_mov_b32 s2, 0x3fb8aa3b
	v_mul_f32_e32 v56, 0x3fb8aa3b, v55
	v_fma_f32 v57, v55, s2, -v56
	v_rndne_f32_e32 v58, v56
	v_fmac_f32_e32 v57, 0x32a5705f, v55
	v_sub_f32_e32 v56, v56, v58
	v_add_f32_e32 v56, v56, v57
	v_exp_f32_e32 v56, v56
	v_cvt_i32_f32_e32 v57, v58
	s_mov_b32 s2, 0xc2ce8ed0
	v_cmp_ngt_f32_e32 vcc, s2, v55
	s_mov_b32 s2, 0x42b17218
	v_ldexp_f32 v56, v56, v57
	v_cndmask_b32_e32 v56, 0, v56, vcc
	v_mov_b32_e32 v57, 0x7f800000
	v_cmp_nlt_f32_e32 vcc, s2, v55
	v_cndmask_b32_e32 v72, v57, v56, vcc
	v_add_f32_e32 v55, 1.0, v72
	v_add_f32_e32 v56, -1.0, v55
	v_sub_f32_e32 v57, v56, v55
	v_add_f32_e32 v57, 1.0, v57
	v_sub_f32_e32 v56, v72, v56
	v_add_f32_e32 v58, v56, v57
	v_frexp_mant_f32_e32 v59, v55
	s_mov_b32 s2, 0x3f2aaaab
	v_cvt_f64_f32_e32 v[56:57], v55
	v_frexp_exp_i32_f64_e32 v56, v[56:57]
	v_cmp_gt_f32_e32 vcc, s2, v59
	v_subbrev_co_u32_e32 v64, vcc, 0, v56, vcc
	v_sub_u32_e32 v56, 0, v64
	v_ldexp_f32 v55, v55, v56
	v_ldexp_f32 v56, v58, v56
	v_add_f32_e32 v58, -1.0, v55
	v_add_f32_e32 v57, 1.0, v58
	v_sub_f32_e32 v57, v55, v57
	v_add_f32_e32 v59, v56, v57
	v_add_f32_e32 v57, 1.0, v55
	v_add_f32_e32 v60, -1.0, v57
	v_sub_f32_e32 v55, v55, v60
	v_add_f32_e32 v55, v56, v55
	v_add_f32_e32 v65, v57, v55
	v_rcp_f32_e32 v66, v65
	v_sub_f32_e32 v56, v57, v65
	v_add_f32_e32 v57, v58, v59
	v_add_f32_e32 v55, v55, v56
	v_mul_f32_e32 v68, v57, v66
	v_sub_f32_e32 v56, v58, v57
	v_mul_f32_e32 v58, v65, v68
	v_fma_f32 v60, v68, v65, -v58
	v_fmac_f32_e32 v60, v68, v55
	v_add_f32_e32 v67, v59, v56
	v_add_f32_e32 v56, v58, v60
	v_sub_f32_e32 v59, v57, v56
	v_pk_add_f32 v[62:63], v[56:57], v[58:59] neg_lo:[0,1] neg_hi:[0,1]
	v_mov_b32_e32 v61, v56
	v_pk_add_f32 v[56:57], v[62:63], v[60:61] neg_lo:[0,1] neg_hi:[0,1]
	v_add_f32_e32 v57, v67, v57
	v_add_f32_e32 v56, v56, v57
	;; [unrolled: 1-line block ×3, first 2 shown]
	v_mul_f32_e32 v67, v66, v57
	v_mul_f32_e32 v58, v65, v67
	v_fma_f32 v60, v67, v65, -v58
	v_fmac_f32_e32 v60, v67, v55
	v_sub_f32_e32 v55, v59, v57
	v_add_f32_e32 v55, v56, v55
	v_add_f32_e32 v56, v58, v60
	v_sub_f32_e32 v59, v57, v56
	v_pk_add_f32 v[62:63], v[56:57], v[58:59] neg_lo:[0,1] neg_hi:[0,1]
	v_mov_b32_e32 v61, v56
	v_pk_add_f32 v[56:57], v[62:63], v[60:61] neg_lo:[0,1] neg_hi:[0,1]
	v_add_f32_e32 v55, v55, v57
	v_add_f32_e32 v55, v56, v55
	;; [unrolled: 1-line block ×4, first 2 shown]
	v_sub_f32_e32 v57, v56, v68
	v_mul_f32_e32 v55, v66, v55
	v_sub_f32_e32 v57, v67, v57
	v_add_f32_e32 v55, v57, v55
	v_add_f32_e32 v59, v56, v55
	v_mul_f32_e32 v60, v59, v59
	v_mov_b32_e32 v58, 0x3ecc95a3
	v_fmac_f32_e32 v58, 0x3e9b6dac, v60
	v_mov_b32_e32 v57, 0x3f2aaada
	v_fmac_f32_e32 v57, v60, v58
	v_cvt_f32_i32_e32 v58, v64
	v_sub_f32_e32 v56, v59, v56
	v_sub_f32_e32 v55, v55, v56
	v_ldexp_f32 v61, v59, 1
	v_mul_f32_e32 v59, v59, v60
	v_mov_b32_e32 v56, 0x3f317218
	s_mov_b32 s2, 0x3f317218
	v_pk_mul_f32 v[56:57], v[58:59], v[56:57]
	v_fma_f32 v60, v58, s2, -v56
	v_fmac_f32_e32 v60, 0xb102e308, v58
	v_pk_add_f32 v[58:59], v[56:57], v[60:61]
	v_sub_f32_e32 v61, v59, v61
	v_ldexp_f32 v55, v55, 1
	v_sub_f32_e32 v61, v57, v61
	v_add_f32_e32 v63, v55, v61
	v_mov_b32_e32 v62, v56
	v_pk_add_f32 v[56:57], v[58:59], v[56:57] neg_lo:[0,1] neg_hi:[0,1]
	v_pk_add_f32 v[64:65], v[58:59], v[62:63]
	v_mov_b32_e32 v57, v65
	v_mov_b32_e32 v61, v58
	v_pk_add_f32 v[66:67], v[60:61], v[56:57] neg_lo:[0,1] neg_hi:[0,1]
	v_pk_add_f32 v[56:57], v[60:61], v[56:57]
	v_mov_b32_e32 v60, v57
	v_pk_add_f32 v[68:69], v[60:61], v[58:59] neg_lo:[0,1] neg_hi:[0,1]
	v_mov_b32_e32 v55, v68
	v_pk_add_f32 v[70:71], v[64:65], v[54:55] neg_lo:[0,1] neg_hi:[0,1]
	v_mov_b32_e32 v56, v65
	v_mov_b32_e32 v64, v59
	;; [unrolled: 1-line block ×4, first 2 shown]
	v_pk_add_f32 v[56:57], v[56:57], v[64:65] neg_lo:[0,1] neg_hi:[0,1]
	v_mov_b32_e32 v62, v63
	v_mov_b32_e32 v63, v58
	v_pk_add_f32 v[56:57], v[62:63], v[56:57] neg_lo:[0,1] neg_hi:[0,1]
	v_mov_b32_e32 v70, v66
	v_pk_add_f32 v[58:59], v[70:71], v[56:57]
	v_mov_b32_e32 v62, v59
	v_pk_add_f32 v[62:63], v[58:59], v[62:63]
	v_pk_add_f32 v[60:61], v[60:61], v[62:63]
	v_mov_b32_e32 v59, v60
	v_pk_add_f32 v[64:65], v[58:59], v[66:67] neg_lo:[0,1] neg_hi:[0,1]
	v_mov_b32_e32 v57, v62
	v_sub_f32_e32 v55, v58, v64
	v_pk_add_f32 v[56:57], v[56:57], v[64:65] neg_lo:[0,1] neg_hi:[0,1]
	v_sub_f32_e32 v55, v66, v55
	s_mov_b32 s3, 0x7f800000
	v_add_f32_e32 v55, v56, v55
	s_mov_b32 s2, 0x33800000
	v_add_f32_e32 v55, v55, v57
	v_cmp_eq_f32_e32 vcc, s3, v72
	v_cmp_lt_f32_e64 s[2:3], |v72|, s2
	v_add_f32_e32 v55, v60, v55
	s_or_b64 vcc, vcc, s[2:3]
	v_cndmask_b32_e32 v55, v55, v72, vcc
	v_add_f32_e32 v55, v54, v55
.LBB502_96:
	s_or_b64 exec, exec, s[0:1]
	s_load_dwordx2 s[0:1], s[4:5], 0x18
	v_bfe_u32 v54, v55, 16, 1
	v_mov_b32_e32 v56, 0x7fc0
	v_cmp_o_f32_e32 vcc, v55, v55
	s_waitcnt lgkmcnt(0)
	v_writelane_b32 v75, s0, 8
	v_writelane_b32 v75, s1, 9
	s_movk_i32 s0, 0x7fff
	v_add3_u32 v54, v55, v54, s0
	v_lshrrev_b32_e32 v54, 16, v54
	v_cndmask_b32_e32 v57, v56, v54, vcc
	v_mbcnt_lo_u32_b32 v54, -1, 0
	v_mbcnt_hi_u32_b32 v55, -1, v54
	v_and_b32_e32 v56, 15, v55
	v_and_b32_e32 v58, 0xffff, v57
	v_cmp_ne_u32_e32 vcc, 0, v56
	s_nop 0
	v_mov_b32_dpp v54, v58 row_shr:1 row_mask:0xf bank_mask:0xf
	s_and_saveexec_b64 s[0:1], vcc
	s_cbranch_execz .LBB502_100
; %bb.97:
	v_lshlrev_b32_e32 v57, 16, v54
	v_lshlrev_b32_e32 v54, 16, v58
	v_max_f32_e32 v59, v54, v54
	v_max_f32_e32 v60, v57, v57
	v_min_f32_e32 v58, v60, v59
	v_cmp_u_f32_e32 vcc, v57, v57
	v_max_f32_e32 v59, v60, v59
	v_cndmask_b32_e32 v58, v58, v57, vcc
	v_cmp_u_f32_e64 s[4:5], v54, v54
	v_cndmask_b32_e32 v59, v59, v57, vcc
	v_cndmask_b32_e64 v58, v58, v54, s[4:5]
	v_cndmask_b32_e64 v54, v59, v54, s[4:5]
	s_movk_i32 s2, 0x1f8
	v_cmp_neq_f32_e32 vcc, v58, v54
	v_cmp_class_f32_e64 s[2:3], v58, s2
	s_or_b64 s[2:3], vcc, s[2:3]
	s_and_saveexec_b64 s[4:5], s[2:3]
	s_cbranch_execz .LBB502_99
; %bb.98:
	v_sub_f32_e32 v57, v58, v54
	s_mov_b32 s2, 0x3fb8aa3b
	v_mul_f32_e32 v58, 0x3fb8aa3b, v57
	v_fma_f32 v59, v57, s2, -v58
	v_rndne_f32_e32 v60, v58
	v_fmac_f32_e32 v59, 0x32a5705f, v57
	v_sub_f32_e32 v58, v58, v60
	v_add_f32_e32 v58, v58, v59
	v_exp_f32_e32 v58, v58
	v_cvt_i32_f32_e32 v59, v60
	s_mov_b32 s2, 0xc2ce8ed0
	v_cmp_ngt_f32_e32 vcc, s2, v57
	s_mov_b32 s2, 0x42b17218
	v_ldexp_f32 v58, v58, v59
	v_cndmask_b32_e32 v58, 0, v58, vcc
	v_mov_b32_e32 v59, 0x7f800000
	v_cmp_nlt_f32_e32 vcc, s2, v57
	v_cndmask_b32_e32 v74, v59, v58, vcc
	v_add_f32_e32 v57, 1.0, v74
	v_add_f32_e32 v58, -1.0, v57
	v_sub_f32_e32 v59, v58, v57
	v_add_f32_e32 v59, 1.0, v59
	v_sub_f32_e32 v58, v74, v58
	v_add_f32_e32 v60, v58, v59
	v_frexp_mant_f32_e32 v61, v57
	s_mov_b32 s2, 0x3f2aaaab
	v_cvt_f64_f32_e32 v[58:59], v57
	v_frexp_exp_i32_f64_e32 v58, v[58:59]
	v_cmp_gt_f32_e32 vcc, s2, v61
	v_subbrev_co_u32_e32 v66, vcc, 0, v58, vcc
	v_sub_u32_e32 v58, 0, v66
	v_ldexp_f32 v57, v57, v58
	v_ldexp_f32 v58, v60, v58
	v_add_f32_e32 v60, -1.0, v57
	v_add_f32_e32 v59, 1.0, v60
	v_sub_f32_e32 v59, v57, v59
	v_add_f32_e32 v61, v58, v59
	v_add_f32_e32 v59, 1.0, v57
	v_add_f32_e32 v62, -1.0, v59
	v_sub_f32_e32 v57, v57, v62
	v_add_f32_e32 v57, v58, v57
	v_add_f32_e32 v67, v59, v57
	v_rcp_f32_e32 v68, v67
	v_sub_f32_e32 v58, v59, v67
	v_add_f32_e32 v59, v60, v61
	v_add_f32_e32 v57, v57, v58
	v_mul_f32_e32 v70, v59, v68
	v_sub_f32_e32 v58, v60, v59
	v_mul_f32_e32 v60, v67, v70
	v_fma_f32 v62, v70, v67, -v60
	v_fmac_f32_e32 v62, v70, v57
	v_add_f32_e32 v69, v61, v58
	v_add_f32_e32 v58, v60, v62
	v_sub_f32_e32 v61, v59, v58
	v_pk_add_f32 v[64:65], v[58:59], v[60:61] neg_lo:[0,1] neg_hi:[0,1]
	v_mov_b32_e32 v63, v58
	v_pk_add_f32 v[58:59], v[64:65], v[62:63] neg_lo:[0,1] neg_hi:[0,1]
	v_add_f32_e32 v59, v69, v59
	v_add_f32_e32 v58, v58, v59
	;; [unrolled: 1-line block ×3, first 2 shown]
	v_mul_f32_e32 v69, v68, v59
	v_mul_f32_e32 v60, v67, v69
	v_fma_f32 v62, v69, v67, -v60
	v_fmac_f32_e32 v62, v69, v57
	v_sub_f32_e32 v57, v61, v59
	v_add_f32_e32 v57, v58, v57
	v_add_f32_e32 v58, v60, v62
	v_sub_f32_e32 v61, v59, v58
	v_pk_add_f32 v[64:65], v[58:59], v[60:61] neg_lo:[0,1] neg_hi:[0,1]
	v_mov_b32_e32 v63, v58
	v_pk_add_f32 v[58:59], v[64:65], v[62:63] neg_lo:[0,1] neg_hi:[0,1]
	v_add_f32_e32 v57, v57, v59
	v_add_f32_e32 v57, v58, v57
	;; [unrolled: 1-line block ×4, first 2 shown]
	v_sub_f32_e32 v59, v58, v70
	v_mul_f32_e32 v57, v68, v57
	v_sub_f32_e32 v59, v69, v59
	v_add_f32_e32 v57, v59, v57
	v_add_f32_e32 v61, v58, v57
	v_mul_f32_e32 v62, v61, v61
	v_mov_b32_e32 v60, 0x3ecc95a3
	v_fmac_f32_e32 v60, 0x3e9b6dac, v62
	v_mov_b32_e32 v59, 0x3f2aaada
	v_fmac_f32_e32 v59, v62, v60
	v_cvt_f32_i32_e32 v60, v66
	v_sub_f32_e32 v58, v61, v58
	v_sub_f32_e32 v57, v57, v58
	v_ldexp_f32 v63, v61, 1
	v_mul_f32_e32 v61, v61, v62
	v_mov_b32_e32 v58, 0x3f317218
	s_mov_b32 s2, 0x3f317218
	v_pk_mul_f32 v[58:59], v[60:61], v[58:59]
	v_fma_f32 v62, v60, s2, -v58
	v_fmac_f32_e32 v62, 0xb102e308, v60
	v_pk_add_f32 v[60:61], v[58:59], v[62:63]
	v_sub_f32_e32 v63, v61, v63
	v_ldexp_f32 v57, v57, 1
	v_sub_f32_e32 v63, v59, v63
	v_add_f32_e32 v65, v57, v63
	v_mov_b32_e32 v64, v58
	v_pk_add_f32 v[58:59], v[60:61], v[58:59] neg_lo:[0,1] neg_hi:[0,1]
	v_pk_add_f32 v[66:67], v[60:61], v[64:65]
	v_mov_b32_e32 v59, v67
	v_mov_b32_e32 v63, v60
	v_pk_add_f32 v[68:69], v[62:63], v[58:59] neg_lo:[0,1] neg_hi:[0,1]
	v_pk_add_f32 v[58:59], v[62:63], v[58:59]
	v_mov_b32_e32 v62, v59
	v_pk_add_f32 v[70:71], v[62:63], v[60:61] neg_lo:[0,1] neg_hi:[0,1]
	v_mov_b32_e32 v57, v70
	v_pk_add_f32 v[72:73], v[66:67], v[56:57] neg_lo:[0,1] neg_hi:[0,1]
	v_mov_b32_e32 v58, v67
	v_mov_b32_e32 v66, v61
	;; [unrolled: 1-line block ×4, first 2 shown]
	v_pk_add_f32 v[58:59], v[58:59], v[66:67] neg_lo:[0,1] neg_hi:[0,1]
	v_mov_b32_e32 v64, v65
	v_mov_b32_e32 v65, v60
	v_pk_add_f32 v[58:59], v[64:65], v[58:59] neg_lo:[0,1] neg_hi:[0,1]
	v_mov_b32_e32 v72, v68
	v_pk_add_f32 v[60:61], v[72:73], v[58:59]
	v_mov_b32_e32 v64, v61
	v_pk_add_f32 v[64:65], v[60:61], v[64:65]
	v_pk_add_f32 v[62:63], v[62:63], v[64:65]
	v_mov_b32_e32 v61, v62
	v_pk_add_f32 v[66:67], v[60:61], v[68:69] neg_lo:[0,1] neg_hi:[0,1]
	v_mov_b32_e32 v59, v64
	v_sub_f32_e32 v57, v60, v66
	v_pk_add_f32 v[58:59], v[58:59], v[66:67] neg_lo:[0,1] neg_hi:[0,1]
	v_sub_f32_e32 v57, v68, v57
	s_mov_b32 s3, 0x7f800000
	v_add_f32_e32 v57, v58, v57
	s_mov_b32 s2, 0x33800000
	v_add_f32_e32 v57, v57, v59
	v_cmp_eq_f32_e32 vcc, s3, v74
	v_cmp_lt_f32_e64 s[2:3], |v74|, s2
	v_add_f32_e32 v57, v62, v57
	s_or_b64 vcc, vcc, s[2:3]
	v_cndmask_b32_e32 v57, v57, v74, vcc
	v_add_f32_e32 v57, v54, v57
.LBB502_99:
	s_or_b64 exec, exec, s[4:5]
	v_bfe_u32 v54, v57, 16, 1
	s_movk_i32 s2, 0x7fff
	v_add3_u32 v54, v57, v54, s2
	v_lshrrev_b32_e32 v54, 16, v54
	v_mov_b32_e32 v58, 0x7fc0
	v_cmp_o_f32_e32 vcc, v57, v57
	v_cndmask_b32_e32 v57, v58, v54, vcc
	v_and_b32_e32 v58, 0xffff, v57
.LBB502_100:
	s_or_b64 exec, exec, s[0:1]
	v_mul_u32_u24_e32 v54, 46, v0
	v_mov_b32_dpp v59, v58 row_shr:2 row_mask:0xf bank_mask:0xf
	v_cmp_lt_u32_e32 vcc, 1, v56
	s_and_saveexec_b64 s[0:1], vcc
	s_cbranch_execz .LBB502_104
; %bb.101:
	v_lshlrev_b32_e32 v59, 16, v59
	v_lshlrev_b32_e32 v57, 16, v58
	v_max_f32_e32 v60, v57, v57
	v_max_f32_e32 v61, v59, v59
	v_min_f32_e32 v58, v61, v60
	v_cmp_u_f32_e32 vcc, v59, v59
	v_max_f32_e32 v60, v61, v60
	v_cndmask_b32_e32 v58, v58, v59, vcc
	v_cmp_u_f32_e64 s[4:5], v57, v57
	v_cndmask_b32_e32 v60, v60, v59, vcc
	v_cndmask_b32_e64 v58, v58, v57, s[4:5]
	v_cndmask_b32_e64 v57, v60, v57, s[4:5]
	s_movk_i32 s2, 0x1f8
	v_cmp_neq_f32_e32 vcc, v58, v57
	v_cmp_class_f32_e64 s[2:3], v58, s2
	s_or_b64 s[2:3], vcc, s[2:3]
	s_and_saveexec_b64 s[4:5], s[2:3]
	s_cbranch_execz .LBB502_103
; %bb.102:
	v_sub_f32_e32 v58, v58, v57
	s_mov_b32 s2, 0x3fb8aa3b
	v_mul_f32_e32 v59, 0x3fb8aa3b, v58
	v_fma_f32 v60, v58, s2, -v59
	v_rndne_f32_e32 v61, v59
	v_fmac_f32_e32 v60, 0x32a5705f, v58
	v_sub_f32_e32 v59, v59, v61
	v_add_f32_e32 v59, v59, v60
	v_exp_f32_e32 v59, v59
	v_cvt_i32_f32_e32 v60, v61
	s_mov_b32 s2, 0xc2ce8ed0
	v_cmp_ngt_f32_e32 vcc, s2, v58
	s_mov_b32 s2, 0x42b17218
	v_ldexp_f32 v59, v59, v60
	v_cndmask_b32_e32 v59, 0, v59, vcc
	v_mov_b32_e32 v60, 0x7f800000
	v_cmp_nlt_f32_e32 vcc, s2, v58
	v_cndmask_b32_e32 v74, v60, v59, vcc
	v_add_f32_e32 v60, 1.0, v74
	v_add_f32_e32 v58, -1.0, v60
	v_sub_f32_e32 v59, v58, v60
	v_add_f32_e32 v59, 1.0, v59
	v_sub_f32_e32 v58, v74, v58
	v_add_f32_e32 v61, v58, v59
	v_frexp_mant_f32_e32 v62, v60
	s_mov_b32 s2, 0x3f2aaaab
	v_cvt_f64_f32_e32 v[58:59], v60
	v_frexp_exp_i32_f64_e32 v58, v[58:59]
	v_cmp_gt_f32_e32 vcc, s2, v62
	v_subbrev_co_u32_e32 v66, vcc, 0, v58, vcc
	v_sub_u32_e32 v58, 0, v66
	v_ldexp_f32 v59, v60, v58
	v_add_f32_e32 v60, -1.0, v59
	v_add_f32_e32 v62, 1.0, v59
	v_ldexp_f32 v58, v61, v58
	v_add_f32_e32 v61, 1.0, v60
	v_add_f32_e32 v63, -1.0, v62
	v_sub_f32_e32 v61, v59, v61
	v_sub_f32_e32 v59, v59, v63
	v_add_f32_e32 v61, v58, v61
	v_add_f32_e32 v58, v58, v59
	v_add_f32_e32 v67, v62, v58
	v_rcp_f32_e32 v69, v67
	v_sub_f32_e32 v59, v62, v67
	v_add_f32_e32 v68, v58, v59
	v_add_f32_e32 v59, v60, v61
	v_mul_f32_e32 v71, v59, v69
	v_sub_f32_e32 v58, v60, v59
	v_mul_f32_e32 v60, v67, v71
	v_fma_f32 v62, v71, v67, -v60
	v_fmac_f32_e32 v62, v71, v68
	v_add_f32_e32 v70, v61, v58
	v_add_f32_e32 v58, v60, v62
	v_sub_f32_e32 v61, v59, v58
	v_pk_add_f32 v[64:65], v[58:59], v[60:61] neg_lo:[0,1] neg_hi:[0,1]
	v_mov_b32_e32 v63, v58
	v_pk_add_f32 v[58:59], v[64:65], v[62:63] neg_lo:[0,1] neg_hi:[0,1]
	v_add_f32_e32 v59, v70, v59
	v_add_f32_e32 v58, v58, v59
	;; [unrolled: 1-line block ×3, first 2 shown]
	v_mul_f32_e32 v70, v69, v59
	v_mul_f32_e32 v60, v67, v70
	v_fma_f32 v62, v70, v67, -v60
	v_fmac_f32_e32 v62, v70, v68
	v_sub_f32_e32 v61, v61, v59
	v_add_f32_e32 v67, v58, v61
	v_add_f32_e32 v58, v60, v62
	v_sub_f32_e32 v61, v59, v58
	v_pk_add_f32 v[64:65], v[58:59], v[60:61] neg_lo:[0,1] neg_hi:[0,1]
	v_mov_b32_e32 v63, v58
	v_pk_add_f32 v[58:59], v[64:65], v[62:63] neg_lo:[0,1] neg_hi:[0,1]
	v_add_f32_e32 v59, v67, v59
	v_add_f32_e32 v58, v58, v59
	;; [unrolled: 1-line block ×4, first 2 shown]
	v_sub_f32_e32 v59, v61, v71
	v_mul_f32_e32 v58, v69, v58
	v_sub_f32_e32 v59, v70, v59
	v_add_f32_e32 v58, v59, v58
	v_add_f32_e32 v62, v61, v58
	v_mul_f32_e32 v64, v62, v62
	v_mov_b32_e32 v60, 0x3ecc95a3
	v_fmac_f32_e32 v60, 0x3e9b6dac, v64
	v_mov_b32_e32 v59, 0x3f2aaada
	v_fmac_f32_e32 v59, v64, v60
	v_cvt_f32_i32_e32 v60, v66
	v_sub_f32_e32 v61, v62, v61
	v_sub_f32_e32 v58, v58, v61
	v_ldexp_f32 v65, v58, 1
	v_mul_f32_e32 v61, v62, v64
	v_mov_b32_e32 v58, 0x3f317218
	s_mov_b32 s2, 0x3f317218
	v_pk_mul_f32 v[58:59], v[60:61], v[58:59]
	v_ldexp_f32 v63, v62, 1
	v_fma_f32 v62, v60, s2, -v58
	v_fmac_f32_e32 v62, 0xb102e308, v60
	v_pk_add_f32 v[60:61], v[58:59], v[62:63]
	v_sub_f32_e32 v63, v61, v63
	v_sub_f32_e32 v63, v59, v63
	v_add_f32_e32 v65, v65, v63
	v_mov_b32_e32 v64, v58
	v_pk_add_f32 v[58:59], v[60:61], v[58:59] neg_lo:[0,1] neg_hi:[0,1]
	v_pk_add_f32 v[66:67], v[60:61], v[64:65]
	v_mov_b32_e32 v59, v67
	v_mov_b32_e32 v63, v60
	v_pk_add_f32 v[68:69], v[62:63], v[58:59] neg_lo:[0,1] neg_hi:[0,1]
	v_pk_add_f32 v[58:59], v[62:63], v[58:59]
	v_mov_b32_e32 v62, v59
	v_pk_add_f32 v[70:71], v[62:63], v[60:61] neg_lo:[0,1] neg_hi:[0,1]
	v_mov_b32_e32 v63, v70
	v_pk_add_f32 v[72:73], v[66:67], v[62:63] neg_lo:[0,1] neg_hi:[0,1]
	v_mov_b32_e32 v58, v67
	v_mov_b32_e32 v66, v61
	;; [unrolled: 1-line block ×4, first 2 shown]
	v_pk_add_f32 v[58:59], v[58:59], v[66:67] neg_lo:[0,1] neg_hi:[0,1]
	v_mov_b32_e32 v64, v65
	v_mov_b32_e32 v65, v60
	v_pk_add_f32 v[58:59], v[64:65], v[58:59] neg_lo:[0,1] neg_hi:[0,1]
	v_mov_b32_e32 v72, v68
	v_pk_add_f32 v[60:61], v[72:73], v[58:59]
	v_mov_b32_e32 v64, v61
	v_pk_add_f32 v[64:65], v[60:61], v[64:65]
	v_pk_add_f32 v[62:63], v[62:63], v[64:65]
	v_mov_b32_e32 v61, v62
	v_pk_add_f32 v[66:67], v[60:61], v[68:69] neg_lo:[0,1] neg_hi:[0,1]
	v_mov_b32_e32 v59, v64
	v_sub_f32_e32 v60, v60, v66
	v_pk_add_f32 v[58:59], v[58:59], v[66:67] neg_lo:[0,1] neg_hi:[0,1]
	v_sub_f32_e32 v60, v68, v60
	s_mov_b32 s3, 0x7f800000
	v_add_f32_e32 v58, v58, v60
	s_mov_b32 s2, 0x33800000
	v_add_f32_e32 v58, v58, v59
	v_cmp_eq_f32_e32 vcc, s3, v74
	v_cmp_lt_f32_e64 s[2:3], |v74|, s2
	v_add_f32_e32 v58, v62, v58
	s_or_b64 vcc, vcc, s[2:3]
	v_cndmask_b32_e32 v58, v58, v74, vcc
	v_add_f32_e32 v59, v57, v58
.LBB502_103:
	s_or_b64 exec, exec, s[4:5]
	v_bfe_u32 v57, v59, 16, 1
	s_movk_i32 s2, 0x7fff
	v_add3_u32 v57, v59, v57, s2
	v_lshrrev_b32_e32 v57, 16, v57
	v_mov_b32_e32 v58, 0x7fc0
	v_cmp_o_f32_e32 vcc, v59, v59
	v_cndmask_b32_e32 v57, v58, v57, vcc
	v_and_b32_e32 v58, 0xffff, v57
.LBB502_104:
	s_or_b64 exec, exec, s[0:1]
	s_nop 0
	v_mov_b32_dpp v59, v58 row_shr:4 row_mask:0xf bank_mask:0xf
	v_cmp_lt_u32_e32 vcc, 3, v56
	s_and_saveexec_b64 s[0:1], vcc
	s_cbranch_execz .LBB502_108
; %bb.105:
	v_lshlrev_b32_e32 v59, 16, v59
	v_lshlrev_b32_e32 v57, 16, v58
	v_max_f32_e32 v60, v57, v57
	v_max_f32_e32 v61, v59, v59
	v_min_f32_e32 v58, v61, v60
	v_cmp_u_f32_e32 vcc, v59, v59
	v_max_f32_e32 v60, v61, v60
	v_cndmask_b32_e32 v58, v58, v59, vcc
	v_cmp_u_f32_e64 s[4:5], v57, v57
	v_cndmask_b32_e32 v60, v60, v59, vcc
	v_cndmask_b32_e64 v58, v58, v57, s[4:5]
	v_cndmask_b32_e64 v57, v60, v57, s[4:5]
	s_movk_i32 s2, 0x1f8
	v_cmp_neq_f32_e32 vcc, v58, v57
	v_cmp_class_f32_e64 s[2:3], v58, s2
	s_or_b64 s[2:3], vcc, s[2:3]
	s_and_saveexec_b64 s[4:5], s[2:3]
	s_cbranch_execz .LBB502_107
; %bb.106:
	v_sub_f32_e32 v58, v58, v57
	s_mov_b32 s2, 0x3fb8aa3b
	v_mul_f32_e32 v59, 0x3fb8aa3b, v58
	v_fma_f32 v60, v58, s2, -v59
	v_rndne_f32_e32 v61, v59
	v_fmac_f32_e32 v60, 0x32a5705f, v58
	v_sub_f32_e32 v59, v59, v61
	v_add_f32_e32 v59, v59, v60
	v_exp_f32_e32 v59, v59
	v_cvt_i32_f32_e32 v60, v61
	s_mov_b32 s2, 0xc2ce8ed0
	v_cmp_ngt_f32_e32 vcc, s2, v58
	s_mov_b32 s2, 0x42b17218
	v_ldexp_f32 v59, v59, v60
	v_cndmask_b32_e32 v59, 0, v59, vcc
	v_mov_b32_e32 v60, 0x7f800000
	v_cmp_nlt_f32_e32 vcc, s2, v58
	v_cndmask_b32_e32 v74, v60, v59, vcc
	v_add_f32_e32 v60, 1.0, v74
	v_add_f32_e32 v58, -1.0, v60
	v_sub_f32_e32 v59, v58, v60
	v_add_f32_e32 v59, 1.0, v59
	v_sub_f32_e32 v58, v74, v58
	v_add_f32_e32 v61, v58, v59
	v_frexp_mant_f32_e32 v62, v60
	s_mov_b32 s2, 0x3f2aaaab
	v_cvt_f64_f32_e32 v[58:59], v60
	v_frexp_exp_i32_f64_e32 v58, v[58:59]
	v_cmp_gt_f32_e32 vcc, s2, v62
	v_subbrev_co_u32_e32 v66, vcc, 0, v58, vcc
	v_sub_u32_e32 v58, 0, v66
	v_ldexp_f32 v59, v60, v58
	v_add_f32_e32 v60, -1.0, v59
	v_add_f32_e32 v62, 1.0, v59
	v_ldexp_f32 v58, v61, v58
	v_add_f32_e32 v61, 1.0, v60
	v_add_f32_e32 v63, -1.0, v62
	v_sub_f32_e32 v61, v59, v61
	v_sub_f32_e32 v59, v59, v63
	v_add_f32_e32 v61, v58, v61
	v_add_f32_e32 v58, v58, v59
	v_add_f32_e32 v67, v62, v58
	v_rcp_f32_e32 v69, v67
	v_sub_f32_e32 v59, v62, v67
	v_add_f32_e32 v68, v58, v59
	v_add_f32_e32 v59, v60, v61
	v_mul_f32_e32 v71, v59, v69
	v_sub_f32_e32 v58, v60, v59
	v_mul_f32_e32 v60, v67, v71
	v_fma_f32 v62, v71, v67, -v60
	v_fmac_f32_e32 v62, v71, v68
	v_add_f32_e32 v70, v61, v58
	v_add_f32_e32 v58, v60, v62
	v_sub_f32_e32 v61, v59, v58
	v_pk_add_f32 v[64:65], v[58:59], v[60:61] neg_lo:[0,1] neg_hi:[0,1]
	v_mov_b32_e32 v63, v58
	v_pk_add_f32 v[58:59], v[64:65], v[62:63] neg_lo:[0,1] neg_hi:[0,1]
	v_add_f32_e32 v59, v70, v59
	v_add_f32_e32 v58, v58, v59
	;; [unrolled: 1-line block ×3, first 2 shown]
	v_mul_f32_e32 v70, v69, v59
	v_mul_f32_e32 v60, v67, v70
	v_fma_f32 v62, v70, v67, -v60
	v_fmac_f32_e32 v62, v70, v68
	v_sub_f32_e32 v61, v61, v59
	v_add_f32_e32 v67, v58, v61
	v_add_f32_e32 v58, v60, v62
	v_sub_f32_e32 v61, v59, v58
	v_pk_add_f32 v[64:65], v[58:59], v[60:61] neg_lo:[0,1] neg_hi:[0,1]
	v_mov_b32_e32 v63, v58
	v_pk_add_f32 v[58:59], v[64:65], v[62:63] neg_lo:[0,1] neg_hi:[0,1]
	v_add_f32_e32 v59, v67, v59
	v_add_f32_e32 v58, v58, v59
	v_add_f32_e32 v58, v61, v58
	v_add_f32_e32 v61, v71, v70
	v_sub_f32_e32 v59, v61, v71
	v_mul_f32_e32 v58, v69, v58
	v_sub_f32_e32 v59, v70, v59
	v_add_f32_e32 v58, v59, v58
	v_add_f32_e32 v62, v61, v58
	v_mul_f32_e32 v64, v62, v62
	v_mov_b32_e32 v60, 0x3ecc95a3
	v_fmac_f32_e32 v60, 0x3e9b6dac, v64
	v_mov_b32_e32 v59, 0x3f2aaada
	v_fmac_f32_e32 v59, v64, v60
	v_cvt_f32_i32_e32 v60, v66
	v_sub_f32_e32 v61, v62, v61
	v_sub_f32_e32 v58, v58, v61
	v_ldexp_f32 v65, v58, 1
	v_mul_f32_e32 v61, v62, v64
	v_mov_b32_e32 v58, 0x3f317218
	s_mov_b32 s2, 0x3f317218
	v_pk_mul_f32 v[58:59], v[60:61], v[58:59]
	v_ldexp_f32 v63, v62, 1
	v_fma_f32 v62, v60, s2, -v58
	v_fmac_f32_e32 v62, 0xb102e308, v60
	v_pk_add_f32 v[60:61], v[58:59], v[62:63]
	v_sub_f32_e32 v63, v61, v63
	v_sub_f32_e32 v63, v59, v63
	v_add_f32_e32 v65, v65, v63
	v_mov_b32_e32 v64, v58
	v_pk_add_f32 v[58:59], v[60:61], v[58:59] neg_lo:[0,1] neg_hi:[0,1]
	v_pk_add_f32 v[66:67], v[60:61], v[64:65]
	v_mov_b32_e32 v59, v67
	v_mov_b32_e32 v63, v60
	v_pk_add_f32 v[68:69], v[62:63], v[58:59] neg_lo:[0,1] neg_hi:[0,1]
	v_pk_add_f32 v[58:59], v[62:63], v[58:59]
	v_mov_b32_e32 v62, v59
	v_pk_add_f32 v[70:71], v[62:63], v[60:61] neg_lo:[0,1] neg_hi:[0,1]
	v_mov_b32_e32 v63, v70
	v_pk_add_f32 v[72:73], v[66:67], v[62:63] neg_lo:[0,1] neg_hi:[0,1]
	v_mov_b32_e32 v58, v67
	v_mov_b32_e32 v66, v61
	;; [unrolled: 1-line block ×4, first 2 shown]
	v_pk_add_f32 v[58:59], v[58:59], v[66:67] neg_lo:[0,1] neg_hi:[0,1]
	v_mov_b32_e32 v64, v65
	v_mov_b32_e32 v65, v60
	v_pk_add_f32 v[58:59], v[64:65], v[58:59] neg_lo:[0,1] neg_hi:[0,1]
	v_mov_b32_e32 v72, v68
	v_pk_add_f32 v[60:61], v[72:73], v[58:59]
	v_mov_b32_e32 v64, v61
	v_pk_add_f32 v[64:65], v[60:61], v[64:65]
	v_pk_add_f32 v[62:63], v[62:63], v[64:65]
	v_mov_b32_e32 v61, v62
	v_pk_add_f32 v[66:67], v[60:61], v[68:69] neg_lo:[0,1] neg_hi:[0,1]
	v_mov_b32_e32 v59, v64
	v_sub_f32_e32 v60, v60, v66
	v_pk_add_f32 v[58:59], v[58:59], v[66:67] neg_lo:[0,1] neg_hi:[0,1]
	v_sub_f32_e32 v60, v68, v60
	s_mov_b32 s3, 0x7f800000
	v_add_f32_e32 v58, v58, v60
	s_mov_b32 s2, 0x33800000
	v_add_f32_e32 v58, v58, v59
	v_cmp_eq_f32_e32 vcc, s3, v74
	v_cmp_lt_f32_e64 s[2:3], |v74|, s2
	v_add_f32_e32 v58, v62, v58
	s_or_b64 vcc, vcc, s[2:3]
	v_cndmask_b32_e32 v58, v58, v74, vcc
	v_add_f32_e32 v59, v57, v58
.LBB502_107:
	s_or_b64 exec, exec, s[4:5]
	v_bfe_u32 v57, v59, 16, 1
	s_movk_i32 s2, 0x7fff
	v_add3_u32 v57, v59, v57, s2
	v_lshrrev_b32_e32 v57, 16, v57
	v_mov_b32_e32 v58, 0x7fc0
	v_cmp_o_f32_e32 vcc, v59, v59
	v_cndmask_b32_e32 v57, v58, v57, vcc
	v_and_b32_e32 v58, 0xffff, v57
.LBB502_108:
	s_or_b64 exec, exec, s[0:1]
	s_nop 0
	v_mov_b32_dpp v59, v58 row_shr:8 row_mask:0xf bank_mask:0xf
	v_cmp_lt_u32_e32 vcc, 7, v56
	s_and_saveexec_b64 s[0:1], vcc
	s_cbranch_execz .LBB502_112
; %bb.109:
	v_lshlrev_b32_e32 v57, 16, v59
	v_lshlrev_b32_e32 v56, 16, v58
	v_max_f32_e32 v59, v56, v56
	v_max_f32_e32 v60, v57, v57
	v_min_f32_e32 v58, v60, v59
	v_cmp_u_f32_e32 vcc, v57, v57
	v_max_f32_e32 v59, v60, v59
	v_cndmask_b32_e32 v58, v58, v57, vcc
	v_cmp_u_f32_e64 s[4:5], v56, v56
	v_cndmask_b32_e32 v59, v59, v57, vcc
	v_cndmask_b32_e64 v58, v58, v56, s[4:5]
	v_cndmask_b32_e64 v56, v59, v56, s[4:5]
	s_movk_i32 s2, 0x1f8
	v_cmp_neq_f32_e32 vcc, v58, v56
	v_cmp_class_f32_e64 s[2:3], v58, s2
	s_or_b64 s[2:3], vcc, s[2:3]
	s_and_saveexec_b64 s[4:5], s[2:3]
	s_cbranch_execz .LBB502_111
; %bb.110:
	v_sub_f32_e32 v57, v58, v56
	s_mov_b32 s2, 0x3fb8aa3b
	v_mul_f32_e32 v58, 0x3fb8aa3b, v57
	v_fma_f32 v59, v57, s2, -v58
	v_rndne_f32_e32 v60, v58
	v_fmac_f32_e32 v59, 0x32a5705f, v57
	v_sub_f32_e32 v58, v58, v60
	v_add_f32_e32 v58, v58, v59
	v_exp_f32_e32 v58, v58
	v_cvt_i32_f32_e32 v59, v60
	s_mov_b32 s2, 0xc2ce8ed0
	v_cmp_ngt_f32_e32 vcc, s2, v57
	s_mov_b32 s2, 0x42b17218
	v_ldexp_f32 v58, v58, v59
	v_cndmask_b32_e32 v58, 0, v58, vcc
	v_mov_b32_e32 v59, 0x7f800000
	v_cmp_nlt_f32_e32 vcc, s2, v57
	v_cndmask_b32_e32 v74, v59, v58, vcc
	v_add_f32_e32 v57, 1.0, v74
	v_add_f32_e32 v58, -1.0, v57
	v_sub_f32_e32 v59, v58, v57
	v_add_f32_e32 v59, 1.0, v59
	v_sub_f32_e32 v58, v74, v58
	v_add_f32_e32 v60, v58, v59
	v_frexp_mant_f32_e32 v61, v57
	s_mov_b32 s2, 0x3f2aaaab
	v_cvt_f64_f32_e32 v[58:59], v57
	v_frexp_exp_i32_f64_e32 v58, v[58:59]
	v_cmp_gt_f32_e32 vcc, s2, v61
	v_subbrev_co_u32_e32 v66, vcc, 0, v58, vcc
	v_sub_u32_e32 v58, 0, v66
	v_ldexp_f32 v57, v57, v58
	v_ldexp_f32 v58, v60, v58
	v_add_f32_e32 v60, -1.0, v57
	v_add_f32_e32 v59, 1.0, v60
	v_sub_f32_e32 v59, v57, v59
	v_add_f32_e32 v61, v58, v59
	v_add_f32_e32 v59, 1.0, v57
	v_add_f32_e32 v62, -1.0, v59
	v_sub_f32_e32 v57, v57, v62
	v_add_f32_e32 v57, v58, v57
	v_add_f32_e32 v67, v59, v57
	v_rcp_f32_e32 v68, v67
	v_sub_f32_e32 v58, v59, v67
	v_add_f32_e32 v59, v60, v61
	v_add_f32_e32 v57, v57, v58
	v_mul_f32_e32 v70, v59, v68
	v_sub_f32_e32 v58, v60, v59
	v_mul_f32_e32 v60, v67, v70
	v_fma_f32 v62, v70, v67, -v60
	v_fmac_f32_e32 v62, v70, v57
	v_add_f32_e32 v69, v61, v58
	v_add_f32_e32 v58, v60, v62
	v_sub_f32_e32 v61, v59, v58
	v_pk_add_f32 v[64:65], v[58:59], v[60:61] neg_lo:[0,1] neg_hi:[0,1]
	v_mov_b32_e32 v63, v58
	v_pk_add_f32 v[58:59], v[64:65], v[62:63] neg_lo:[0,1] neg_hi:[0,1]
	v_add_f32_e32 v59, v69, v59
	v_add_f32_e32 v58, v58, v59
	;; [unrolled: 1-line block ×3, first 2 shown]
	v_mul_f32_e32 v69, v68, v59
	v_mul_f32_e32 v60, v67, v69
	v_fma_f32 v62, v69, v67, -v60
	v_fmac_f32_e32 v62, v69, v57
	v_sub_f32_e32 v57, v61, v59
	v_add_f32_e32 v57, v58, v57
	v_add_f32_e32 v58, v60, v62
	v_sub_f32_e32 v61, v59, v58
	v_pk_add_f32 v[64:65], v[58:59], v[60:61] neg_lo:[0,1] neg_hi:[0,1]
	v_mov_b32_e32 v63, v58
	v_pk_add_f32 v[58:59], v[64:65], v[62:63] neg_lo:[0,1] neg_hi:[0,1]
	v_add_f32_e32 v57, v57, v59
	v_add_f32_e32 v57, v58, v57
	;; [unrolled: 1-line block ×4, first 2 shown]
	v_sub_f32_e32 v59, v58, v70
	v_mul_f32_e32 v57, v68, v57
	v_sub_f32_e32 v59, v69, v59
	v_add_f32_e32 v57, v59, v57
	v_add_f32_e32 v61, v58, v57
	v_mul_f32_e32 v62, v61, v61
	v_mov_b32_e32 v60, 0x3ecc95a3
	v_fmac_f32_e32 v60, 0x3e9b6dac, v62
	v_mov_b32_e32 v59, 0x3f2aaada
	v_fmac_f32_e32 v59, v62, v60
	v_cvt_f32_i32_e32 v60, v66
	v_sub_f32_e32 v58, v61, v58
	v_sub_f32_e32 v57, v57, v58
	v_ldexp_f32 v63, v61, 1
	v_mul_f32_e32 v61, v61, v62
	v_mov_b32_e32 v58, 0x3f317218
	s_mov_b32 s2, 0x3f317218
	v_pk_mul_f32 v[58:59], v[60:61], v[58:59]
	v_fma_f32 v62, v60, s2, -v58
	v_fmac_f32_e32 v62, 0xb102e308, v60
	v_pk_add_f32 v[60:61], v[58:59], v[62:63]
	v_sub_f32_e32 v63, v61, v63
	v_ldexp_f32 v57, v57, 1
	v_sub_f32_e32 v63, v59, v63
	v_add_f32_e32 v65, v57, v63
	v_mov_b32_e32 v64, v58
	v_pk_add_f32 v[58:59], v[60:61], v[58:59] neg_lo:[0,1] neg_hi:[0,1]
	v_pk_add_f32 v[66:67], v[60:61], v[64:65]
	v_mov_b32_e32 v59, v67
	v_mov_b32_e32 v63, v60
	v_pk_add_f32 v[68:69], v[62:63], v[58:59] neg_lo:[0,1] neg_hi:[0,1]
	v_pk_add_f32 v[58:59], v[62:63], v[58:59]
	v_mov_b32_e32 v62, v59
	v_pk_add_f32 v[70:71], v[62:63], v[60:61] neg_lo:[0,1] neg_hi:[0,1]
	v_mov_b32_e32 v57, v70
	v_pk_add_f32 v[72:73], v[66:67], v[56:57] neg_lo:[0,1] neg_hi:[0,1]
	v_mov_b32_e32 v58, v67
	v_mov_b32_e32 v66, v61
	;; [unrolled: 1-line block ×4, first 2 shown]
	v_pk_add_f32 v[58:59], v[58:59], v[66:67] neg_lo:[0,1] neg_hi:[0,1]
	v_mov_b32_e32 v64, v65
	v_mov_b32_e32 v65, v60
	v_pk_add_f32 v[58:59], v[64:65], v[58:59] neg_lo:[0,1] neg_hi:[0,1]
	v_mov_b32_e32 v72, v68
	v_pk_add_f32 v[60:61], v[72:73], v[58:59]
	v_mov_b32_e32 v64, v61
	v_pk_add_f32 v[64:65], v[60:61], v[64:65]
	v_pk_add_f32 v[62:63], v[62:63], v[64:65]
	v_mov_b32_e32 v61, v62
	v_pk_add_f32 v[66:67], v[60:61], v[68:69] neg_lo:[0,1] neg_hi:[0,1]
	v_mov_b32_e32 v59, v64
	v_sub_f32_e32 v57, v60, v66
	v_pk_add_f32 v[58:59], v[58:59], v[66:67] neg_lo:[0,1] neg_hi:[0,1]
	v_sub_f32_e32 v57, v68, v57
	s_mov_b32 s3, 0x7f800000
	v_add_f32_e32 v57, v58, v57
	s_mov_b32 s2, 0x33800000
	v_add_f32_e32 v57, v57, v59
	v_cmp_eq_f32_e32 vcc, s3, v74
	v_cmp_lt_f32_e64 s[2:3], |v74|, s2
	v_add_f32_e32 v57, v62, v57
	s_or_b64 vcc, vcc, s[2:3]
	v_cndmask_b32_e32 v57, v57, v74, vcc
	v_add_f32_e32 v57, v56, v57
.LBB502_111:
	s_or_b64 exec, exec, s[4:5]
	v_bfe_u32 v56, v57, 16, 1
	s_movk_i32 s2, 0x7fff
	v_add3_u32 v56, v57, v56, s2
	v_lshrrev_b32_e32 v56, 16, v56
	v_mov_b32_e32 v58, 0x7fc0
	v_cmp_o_f32_e32 vcc, v57, v57
	v_cndmask_b32_e32 v57, v58, v56, vcc
	v_and_b32_e32 v58, 0xffff, v57
.LBB502_112:
	s_or_b64 exec, exec, s[0:1]
	v_and_b32_e32 v59, 16, v55
	v_mov_b32_dpp v56, v58 row_bcast:15 row_mask:0xf bank_mask:0xf
	v_cmp_ne_u32_e32 vcc, 0, v59
	s_and_saveexec_b64 s[0:1], vcc
	s_cbranch_execz .LBB502_116
; %bb.113:
	v_lshlrev_b32_e32 v57, 16, v56
	v_lshlrev_b32_e32 v56, 16, v58
	v_max_f32_e32 v59, v56, v56
	v_max_f32_e32 v60, v57, v57
	v_min_f32_e32 v58, v60, v59
	v_cmp_u_f32_e32 vcc, v57, v57
	v_max_f32_e32 v59, v60, v59
	v_cndmask_b32_e32 v58, v58, v57, vcc
	v_cmp_u_f32_e64 s[4:5], v56, v56
	v_cndmask_b32_e32 v59, v59, v57, vcc
	v_cndmask_b32_e64 v58, v58, v56, s[4:5]
	v_cndmask_b32_e64 v56, v59, v56, s[4:5]
	s_movk_i32 s2, 0x1f8
	v_cmp_neq_f32_e32 vcc, v58, v56
	v_cmp_class_f32_e64 s[2:3], v58, s2
	s_or_b64 s[2:3], vcc, s[2:3]
	s_and_saveexec_b64 s[4:5], s[2:3]
	s_cbranch_execz .LBB502_115
; %bb.114:
	v_sub_f32_e32 v57, v58, v56
	s_mov_b32 s2, 0x3fb8aa3b
	v_mul_f32_e32 v58, 0x3fb8aa3b, v57
	v_fma_f32 v59, v57, s2, -v58
	v_rndne_f32_e32 v60, v58
	v_fmac_f32_e32 v59, 0x32a5705f, v57
	v_sub_f32_e32 v58, v58, v60
	v_add_f32_e32 v58, v58, v59
	v_exp_f32_e32 v58, v58
	v_cvt_i32_f32_e32 v59, v60
	s_mov_b32 s2, 0xc2ce8ed0
	v_cmp_ngt_f32_e32 vcc, s2, v57
	s_mov_b32 s2, 0x42b17218
	v_ldexp_f32 v58, v58, v59
	v_cndmask_b32_e32 v58, 0, v58, vcc
	v_mov_b32_e32 v59, 0x7f800000
	v_cmp_nlt_f32_e32 vcc, s2, v57
	v_cndmask_b32_e32 v74, v59, v58, vcc
	v_add_f32_e32 v57, 1.0, v74
	v_add_f32_e32 v58, -1.0, v57
	v_sub_f32_e32 v59, v58, v57
	v_add_f32_e32 v59, 1.0, v59
	v_sub_f32_e32 v58, v74, v58
	v_add_f32_e32 v60, v58, v59
	v_frexp_mant_f32_e32 v61, v57
	s_mov_b32 s2, 0x3f2aaaab
	v_cvt_f64_f32_e32 v[58:59], v57
	v_frexp_exp_i32_f64_e32 v58, v[58:59]
	v_cmp_gt_f32_e32 vcc, s2, v61
	v_subbrev_co_u32_e32 v66, vcc, 0, v58, vcc
	v_sub_u32_e32 v58, 0, v66
	v_ldexp_f32 v57, v57, v58
	v_ldexp_f32 v58, v60, v58
	v_add_f32_e32 v60, -1.0, v57
	v_add_f32_e32 v59, 1.0, v60
	v_sub_f32_e32 v59, v57, v59
	v_add_f32_e32 v61, v58, v59
	v_add_f32_e32 v59, 1.0, v57
	v_add_f32_e32 v62, -1.0, v59
	v_sub_f32_e32 v57, v57, v62
	v_add_f32_e32 v57, v58, v57
	v_add_f32_e32 v67, v59, v57
	v_rcp_f32_e32 v68, v67
	v_sub_f32_e32 v58, v59, v67
	v_add_f32_e32 v59, v60, v61
	v_add_f32_e32 v57, v57, v58
	v_mul_f32_e32 v70, v59, v68
	v_sub_f32_e32 v58, v60, v59
	v_mul_f32_e32 v60, v67, v70
	v_fma_f32 v62, v70, v67, -v60
	v_fmac_f32_e32 v62, v70, v57
	v_add_f32_e32 v69, v61, v58
	v_add_f32_e32 v58, v60, v62
	v_sub_f32_e32 v61, v59, v58
	v_pk_add_f32 v[64:65], v[58:59], v[60:61] neg_lo:[0,1] neg_hi:[0,1]
	v_mov_b32_e32 v63, v58
	v_pk_add_f32 v[58:59], v[64:65], v[62:63] neg_lo:[0,1] neg_hi:[0,1]
	v_add_f32_e32 v59, v69, v59
	v_add_f32_e32 v58, v58, v59
	v_add_f32_e32 v59, v61, v58
	v_mul_f32_e32 v69, v68, v59
	v_mul_f32_e32 v60, v67, v69
	v_fma_f32 v62, v69, v67, -v60
	v_fmac_f32_e32 v62, v69, v57
	v_sub_f32_e32 v57, v61, v59
	v_add_f32_e32 v57, v58, v57
	v_add_f32_e32 v58, v60, v62
	v_sub_f32_e32 v61, v59, v58
	v_pk_add_f32 v[64:65], v[58:59], v[60:61] neg_lo:[0,1] neg_hi:[0,1]
	v_mov_b32_e32 v63, v58
	v_pk_add_f32 v[58:59], v[64:65], v[62:63] neg_lo:[0,1] neg_hi:[0,1]
	v_add_f32_e32 v57, v57, v59
	v_add_f32_e32 v57, v58, v57
	;; [unrolled: 1-line block ×4, first 2 shown]
	v_sub_f32_e32 v59, v58, v70
	v_mul_f32_e32 v57, v68, v57
	v_sub_f32_e32 v59, v69, v59
	v_add_f32_e32 v57, v59, v57
	v_add_f32_e32 v61, v58, v57
	v_mul_f32_e32 v62, v61, v61
	v_mov_b32_e32 v60, 0x3ecc95a3
	v_fmac_f32_e32 v60, 0x3e9b6dac, v62
	v_mov_b32_e32 v59, 0x3f2aaada
	v_fmac_f32_e32 v59, v62, v60
	v_cvt_f32_i32_e32 v60, v66
	v_sub_f32_e32 v58, v61, v58
	v_sub_f32_e32 v57, v57, v58
	v_ldexp_f32 v63, v61, 1
	v_mul_f32_e32 v61, v61, v62
	v_mov_b32_e32 v58, 0x3f317218
	s_mov_b32 s2, 0x3f317218
	v_pk_mul_f32 v[58:59], v[60:61], v[58:59]
	v_fma_f32 v62, v60, s2, -v58
	v_fmac_f32_e32 v62, 0xb102e308, v60
	v_pk_add_f32 v[60:61], v[58:59], v[62:63]
	v_sub_f32_e32 v63, v61, v63
	v_ldexp_f32 v57, v57, 1
	v_sub_f32_e32 v63, v59, v63
	v_add_f32_e32 v65, v57, v63
	v_mov_b32_e32 v64, v58
	v_pk_add_f32 v[58:59], v[60:61], v[58:59] neg_lo:[0,1] neg_hi:[0,1]
	v_pk_add_f32 v[66:67], v[60:61], v[64:65]
	v_mov_b32_e32 v59, v67
	v_mov_b32_e32 v63, v60
	v_pk_add_f32 v[68:69], v[62:63], v[58:59] neg_lo:[0,1] neg_hi:[0,1]
	v_pk_add_f32 v[58:59], v[62:63], v[58:59]
	v_mov_b32_e32 v62, v59
	v_pk_add_f32 v[70:71], v[62:63], v[60:61] neg_lo:[0,1] neg_hi:[0,1]
	v_mov_b32_e32 v57, v70
	v_pk_add_f32 v[72:73], v[66:67], v[56:57] neg_lo:[0,1] neg_hi:[0,1]
	v_mov_b32_e32 v58, v67
	v_mov_b32_e32 v66, v61
	;; [unrolled: 1-line block ×4, first 2 shown]
	v_pk_add_f32 v[58:59], v[58:59], v[66:67] neg_lo:[0,1] neg_hi:[0,1]
	v_mov_b32_e32 v64, v65
	v_mov_b32_e32 v65, v60
	v_pk_add_f32 v[58:59], v[64:65], v[58:59] neg_lo:[0,1] neg_hi:[0,1]
	v_mov_b32_e32 v72, v68
	v_pk_add_f32 v[60:61], v[72:73], v[58:59]
	v_mov_b32_e32 v64, v61
	v_pk_add_f32 v[64:65], v[60:61], v[64:65]
	v_pk_add_f32 v[62:63], v[62:63], v[64:65]
	v_mov_b32_e32 v61, v62
	v_pk_add_f32 v[66:67], v[60:61], v[68:69] neg_lo:[0,1] neg_hi:[0,1]
	v_mov_b32_e32 v59, v64
	v_sub_f32_e32 v57, v60, v66
	v_pk_add_f32 v[58:59], v[58:59], v[66:67] neg_lo:[0,1] neg_hi:[0,1]
	v_sub_f32_e32 v57, v68, v57
	s_mov_b32 s3, 0x7f800000
	v_add_f32_e32 v57, v58, v57
	s_mov_b32 s2, 0x33800000
	v_add_f32_e32 v57, v57, v59
	v_cmp_eq_f32_e32 vcc, s3, v74
	v_cmp_lt_f32_e64 s[2:3], |v74|, s2
	v_add_f32_e32 v57, v62, v57
	s_or_b64 vcc, vcc, s[2:3]
	v_cndmask_b32_e32 v57, v57, v74, vcc
	v_add_f32_e32 v57, v56, v57
.LBB502_115:
	s_or_b64 exec, exec, s[4:5]
	v_bfe_u32 v56, v57, 16, 1
	s_movk_i32 s2, 0x7fff
	v_add3_u32 v56, v57, v56, s2
	v_lshrrev_b32_e32 v56, 16, v56
	v_mov_b32_e32 v58, 0x7fc0
	v_cmp_o_f32_e32 vcc, v57, v57
	v_cndmask_b32_e32 v57, v58, v56, vcc
	v_and_b32_e32 v58, 0xffff, v57
.LBB502_116:
	s_or_b64 exec, exec, s[0:1]
	s_nop 0
	v_mov_b32_dpp v56, v58 row_bcast:31 row_mask:0xf bank_mask:0xf
	v_cmp_lt_u32_e32 vcc, 31, v55
	s_and_saveexec_b64 s[0:1], vcc
	s_cbranch_execz .LBB502_120
; %bb.117:
	v_lshlrev_b32_e32 v57, 16, v56
	v_lshlrev_b32_e32 v56, 16, v58
	v_max_f32_e32 v59, v56, v56
	v_max_f32_e32 v60, v57, v57
	v_min_f32_e32 v58, v60, v59
	v_cmp_u_f32_e32 vcc, v57, v57
	v_max_f32_e32 v59, v60, v59
	v_cndmask_b32_e32 v58, v58, v57, vcc
	v_cmp_u_f32_e64 s[4:5], v56, v56
	v_cndmask_b32_e32 v59, v59, v57, vcc
	v_cndmask_b32_e64 v58, v58, v56, s[4:5]
	v_cndmask_b32_e64 v56, v59, v56, s[4:5]
	s_movk_i32 s2, 0x1f8
	v_cmp_neq_f32_e32 vcc, v58, v56
	v_cmp_class_f32_e64 s[2:3], v58, s2
	s_or_b64 s[2:3], vcc, s[2:3]
	s_and_saveexec_b64 s[4:5], s[2:3]
	s_cbranch_execz .LBB502_119
; %bb.118:
	v_sub_f32_e32 v57, v58, v56
	s_mov_b32 s2, 0x3fb8aa3b
	v_mul_f32_e32 v58, 0x3fb8aa3b, v57
	v_fma_f32 v59, v57, s2, -v58
	v_rndne_f32_e32 v60, v58
	v_fmac_f32_e32 v59, 0x32a5705f, v57
	v_sub_f32_e32 v58, v58, v60
	v_add_f32_e32 v58, v58, v59
	v_exp_f32_e32 v58, v58
	v_cvt_i32_f32_e32 v59, v60
	s_mov_b32 s2, 0xc2ce8ed0
	v_cmp_ngt_f32_e32 vcc, s2, v57
	s_mov_b32 s2, 0x42b17218
	v_ldexp_f32 v58, v58, v59
	v_cndmask_b32_e32 v58, 0, v58, vcc
	v_mov_b32_e32 v59, 0x7f800000
	v_cmp_nlt_f32_e32 vcc, s2, v57
	v_cndmask_b32_e32 v74, v59, v58, vcc
	v_add_f32_e32 v57, 1.0, v74
	v_add_f32_e32 v58, -1.0, v57
	v_sub_f32_e32 v59, v58, v57
	v_add_f32_e32 v59, 1.0, v59
	v_sub_f32_e32 v58, v74, v58
	v_add_f32_e32 v60, v58, v59
	v_frexp_mant_f32_e32 v61, v57
	s_mov_b32 s2, 0x3f2aaaab
	v_cvt_f64_f32_e32 v[58:59], v57
	v_frexp_exp_i32_f64_e32 v58, v[58:59]
	v_cmp_gt_f32_e32 vcc, s2, v61
	v_subbrev_co_u32_e32 v66, vcc, 0, v58, vcc
	v_sub_u32_e32 v58, 0, v66
	v_ldexp_f32 v57, v57, v58
	v_ldexp_f32 v58, v60, v58
	v_add_f32_e32 v60, -1.0, v57
	v_add_f32_e32 v59, 1.0, v60
	v_sub_f32_e32 v59, v57, v59
	v_add_f32_e32 v61, v58, v59
	v_add_f32_e32 v59, 1.0, v57
	v_add_f32_e32 v62, -1.0, v59
	v_sub_f32_e32 v57, v57, v62
	v_add_f32_e32 v57, v58, v57
	v_add_f32_e32 v67, v59, v57
	v_rcp_f32_e32 v68, v67
	v_sub_f32_e32 v58, v59, v67
	v_add_f32_e32 v59, v60, v61
	v_add_f32_e32 v57, v57, v58
	v_mul_f32_e32 v70, v59, v68
	v_sub_f32_e32 v58, v60, v59
	v_mul_f32_e32 v60, v67, v70
	v_fma_f32 v62, v70, v67, -v60
	v_fmac_f32_e32 v62, v70, v57
	v_add_f32_e32 v69, v61, v58
	v_add_f32_e32 v58, v60, v62
	v_sub_f32_e32 v61, v59, v58
	v_pk_add_f32 v[64:65], v[58:59], v[60:61] neg_lo:[0,1] neg_hi:[0,1]
	v_mov_b32_e32 v63, v58
	v_pk_add_f32 v[58:59], v[64:65], v[62:63] neg_lo:[0,1] neg_hi:[0,1]
	v_add_f32_e32 v59, v69, v59
	v_add_f32_e32 v58, v58, v59
	;; [unrolled: 1-line block ×3, first 2 shown]
	v_mul_f32_e32 v69, v68, v59
	v_mul_f32_e32 v60, v67, v69
	v_fma_f32 v62, v69, v67, -v60
	v_fmac_f32_e32 v62, v69, v57
	v_sub_f32_e32 v57, v61, v59
	v_add_f32_e32 v57, v58, v57
	v_add_f32_e32 v58, v60, v62
	v_sub_f32_e32 v61, v59, v58
	v_pk_add_f32 v[64:65], v[58:59], v[60:61] neg_lo:[0,1] neg_hi:[0,1]
	v_mov_b32_e32 v63, v58
	v_pk_add_f32 v[58:59], v[64:65], v[62:63] neg_lo:[0,1] neg_hi:[0,1]
	v_add_f32_e32 v57, v57, v59
	v_add_f32_e32 v57, v58, v57
	;; [unrolled: 1-line block ×4, first 2 shown]
	v_sub_f32_e32 v59, v58, v70
	v_mul_f32_e32 v57, v68, v57
	v_sub_f32_e32 v59, v69, v59
	v_add_f32_e32 v57, v59, v57
	v_add_f32_e32 v61, v58, v57
	v_mul_f32_e32 v62, v61, v61
	v_mov_b32_e32 v60, 0x3ecc95a3
	v_fmac_f32_e32 v60, 0x3e9b6dac, v62
	v_mov_b32_e32 v59, 0x3f2aaada
	v_fmac_f32_e32 v59, v62, v60
	v_cvt_f32_i32_e32 v60, v66
	v_sub_f32_e32 v58, v61, v58
	v_sub_f32_e32 v57, v57, v58
	v_ldexp_f32 v63, v61, 1
	v_mul_f32_e32 v61, v61, v62
	v_mov_b32_e32 v58, 0x3f317218
	s_mov_b32 s2, 0x3f317218
	v_pk_mul_f32 v[58:59], v[60:61], v[58:59]
	v_fma_f32 v62, v60, s2, -v58
	v_fmac_f32_e32 v62, 0xb102e308, v60
	v_pk_add_f32 v[60:61], v[58:59], v[62:63]
	v_sub_f32_e32 v63, v61, v63
	v_ldexp_f32 v57, v57, 1
	v_sub_f32_e32 v63, v59, v63
	v_add_f32_e32 v65, v57, v63
	v_mov_b32_e32 v64, v58
	v_pk_add_f32 v[58:59], v[60:61], v[58:59] neg_lo:[0,1] neg_hi:[0,1]
	v_pk_add_f32 v[66:67], v[60:61], v[64:65]
	v_mov_b32_e32 v59, v67
	v_mov_b32_e32 v63, v60
	v_pk_add_f32 v[68:69], v[62:63], v[58:59] neg_lo:[0,1] neg_hi:[0,1]
	v_pk_add_f32 v[58:59], v[62:63], v[58:59]
	v_mov_b32_e32 v62, v59
	v_pk_add_f32 v[70:71], v[62:63], v[60:61] neg_lo:[0,1] neg_hi:[0,1]
	v_mov_b32_e32 v57, v70
	v_pk_add_f32 v[72:73], v[66:67], v[56:57] neg_lo:[0,1] neg_hi:[0,1]
	v_mov_b32_e32 v58, v67
	v_mov_b32_e32 v66, v61
	;; [unrolled: 1-line block ×4, first 2 shown]
	v_pk_add_f32 v[58:59], v[58:59], v[66:67] neg_lo:[0,1] neg_hi:[0,1]
	v_mov_b32_e32 v64, v65
	v_mov_b32_e32 v65, v60
	v_pk_add_f32 v[58:59], v[64:65], v[58:59] neg_lo:[0,1] neg_hi:[0,1]
	v_mov_b32_e32 v72, v68
	v_pk_add_f32 v[60:61], v[72:73], v[58:59]
	v_mov_b32_e32 v64, v61
	v_pk_add_f32 v[64:65], v[60:61], v[64:65]
	v_pk_add_f32 v[62:63], v[62:63], v[64:65]
	v_mov_b32_e32 v61, v62
	v_pk_add_f32 v[66:67], v[60:61], v[68:69] neg_lo:[0,1] neg_hi:[0,1]
	v_mov_b32_e32 v59, v64
	v_sub_f32_e32 v57, v60, v66
	v_pk_add_f32 v[58:59], v[58:59], v[66:67] neg_lo:[0,1] neg_hi:[0,1]
	v_sub_f32_e32 v57, v68, v57
	s_mov_b32 s3, 0x7f800000
	v_add_f32_e32 v57, v58, v57
	s_mov_b32 s2, 0x33800000
	v_add_f32_e32 v57, v57, v59
	v_cmp_eq_f32_e32 vcc, s3, v74
	v_cmp_lt_f32_e64 s[2:3], |v74|, s2
	v_add_f32_e32 v57, v62, v57
	s_or_b64 vcc, vcc, s[2:3]
	v_cndmask_b32_e32 v57, v57, v74, vcc
	v_add_f32_e32 v57, v56, v57
.LBB502_119:
	s_or_b64 exec, exec, s[4:5]
	v_bfe_u32 v56, v57, 16, 1
	s_movk_i32 s2, 0x7fff
	v_add3_u32 v56, v57, v56, s2
	v_lshrrev_b32_e32 v56, 16, v56
	v_mov_b32_e32 v58, 0x7fc0
	v_cmp_o_f32_e32 vcc, v57, v57
	v_cndmask_b32_e32 v57, v58, v56, vcc
.LBB502_120:
	s_or_b64 exec, exec, s[0:1]
	v_cmp_eq_u32_e32 vcc, 63, v0
	s_and_saveexec_b64 s[0:1], vcc
	s_cbranch_execz .LBB502_122
; %bb.121:
	v_mov_b32_e32 v56, 0
	ds_write_b16 v56, v57
.LBB502_122:
	s_or_b64 exec, exec, s[0:1]
	v_and_b32_e32 v56, 0xffff, v57
	v_add_u32_e32 v57, -1, v55
	v_and_b32_e32 v58, 64, v55
	v_cmp_lt_i32_e32 vcc, v57, v58
	v_cndmask_b32_e32 v55, v57, v55, vcc
	v_lshlrev_b32_e32 v55, 2, v55
	ds_bpermute_b32 v55, v55, v56
	v_cmp_ne_u32_e32 vcc, 0, v0
	s_waitcnt lgkmcnt(0)
	; wave barrier
	s_waitcnt lgkmcnt(0)
	s_and_saveexec_b64 s[4:5], vcc
	s_cbranch_execz .LBB502_126
; %bb.123:
	v_lshlrev_b32_e32 v51, 16, v55
	v_max_f32_e32 v2, v51, v51
	v_min_f32_e32 v52, v2, v53
	v_cmp_u_f32_e32 vcc, v51, v51
	v_max_f32_e32 v2, v2, v53
	v_cndmask_b32_e32 v52, v52, v51, vcc
	v_cndmask_b32_e32 v2, v2, v51, vcc
	v_cndmask_b32_e64 v52, v52, v50, s[94:95]
	v_cndmask_b32_e64 v2, v2, v50, s[94:95]
	s_movk_i32 s0, 0x1f8
	v_cmp_neq_f32_e32 vcc, v52, v2
	v_cmp_class_f32_e64 s[0:1], v52, s0
	s_or_b64 s[2:3], vcc, s[0:1]
	s_and_saveexec_b64 s[0:1], s[2:3]
	s_cbranch_execz .LBB502_125
; %bb.124:
	v_sub_f32_e32 v50, v52, v2
	s_mov_b32 s2, 0x3fb8aa3b
	v_mul_f32_e32 v51, 0x3fb8aa3b, v50
	v_fma_f32 v52, v50, s2, -v51
	v_rndne_f32_e32 v53, v51
	v_fmac_f32_e32 v52, 0x32a5705f, v50
	v_sub_f32_e32 v51, v51, v53
	v_add_f32_e32 v51, v51, v52
	v_exp_f32_e32 v51, v51
	v_cvt_i32_f32_e32 v52, v53
	s_mov_b32 s2, 0xc2ce8ed0
	v_cmp_ngt_f32_e32 vcc, s2, v50
	s_mov_b32 s2, 0x42b17218
	v_ldexp_f32 v51, v51, v52
	v_cndmask_b32_e32 v51, 0, v51, vcc
	v_mov_b32_e32 v52, 0x7f800000
	v_cmp_nlt_f32_e32 vcc, s2, v50
	v_cndmask_b32_e32 v68, v52, v51, vcc
	v_add_f32_e32 v52, 1.0, v68
	v_add_f32_e32 v50, -1.0, v52
	v_sub_f32_e32 v51, v50, v52
	v_add_f32_e32 v51, 1.0, v51
	v_sub_f32_e32 v50, v68, v50
	v_add_f32_e32 v53, v50, v51
	v_frexp_mant_f32_e32 v55, v52
	s_mov_b32 s2, 0x3f2aaaab
	v_cvt_f64_f32_e32 v[50:51], v52
	v_frexp_exp_i32_f64_e32 v50, v[50:51]
	v_cmp_gt_f32_e32 vcc, s2, v55
	v_subbrev_co_u32_e32 v55, vcc, 0, v50, vcc
	v_sub_u32_e32 v50, 0, v55
	v_ldexp_f32 v51, v52, v50
	v_add_f32_e32 v52, -1.0, v51
	v_add_f32_e32 v56, 1.0, v51
	v_ldexp_f32 v50, v53, v50
	v_add_f32_e32 v53, 1.0, v52
	v_add_f32_e32 v57, -1.0, v56
	v_sub_f32_e32 v53, v51, v53
	v_sub_f32_e32 v51, v51, v57
	v_add_f32_e32 v53, v50, v53
	v_add_f32_e32 v50, v50, v51
	;; [unrolled: 1-line block ×3, first 2 shown]
	v_rcp_f32_e32 v62, v60
	v_sub_f32_e32 v51, v56, v60
	v_add_f32_e32 v61, v50, v51
	v_add_f32_e32 v51, v52, v53
	v_mul_f32_e32 v64, v51, v62
	v_sub_f32_e32 v50, v52, v51
	v_mul_f32_e32 v52, v60, v64
	v_fma_f32 v56, v64, v60, -v52
	v_fmac_f32_e32 v56, v64, v61
	v_add_f32_e32 v63, v53, v50
	v_add_f32_e32 v50, v52, v56
	v_sub_f32_e32 v53, v51, v50
	v_pk_add_f32 v[58:59], v[50:51], v[52:53] neg_lo:[0,1] neg_hi:[0,1]
	v_mov_b32_e32 v57, v50
	v_pk_add_f32 v[50:51], v[58:59], v[56:57] neg_lo:[0,1] neg_hi:[0,1]
	v_add_f32_e32 v51, v63, v51
	v_add_f32_e32 v50, v50, v51
	;; [unrolled: 1-line block ×3, first 2 shown]
	v_mul_f32_e32 v63, v62, v51
	v_mul_f32_e32 v52, v60, v63
	v_fma_f32 v56, v63, v60, -v52
	v_fmac_f32_e32 v56, v63, v61
	v_sub_f32_e32 v53, v53, v51
	v_add_f32_e32 v60, v50, v53
	v_add_f32_e32 v50, v52, v56
	v_sub_f32_e32 v53, v51, v50
	v_pk_add_f32 v[58:59], v[50:51], v[52:53] neg_lo:[0,1] neg_hi:[0,1]
	v_mov_b32_e32 v57, v50
	v_pk_add_f32 v[50:51], v[58:59], v[56:57] neg_lo:[0,1] neg_hi:[0,1]
	v_add_f32_e32 v51, v60, v51
	v_add_f32_e32 v50, v50, v51
	;; [unrolled: 1-line block ×4, first 2 shown]
	v_sub_f32_e32 v51, v53, v64
	v_mul_f32_e32 v50, v62, v50
	v_sub_f32_e32 v51, v63, v51
	v_add_f32_e32 v50, v51, v50
	v_add_f32_e32 v56, v53, v50
	v_mul_f32_e32 v58, v56, v56
	v_mov_b32_e32 v52, 0x3ecc95a3
	v_fmac_f32_e32 v52, 0x3e9b6dac, v58
	v_mov_b32_e32 v51, 0x3f2aaada
	v_fmac_f32_e32 v51, v58, v52
	v_cvt_f32_i32_e32 v52, v55
	v_sub_f32_e32 v53, v56, v53
	v_sub_f32_e32 v50, v50, v53
	v_ldexp_f32 v55, v50, 1
	v_mul_f32_e32 v53, v56, v58
	v_mov_b32_e32 v50, 0x3f317218
	s_mov_b32 s2, 0x3f317218
	v_pk_mul_f32 v[50:51], v[52:53], v[50:51]
	v_ldexp_f32 v57, v56, 1
	v_fma_f32 v56, v52, s2, -v50
	v_fmac_f32_e32 v56, 0xb102e308, v52
	v_pk_add_f32 v[52:53], v[50:51], v[56:57]
	v_sub_f32_e32 v57, v53, v57
	v_sub_f32_e32 v57, v51, v57
	v_add_f32_e32 v59, v55, v57
	v_mov_b32_e32 v58, v50
	v_pk_add_f32 v[50:51], v[52:53], v[50:51] neg_lo:[0,1] neg_hi:[0,1]
	v_pk_add_f32 v[60:61], v[52:53], v[58:59]
	v_mov_b32_e32 v51, v61
	v_mov_b32_e32 v57, v52
	v_pk_add_f32 v[62:63], v[56:57], v[50:51] neg_lo:[0,1] neg_hi:[0,1]
	v_pk_add_f32 v[50:51], v[56:57], v[50:51]
	v_mov_b32_e32 v56, v51
	v_pk_add_f32 v[64:65], v[56:57], v[52:53] neg_lo:[0,1] neg_hi:[0,1]
	v_mov_b32_e32 v55, v64
	v_pk_add_f32 v[66:67], v[60:61], v[54:55] neg_lo:[0,1] neg_hi:[0,1]
	v_mov_b32_e32 v50, v61
	v_mov_b32_e32 v60, v53
	;; [unrolled: 1-line block ×4, first 2 shown]
	v_pk_add_f32 v[50:51], v[50:51], v[60:61] neg_lo:[0,1] neg_hi:[0,1]
	v_mov_b32_e32 v58, v59
	v_mov_b32_e32 v59, v52
	v_pk_add_f32 v[50:51], v[58:59], v[50:51] neg_lo:[0,1] neg_hi:[0,1]
	v_mov_b32_e32 v66, v62
	v_pk_add_f32 v[52:53], v[66:67], v[50:51]
	v_mov_b32_e32 v58, v53
	v_pk_add_f32 v[58:59], v[52:53], v[58:59]
	v_pk_add_f32 v[56:57], v[56:57], v[58:59]
	v_mov_b32_e32 v53, v56
	v_pk_add_f32 v[60:61], v[52:53], v[62:63] neg_lo:[0,1] neg_hi:[0,1]
	v_mov_b32_e32 v51, v58
	v_sub_f32_e32 v52, v52, v60
	v_pk_add_f32 v[50:51], v[50:51], v[60:61] neg_lo:[0,1] neg_hi:[0,1]
	v_sub_f32_e32 v52, v62, v52
	s_mov_b32 s3, 0x7f800000
	v_add_f32_e32 v50, v50, v52
	s_mov_b32 s2, 0x33800000
	v_add_f32_e32 v50, v50, v51
	v_cmp_eq_f32_e32 vcc, s3, v68
	v_cmp_lt_f32_e64 s[2:3], |v68|, s2
	v_add_f32_e32 v50, v56, v50
	s_or_b64 vcc, vcc, s[2:3]
	v_cndmask_b32_e32 v50, v50, v68, vcc
	v_add_f32_e32 v51, v2, v50
.LBB502_125:
	s_or_b64 exec, exec, s[0:1]
	v_bfe_u32 v2, v51, 16, 1
	s_movk_i32 s0, 0x7fff
	v_add3_u32 v2, v51, v2, s0
	v_lshrrev_b32_e32 v2, 16, v2
	v_mov_b32_e32 v50, 0x7fc0
	v_cmp_o_f32_e32 vcc, v51, v51
	v_cndmask_b32_e32 v2, v50, v2, vcc
	v_lshlrev_b32_e32 v50, 16, v2
	v_max_f32_e32 v52, v50, v50
	v_min_f32_e32 v51, v52, v25
	v_max_f32_e32 v52, v52, v25
	;;#ASMSTART
	;;#ASMEND
.LBB502_126:
	s_or_b64 exec, exec, s[4:5]
	v_cmp_u_f32_e32 vcc, v50, v50
	v_cndmask_b32_e32 v25, v51, v50, vcc
	v_cndmask_b32_e32 v51, v52, v50, vcc
	v_cndmask_b32_e64 v25, v25, v15, s[48:49]
	v_cndmask_b32_e64 v15, v51, v15, s[48:49]
	s_movk_i32 s4, 0x1f8
	v_cmp_neq_f32_e32 vcc, v25, v15
	v_cmp_class_f32_e64 s[0:1], v25, s4
	s_or_b64 s[2:3], vcc, s[0:1]
	s_and_saveexec_b64 s[0:1], s[2:3]
	s_cbranch_execz .LBB502_128
; %bb.127:
	v_sub_f32_e32 v25, v25, v15
	s_mov_b32 s2, 0x3fb8aa3b
	v_mul_f32_e32 v50, 0x3fb8aa3b, v25
	v_fma_f32 v51, v25, s2, -v50
	v_rndne_f32_e32 v52, v50
	v_fmac_f32_e32 v51, 0x32a5705f, v25
	v_sub_f32_e32 v50, v50, v52
	v_add_f32_e32 v50, v50, v51
	v_exp_f32_e32 v50, v50
	v_cvt_i32_f32_e32 v51, v52
	s_mov_b32 s2, 0xc2ce8ed0
	v_cmp_ngt_f32_e32 vcc, s2, v25
	s_mov_b32 s2, 0x42b17218
	v_ldexp_f32 v50, v50, v51
	v_cndmask_b32_e32 v50, 0, v50, vcc
	v_mov_b32_e32 v51, 0x7f800000
	v_cmp_nlt_f32_e32 vcc, s2, v25
	v_cndmask_b32_e32 v55, v51, v50, vcc
	v_add_f32_e32 v25, 1.0, v55
	v_add_f32_e32 v50, -1.0, v25
	v_sub_f32_e32 v51, v50, v25
	v_add_f32_e32 v51, 1.0, v51
	v_sub_f32_e32 v50, v55, v50
	v_add_f32_e32 v52, v50, v51
	v_frexp_mant_f32_e32 v53, v25
	s_mov_b32 s2, 0x3f2aaaab
	v_cvt_f64_f32_e32 v[50:51], v25
	v_frexp_exp_i32_f64_e32 v50, v[50:51]
	v_cmp_gt_f32_e32 vcc, s2, v53
	v_subbrev_co_u32_e32 v60, vcc, 0, v50, vcc
	v_sub_u32_e32 v50, 0, v60
	v_ldexp_f32 v25, v25, v50
	v_ldexp_f32 v50, v52, v50
	v_add_f32_e32 v52, -1.0, v25
	v_add_f32_e32 v51, 1.0, v52
	v_sub_f32_e32 v51, v25, v51
	v_add_f32_e32 v53, v50, v51
	v_add_f32_e32 v51, 1.0, v25
	v_add_f32_e32 v56, -1.0, v51
	v_sub_f32_e32 v25, v25, v56
	v_add_f32_e32 v25, v50, v25
	v_add_f32_e32 v61, v51, v25
	v_rcp_f32_e32 v62, v61
	v_sub_f32_e32 v50, v51, v61
	v_add_f32_e32 v51, v52, v53
	v_add_f32_e32 v25, v25, v50
	v_mul_f32_e32 v64, v51, v62
	v_sub_f32_e32 v50, v52, v51
	v_mul_f32_e32 v52, v61, v64
	v_fma_f32 v56, v64, v61, -v52
	v_fmac_f32_e32 v56, v64, v25
	v_add_f32_e32 v63, v53, v50
	v_add_f32_e32 v50, v52, v56
	v_sub_f32_e32 v53, v51, v50
	v_pk_add_f32 v[58:59], v[50:51], v[52:53] neg_lo:[0,1] neg_hi:[0,1]
	v_mov_b32_e32 v57, v50
	v_pk_add_f32 v[50:51], v[58:59], v[56:57] neg_lo:[0,1] neg_hi:[0,1]
	v_add_f32_e32 v51, v63, v51
	v_add_f32_e32 v50, v50, v51
	;; [unrolled: 1-line block ×3, first 2 shown]
	v_mul_f32_e32 v63, v62, v51
	v_mul_f32_e32 v52, v61, v63
	v_fma_f32 v56, v63, v61, -v52
	v_fmac_f32_e32 v56, v63, v25
	v_sub_f32_e32 v25, v53, v51
	v_add_f32_e32 v25, v50, v25
	v_add_f32_e32 v50, v52, v56
	v_sub_f32_e32 v53, v51, v50
	v_pk_add_f32 v[58:59], v[50:51], v[52:53] neg_lo:[0,1] neg_hi:[0,1]
	v_mov_b32_e32 v57, v50
	v_pk_add_f32 v[50:51], v[58:59], v[56:57] neg_lo:[0,1] neg_hi:[0,1]
	v_add_f32_e32 v25, v25, v51
	v_add_f32_e32 v25, v50, v25
	;; [unrolled: 1-line block ×4, first 2 shown]
	v_sub_f32_e32 v51, v50, v64
	v_mul_f32_e32 v25, v62, v25
	v_sub_f32_e32 v51, v63, v51
	v_add_f32_e32 v25, v51, v25
	v_add_f32_e32 v53, v50, v25
	v_mul_f32_e32 v56, v53, v53
	v_mov_b32_e32 v52, 0x3ecc95a3
	v_fmac_f32_e32 v52, 0x3e9b6dac, v56
	v_mov_b32_e32 v51, 0x3f2aaada
	v_fmac_f32_e32 v51, v56, v52
	v_cvt_f32_i32_e32 v52, v60
	v_sub_f32_e32 v50, v53, v50
	v_sub_f32_e32 v25, v25, v50
	v_ldexp_f32 v57, v53, 1
	v_mul_f32_e32 v53, v53, v56
	v_mov_b32_e32 v50, 0x3f317218
	s_mov_b32 s2, 0x3f317218
	v_pk_mul_f32 v[50:51], v[52:53], v[50:51]
	v_fma_f32 v56, v52, s2, -v50
	v_fmac_f32_e32 v56, 0xb102e308, v52
	v_pk_add_f32 v[52:53], v[50:51], v[56:57]
	v_sub_f32_e32 v57, v53, v57
	v_ldexp_f32 v25, v25, 1
	v_sub_f32_e32 v57, v51, v57
	v_add_f32_e32 v59, v25, v57
	v_mov_b32_e32 v58, v50
	v_pk_add_f32 v[50:51], v[52:53], v[50:51] neg_lo:[0,1] neg_hi:[0,1]
	v_pk_add_f32 v[60:61], v[52:53], v[58:59]
	v_mov_b32_e32 v51, v61
	v_mov_b32_e32 v57, v52
	v_pk_add_f32 v[62:63], v[56:57], v[50:51] neg_lo:[0,1] neg_hi:[0,1]
	v_pk_add_f32 v[50:51], v[56:57], v[50:51]
	v_mov_b32_e32 v56, v51
	v_pk_add_f32 v[64:65], v[56:57], v[52:53] neg_lo:[0,1] neg_hi:[0,1]
	v_mov_b32_e32 v25, v64
	v_pk_add_f32 v[66:67], v[60:61], v[24:25] neg_lo:[0,1] neg_hi:[0,1]
	v_mov_b32_e32 v50, v61
	v_mov_b32_e32 v60, v53
	;; [unrolled: 1-line block ×4, first 2 shown]
	v_pk_add_f32 v[50:51], v[50:51], v[60:61] neg_lo:[0,1] neg_hi:[0,1]
	v_mov_b32_e32 v58, v59
	v_mov_b32_e32 v59, v52
	v_pk_add_f32 v[50:51], v[58:59], v[50:51] neg_lo:[0,1] neg_hi:[0,1]
	v_mov_b32_e32 v66, v62
	v_pk_add_f32 v[52:53], v[66:67], v[50:51]
	v_mov_b32_e32 v58, v53
	v_pk_add_f32 v[58:59], v[52:53], v[58:59]
	v_pk_add_f32 v[56:57], v[56:57], v[58:59]
	v_mov_b32_e32 v53, v56
	v_pk_add_f32 v[60:61], v[52:53], v[62:63] neg_lo:[0,1] neg_hi:[0,1]
	v_mov_b32_e32 v51, v58
	v_sub_f32_e32 v25, v52, v60
	v_pk_add_f32 v[50:51], v[50:51], v[60:61] neg_lo:[0,1] neg_hi:[0,1]
	v_sub_f32_e32 v25, v62, v25
	s_mov_b32 s3, 0x7f800000
	v_add_f32_e32 v25, v50, v25
	s_mov_b32 s2, 0x33800000
	v_add_f32_e32 v25, v25, v51
	v_cmp_eq_f32_e32 vcc, s3, v55
	v_cmp_lt_f32_e64 s[2:3], |v55|, s2
	v_add_f32_e32 v25, v56, v25
	s_or_b64 vcc, vcc, s[2:3]
	v_cndmask_b32_e32 v25, v25, v55, vcc
	v_add_f32_e32 v50, v15, v25
.LBB502_128:
	s_or_b64 exec, exec, s[0:1]
	v_bfe_u32 v15, v50, 16, 1
	s_movk_i32 s5, 0x7fff
	v_add3_u32 v15, v50, v15, s5
	v_lshrrev_b32_e32 v15, 16, v15
	v_mov_b32_e32 v25, 0x7fc0
	v_cmp_o_f32_e32 vcc, v50, v50
	v_cndmask_b32_e32 v15, v25, v15, vcc
	v_lshlrev_b32_e32 v50, 16, v15
	v_max_f32_e32 v52, v50, v50
	v_min_f32_e32 v51, v52, v18
	v_cmp_u_f32_e32 vcc, v50, v50
	v_max_f32_e32 v18, v52, v18
	v_cndmask_b32_e32 v51, v51, v50, vcc
	v_cndmask_b32_e32 v18, v18, v50, vcc
	v_cndmask_b32_e64 v51, v51, v16, s[50:51]
	v_cndmask_b32_e64 v16, v18, v16, s[50:51]
	v_cmp_neq_f32_e32 vcc, v51, v16
	v_cmp_class_f32_e64 s[0:1], v51, s4
	s_or_b64 s[2:3], vcc, s[0:1]
	s_and_saveexec_b64 s[0:1], s[2:3]
	s_cbranch_execz .LBB502_130
; %bb.129:
	v_sub_f32_e32 v18, v51, v16
	s_mov_b32 s2, 0x3fb8aa3b
	v_mul_f32_e32 v50, 0x3fb8aa3b, v18
	v_fma_f32 v51, v18, s2, -v50
	v_rndne_f32_e32 v52, v50
	v_fmac_f32_e32 v51, 0x32a5705f, v18
	v_sub_f32_e32 v50, v50, v52
	v_add_f32_e32 v50, v50, v51
	v_exp_f32_e32 v50, v50
	v_cvt_i32_f32_e32 v51, v52
	s_mov_b32 s2, 0xc2ce8ed0
	v_cmp_ngt_f32_e32 vcc, s2, v18
	s_mov_b32 s2, 0x42b17218
	v_ldexp_f32 v50, v50, v51
	v_cndmask_b32_e32 v50, 0, v50, vcc
	v_mov_b32_e32 v51, 0x7f800000
	v_cmp_nlt_f32_e32 vcc, s2, v18
	v_cndmask_b32_e32 v66, v51, v50, vcc
	v_add_f32_e32 v18, 1.0, v66
	v_add_f32_e32 v50, -1.0, v18
	v_sub_f32_e32 v51, v50, v18
	v_add_f32_e32 v51, 1.0, v51
	v_sub_f32_e32 v50, v66, v50
	v_add_f32_e32 v52, v50, v51
	v_frexp_mant_f32_e32 v53, v18
	s_mov_b32 s2, 0x3f2aaaab
	v_cvt_f64_f32_e32 v[50:51], v18
	v_frexp_exp_i32_f64_e32 v50, v[50:51]
	v_cmp_gt_f32_e32 vcc, s2, v53
	v_subbrev_co_u32_e32 v55, vcc, 0, v50, vcc
	v_sub_u32_e32 v50, 0, v55
	v_ldexp_f32 v18, v18, v50
	v_ldexp_f32 v50, v52, v50
	v_add_f32_e32 v52, -1.0, v18
	v_add_f32_e32 v51, 1.0, v52
	v_sub_f32_e32 v51, v18, v51
	v_add_f32_e32 v53, v50, v51
	v_add_f32_e32 v51, 1.0, v18
	v_add_f32_e32 v56, -1.0, v51
	v_sub_f32_e32 v18, v18, v56
	v_add_f32_e32 v18, v50, v18
	v_add_f32_e32 v60, v51, v18
	v_rcp_f32_e32 v61, v60
	v_sub_f32_e32 v50, v51, v60
	v_add_f32_e32 v51, v52, v53
	v_add_f32_e32 v18, v18, v50
	v_mul_f32_e32 v63, v51, v61
	v_sub_f32_e32 v50, v52, v51
	v_mul_f32_e32 v52, v60, v63
	v_fma_f32 v56, v63, v60, -v52
	v_fmac_f32_e32 v56, v63, v18
	v_add_f32_e32 v62, v53, v50
	v_add_f32_e32 v50, v52, v56
	v_sub_f32_e32 v53, v51, v50
	v_pk_add_f32 v[58:59], v[50:51], v[52:53] neg_lo:[0,1] neg_hi:[0,1]
	v_mov_b32_e32 v57, v50
	v_pk_add_f32 v[50:51], v[58:59], v[56:57] neg_lo:[0,1] neg_hi:[0,1]
	v_add_f32_e32 v51, v62, v51
	v_add_f32_e32 v50, v50, v51
	;; [unrolled: 1-line block ×3, first 2 shown]
	v_mul_f32_e32 v62, v61, v51
	v_mul_f32_e32 v52, v60, v62
	v_fma_f32 v56, v62, v60, -v52
	v_fmac_f32_e32 v56, v62, v18
	v_sub_f32_e32 v18, v53, v51
	v_add_f32_e32 v18, v50, v18
	v_add_f32_e32 v50, v52, v56
	v_sub_f32_e32 v53, v51, v50
	v_pk_add_f32 v[58:59], v[50:51], v[52:53] neg_lo:[0,1] neg_hi:[0,1]
	v_mov_b32_e32 v57, v50
	v_pk_add_f32 v[50:51], v[58:59], v[56:57] neg_lo:[0,1] neg_hi:[0,1]
	v_add_f32_e32 v18, v18, v51
	v_add_f32_e32 v18, v50, v18
	;; [unrolled: 1-line block ×4, first 2 shown]
	v_sub_f32_e32 v51, v50, v63
	v_mul_f32_e32 v18, v61, v18
	v_sub_f32_e32 v51, v62, v51
	v_add_f32_e32 v18, v51, v18
	v_add_f32_e32 v53, v50, v18
	v_mul_f32_e32 v56, v53, v53
	v_mov_b32_e32 v52, 0x3ecc95a3
	v_fmac_f32_e32 v52, 0x3e9b6dac, v56
	v_mov_b32_e32 v51, 0x3f2aaada
	v_fmac_f32_e32 v51, v56, v52
	v_cvt_f32_i32_e32 v52, v55
	v_sub_f32_e32 v50, v53, v50
	v_sub_f32_e32 v18, v18, v50
	v_ldexp_f32 v57, v53, 1
	v_mul_f32_e32 v53, v53, v56
	v_mov_b32_e32 v50, 0x3f317218
	s_mov_b32 s2, 0x3f317218
	v_pk_mul_f32 v[50:51], v[52:53], v[50:51]
	v_fma_f32 v56, v52, s2, -v50
	v_fmac_f32_e32 v56, 0xb102e308, v52
	v_pk_add_f32 v[52:53], v[50:51], v[56:57]
	v_sub_f32_e32 v55, v53, v57
	v_ldexp_f32 v18, v18, 1
	v_sub_f32_e32 v55, v51, v55
	v_add_f32_e32 v59, v18, v55
	v_mov_b32_e32 v58, v50
	v_pk_add_f32 v[50:51], v[52:53], v[50:51] neg_lo:[0,1] neg_hi:[0,1]
	v_pk_add_f32 v[60:61], v[52:53], v[58:59]
	v_mov_b32_e32 v51, v61
	v_mov_b32_e32 v57, v52
	v_pk_add_f32 v[62:63], v[56:57], v[50:51] neg_lo:[0,1] neg_hi:[0,1]
	v_pk_add_f32 v[50:51], v[56:57], v[50:51]
	v_mov_b32_e32 v18, v51
	v_pk_add_f32 v[56:57], v[18:19], v[52:53] neg_lo:[0,1] neg_hi:[0,1]
	v_mov_b32_e32 v55, v56
	v_pk_add_f32 v[64:65], v[60:61], v[54:55] neg_lo:[0,1] neg_hi:[0,1]
	v_mov_b32_e32 v50, v61
	v_mov_b32_e32 v60, v53
	;; [unrolled: 1-line block ×4, first 2 shown]
	v_pk_add_f32 v[50:51], v[50:51], v[60:61] neg_lo:[0,1] neg_hi:[0,1]
	v_mov_b32_e32 v56, v59
	v_mov_b32_e32 v57, v52
	v_pk_add_f32 v[50:51], v[56:57], v[50:51] neg_lo:[0,1] neg_hi:[0,1]
	v_mov_b32_e32 v64, v62
	v_pk_add_f32 v[52:53], v[64:65], v[50:51]
	v_mov_b32_e32 v56, v53
	v_pk_add_f32 v[56:57], v[52:53], v[56:57]
	v_pk_add_f32 v[58:59], v[18:19], v[56:57]
	v_mov_b32_e32 v53, v58
	v_pk_add_f32 v[60:61], v[52:53], v[62:63] neg_lo:[0,1] neg_hi:[0,1]
	v_mov_b32_e32 v51, v56
	v_sub_f32_e32 v18, v52, v60
	v_pk_add_f32 v[50:51], v[50:51], v[60:61] neg_lo:[0,1] neg_hi:[0,1]
	v_sub_f32_e32 v18, v62, v18
	s_mov_b32 s3, 0x7f800000
	v_add_f32_e32 v18, v50, v18
	s_mov_b32 s2, 0x33800000
	v_add_f32_e32 v18, v18, v51
	v_cmp_eq_f32_e32 vcc, s3, v66
	v_cmp_lt_f32_e64 s[2:3], |v66|, s2
	v_add_f32_e32 v18, v58, v18
	s_or_b64 vcc, vcc, s[2:3]
	v_cndmask_b32_e32 v18, v18, v66, vcc
	v_add_f32_e32 v50, v16, v18
.LBB502_130:
	s_or_b64 exec, exec, s[0:1]
	v_bfe_u32 v16, v50, 16, 1
	v_add3_u32 v16, v50, v16, s5
	v_lshrrev_b32_e32 v16, 16, v16
	v_cmp_o_f32_e32 vcc, v50, v50
	v_cndmask_b32_e32 v16, v25, v16, vcc
	v_lshlrev_b32_e32 v25, 16, v16
	v_max_f32_e32 v50, v25, v25
	v_min_f32_e32 v18, v50, v19
	v_cmp_u_f32_e32 vcc, v25, v25
	v_max_f32_e32 v19, v50, v19
	v_cndmask_b32_e32 v18, v18, v25, vcc
	v_cndmask_b32_e32 v19, v19, v25, vcc
	v_cndmask_b32_e64 v18, v18, v3, s[52:53]
	v_cndmask_b32_e64 v3, v19, v3, s[52:53]
	v_cmp_neq_f32_e32 vcc, v18, v3
	v_cmp_class_f32_e64 s[0:1], v18, s4
	s_or_b64 s[2:3], vcc, s[0:1]
	s_and_saveexec_b64 s[0:1], s[2:3]
	s_cbranch_execz .LBB502_132
; %bb.131:
	v_sub_f32_e32 v18, v18, v3
	s_mov_b32 s2, 0x3fb8aa3b
	v_mul_f32_e32 v19, 0x3fb8aa3b, v18
	v_fma_f32 v25, v18, s2, -v19
	v_rndne_f32_e32 v50, v19
	v_fmac_f32_e32 v25, 0x32a5705f, v18
	v_sub_f32_e32 v19, v19, v50
	v_add_f32_e32 v19, v19, v25
	v_exp_f32_e32 v19, v19
	v_cvt_i32_f32_e32 v25, v50
	s_mov_b32 s2, 0xc2ce8ed0
	v_cmp_ngt_f32_e32 vcc, s2, v18
	s_mov_b32 s2, 0x42b17218
	v_ldexp_f32 v19, v19, v25
	v_cndmask_b32_e32 v19, 0, v19, vcc
	v_mov_b32_e32 v25, 0x7f800000
	v_cmp_nlt_f32_e32 vcc, s2, v18
	v_cndmask_b32_e32 v55, v25, v19, vcc
	v_add_f32_e32 v25, 1.0, v55
	v_add_f32_e32 v18, -1.0, v25
	v_sub_f32_e32 v19, v18, v25
	v_add_f32_e32 v19, 1.0, v19
	v_sub_f32_e32 v18, v55, v18
	v_add_f32_e32 v50, v18, v19
	v_frexp_mant_f32_e32 v51, v25
	s_mov_b32 s2, 0x3f2aaaab
	v_cvt_f64_f32_e32 v[18:19], v25
	v_frexp_exp_i32_f64_e32 v18, v[18:19]
	v_cmp_gt_f32_e32 vcc, s2, v51
	v_subbrev_co_u32_e32 v58, vcc, 0, v18, vcc
	v_sub_u32_e32 v18, 0, v58
	v_ldexp_f32 v19, v25, v18
	v_add_f32_e32 v25, -1.0, v19
	v_add_f32_e32 v51, 1.0, v19
	v_ldexp_f32 v18, v50, v18
	v_add_f32_e32 v50, 1.0, v25
	v_add_f32_e32 v52, -1.0, v51
	v_sub_f32_e32 v50, v19, v50
	v_sub_f32_e32 v19, v19, v52
	v_add_f32_e32 v50, v18, v50
	v_add_f32_e32 v18, v18, v19
	;; [unrolled: 1-line block ×3, first 2 shown]
	v_rcp_f32_e32 v61, v59
	v_sub_f32_e32 v19, v51, v59
	v_add_f32_e32 v60, v18, v19
	v_add_f32_e32 v19, v25, v50
	v_sub_f32_e32 v18, v25, v19
	v_mul_f32_e32 v62, v19, v61
	v_add_f32_e32 v25, v50, v18
	v_mul_f32_e32 v50, v59, v62
	v_fma_f32 v52, v62, v59, -v50
	v_fmac_f32_e32 v52, v62, v60
	v_add_f32_e32 v18, v50, v52
	v_sub_f32_e32 v51, v19, v18
	v_pk_add_f32 v[56:57], v[18:19], v[50:51] neg_lo:[0,1] neg_hi:[0,1]
	v_mov_b32_e32 v53, v18
	v_pk_add_f32 v[18:19], v[56:57], v[52:53] neg_lo:[0,1] neg_hi:[0,1]
	v_add_f32_e32 v19, v25, v19
	v_add_f32_e32 v18, v18, v19
	;; [unrolled: 1-line block ×3, first 2 shown]
	v_mul_f32_e32 v25, v61, v19
	v_mul_f32_e32 v50, v59, v25
	v_fma_f32 v52, v25, v59, -v50
	v_fmac_f32_e32 v52, v25, v60
	v_sub_f32_e32 v51, v51, v19
	v_add_f32_e32 v59, v18, v51
	v_add_f32_e32 v18, v50, v52
	v_sub_f32_e32 v51, v19, v18
	v_pk_add_f32 v[56:57], v[18:19], v[50:51] neg_lo:[0,1] neg_hi:[0,1]
	v_mov_b32_e32 v53, v18
	v_pk_add_f32 v[18:19], v[56:57], v[52:53] neg_lo:[0,1] neg_hi:[0,1]
	v_add_f32_e32 v19, v59, v19
	v_add_f32_e32 v18, v18, v19
	;; [unrolled: 1-line block ×4, first 2 shown]
	v_sub_f32_e32 v19, v51, v62
	v_mul_f32_e32 v18, v61, v18
	v_sub_f32_e32 v19, v25, v19
	v_add_f32_e32 v18, v19, v18
	v_add_f32_e32 v25, v51, v18
	v_mul_f32_e32 v52, v25, v25
	v_mov_b32_e32 v50, 0x3ecc95a3
	v_fmac_f32_e32 v50, 0x3e9b6dac, v52
	v_mov_b32_e32 v19, 0x3f2aaada
	v_fmac_f32_e32 v19, v52, v50
	v_cvt_f32_i32_e32 v50, v58
	v_sub_f32_e32 v51, v25, v51
	v_sub_f32_e32 v18, v18, v51
	v_ldexp_f32 v56, v18, 1
	v_mul_f32_e32 v51, v25, v52
	v_mov_b32_e32 v18, 0x3f317218
	s_mov_b32 s2, 0x3f317218
	v_pk_mul_f32 v[18:19], v[50:51], v[18:19]
	v_fma_f32 v52, v50, s2, -v18
	v_ldexp_f32 v53, v25, 1
	v_fmac_f32_e32 v52, 0xb102e308, v50
	v_pk_add_f32 v[50:51], v[18:19], v[52:53]
	v_sub_f32_e32 v25, v51, v53
	v_sub_f32_e32 v25, v19, v25
	v_add_f32_e32 v57, v56, v25
	v_mov_b32_e32 v56, v18
	v_pk_add_f32 v[18:19], v[50:51], v[18:19] neg_lo:[0,1] neg_hi:[0,1]
	v_pk_add_f32 v[58:59], v[50:51], v[56:57]
	v_mov_b32_e32 v19, v59
	v_mov_b32_e32 v53, v50
	v_pk_add_f32 v[60:61], v[52:53], v[18:19] neg_lo:[0,1] neg_hi:[0,1]
	v_pk_add_f32 v[18:19], v[52:53], v[18:19]
	v_mov_b32_e32 v52, v19
	v_pk_add_f32 v[62:63], v[52:53], v[50:51] neg_lo:[0,1] neg_hi:[0,1]
	v_mov_b32_e32 v25, v62
	v_pk_add_f32 v[64:65], v[58:59], v[24:25] neg_lo:[0,1] neg_hi:[0,1]
	v_mov_b32_e32 v18, v59
	v_mov_b32_e32 v58, v51
	;; [unrolled: 1-line block ×4, first 2 shown]
	v_pk_add_f32 v[18:19], v[18:19], v[58:59] neg_lo:[0,1] neg_hi:[0,1]
	v_mov_b32_e32 v56, v57
	v_mov_b32_e32 v57, v50
	v_pk_add_f32 v[18:19], v[56:57], v[18:19] neg_lo:[0,1] neg_hi:[0,1]
	v_mov_b32_e32 v64, v60
	v_pk_add_f32 v[50:51], v[64:65], v[18:19]
	v_mov_b32_e32 v56, v51
	v_pk_add_f32 v[56:57], v[50:51], v[56:57]
	v_pk_add_f32 v[52:53], v[52:53], v[56:57]
	v_mov_b32_e32 v51, v52
	v_pk_add_f32 v[58:59], v[50:51], v[60:61] neg_lo:[0,1] neg_hi:[0,1]
	v_mov_b32_e32 v19, v56
	v_sub_f32_e32 v25, v50, v58
	v_pk_add_f32 v[18:19], v[18:19], v[58:59] neg_lo:[0,1] neg_hi:[0,1]
	v_sub_f32_e32 v25, v60, v25
	s_mov_b32 s3, 0x7f800000
	v_add_f32_e32 v18, v18, v25
	s_mov_b32 s2, 0x33800000
	v_add_f32_e32 v18, v18, v19
	v_cmp_eq_f32_e32 vcc, s3, v55
	v_cmp_lt_f32_e64 s[2:3], |v55|, s2
	v_add_f32_e32 v18, v52, v18
	s_or_b64 vcc, vcc, s[2:3]
	v_cndmask_b32_e32 v18, v18, v55, vcc
	v_add_f32_e32 v25, v3, v18
.LBB502_132:
	s_or_b64 exec, exec, s[0:1]
	v_bfe_u32 v3, v25, 16, 1
	v_add3_u32 v3, v25, v3, s5
	v_lshrrev_b32_e32 v3, 16, v3
	v_mov_b32_e32 v18, 0x7fc0
	v_cmp_o_f32_e32 vcc, v25, v25
	v_cndmask_b32_e32 v3, v18, v3, vcc
	v_lshlrev_b32_e32 v19, 16, v3
	v_max_f32_e32 v50, v19, v19
	v_min_f32_e32 v25, v50, v21
	v_cmp_u_f32_e32 vcc, v19, v19
	v_max_f32_e32 v21, v50, v21
	v_cndmask_b32_e32 v25, v25, v19, vcc
	v_cndmask_b32_e32 v21, v21, v19, vcc
	v_cndmask_b32_e64 v25, v25, v17, s[54:55]
	v_cndmask_b32_e64 v17, v21, v17, s[54:55]
	v_cmp_neq_f32_e32 vcc, v25, v17
	v_cmp_class_f32_e64 s[0:1], v25, s4
	s_or_b64 s[2:3], vcc, s[0:1]
	s_and_saveexec_b64 s[0:1], s[2:3]
	s_cbranch_execz .LBB502_134
; %bb.133:
	v_sub_f32_e32 v19, v25, v17
	s_mov_b32 s2, 0x3fb8aa3b
	v_mul_f32_e32 v21, 0x3fb8aa3b, v19
	v_fma_f32 v25, v19, s2, -v21
	v_rndne_f32_e32 v50, v21
	v_fmac_f32_e32 v25, 0x32a5705f, v19
	v_sub_f32_e32 v21, v21, v50
	v_add_f32_e32 v21, v21, v25
	v_exp_f32_e32 v21, v21
	v_cvt_i32_f32_e32 v25, v50
	s_mov_b32 s2, 0xc2ce8ed0
	v_cmp_ngt_f32_e32 vcc, s2, v19
	s_mov_b32 s2, 0x42b17218
	v_ldexp_f32 v21, v21, v25
	v_cndmask_b32_e32 v21, 0, v21, vcc
	v_mov_b32_e32 v25, 0x7f800000
	v_cmp_nlt_f32_e32 vcc, s2, v19
	v_cndmask_b32_e32 v21, v25, v21, vcc
	v_add_f32_e32 v19, 1.0, v21
	v_add_f32_e32 v25, -1.0, v19
	v_sub_f32_e32 v50, v25, v19
	v_add_f32_e32 v50, 1.0, v50
	v_sub_f32_e32 v25, v21, v25
	v_add_f32_e32 v25, v25, v50
	v_frexp_mant_f32_e32 v52, v19
	s_mov_b32 s2, 0x3f2aaaab
	v_cvt_f64_f32_e32 v[50:51], v19
	v_frexp_exp_i32_f64_e32 v50, v[50:51]
	v_cmp_gt_f32_e32 vcc, s2, v52
	v_subbrev_co_u32_e32 v55, vcc, 0, v50, vcc
	v_sub_u32_e32 v50, 0, v55
	v_ldexp_f32 v19, v19, v50
	v_ldexp_f32 v25, v25, v50
	v_add_f32_e32 v50, -1.0, v19
	v_add_f32_e32 v51, 1.0, v50
	v_sub_f32_e32 v51, v19, v51
	v_add_f32_e32 v52, v25, v51
	v_add_f32_e32 v51, 1.0, v19
	v_add_f32_e32 v53, -1.0, v51
	v_sub_f32_e32 v19, v19, v53
	v_add_f32_e32 v19, v25, v19
	v_add_f32_e32 v25, v51, v19
	v_rcp_f32_e32 v60, v25
	v_sub_f32_e32 v51, v51, v25
	v_add_f32_e32 v19, v19, v51
	v_add_f32_e32 v51, v50, v52
	v_sub_f32_e32 v50, v50, v51
	v_mul_f32_e32 v62, v51, v60
	v_add_f32_e32 v61, v52, v50
	v_mul_f32_e32 v52, v25, v62
	v_fma_f32 v56, v62, v25, -v52
	v_fmac_f32_e32 v56, v62, v19
	v_add_f32_e32 v50, v52, v56
	v_sub_f32_e32 v53, v51, v50
	v_pk_add_f32 v[58:59], v[50:51], v[52:53] neg_lo:[0,1] neg_hi:[0,1]
	v_mov_b32_e32 v57, v50
	v_pk_add_f32 v[50:51], v[58:59], v[56:57] neg_lo:[0,1] neg_hi:[0,1]
	v_add_f32_e32 v51, v61, v51
	v_add_f32_e32 v50, v50, v51
	;; [unrolled: 1-line block ×3, first 2 shown]
	v_mul_f32_e32 v61, v60, v51
	v_mul_f32_e32 v52, v25, v61
	v_fma_f32 v56, v61, v25, -v52
	v_fmac_f32_e32 v56, v61, v19
	v_sub_f32_e32 v19, v53, v51
	v_add_f32_e32 v19, v50, v19
	v_add_f32_e32 v50, v52, v56
	v_sub_f32_e32 v53, v51, v50
	v_pk_add_f32 v[58:59], v[50:51], v[52:53] neg_lo:[0,1] neg_hi:[0,1]
	v_mov_b32_e32 v57, v50
	v_pk_add_f32 v[50:51], v[58:59], v[56:57] neg_lo:[0,1] neg_hi:[0,1]
	v_add_f32_e32 v19, v19, v51
	v_add_f32_e32 v19, v50, v19
	v_add_f32_e32 v25, v62, v61
	v_add_f32_e32 v19, v53, v19
	v_sub_f32_e32 v50, v25, v62
	v_mul_f32_e32 v19, v60, v19
	v_sub_f32_e32 v50, v61, v50
	v_add_f32_e32 v19, v50, v19
	v_add_f32_e32 v50, v25, v19
	v_mul_f32_e32 v53, v50, v50
	v_mov_b32_e32 v52, 0x3ecc95a3
	v_fmac_f32_e32 v52, 0x3e9b6dac, v53
	v_mov_b32_e32 v51, 0x3f2aaada
	v_fmac_f32_e32 v51, v53, v52
	v_cvt_f32_i32_e32 v52, v55
	v_sub_f32_e32 v25, v50, v25
	v_ldexp_f32 v57, v50, 1
	v_mul_f32_e32 v53, v50, v53
	v_mov_b32_e32 v50, 0x3f317218
	s_mov_b32 s2, 0x3f317218
	v_pk_mul_f32 v[50:51], v[52:53], v[50:51]
	v_fma_f32 v56, v52, s2, -v50
	v_fmac_f32_e32 v56, 0xb102e308, v52
	v_pk_add_f32 v[52:53], v[50:51], v[56:57]
	v_sub_f32_e32 v19, v19, v25
	v_sub_f32_e32 v25, v53, v57
	v_ldexp_f32 v19, v19, 1
	v_sub_f32_e32 v25, v51, v25
	v_add_f32_e32 v59, v19, v25
	v_mov_b32_e32 v58, v50
	v_pk_add_f32 v[50:51], v[52:53], v[50:51] neg_lo:[0,1] neg_hi:[0,1]
	v_pk_add_f32 v[60:61], v[52:53], v[58:59]
	v_mov_b32_e32 v51, v61
	v_mov_b32_e32 v57, v52
	v_pk_add_f32 v[62:63], v[56:57], v[50:51] neg_lo:[0,1] neg_hi:[0,1]
	v_pk_add_f32 v[50:51], v[56:57], v[50:51]
	v_mov_b32_e32 v56, v51
	v_pk_add_f32 v[64:65], v[56:57], v[52:53] neg_lo:[0,1] neg_hi:[0,1]
	v_mov_b32_e32 v19, v64
	v_pk_add_f32 v[66:67], v[60:61], v[18:19] neg_lo:[0,1] neg_hi:[0,1]
	v_mov_b32_e32 v50, v61
	v_mov_b32_e32 v60, v53
	;; [unrolled: 1-line block ×4, first 2 shown]
	v_pk_add_f32 v[50:51], v[50:51], v[60:61] neg_lo:[0,1] neg_hi:[0,1]
	v_mov_b32_e32 v58, v59
	v_mov_b32_e32 v59, v52
	v_pk_add_f32 v[50:51], v[58:59], v[50:51] neg_lo:[0,1] neg_hi:[0,1]
	v_mov_b32_e32 v66, v62
	v_pk_add_f32 v[52:53], v[66:67], v[50:51]
	v_mov_b32_e32 v58, v53
	v_pk_add_f32 v[58:59], v[52:53], v[58:59]
	v_pk_add_f32 v[56:57], v[56:57], v[58:59]
	v_mov_b32_e32 v53, v56
	v_pk_add_f32 v[60:61], v[52:53], v[62:63] neg_lo:[0,1] neg_hi:[0,1]
	v_mov_b32_e32 v51, v58
	v_sub_f32_e32 v19, v52, v60
	v_pk_add_f32 v[50:51], v[50:51], v[60:61] neg_lo:[0,1] neg_hi:[0,1]
	v_sub_f32_e32 v19, v62, v19
	s_mov_b32 s3, 0x7f800000
	v_add_f32_e32 v19, v50, v19
	s_mov_b32 s2, 0x33800000
	v_add_f32_e32 v19, v19, v51
	v_cmp_eq_f32_e32 vcc, s3, v21
	v_cmp_lt_f32_e64 s[2:3], |v21|, s2
	v_add_f32_e32 v19, v56, v19
	s_or_b64 vcc, vcc, s[2:3]
	v_cndmask_b32_e32 v19, v19, v21, vcc
	v_add_f32_e32 v19, v17, v19
.LBB502_134:
	s_or_b64 exec, exec, s[0:1]
	v_bfe_u32 v17, v19, 16, 1
	v_add3_u32 v17, v19, v17, s5
	v_lshrrev_b32_e32 v17, 16, v17
	v_cmp_o_f32_e32 vcc, v19, v19
	v_cndmask_b32_e32 v17, v18, v17, vcc
	v_lshlrev_b32_e32 v19, 16, v17
	v_max_f32_e32 v21, v19, v19
	v_min_f32_e32 v18, v21, v22
	v_cmp_u_f32_e32 vcc, v19, v19
	v_max_f32_e32 v21, v21, v22
	v_cndmask_b32_e32 v18, v18, v19, vcc
	v_cndmask_b32_e32 v21, v21, v19, vcc
	v_cndmask_b32_e64 v18, v18, v4, s[56:57]
	v_cndmask_b32_e64 v4, v21, v4, s[56:57]
	v_cmp_neq_f32_e32 vcc, v18, v4
	v_cmp_class_f32_e64 s[0:1], v18, s4
	s_or_b64 s[2:3], vcc, s[0:1]
	s_and_saveexec_b64 s[0:1], s[2:3]
	s_cbranch_execz .LBB502_136
; %bb.135:
	v_sub_f32_e32 v18, v18, v4
	s_mov_b32 s2, 0x3fb8aa3b
	v_mul_f32_e32 v19, 0x3fb8aa3b, v18
	v_fma_f32 v21, v18, s2, -v19
	v_rndne_f32_e32 v22, v19
	v_fmac_f32_e32 v21, 0x32a5705f, v18
	v_sub_f32_e32 v19, v19, v22
	v_add_f32_e32 v19, v19, v21
	v_exp_f32_e32 v19, v19
	v_cvt_i32_f32_e32 v21, v22
	s_mov_b32 s2, 0xc2ce8ed0
	v_cmp_ngt_f32_e32 vcc, s2, v18
	s_mov_b32 s2, 0x42b17218
	v_ldexp_f32 v19, v19, v21
	v_cndmask_b32_e32 v19, 0, v19, vcc
	v_mov_b32_e32 v21, 0x7f800000
	v_cmp_nlt_f32_e32 vcc, s2, v18
	v_cndmask_b32_e32 v25, v21, v19, vcc
	v_add_f32_e32 v21, 1.0, v25
	v_add_f32_e32 v18, -1.0, v21
	v_sub_f32_e32 v19, v18, v21
	v_add_f32_e32 v19, 1.0, v19
	v_sub_f32_e32 v18, v25, v18
	v_add_f32_e32 v22, v18, v19
	v_frexp_mant_f32_e32 v50, v21
	s_mov_b32 s2, 0x3f2aaaab
	v_cvt_f64_f32_e32 v[18:19], v21
	v_frexp_exp_i32_f64_e32 v18, v[18:19]
	v_cmp_gt_f32_e32 vcc, s2, v50
	v_subbrev_co_u32_e32 v55, vcc, 0, v18, vcc
	v_sub_u32_e32 v18, 0, v55
	v_ldexp_f32 v19, v21, v18
	v_add_f32_e32 v21, -1.0, v19
	v_add_f32_e32 v50, 1.0, v19
	v_ldexp_f32 v18, v22, v18
	v_add_f32_e32 v22, 1.0, v21
	v_add_f32_e32 v51, -1.0, v50
	v_sub_f32_e32 v22, v19, v22
	v_sub_f32_e32 v19, v19, v51
	v_add_f32_e32 v22, v18, v22
	v_add_f32_e32 v18, v18, v19
	;; [unrolled: 1-line block ×3, first 2 shown]
	v_rcp_f32_e32 v60, v58
	v_sub_f32_e32 v19, v50, v58
	v_add_f32_e32 v59, v18, v19
	v_add_f32_e32 v19, v21, v22
	v_sub_f32_e32 v18, v21, v19
	v_add_f32_e32 v21, v22, v18
	v_mul_f32_e32 v22, v19, v60
	v_mul_f32_e32 v50, v58, v22
	v_fma_f32 v52, v22, v58, -v50
	v_fmac_f32_e32 v52, v22, v59
	v_add_f32_e32 v18, v50, v52
	v_sub_f32_e32 v51, v19, v18
	v_pk_add_f32 v[56:57], v[18:19], v[50:51] neg_lo:[0,1] neg_hi:[0,1]
	v_mov_b32_e32 v53, v18
	v_pk_add_f32 v[18:19], v[56:57], v[52:53] neg_lo:[0,1] neg_hi:[0,1]
	v_add_f32_e32 v19, v21, v19
	v_add_f32_e32 v18, v18, v19
	;; [unrolled: 1-line block ×3, first 2 shown]
	v_mul_f32_e32 v21, v60, v19
	v_mul_f32_e32 v50, v58, v21
	v_fma_f32 v52, v21, v58, -v50
	v_fmac_f32_e32 v52, v21, v59
	v_sub_f32_e32 v51, v51, v19
	v_add_f32_e32 v58, v18, v51
	v_add_f32_e32 v18, v50, v52
	v_sub_f32_e32 v51, v19, v18
	v_pk_add_f32 v[56:57], v[18:19], v[50:51] neg_lo:[0,1] neg_hi:[0,1]
	v_mov_b32_e32 v53, v18
	v_pk_add_f32 v[18:19], v[56:57], v[52:53] neg_lo:[0,1] neg_hi:[0,1]
	v_add_f32_e32 v19, v58, v19
	v_add_f32_e32 v18, v18, v19
	;; [unrolled: 1-line block ×4, first 2 shown]
	v_sub_f32_e32 v19, v51, v22
	v_mul_f32_e32 v18, v60, v18
	v_sub_f32_e32 v19, v21, v19
	v_add_f32_e32 v18, v19, v18
	v_add_f32_e32 v21, v51, v18
	v_mul_f32_e32 v22, v21, v21
	v_mov_b32_e32 v50, 0x3ecc95a3
	v_fmac_f32_e32 v50, 0x3e9b6dac, v22
	v_mov_b32_e32 v19, 0x3f2aaada
	v_fmac_f32_e32 v19, v22, v50
	v_cvt_f32_i32_e32 v50, v55
	v_sub_f32_e32 v51, v21, v51
	v_sub_f32_e32 v18, v18, v51
	v_ldexp_f32 v55, v18, 1
	v_mul_f32_e32 v51, v21, v22
	v_mov_b32_e32 v18, 0x3f317218
	s_mov_b32 s2, 0x3f317218
	v_pk_mul_f32 v[18:19], v[50:51], v[18:19]
	v_fma_f32 v52, v50, s2, -v18
	v_ldexp_f32 v53, v21, 1
	v_fmac_f32_e32 v52, 0xb102e308, v50
	v_pk_add_f32 v[50:51], v[18:19], v[52:53]
	v_sub_f32_e32 v21, v51, v53
	v_sub_f32_e32 v21, v19, v21
	v_add_f32_e32 v57, v55, v21
	v_mov_b32_e32 v56, v18
	v_pk_add_f32 v[18:19], v[50:51], v[18:19] neg_lo:[0,1] neg_hi:[0,1]
	v_pk_add_f32 v[58:59], v[50:51], v[56:57]
	v_mov_b32_e32 v19, v59
	v_mov_b32_e32 v53, v50
	v_pk_add_f32 v[60:61], v[52:53], v[18:19] neg_lo:[0,1] neg_hi:[0,1]
	v_pk_add_f32 v[18:19], v[52:53], v[18:19]
	v_mov_b32_e32 v22, v19
	v_pk_add_f32 v[52:53], v[22:23], v[50:51] neg_lo:[0,1] neg_hi:[0,1]
	v_mov_b32_e32 v21, v52
	v_pk_add_f32 v[62:63], v[58:59], v[20:21] neg_lo:[0,1] neg_hi:[0,1]
	v_mov_b32_e32 v18, v59
	v_mov_b32_e32 v58, v51
	;; [unrolled: 1-line block ×4, first 2 shown]
	v_pk_add_f32 v[18:19], v[18:19], v[58:59] neg_lo:[0,1] neg_hi:[0,1]
	v_mov_b32_e32 v52, v57
	v_mov_b32_e32 v53, v50
	v_pk_add_f32 v[18:19], v[52:53], v[18:19] neg_lo:[0,1] neg_hi:[0,1]
	v_mov_b32_e32 v62, v60
	v_pk_add_f32 v[50:51], v[62:63], v[18:19]
	v_mov_b32_e32 v52, v51
	v_pk_add_f32 v[52:53], v[50:51], v[52:53]
	v_pk_add_f32 v[56:57], v[22:23], v[52:53]
	v_mov_b32_e32 v51, v56
	v_pk_add_f32 v[58:59], v[50:51], v[60:61] neg_lo:[0,1] neg_hi:[0,1]
	v_mov_b32_e32 v19, v52
	v_sub_f32_e32 v21, v50, v58
	v_pk_add_f32 v[18:19], v[18:19], v[58:59] neg_lo:[0,1] neg_hi:[0,1]
	v_sub_f32_e32 v21, v60, v21
	s_mov_b32 s3, 0x7f800000
	v_add_f32_e32 v18, v18, v21
	s_mov_b32 s2, 0x33800000
	v_add_f32_e32 v18, v18, v19
	v_cmp_eq_f32_e32 vcc, s3, v25
	v_cmp_lt_f32_e64 s[2:3], |v25|, s2
	v_add_f32_e32 v18, v56, v18
	s_or_b64 vcc, vcc, s[2:3]
	v_cndmask_b32_e32 v18, v18, v25, vcc
	v_add_f32_e32 v19, v4, v18
.LBB502_136:
	s_or_b64 exec, exec, s[0:1]
	v_bfe_u32 v4, v19, 16, 1
	v_add3_u32 v4, v19, v4, s5
	v_lshrrev_b32_e32 v4, 16, v4
	v_mov_b32_e32 v18, 0x7fc0
	v_cmp_o_f32_e32 vcc, v19, v19
	v_cndmask_b32_e32 v4, v18, v4, vcc
	v_lshlrev_b32_e32 v21, 16, v4
	v_max_f32_e32 v19, v21, v21
	v_min_f32_e32 v22, v19, v24
	v_cmp_u_f32_e32 vcc, v21, v21
	v_max_f32_e32 v19, v19, v24
	v_cndmask_b32_e32 v22, v22, v21, vcc
	v_cndmask_b32_e32 v19, v19, v21, vcc
	v_cndmask_b32_e64 v22, v22, v20, s[58:59]
	v_cndmask_b32_e64 v19, v19, v20, s[58:59]
	v_cmp_neq_f32_e32 vcc, v22, v19
	v_cmp_class_f32_e64 s[0:1], v22, s4
	s_or_b64 s[2:3], vcc, s[0:1]
	s_and_saveexec_b64 s[0:1], s[2:3]
	s_cbranch_execz .LBB502_138
; %bb.137:
	v_sub_f32_e32 v20, v22, v19
	s_mov_b32 s2, 0x3fb8aa3b
	v_mul_f32_e32 v21, 0x3fb8aa3b, v20
	v_fma_f32 v22, v20, s2, -v21
	v_rndne_f32_e32 v24, v21
	v_fmac_f32_e32 v22, 0x32a5705f, v20
	v_sub_f32_e32 v21, v21, v24
	v_add_f32_e32 v21, v21, v22
	v_exp_f32_e32 v21, v21
	v_cvt_i32_f32_e32 v22, v24
	s_mov_b32 s2, 0xc2ce8ed0
	v_cmp_ngt_f32_e32 vcc, s2, v20
	s_mov_b32 s2, 0x42b17218
	v_ldexp_f32 v21, v21, v22
	v_cndmask_b32_e32 v21, 0, v21, vcc
	v_mov_b32_e32 v22, 0x7f800000
	v_cmp_nlt_f32_e32 vcc, s2, v20
	v_cndmask_b32_e32 v55, v22, v21, vcc
	v_add_f32_e32 v22, 1.0, v55
	v_add_f32_e32 v20, -1.0, v22
	v_sub_f32_e32 v21, v20, v22
	v_add_f32_e32 v21, 1.0, v21
	v_sub_f32_e32 v20, v55, v20
	v_add_f32_e32 v24, v20, v21
	v_frexp_mant_f32_e32 v25, v22
	s_mov_b32 s2, 0x3f2aaaab
	v_cvt_f64_f32_e32 v[20:21], v22
	v_frexp_exp_i32_f64_e32 v20, v[20:21]
	v_cmp_gt_f32_e32 vcc, s2, v25
	v_subbrev_co_u32_e32 v56, vcc, 0, v20, vcc
	v_sub_u32_e32 v20, 0, v56
	v_ldexp_f32 v21, v22, v20
	v_add_f32_e32 v22, -1.0, v21
	v_add_f32_e32 v25, 1.0, v21
	v_ldexp_f32 v20, v24, v20
	v_add_f32_e32 v24, 1.0, v22
	v_add_f32_e32 v50, -1.0, v25
	v_sub_f32_e32 v24, v21, v24
	v_sub_f32_e32 v21, v21, v50
	v_add_f32_e32 v24, v20, v24
	v_add_f32_e32 v20, v20, v21
	;; [unrolled: 1-line block ×3, first 2 shown]
	v_rcp_f32_e32 v59, v57
	v_sub_f32_e32 v21, v25, v57
	v_add_f32_e32 v58, v20, v21
	v_add_f32_e32 v21, v22, v24
	v_sub_f32_e32 v20, v22, v21
	v_mul_f32_e32 v60, v21, v59
	v_add_f32_e32 v22, v24, v20
	v_mul_f32_e32 v24, v57, v60
	v_fma_f32 v50, v60, v57, -v24
	v_fmac_f32_e32 v50, v60, v58
	v_add_f32_e32 v20, v24, v50
	v_sub_f32_e32 v25, v21, v20
	v_pk_add_f32 v[52:53], v[20:21], v[24:25] neg_lo:[0,1] neg_hi:[0,1]
	v_mov_b32_e32 v51, v20
	v_pk_add_f32 v[20:21], v[52:53], v[50:51] neg_lo:[0,1] neg_hi:[0,1]
	v_add_f32_e32 v21, v22, v21
	v_add_f32_e32 v20, v20, v21
	;; [unrolled: 1-line block ×3, first 2 shown]
	v_mul_f32_e32 v22, v59, v21
	v_mul_f32_e32 v24, v57, v22
	v_fma_f32 v50, v22, v57, -v24
	v_fmac_f32_e32 v50, v22, v58
	v_sub_f32_e32 v25, v25, v21
	v_add_f32_e32 v57, v20, v25
	v_add_f32_e32 v20, v24, v50
	v_sub_f32_e32 v25, v21, v20
	v_pk_add_f32 v[52:53], v[20:21], v[24:25] neg_lo:[0,1] neg_hi:[0,1]
	v_mov_b32_e32 v51, v20
	v_pk_add_f32 v[20:21], v[52:53], v[50:51] neg_lo:[0,1] neg_hi:[0,1]
	v_add_f32_e32 v21, v57, v21
	v_add_f32_e32 v20, v20, v21
	;; [unrolled: 1-line block ×4, first 2 shown]
	v_sub_f32_e32 v21, v25, v60
	v_mul_f32_e32 v20, v59, v20
	v_sub_f32_e32 v21, v22, v21
	v_add_f32_e32 v20, v21, v20
	v_add_f32_e32 v22, v25, v20
	v_mul_f32_e32 v50, v22, v22
	v_mov_b32_e32 v24, 0x3ecc95a3
	v_fmac_f32_e32 v24, 0x3e9b6dac, v50
	v_mov_b32_e32 v21, 0x3f2aaada
	v_fmac_f32_e32 v21, v50, v24
	v_cvt_f32_i32_e32 v24, v56
	v_sub_f32_e32 v25, v22, v25
	v_sub_f32_e32 v20, v20, v25
	v_ldexp_f32 v52, v20, 1
	v_mul_f32_e32 v25, v22, v50
	v_mov_b32_e32 v20, 0x3f317218
	s_mov_b32 s2, 0x3f317218
	v_pk_mul_f32 v[20:21], v[24:25], v[20:21]
	v_fma_f32 v50, v24, s2, -v20
	v_ldexp_f32 v51, v22, 1
	v_fmac_f32_e32 v50, 0xb102e308, v24
	v_pk_add_f32 v[24:25], v[20:21], v[50:51]
	v_sub_f32_e32 v22, v25, v51
	v_sub_f32_e32 v22, v21, v22
	v_add_f32_e32 v53, v52, v22
	v_mov_b32_e32 v52, v20
	v_pk_add_f32 v[20:21], v[24:25], v[20:21] neg_lo:[0,1] neg_hi:[0,1]
	v_pk_add_f32 v[56:57], v[24:25], v[52:53]
	v_mov_b32_e32 v21, v57
	v_mov_b32_e32 v51, v24
	v_pk_add_f32 v[58:59], v[50:51], v[20:21] neg_lo:[0,1] neg_hi:[0,1]
	v_pk_add_f32 v[20:21], v[50:51], v[20:21]
	v_mov_b32_e32 v22, v21
	v_pk_add_f32 v[50:51], v[22:23], v[24:25] neg_lo:[0,1] neg_hi:[0,1]
	v_mov_b32_e32 v51, v50
	v_pk_add_f32 v[60:61], v[56:57], v[50:51] neg_lo:[0,1] neg_hi:[0,1]
	v_mov_b32_e32 v20, v57
	v_mov_b32_e32 v56, v25
	;; [unrolled: 1-line block ×4, first 2 shown]
	v_pk_add_f32 v[20:21], v[20:21], v[56:57] neg_lo:[0,1] neg_hi:[0,1]
	v_mov_b32_e32 v50, v53
	v_mov_b32_e32 v51, v24
	v_pk_add_f32 v[20:21], v[50:51], v[20:21] neg_lo:[0,1] neg_hi:[0,1]
	v_mov_b32_e32 v60, v58
	v_pk_add_f32 v[24:25], v[60:61], v[20:21]
	v_mov_b32_e32 v50, v25
	v_pk_add_f32 v[50:51], v[24:25], v[50:51]
	v_pk_add_f32 v[52:53], v[22:23], v[50:51]
	v_mov_b32_e32 v25, v52
	v_pk_add_f32 v[56:57], v[24:25], v[58:59] neg_lo:[0,1] neg_hi:[0,1]
	v_mov_b32_e32 v21, v50
	v_sub_f32_e32 v22, v24, v56
	v_pk_add_f32 v[20:21], v[20:21], v[56:57] neg_lo:[0,1] neg_hi:[0,1]
	v_sub_f32_e32 v22, v58, v22
	s_mov_b32 s3, 0x7f800000
	v_add_f32_e32 v20, v20, v22
	s_mov_b32 s2, 0x33800000
	v_add_f32_e32 v20, v20, v21
	v_cmp_eq_f32_e32 vcc, s3, v55
	v_cmp_lt_f32_e64 s[2:3], |v55|, s2
	v_add_f32_e32 v20, v52, v20
	s_or_b64 vcc, vcc, s[2:3]
	v_cndmask_b32_e32 v20, v20, v55, vcc
	v_add_f32_e32 v21, v19, v20
.LBB502_138:
	s_or_b64 exec, exec, s[0:1]
	v_bfe_u32 v19, v21, 16, 1
	v_add3_u32 v19, v21, v19, s5
	v_lshrrev_b32_e32 v19, 16, v19
	v_cmp_o_f32_e32 vcc, v21, v21
	v_cndmask_b32_e32 v18, v18, v19, vcc
	v_lshlrev_b32_e32 v20, 16, v18
	v_max_f32_e32 v21, v20, v20
	v_min_f32_e32 v19, v21, v26
	v_cmp_u_f32_e32 vcc, v20, v20
	v_max_f32_e32 v21, v21, v26
	v_cndmask_b32_e32 v19, v19, v20, vcc
	v_cndmask_b32_e32 v21, v21, v20, vcc
	v_cndmask_b32_e64 v19, v19, v5, s[60:61]
	v_cndmask_b32_e64 v5, v21, v5, s[60:61]
	v_cmp_neq_f32_e32 vcc, v19, v5
	v_cmp_class_f32_e64 s[0:1], v19, s4
	s_or_b64 s[2:3], vcc, s[0:1]
	s_and_saveexec_b64 s[0:1], s[2:3]
	s_cbranch_execz .LBB502_140
; %bb.139:
	v_sub_f32_e32 v19, v19, v5
	s_mov_b32 s2, 0x3fb8aa3b
	v_mul_f32_e32 v20, 0x3fb8aa3b, v19
	v_fma_f32 v21, v19, s2, -v20
	v_rndne_f32_e32 v22, v20
	v_fmac_f32_e32 v21, 0x32a5705f, v19
	v_sub_f32_e32 v20, v20, v22
	v_add_f32_e32 v20, v20, v21
	v_exp_f32_e32 v20, v20
	v_cvt_i32_f32_e32 v21, v22
	s_mov_b32 s2, 0xc2ce8ed0
	v_cmp_ngt_f32_e32 vcc, s2, v19
	s_mov_b32 s2, 0x42b17218
	v_ldexp_f32 v20, v20, v21
	v_cndmask_b32_e32 v20, 0, v20, vcc
	v_mov_b32_e32 v21, 0x7f800000
	v_cmp_nlt_f32_e32 vcc, s2, v19
	v_cndmask_b32_e32 v55, v21, v20, vcc
	v_add_f32_e32 v19, 1.0, v55
	v_add_f32_e32 v20, -1.0, v19
	v_sub_f32_e32 v21, v20, v19
	v_add_f32_e32 v21, 1.0, v21
	v_sub_f32_e32 v20, v55, v20
	v_add_f32_e32 v22, v20, v21
	v_frexp_mant_f32_e32 v24, v19
	s_mov_b32 s2, 0x3f2aaaab
	v_cvt_f64_f32_e32 v[20:21], v19
	v_frexp_exp_i32_f64_e32 v20, v[20:21]
	v_cmp_gt_f32_e32 vcc, s2, v24
	v_subbrev_co_u32_e32 v26, vcc, 0, v20, vcc
	v_sub_u32_e32 v20, 0, v26
	v_ldexp_f32 v19, v19, v20
	v_ldexp_f32 v20, v22, v20
	v_add_f32_e32 v22, -1.0, v19
	v_add_f32_e32 v21, 1.0, v22
	v_sub_f32_e32 v21, v19, v21
	v_add_f32_e32 v24, v20, v21
	v_add_f32_e32 v21, 1.0, v19
	v_add_f32_e32 v25, -1.0, v21
	v_sub_f32_e32 v19, v19, v25
	v_add_f32_e32 v19, v20, v19
	v_add_f32_e32 v56, v21, v19
	v_rcp_f32_e32 v57, v56
	v_sub_f32_e32 v20, v21, v56
	v_add_f32_e32 v21, v22, v24
	v_add_f32_e32 v19, v19, v20
	v_sub_f32_e32 v20, v22, v21
	v_mul_f32_e32 v58, v21, v57
	v_add_f32_e32 v22, v24, v20
	v_mul_f32_e32 v24, v56, v58
	v_fma_f32 v50, v58, v56, -v24
	v_fmac_f32_e32 v50, v58, v19
	v_add_f32_e32 v20, v24, v50
	v_sub_f32_e32 v25, v21, v20
	v_pk_add_f32 v[52:53], v[20:21], v[24:25] neg_lo:[0,1] neg_hi:[0,1]
	v_mov_b32_e32 v51, v20
	v_pk_add_f32 v[20:21], v[52:53], v[50:51] neg_lo:[0,1] neg_hi:[0,1]
	v_add_f32_e32 v21, v22, v21
	v_add_f32_e32 v20, v20, v21
	;; [unrolled: 1-line block ×3, first 2 shown]
	v_mul_f32_e32 v22, v57, v21
	v_mul_f32_e32 v24, v56, v22
	v_fma_f32 v50, v22, v56, -v24
	v_fmac_f32_e32 v50, v22, v19
	v_sub_f32_e32 v19, v25, v21
	v_add_f32_e32 v19, v20, v19
	v_add_f32_e32 v20, v24, v50
	v_sub_f32_e32 v25, v21, v20
	v_pk_add_f32 v[52:53], v[20:21], v[24:25] neg_lo:[0,1] neg_hi:[0,1]
	v_mov_b32_e32 v51, v20
	v_pk_add_f32 v[20:21], v[52:53], v[50:51] neg_lo:[0,1] neg_hi:[0,1]
	v_add_f32_e32 v19, v19, v21
	v_add_f32_e32 v19, v20, v19
	v_add_f32_e32 v20, v58, v22
	v_add_f32_e32 v19, v25, v19
	v_sub_f32_e32 v21, v20, v58
	v_mul_f32_e32 v19, v57, v19
	v_sub_f32_e32 v21, v22, v21
	v_add_f32_e32 v19, v21, v19
	v_add_f32_e32 v22, v20, v19
	v_mul_f32_e32 v25, v22, v22
	v_mov_b32_e32 v24, 0x3ecc95a3
	v_fmac_f32_e32 v24, 0x3e9b6dac, v25
	v_mov_b32_e32 v21, 0x3f2aaada
	v_fmac_f32_e32 v21, v25, v24
	v_cvt_f32_i32_e32 v24, v26
	v_sub_f32_e32 v20, v22, v20
	v_sub_f32_e32 v19, v19, v20
	v_mul_f32_e32 v25, v22, v25
	v_mov_b32_e32 v20, 0x3f317218
	s_mov_b32 s2, 0x3f317218
	v_pk_mul_f32 v[20:21], v[24:25], v[20:21]
	v_fma_f32 v50, v24, s2, -v20
	v_ldexp_f32 v51, v22, 1
	v_fmac_f32_e32 v50, 0xb102e308, v24
	v_pk_add_f32 v[24:25], v[20:21], v[50:51]
	v_sub_f32_e32 v22, v25, v51
	v_ldexp_f32 v19, v19, 1
	v_sub_f32_e32 v22, v21, v22
	v_add_f32_e32 v53, v19, v22
	v_mov_b32_e32 v52, v20
	v_pk_add_f32 v[20:21], v[24:25], v[20:21] neg_lo:[0,1] neg_hi:[0,1]
	v_pk_add_f32 v[56:57], v[24:25], v[52:53]
	v_mov_b32_e32 v21, v57
	v_mov_b32_e32 v51, v24
	v_pk_add_f32 v[58:59], v[50:51], v[20:21] neg_lo:[0,1] neg_hi:[0,1]
	v_pk_add_f32 v[20:21], v[50:51], v[20:21]
	v_mov_b32_e32 v22, v21
	v_pk_add_f32 v[50:51], v[22:23], v[24:25] neg_lo:[0,1] neg_hi:[0,1]
	v_mov_b32_e32 v19, v50
	v_pk_add_f32 v[60:61], v[56:57], v[18:19] neg_lo:[0,1] neg_hi:[0,1]
	v_mov_b32_e32 v20, v57
	v_mov_b32_e32 v56, v25
	v_mov_b32_e32 v57, v50
	v_mov_b32_e32 v59, v21
	v_pk_add_f32 v[20:21], v[20:21], v[56:57] neg_lo:[0,1] neg_hi:[0,1]
	v_mov_b32_e32 v50, v53
	v_mov_b32_e32 v51, v24
	v_pk_add_f32 v[20:21], v[50:51], v[20:21] neg_lo:[0,1] neg_hi:[0,1]
	v_mov_b32_e32 v60, v58
	v_pk_add_f32 v[24:25], v[60:61], v[20:21]
	v_mov_b32_e32 v26, v25
	v_pk_add_f32 v[50:51], v[24:25], v[26:27]
	v_pk_add_f32 v[52:53], v[22:23], v[50:51]
	v_mov_b32_e32 v25, v52
	v_pk_add_f32 v[56:57], v[24:25], v[58:59] neg_lo:[0,1] neg_hi:[0,1]
	v_mov_b32_e32 v21, v50
	v_sub_f32_e32 v19, v24, v56
	v_pk_add_f32 v[20:21], v[20:21], v[56:57] neg_lo:[0,1] neg_hi:[0,1]
	v_sub_f32_e32 v19, v58, v19
	s_mov_b32 s3, 0x7f800000
	v_add_f32_e32 v19, v20, v19
	s_mov_b32 s2, 0x33800000
	v_add_f32_e32 v19, v19, v21
	v_cmp_eq_f32_e32 vcc, s3, v55
	v_cmp_lt_f32_e64 s[2:3], |v55|, s2
	v_add_f32_e32 v19, v52, v19
	s_or_b64 vcc, vcc, s[2:3]
	v_cndmask_b32_e32 v19, v19, v55, vcc
	v_add_f32_e32 v20, v5, v19
.LBB502_140:
	s_or_b64 exec, exec, s[0:1]
	v_bfe_u32 v5, v20, 16, 1
	v_add3_u32 v5, v20, v5, s5
	v_lshrrev_b32_e32 v5, 16, v5
	v_mov_b32_e32 v19, 0x7fc0
	v_cmp_o_f32_e32 vcc, v20, v20
	v_cndmask_b32_e32 v5, v19, v5, vcc
	v_lshlrev_b32_e32 v21, 16, v5
	v_max_f32_e32 v20, v21, v21
	v_min_f32_e32 v22, v20, v28
	v_cmp_u_f32_e32 vcc, v21, v21
	v_max_f32_e32 v20, v20, v28
	v_cndmask_b32_e32 v22, v22, v21, vcc
	v_cndmask_b32_e32 v20, v20, v21, vcc
	v_cndmask_b32_e64 v22, v22, v23, s[62:63]
	v_cndmask_b32_e64 v20, v20, v23, s[62:63]
	v_cmp_neq_f32_e32 vcc, v22, v20
	v_cmp_class_f32_e64 s[0:1], v22, s4
	s_or_b64 s[2:3], vcc, s[0:1]
	s_and_saveexec_b64 s[0:1], s[2:3]
	s_cbranch_execz .LBB502_142
; %bb.141:
	v_sub_f32_e32 v21, v22, v20
	s_mov_b32 s2, 0x3fb8aa3b
	v_mul_f32_e32 v22, 0x3fb8aa3b, v21
	v_fma_f32 v23, v21, s2, -v22
	v_rndne_f32_e32 v24, v22
	v_fmac_f32_e32 v23, 0x32a5705f, v21
	v_sub_f32_e32 v22, v22, v24
	v_add_f32_e32 v22, v22, v23
	v_exp_f32_e32 v22, v22
	v_cvt_i32_f32_e32 v23, v24
	s_mov_b32 s2, 0xc2ce8ed0
	v_cmp_ngt_f32_e32 vcc, s2, v21
	s_mov_b32 s2, 0x42b17218
	v_ldexp_f32 v22, v22, v23
	v_cndmask_b32_e32 v22, 0, v22, vcc
	v_mov_b32_e32 v23, 0x7f800000
	v_cmp_nlt_f32_e32 vcc, s2, v21
	v_cndmask_b32_e32 v55, v23, v22, vcc
	v_add_f32_e32 v21, 1.0, v55
	v_add_f32_e32 v22, -1.0, v21
	v_sub_f32_e32 v23, v22, v21
	v_add_f32_e32 v23, 1.0, v23
	v_sub_f32_e32 v22, v55, v22
	v_add_f32_e32 v24, v22, v23
	v_frexp_mant_f32_e32 v25, v21
	s_mov_b32 s2, 0x3f2aaaab
	v_cvt_f64_f32_e32 v[22:23], v21
	v_frexp_exp_i32_f64_e32 v22, v[22:23]
	v_cmp_gt_f32_e32 vcc, s2, v25
	v_subbrev_co_u32_e32 v26, vcc, 0, v22, vcc
	v_sub_u32_e32 v22, 0, v26
	v_ldexp_f32 v21, v21, v22
	v_ldexp_f32 v22, v24, v22
	v_add_f32_e32 v24, -1.0, v21
	v_add_f32_e32 v23, 1.0, v24
	v_sub_f32_e32 v23, v21, v23
	v_add_f32_e32 v25, v22, v23
	v_add_f32_e32 v23, 1.0, v21
	v_add_f32_e32 v28, -1.0, v23
	v_sub_f32_e32 v21, v21, v28
	v_add_f32_e32 v21, v22, v21
	v_add_f32_e32 v28, v23, v21
	v_rcp_f32_e32 v56, v28
	v_sub_f32_e32 v22, v23, v28
	v_add_f32_e32 v23, v24, v25
	v_add_f32_e32 v21, v21, v22
	v_mul_f32_e32 v58, v23, v56
	v_sub_f32_e32 v22, v24, v23
	v_mul_f32_e32 v24, v28, v58
	v_fma_f32 v50, v58, v28, -v24
	v_fmac_f32_e32 v50, v58, v21
	v_add_f32_e32 v57, v25, v22
	v_add_f32_e32 v22, v24, v50
	v_sub_f32_e32 v25, v23, v22
	v_pk_add_f32 v[52:53], v[22:23], v[24:25] neg_lo:[0,1] neg_hi:[0,1]
	v_mov_b32_e32 v51, v22
	v_pk_add_f32 v[22:23], v[52:53], v[50:51] neg_lo:[0,1] neg_hi:[0,1]
	v_add_f32_e32 v23, v57, v23
	v_add_f32_e32 v22, v22, v23
	;; [unrolled: 1-line block ×3, first 2 shown]
	v_mul_f32_e32 v57, v56, v23
	v_mul_f32_e32 v24, v28, v57
	v_fma_f32 v50, v57, v28, -v24
	v_fmac_f32_e32 v50, v57, v21
	v_sub_f32_e32 v21, v25, v23
	v_add_f32_e32 v21, v22, v21
	v_add_f32_e32 v22, v24, v50
	v_sub_f32_e32 v25, v23, v22
	v_pk_add_f32 v[52:53], v[22:23], v[24:25] neg_lo:[0,1] neg_hi:[0,1]
	v_mov_b32_e32 v51, v22
	v_pk_add_f32 v[22:23], v[52:53], v[50:51] neg_lo:[0,1] neg_hi:[0,1]
	v_add_f32_e32 v21, v21, v23
	v_add_f32_e32 v21, v22, v21
	v_add_f32_e32 v22, v58, v57
	v_add_f32_e32 v21, v25, v21
	v_sub_f32_e32 v23, v22, v58
	v_mul_f32_e32 v21, v56, v21
	v_sub_f32_e32 v23, v57, v23
	v_add_f32_e32 v21, v23, v21
	v_add_f32_e32 v25, v22, v21
	v_mul_f32_e32 v28, v25, v25
	v_mov_b32_e32 v24, 0x3ecc95a3
	v_fmac_f32_e32 v24, 0x3e9b6dac, v28
	v_mov_b32_e32 v23, 0x3f2aaada
	v_fmac_f32_e32 v23, v28, v24
	v_cvt_f32_i32_e32 v24, v26
	v_sub_f32_e32 v22, v25, v22
	v_sub_f32_e32 v21, v21, v22
	v_ldexp_f32 v51, v25, 1
	v_mul_f32_e32 v25, v25, v28
	v_mov_b32_e32 v22, 0x3f317218
	s_mov_b32 s2, 0x3f317218
	v_pk_mul_f32 v[22:23], v[24:25], v[22:23]
	v_fma_f32 v50, v24, s2, -v22
	v_fmac_f32_e32 v50, 0xb102e308, v24
	v_pk_add_f32 v[24:25], v[22:23], v[50:51]
	v_sub_f32_e32 v26, v25, v51
	v_ldexp_f32 v21, v21, 1
	v_sub_f32_e32 v26, v23, v26
	v_add_f32_e32 v53, v21, v26
	v_mov_b32_e32 v52, v22
	v_pk_add_f32 v[22:23], v[24:25], v[22:23] neg_lo:[0,1] neg_hi:[0,1]
	v_pk_add_f32 v[56:57], v[24:25], v[52:53]
	v_mov_b32_e32 v23, v57
	v_mov_b32_e32 v51, v24
	v_pk_add_f32 v[58:59], v[50:51], v[22:23] neg_lo:[0,1] neg_hi:[0,1]
	v_pk_add_f32 v[22:23], v[50:51], v[22:23]
	v_mov_b32_e32 v26, v23
	v_pk_add_f32 v[50:51], v[26:27], v[24:25] neg_lo:[0,1] neg_hi:[0,1]
	v_mov_b32_e32 v21, v50
	v_pk_add_f32 v[60:61], v[56:57], v[20:21] neg_lo:[0,1] neg_hi:[0,1]
	v_mov_b32_e32 v22, v57
	v_mov_b32_e32 v56, v25
	;; [unrolled: 1-line block ×4, first 2 shown]
	v_pk_add_f32 v[22:23], v[22:23], v[56:57] neg_lo:[0,1] neg_hi:[0,1]
	v_mov_b32_e32 v50, v53
	v_mov_b32_e32 v51, v24
	v_pk_add_f32 v[22:23], v[50:51], v[22:23] neg_lo:[0,1] neg_hi:[0,1]
	v_mov_b32_e32 v60, v58
	v_pk_add_f32 v[24:25], v[60:61], v[22:23]
	v_mov_b32_e32 v28, v25
	v_pk_add_f32 v[50:51], v[24:25], v[28:29]
	v_pk_add_f32 v[52:53], v[26:27], v[50:51]
	v_mov_b32_e32 v25, v52
	v_pk_add_f32 v[56:57], v[24:25], v[58:59] neg_lo:[0,1] neg_hi:[0,1]
	v_mov_b32_e32 v23, v50
	v_sub_f32_e32 v21, v24, v56
	v_pk_add_f32 v[22:23], v[22:23], v[56:57] neg_lo:[0,1] neg_hi:[0,1]
	v_sub_f32_e32 v21, v58, v21
	s_mov_b32 s3, 0x7f800000
	v_add_f32_e32 v21, v22, v21
	s_mov_b32 s2, 0x33800000
	v_add_f32_e32 v21, v21, v23
	v_cmp_eq_f32_e32 vcc, s3, v55
	v_cmp_lt_f32_e64 s[2:3], |v55|, s2
	v_add_f32_e32 v21, v52, v21
	s_or_b64 vcc, vcc, s[2:3]
	v_cndmask_b32_e32 v21, v21, v55, vcc
	v_add_f32_e32 v21, v20, v21
.LBB502_142:
	s_or_b64 exec, exec, s[0:1]
	v_bfe_u32 v20, v21, 16, 1
	v_add3_u32 v20, v21, v20, s5
	v_lshrrev_b32_e32 v20, 16, v20
	v_cmp_o_f32_e32 vcc, v21, v21
	v_cndmask_b32_e32 v19, v19, v20, vcc
	v_lshlrev_b32_e32 v21, 16, v19
	v_max_f32_e32 v22, v21, v21
	v_min_f32_e32 v20, v22, v29
	v_cmp_u_f32_e32 vcc, v21, v21
	v_max_f32_e32 v22, v22, v29
	v_cndmask_b32_e32 v20, v20, v21, vcc
	v_cndmask_b32_e32 v22, v22, v21, vcc
	v_cndmask_b32_e64 v20, v20, v10, s[64:65]
	v_cndmask_b32_e64 v10, v22, v10, s[64:65]
	v_cmp_neq_f32_e32 vcc, v20, v10
	v_cmp_class_f32_e64 s[0:1], v20, s4
	s_or_b64 s[2:3], vcc, s[0:1]
	s_and_saveexec_b64 s[0:1], s[2:3]
	s_cbranch_execz .LBB502_144
; %bb.143:
	v_sub_f32_e32 v20, v20, v10
	s_mov_b32 s2, 0x3fb8aa3b
	v_mul_f32_e32 v21, 0x3fb8aa3b, v20
	v_fma_f32 v22, v20, s2, -v21
	v_rndne_f32_e32 v23, v21
	v_fmac_f32_e32 v22, 0x32a5705f, v20
	v_sub_f32_e32 v21, v21, v23
	v_add_f32_e32 v21, v21, v22
	v_exp_f32_e32 v21, v21
	v_cvt_i32_f32_e32 v22, v23
	s_mov_b32 s2, 0xc2ce8ed0
	v_cmp_ngt_f32_e32 vcc, s2, v20
	s_mov_b32 s2, 0x42b17218
	v_ldexp_f32 v21, v21, v22
	v_cndmask_b32_e32 v21, 0, v21, vcc
	v_mov_b32_e32 v22, 0x7f800000
	v_cmp_nlt_f32_e32 vcc, s2, v20
	v_cndmask_b32_e32 v55, v22, v21, vcc
	v_add_f32_e32 v22, 1.0, v55
	v_add_f32_e32 v20, -1.0, v22
	v_sub_f32_e32 v21, v20, v22
	v_add_f32_e32 v21, 1.0, v21
	v_sub_f32_e32 v20, v55, v20
	v_add_f32_e32 v23, v20, v21
	v_frexp_mant_f32_e32 v24, v22
	s_mov_b32 s2, 0x3f2aaaab
	v_cvt_f64_f32_e32 v[20:21], v22
	v_frexp_exp_i32_f64_e32 v20, v[20:21]
	v_cmp_gt_f32_e32 vcc, s2, v24
	v_subbrev_co_u32_e32 v26, vcc, 0, v20, vcc
	v_sub_u32_e32 v20, 0, v26
	v_ldexp_f32 v21, v22, v20
	v_add_f32_e32 v22, -1.0, v21
	v_add_f32_e32 v24, 1.0, v21
	v_ldexp_f32 v20, v23, v20
	v_add_f32_e32 v23, 1.0, v22
	v_add_f32_e32 v25, -1.0, v24
	v_sub_f32_e32 v23, v21, v23
	v_sub_f32_e32 v21, v21, v25
	v_add_f32_e32 v23, v20, v23
	v_add_f32_e32 v20, v20, v21
	;; [unrolled: 1-line block ×3, first 2 shown]
	v_rcp_f32_e32 v52, v50
	v_sub_f32_e32 v21, v24, v50
	v_add_f32_e32 v51, v20, v21
	v_add_f32_e32 v21, v22, v23
	v_mul_f32_e32 v56, v21, v52
	v_sub_f32_e32 v20, v22, v21
	v_mul_f32_e32 v22, v50, v56
	v_fma_f32 v24, v56, v50, -v22
	v_fmac_f32_e32 v24, v56, v51
	v_add_f32_e32 v53, v23, v20
	v_add_f32_e32 v20, v22, v24
	v_sub_f32_e32 v23, v21, v20
	v_pk_add_f32 v[28:29], v[20:21], v[22:23] neg_lo:[0,1] neg_hi:[0,1]
	v_mov_b32_e32 v25, v20
	v_pk_add_f32 v[20:21], v[28:29], v[24:25] neg_lo:[0,1] neg_hi:[0,1]
	v_add_f32_e32 v21, v53, v21
	v_add_f32_e32 v20, v20, v21
	;; [unrolled: 1-line block ×3, first 2 shown]
	v_mul_f32_e32 v53, v52, v21
	v_mul_f32_e32 v22, v50, v53
	v_fma_f32 v24, v53, v50, -v22
	v_fmac_f32_e32 v24, v53, v51
	v_sub_f32_e32 v23, v23, v21
	v_add_f32_e32 v50, v20, v23
	v_add_f32_e32 v20, v22, v24
	v_sub_f32_e32 v23, v21, v20
	v_pk_add_f32 v[28:29], v[20:21], v[22:23] neg_lo:[0,1] neg_hi:[0,1]
	v_mov_b32_e32 v25, v20
	v_pk_add_f32 v[20:21], v[28:29], v[24:25] neg_lo:[0,1] neg_hi:[0,1]
	v_add_f32_e32 v21, v50, v21
	v_add_f32_e32 v20, v20, v21
	;; [unrolled: 1-line block ×4, first 2 shown]
	v_sub_f32_e32 v21, v23, v56
	v_mul_f32_e32 v20, v52, v20
	v_sub_f32_e32 v21, v53, v21
	v_add_f32_e32 v20, v21, v20
	v_add_f32_e32 v24, v23, v20
	v_mul_f32_e32 v28, v24, v24
	v_mov_b32_e32 v22, 0x3ecc95a3
	v_fmac_f32_e32 v22, 0x3e9b6dac, v28
	v_mov_b32_e32 v21, 0x3f2aaada
	v_fmac_f32_e32 v21, v28, v22
	v_cvt_f32_i32_e32 v22, v26
	v_sub_f32_e32 v23, v24, v23
	v_sub_f32_e32 v20, v20, v23
	v_ldexp_f32 v26, v20, 1
	v_mul_f32_e32 v23, v24, v28
	v_mov_b32_e32 v20, 0x3f317218
	s_mov_b32 s2, 0x3f317218
	v_pk_mul_f32 v[20:21], v[22:23], v[20:21]
	v_ldexp_f32 v25, v24, 1
	v_fma_f32 v24, v22, s2, -v20
	v_fmac_f32_e32 v24, 0xb102e308, v22
	v_pk_add_f32 v[22:23], v[20:21], v[24:25]
	v_sub_f32_e32 v25, v23, v25
	v_sub_f32_e32 v25, v21, v25
	v_add_f32_e32 v29, v26, v25
	v_mov_b32_e32 v28, v20
	v_pk_add_f32 v[20:21], v[22:23], v[20:21] neg_lo:[0,1] neg_hi:[0,1]
	v_pk_add_f32 v[50:51], v[22:23], v[28:29]
	v_mov_b32_e32 v21, v51
	v_mov_b32_e32 v25, v22
	v_pk_add_f32 v[52:53], v[24:25], v[20:21] neg_lo:[0,1] neg_hi:[0,1]
	v_pk_add_f32 v[20:21], v[24:25], v[20:21]
	v_mov_b32_e32 v24, v21
	v_pk_add_f32 v[56:57], v[24:25], v[22:23] neg_lo:[0,1] neg_hi:[0,1]
	v_mov_b32_e32 v25, v56
	v_pk_add_f32 v[58:59], v[50:51], v[24:25] neg_lo:[0,1] neg_hi:[0,1]
	v_mov_b32_e32 v20, v51
	v_mov_b32_e32 v50, v23
	;; [unrolled: 1-line block ×4, first 2 shown]
	v_pk_add_f32 v[20:21], v[20:21], v[50:51] neg_lo:[0,1] neg_hi:[0,1]
	v_mov_b32_e32 v28, v29
	v_mov_b32_e32 v29, v22
	v_pk_add_f32 v[20:21], v[28:29], v[20:21] neg_lo:[0,1] neg_hi:[0,1]
	v_mov_b32_e32 v58, v52
	v_pk_add_f32 v[22:23], v[58:59], v[20:21]
	v_mov_b32_e32 v26, v23
	v_pk_add_f32 v[28:29], v[22:23], v[26:27]
	v_pk_add_f32 v[24:25], v[24:25], v[28:29]
	v_mov_b32_e32 v23, v24
	v_pk_add_f32 v[50:51], v[22:23], v[52:53] neg_lo:[0,1] neg_hi:[0,1]
	v_mov_b32_e32 v21, v28
	v_sub_f32_e32 v22, v22, v50
	v_pk_add_f32 v[20:21], v[20:21], v[50:51] neg_lo:[0,1] neg_hi:[0,1]
	v_sub_f32_e32 v22, v52, v22
	s_mov_b32 s3, 0x7f800000
	v_add_f32_e32 v20, v20, v22
	s_mov_b32 s2, 0x33800000
	v_add_f32_e32 v20, v20, v21
	v_cmp_eq_f32_e32 vcc, s3, v55
	v_cmp_lt_f32_e64 s[2:3], |v55|, s2
	v_add_f32_e32 v20, v24, v20
	s_or_b64 vcc, vcc, s[2:3]
	v_cndmask_b32_e32 v20, v20, v55, vcc
	v_add_f32_e32 v21, v10, v20
.LBB502_144:
	s_or_b64 exec, exec, s[0:1]
	v_bfe_u32 v10, v21, 16, 1
	v_add3_u32 v10, v21, v10, s5
	v_lshrrev_b32_e32 v10, 16, v10
	v_mov_b32_e32 v20, 0x7fc0
	v_cmp_o_f32_e32 vcc, v21, v21
	v_cndmask_b32_e32 v10, v20, v10, vcc
	v_lshlrev_b32_e32 v22, 16, v10
	v_max_f32_e32 v21, v22, v22
	v_min_f32_e32 v23, v21, v31
	v_cmp_u_f32_e32 vcc, v22, v22
	v_max_f32_e32 v21, v21, v31
	v_cndmask_b32_e32 v23, v23, v22, vcc
	v_cndmask_b32_e32 v21, v21, v22, vcc
	v_cndmask_b32_e64 v23, v23, v27, s[66:67]
	v_cndmask_b32_e64 v21, v21, v27, s[66:67]
	v_cmp_neq_f32_e32 vcc, v23, v21
	v_cmp_class_f32_e64 s[0:1], v23, s4
	s_or_b64 s[2:3], vcc, s[0:1]
	s_and_saveexec_b64 s[0:1], s[2:3]
	s_cbranch_execz .LBB502_146
; %bb.145:
	v_sub_f32_e32 v22, v23, v21
	s_mov_b32 s2, 0x3fb8aa3b
	v_mul_f32_e32 v23, 0x3fb8aa3b, v22
	v_fma_f32 v24, v22, s2, -v23
	v_rndne_f32_e32 v25, v23
	v_fmac_f32_e32 v24, 0x32a5705f, v22
	v_sub_f32_e32 v23, v23, v25
	v_add_f32_e32 v23, v23, v24
	v_exp_f32_e32 v23, v23
	v_cvt_i32_f32_e32 v24, v25
	s_mov_b32 s2, 0xc2ce8ed0
	v_cmp_ngt_f32_e32 vcc, s2, v22
	s_mov_b32 s2, 0x42b17218
	v_ldexp_f32 v23, v23, v24
	v_cndmask_b32_e32 v23, 0, v23, vcc
	v_mov_b32_e32 v24, 0x7f800000
	v_cmp_nlt_f32_e32 vcc, s2, v22
	v_cndmask_b32_e32 v31, v24, v23, vcc
	v_add_f32_e32 v24, 1.0, v31
	v_add_f32_e32 v22, -1.0, v24
	v_sub_f32_e32 v23, v22, v24
	v_add_f32_e32 v23, 1.0, v23
	v_sub_f32_e32 v22, v31, v22
	v_add_f32_e32 v25, v22, v23
	v_frexp_mant_f32_e32 v26, v24
	s_mov_b32 s2, 0x3f2aaaab
	v_cvt_f64_f32_e32 v[22:23], v24
	v_frexp_exp_i32_f64_e32 v22, v[22:23]
	v_cmp_gt_f32_e32 vcc, s2, v26
	v_subbrev_co_u32_e32 v50, vcc, 0, v22, vcc
	v_sub_u32_e32 v22, 0, v50
	v_ldexp_f32 v23, v24, v22
	v_add_f32_e32 v24, -1.0, v23
	v_add_f32_e32 v26, 1.0, v23
	v_ldexp_f32 v22, v25, v22
	v_add_f32_e32 v25, 1.0, v24
	v_add_f32_e32 v27, -1.0, v26
	v_sub_f32_e32 v25, v23, v25
	v_sub_f32_e32 v23, v23, v27
	v_add_f32_e32 v25, v22, v25
	v_add_f32_e32 v22, v22, v23
	;; [unrolled: 1-line block ×3, first 2 shown]
	v_rcp_f32_e32 v53, v51
	v_sub_f32_e32 v23, v26, v51
	v_add_f32_e32 v52, v22, v23
	v_add_f32_e32 v23, v24, v25
	v_mul_f32_e32 v56, v23, v53
	v_sub_f32_e32 v22, v24, v23
	v_mul_f32_e32 v24, v51, v56
	v_fma_f32 v26, v56, v51, -v24
	v_fmac_f32_e32 v26, v56, v52
	v_add_f32_e32 v55, v25, v22
	v_add_f32_e32 v22, v24, v26
	v_sub_f32_e32 v25, v23, v22
	v_pk_add_f32 v[28:29], v[22:23], v[24:25] neg_lo:[0,1] neg_hi:[0,1]
	v_mov_b32_e32 v27, v22
	v_pk_add_f32 v[22:23], v[28:29], v[26:27] neg_lo:[0,1] neg_hi:[0,1]
	v_add_f32_e32 v23, v55, v23
	v_add_f32_e32 v22, v22, v23
	;; [unrolled: 1-line block ×3, first 2 shown]
	v_mul_f32_e32 v55, v53, v23
	v_mul_f32_e32 v24, v51, v55
	v_fma_f32 v26, v55, v51, -v24
	v_fmac_f32_e32 v26, v55, v52
	v_sub_f32_e32 v25, v25, v23
	v_add_f32_e32 v51, v22, v25
	v_add_f32_e32 v22, v24, v26
	v_sub_f32_e32 v25, v23, v22
	v_pk_add_f32 v[28:29], v[22:23], v[24:25] neg_lo:[0,1] neg_hi:[0,1]
	v_mov_b32_e32 v27, v22
	v_pk_add_f32 v[22:23], v[28:29], v[26:27] neg_lo:[0,1] neg_hi:[0,1]
	v_add_f32_e32 v23, v51, v23
	v_add_f32_e32 v22, v22, v23
	v_add_f32_e32 v22, v25, v22
	v_add_f32_e32 v25, v56, v55
	v_sub_f32_e32 v23, v25, v56
	v_mul_f32_e32 v22, v53, v22
	v_sub_f32_e32 v23, v55, v23
	v_add_f32_e32 v22, v23, v22
	v_add_f32_e32 v26, v25, v22
	v_mul_f32_e32 v28, v26, v26
	v_mov_b32_e32 v24, 0x3ecc95a3
	v_fmac_f32_e32 v24, 0x3e9b6dac, v28
	v_mov_b32_e32 v23, 0x3f2aaada
	v_fmac_f32_e32 v23, v28, v24
	v_cvt_f32_i32_e32 v24, v50
	v_sub_f32_e32 v25, v26, v25
	v_sub_f32_e32 v22, v22, v25
	v_ldexp_f32 v29, v22, 1
	v_mul_f32_e32 v25, v26, v28
	v_mov_b32_e32 v22, 0x3f317218
	s_mov_b32 s2, 0x3f317218
	v_pk_mul_f32 v[22:23], v[24:25], v[22:23]
	v_ldexp_f32 v27, v26, 1
	v_fma_f32 v26, v24, s2, -v22
	v_fmac_f32_e32 v26, 0xb102e308, v24
	v_pk_add_f32 v[24:25], v[22:23], v[26:27]
	v_sub_f32_e32 v27, v25, v27
	v_sub_f32_e32 v27, v23, v27
	v_add_f32_e32 v29, v29, v27
	v_mov_b32_e32 v28, v22
	v_pk_add_f32 v[22:23], v[24:25], v[22:23] neg_lo:[0,1] neg_hi:[0,1]
	v_pk_add_f32 v[50:51], v[24:25], v[28:29]
	v_mov_b32_e32 v23, v51
	v_mov_b32_e32 v27, v24
	v_pk_add_f32 v[52:53], v[26:27], v[22:23] neg_lo:[0,1] neg_hi:[0,1]
	v_pk_add_f32 v[22:23], v[26:27], v[22:23]
	v_mov_b32_e32 v26, v23
	v_pk_add_f32 v[56:57], v[26:27], v[24:25] neg_lo:[0,1] neg_hi:[0,1]
	v_mov_b32_e32 v27, v56
	v_pk_add_f32 v[58:59], v[50:51], v[26:27] neg_lo:[0,1] neg_hi:[0,1]
	v_mov_b32_e32 v22, v51
	v_mov_b32_e32 v50, v25
	;; [unrolled: 1-line block ×4, first 2 shown]
	v_pk_add_f32 v[22:23], v[22:23], v[50:51] neg_lo:[0,1] neg_hi:[0,1]
	v_mov_b32_e32 v28, v29
	v_mov_b32_e32 v29, v24
	v_pk_add_f32 v[22:23], v[28:29], v[22:23] neg_lo:[0,1] neg_hi:[0,1]
	v_mov_b32_e32 v58, v52
	v_pk_add_f32 v[24:25], v[58:59], v[22:23]
	v_mov_b32_e32 v28, v25
	v_pk_add_f32 v[28:29], v[24:25], v[28:29]
	v_pk_add_f32 v[26:27], v[26:27], v[28:29]
	v_mov_b32_e32 v25, v26
	v_pk_add_f32 v[50:51], v[24:25], v[52:53] neg_lo:[0,1] neg_hi:[0,1]
	v_mov_b32_e32 v23, v28
	v_sub_f32_e32 v24, v24, v50
	v_pk_add_f32 v[22:23], v[22:23], v[50:51] neg_lo:[0,1] neg_hi:[0,1]
	v_sub_f32_e32 v24, v52, v24
	s_mov_b32 s3, 0x7f800000
	v_add_f32_e32 v22, v22, v24
	s_mov_b32 s2, 0x33800000
	v_add_f32_e32 v22, v22, v23
	v_cmp_eq_f32_e32 vcc, s3, v31
	v_cmp_lt_f32_e64 s[2:3], |v31|, s2
	v_add_f32_e32 v22, v26, v22
	s_or_b64 vcc, vcc, s[2:3]
	v_cndmask_b32_e32 v22, v22, v31, vcc
	v_add_f32_e32 v22, v21, v22
.LBB502_146:
	s_or_b64 exec, exec, s[0:1]
	v_bfe_u32 v21, v22, 16, 1
	v_add3_u32 v21, v22, v21, s5
	v_lshrrev_b32_e32 v21, 16, v21
	v_cmp_o_f32_e32 vcc, v22, v22
	v_cndmask_b32_e32 v20, v20, v21, vcc
	v_lshlrev_b32_e32 v22, 16, v20
	v_max_f32_e32 v23, v22, v22
	v_min_f32_e32 v21, v23, v32
	v_cmp_u_f32_e32 vcc, v22, v22
	v_max_f32_e32 v23, v23, v32
	v_cndmask_b32_e32 v21, v21, v22, vcc
	v_cndmask_b32_e32 v23, v23, v22, vcc
	v_cndmask_b32_e64 v21, v21, v11, s[68:69]
	v_cndmask_b32_e64 v11, v23, v11, s[68:69]
	v_cmp_neq_f32_e32 vcc, v21, v11
	v_cmp_class_f32_e64 s[0:1], v21, s4
	s_or_b64 s[2:3], vcc, s[0:1]
	s_and_saveexec_b64 s[0:1], s[2:3]
	s_cbranch_execz .LBB502_148
; %bb.147:
	v_sub_f32_e32 v21, v21, v11
	s_mov_b32 s2, 0x3fb8aa3b
	v_mul_f32_e32 v22, 0x3fb8aa3b, v21
	v_fma_f32 v23, v21, s2, -v22
	v_rndne_f32_e32 v24, v22
	v_fmac_f32_e32 v23, 0x32a5705f, v21
	v_sub_f32_e32 v22, v22, v24
	v_add_f32_e32 v22, v22, v23
	v_exp_f32_e32 v22, v22
	v_cvt_i32_f32_e32 v23, v24
	s_mov_b32 s2, 0xc2ce8ed0
	v_cmp_ngt_f32_e32 vcc, s2, v21
	s_mov_b32 s2, 0x42b17218
	v_ldexp_f32 v22, v22, v23
	v_cndmask_b32_e32 v22, 0, v22, vcc
	v_mov_b32_e32 v23, 0x7f800000
	v_cmp_nlt_f32_e32 vcc, s2, v21
	v_cndmask_b32_e32 v31, v23, v22, vcc
	v_add_f32_e32 v21, 1.0, v31
	v_add_f32_e32 v22, -1.0, v21
	v_sub_f32_e32 v23, v22, v21
	v_add_f32_e32 v23, 1.0, v23
	v_sub_f32_e32 v22, v31, v22
	v_add_f32_e32 v24, v22, v23
	v_frexp_mant_f32_e32 v25, v21
	s_mov_b32 s2, 0x3f2aaaab
	v_cvt_f64_f32_e32 v[22:23], v21
	v_frexp_exp_i32_f64_e32 v22, v[22:23]
	v_cmp_gt_f32_e32 vcc, s2, v25
	v_subbrev_co_u32_e32 v32, vcc, 0, v22, vcc
	v_sub_u32_e32 v22, 0, v32
	v_ldexp_f32 v21, v21, v22
	v_ldexp_f32 v22, v24, v22
	v_add_f32_e32 v24, -1.0, v21
	v_add_f32_e32 v23, 1.0, v24
	v_sub_f32_e32 v23, v21, v23
	v_add_f32_e32 v25, v22, v23
	v_add_f32_e32 v23, 1.0, v21
	v_add_f32_e32 v26, -1.0, v23
	v_sub_f32_e32 v21, v21, v26
	v_add_f32_e32 v21, v22, v21
	v_add_f32_e32 v50, v23, v21
	v_rcp_f32_e32 v51, v50
	v_sub_f32_e32 v22, v23, v50
	v_add_f32_e32 v23, v24, v25
	v_add_f32_e32 v21, v21, v22
	v_mul_f32_e32 v53, v23, v51
	v_sub_f32_e32 v22, v24, v23
	v_mul_f32_e32 v24, v50, v53
	v_fma_f32 v26, v53, v50, -v24
	v_fmac_f32_e32 v26, v53, v21
	v_add_f32_e32 v52, v25, v22
	v_add_f32_e32 v22, v24, v26
	v_sub_f32_e32 v25, v23, v22
	v_pk_add_f32 v[28:29], v[22:23], v[24:25] neg_lo:[0,1] neg_hi:[0,1]
	v_mov_b32_e32 v27, v22
	v_pk_add_f32 v[22:23], v[28:29], v[26:27] neg_lo:[0,1] neg_hi:[0,1]
	v_add_f32_e32 v23, v52, v23
	v_add_f32_e32 v22, v22, v23
	;; [unrolled: 1-line block ×3, first 2 shown]
	v_mul_f32_e32 v52, v51, v23
	v_mul_f32_e32 v24, v50, v52
	v_fma_f32 v26, v52, v50, -v24
	v_fmac_f32_e32 v26, v52, v21
	v_sub_f32_e32 v21, v25, v23
	v_add_f32_e32 v21, v22, v21
	v_add_f32_e32 v22, v24, v26
	v_sub_f32_e32 v25, v23, v22
	v_pk_add_f32 v[28:29], v[22:23], v[24:25] neg_lo:[0,1] neg_hi:[0,1]
	v_mov_b32_e32 v27, v22
	v_pk_add_f32 v[22:23], v[28:29], v[26:27] neg_lo:[0,1] neg_hi:[0,1]
	v_add_f32_e32 v21, v21, v23
	v_add_f32_e32 v21, v22, v21
	;; [unrolled: 1-line block ×4, first 2 shown]
	v_sub_f32_e32 v23, v22, v53
	v_mul_f32_e32 v21, v51, v21
	v_sub_f32_e32 v23, v52, v23
	v_add_f32_e32 v21, v23, v21
	v_add_f32_e32 v25, v22, v21
	v_mul_f32_e32 v26, v25, v25
	v_mov_b32_e32 v24, 0x3ecc95a3
	v_fmac_f32_e32 v24, 0x3e9b6dac, v26
	v_mov_b32_e32 v23, 0x3f2aaada
	v_fmac_f32_e32 v23, v26, v24
	v_cvt_f32_i32_e32 v24, v32
	v_sub_f32_e32 v22, v25, v22
	v_sub_f32_e32 v21, v21, v22
	v_ldexp_f32 v27, v25, 1
	v_mul_f32_e32 v25, v25, v26
	v_mov_b32_e32 v22, 0x3f317218
	s_mov_b32 s2, 0x3f317218
	v_pk_mul_f32 v[22:23], v[24:25], v[22:23]
	v_fma_f32 v26, v24, s2, -v22
	v_fmac_f32_e32 v26, 0xb102e308, v24
	v_pk_add_f32 v[24:25], v[22:23], v[26:27]
	v_sub_f32_e32 v27, v25, v27
	v_ldexp_f32 v21, v21, 1
	v_sub_f32_e32 v27, v23, v27
	v_add_f32_e32 v29, v21, v27
	v_mov_b32_e32 v28, v22
	v_pk_add_f32 v[22:23], v[24:25], v[22:23] neg_lo:[0,1] neg_hi:[0,1]
	v_pk_add_f32 v[50:51], v[24:25], v[28:29]
	v_mov_b32_e32 v23, v51
	v_mov_b32_e32 v27, v24
	v_pk_add_f32 v[52:53], v[26:27], v[22:23] neg_lo:[0,1] neg_hi:[0,1]
	v_pk_add_f32 v[22:23], v[26:27], v[22:23]
	v_mov_b32_e32 v26, v23
	v_pk_add_f32 v[56:57], v[26:27], v[24:25] neg_lo:[0,1] neg_hi:[0,1]
	v_mov_b32_e32 v21, v56
	v_pk_add_f32 v[58:59], v[50:51], v[20:21] neg_lo:[0,1] neg_hi:[0,1]
	v_mov_b32_e32 v22, v51
	v_mov_b32_e32 v50, v25
	v_mov_b32_e32 v51, v56
	v_mov_b32_e32 v53, v23
	v_pk_add_f32 v[22:23], v[22:23], v[50:51] neg_lo:[0,1] neg_hi:[0,1]
	v_mov_b32_e32 v28, v29
	v_mov_b32_e32 v29, v24
	v_pk_add_f32 v[22:23], v[28:29], v[22:23] neg_lo:[0,1] neg_hi:[0,1]
	v_mov_b32_e32 v58, v52
	v_pk_add_f32 v[24:25], v[58:59], v[22:23]
	v_mov_b32_e32 v28, v25
	v_pk_add_f32 v[28:29], v[24:25], v[28:29]
	v_pk_add_f32 v[26:27], v[26:27], v[28:29]
	v_mov_b32_e32 v25, v26
	v_pk_add_f32 v[50:51], v[24:25], v[52:53] neg_lo:[0,1] neg_hi:[0,1]
	v_mov_b32_e32 v23, v28
	v_sub_f32_e32 v21, v24, v50
	v_pk_add_f32 v[22:23], v[22:23], v[50:51] neg_lo:[0,1] neg_hi:[0,1]
	v_sub_f32_e32 v21, v52, v21
	s_mov_b32 s3, 0x7f800000
	v_add_f32_e32 v21, v22, v21
	s_mov_b32 s2, 0x33800000
	v_add_f32_e32 v21, v21, v23
	v_cmp_eq_f32_e32 vcc, s3, v31
	v_cmp_lt_f32_e64 s[2:3], |v31|, s2
	v_add_f32_e32 v21, v26, v21
	s_or_b64 vcc, vcc, s[2:3]
	v_cndmask_b32_e32 v21, v21, v31, vcc
	v_add_f32_e32 v22, v11, v21
.LBB502_148:
	s_or_b64 exec, exec, s[0:1]
	v_bfe_u32 v11, v22, 16, 1
	v_add3_u32 v11, v22, v11, s5
	v_lshrrev_b32_e32 v11, 16, v11
	v_mov_b32_e32 v21, 0x7fc0
	v_cmp_o_f32_e32 vcc, v22, v22
	v_cndmask_b32_e32 v11, v21, v11, vcc
	v_lshlrev_b32_e32 v23, 16, v11
	v_max_f32_e32 v22, v23, v23
	v_min_f32_e32 v24, v22, v34
	v_cmp_u_f32_e32 vcc, v23, v23
	v_max_f32_e32 v22, v22, v34
	v_cndmask_b32_e32 v24, v24, v23, vcc
	v_cndmask_b32_e32 v22, v22, v23, vcc
	v_cndmask_b32_e64 v24, v24, v30, s[70:71]
	v_cndmask_b32_e64 v22, v22, v30, s[70:71]
	v_cmp_neq_f32_e32 vcc, v24, v22
	v_cmp_class_f32_e64 s[0:1], v24, s4
	s_or_b64 s[2:3], vcc, s[0:1]
	s_and_saveexec_b64 s[0:1], s[2:3]
	s_cbranch_execz .LBB502_150
; %bb.149:
	v_sub_f32_e32 v23, v24, v22
	s_mov_b32 s2, 0x3fb8aa3b
	v_mul_f32_e32 v24, 0x3fb8aa3b, v23
	v_fma_f32 v25, v23, s2, -v24
	v_rndne_f32_e32 v26, v24
	v_fmac_f32_e32 v25, 0x32a5705f, v23
	v_sub_f32_e32 v24, v24, v26
	v_add_f32_e32 v24, v24, v25
	v_exp_f32_e32 v24, v24
	v_cvt_i32_f32_e32 v25, v26
	s_mov_b32 s2, 0xc2ce8ed0
	v_cmp_ngt_f32_e32 vcc, s2, v23
	s_mov_b32 s2, 0x42b17218
	v_ldexp_f32 v24, v24, v25
	v_cndmask_b32_e32 v24, 0, v24, vcc
	v_mov_b32_e32 v25, 0x7f800000
	v_cmp_nlt_f32_e32 vcc, s2, v23
	v_cndmask_b32_e32 v32, v25, v24, vcc
	v_add_f32_e32 v23, 1.0, v32
	v_add_f32_e32 v24, -1.0, v23
	v_sub_f32_e32 v25, v24, v23
	v_add_f32_e32 v25, 1.0, v25
	v_sub_f32_e32 v24, v32, v24
	v_add_f32_e32 v26, v24, v25
	v_frexp_mant_f32_e32 v27, v23
	s_mov_b32 s2, 0x3f2aaaab
	v_cvt_f64_f32_e32 v[24:25], v23
	v_frexp_exp_i32_f64_e32 v24, v[24:25]
	v_cmp_gt_f32_e32 vcc, s2, v27
	v_subbrev_co_u32_e32 v34, vcc, 0, v24, vcc
	v_sub_u32_e32 v24, 0, v34
	v_ldexp_f32 v23, v23, v24
	v_ldexp_f32 v24, v26, v24
	v_add_f32_e32 v26, -1.0, v23
	v_add_f32_e32 v25, 1.0, v26
	v_sub_f32_e32 v25, v23, v25
	v_add_f32_e32 v27, v24, v25
	v_add_f32_e32 v25, 1.0, v23
	v_add_f32_e32 v28, -1.0, v25
	v_sub_f32_e32 v23, v23, v28
	v_add_f32_e32 v23, v24, v23
	v_add_f32_e32 v50, v25, v23
	v_rcp_f32_e32 v51, v50
	v_sub_f32_e32 v24, v25, v50
	v_add_f32_e32 v25, v26, v27
	v_add_f32_e32 v23, v23, v24
	v_mul_f32_e32 v53, v25, v51
	v_sub_f32_e32 v24, v26, v25
	v_mul_f32_e32 v26, v50, v53
	v_fma_f32 v28, v53, v50, -v26
	v_fmac_f32_e32 v28, v53, v23
	v_add_f32_e32 v52, v27, v24
	v_add_f32_e32 v24, v26, v28
	v_sub_f32_e32 v27, v25, v24
	v_pk_add_f32 v[30:31], v[24:25], v[26:27] neg_lo:[0,1] neg_hi:[0,1]
	v_mov_b32_e32 v29, v24
	v_pk_add_f32 v[24:25], v[30:31], v[28:29] neg_lo:[0,1] neg_hi:[0,1]
	v_add_f32_e32 v25, v52, v25
	v_add_f32_e32 v24, v24, v25
	;; [unrolled: 1-line block ×3, first 2 shown]
	v_mul_f32_e32 v52, v51, v25
	v_mul_f32_e32 v26, v50, v52
	v_fma_f32 v28, v52, v50, -v26
	v_fmac_f32_e32 v28, v52, v23
	v_sub_f32_e32 v23, v27, v25
	v_add_f32_e32 v23, v24, v23
	v_add_f32_e32 v24, v26, v28
	v_sub_f32_e32 v27, v25, v24
	v_pk_add_f32 v[30:31], v[24:25], v[26:27] neg_lo:[0,1] neg_hi:[0,1]
	v_mov_b32_e32 v29, v24
	v_pk_add_f32 v[24:25], v[30:31], v[28:29] neg_lo:[0,1] neg_hi:[0,1]
	v_add_f32_e32 v23, v23, v25
	v_add_f32_e32 v23, v24, v23
	v_add_f32_e32 v24, v53, v52
	v_add_f32_e32 v23, v27, v23
	v_sub_f32_e32 v25, v24, v53
	v_mul_f32_e32 v23, v51, v23
	v_sub_f32_e32 v25, v52, v25
	v_add_f32_e32 v23, v25, v23
	v_add_f32_e32 v27, v24, v23
	v_mul_f32_e32 v28, v27, v27
	v_mov_b32_e32 v26, 0x3ecc95a3
	v_fmac_f32_e32 v26, 0x3e9b6dac, v28
	v_mov_b32_e32 v25, 0x3f2aaada
	v_fmac_f32_e32 v25, v28, v26
	v_cvt_f32_i32_e32 v26, v34
	v_sub_f32_e32 v24, v27, v24
	v_sub_f32_e32 v23, v23, v24
	v_ldexp_f32 v29, v27, 1
	v_mul_f32_e32 v27, v27, v28
	v_mov_b32_e32 v24, 0x3f317218
	s_mov_b32 s2, 0x3f317218
	v_pk_mul_f32 v[24:25], v[26:27], v[24:25]
	v_fma_f32 v28, v26, s2, -v24
	v_fmac_f32_e32 v28, 0xb102e308, v26
	v_pk_add_f32 v[26:27], v[24:25], v[28:29]
	v_sub_f32_e32 v29, v27, v29
	v_ldexp_f32 v23, v23, 1
	v_sub_f32_e32 v29, v25, v29
	v_add_f32_e32 v31, v23, v29
	v_mov_b32_e32 v30, v24
	v_pk_add_f32 v[24:25], v[26:27], v[24:25] neg_lo:[0,1] neg_hi:[0,1]
	v_pk_add_f32 v[50:51], v[26:27], v[30:31]
	v_mov_b32_e32 v25, v51
	v_mov_b32_e32 v29, v26
	v_pk_add_f32 v[52:53], v[28:29], v[24:25] neg_lo:[0,1] neg_hi:[0,1]
	v_pk_add_f32 v[24:25], v[28:29], v[24:25]
	v_mov_b32_e32 v28, v25
	v_pk_add_f32 v[56:57], v[28:29], v[26:27] neg_lo:[0,1] neg_hi:[0,1]
	v_mov_b32_e32 v23, v56
	v_pk_add_f32 v[58:59], v[50:51], v[22:23] neg_lo:[0,1] neg_hi:[0,1]
	v_mov_b32_e32 v24, v51
	v_mov_b32_e32 v50, v27
	v_mov_b32_e32 v51, v56
	v_mov_b32_e32 v53, v25
	v_pk_add_f32 v[24:25], v[24:25], v[50:51] neg_lo:[0,1] neg_hi:[0,1]
	v_mov_b32_e32 v30, v31
	v_mov_b32_e32 v31, v26
	v_pk_add_f32 v[24:25], v[30:31], v[24:25] neg_lo:[0,1] neg_hi:[0,1]
	v_mov_b32_e32 v58, v52
	v_pk_add_f32 v[26:27], v[58:59], v[24:25]
	v_mov_b32_e32 v30, v27
	v_pk_add_f32 v[30:31], v[26:27], v[30:31]
	v_pk_add_f32 v[28:29], v[28:29], v[30:31]
	v_mov_b32_e32 v27, v28
	v_pk_add_f32 v[50:51], v[26:27], v[52:53] neg_lo:[0,1] neg_hi:[0,1]
	v_mov_b32_e32 v25, v30
	v_sub_f32_e32 v23, v26, v50
	v_pk_add_f32 v[24:25], v[24:25], v[50:51] neg_lo:[0,1] neg_hi:[0,1]
	v_sub_f32_e32 v23, v52, v23
	s_mov_b32 s3, 0x7f800000
	v_add_f32_e32 v23, v24, v23
	s_mov_b32 s2, 0x33800000
	v_add_f32_e32 v23, v23, v25
	v_cmp_eq_f32_e32 vcc, s3, v32
	v_cmp_lt_f32_e64 s[2:3], |v32|, s2
	v_add_f32_e32 v23, v28, v23
	s_or_b64 vcc, vcc, s[2:3]
	v_cndmask_b32_e32 v23, v23, v32, vcc
	v_add_f32_e32 v23, v22, v23
.LBB502_150:
	s_or_b64 exec, exec, s[0:1]
	v_bfe_u32 v22, v23, 16, 1
	v_add3_u32 v22, v23, v22, s5
	v_lshrrev_b32_e32 v22, 16, v22
	v_cmp_o_f32_e32 vcc, v23, v23
	v_cndmask_b32_e32 v21, v21, v22, vcc
	v_lshlrev_b32_e32 v23, 16, v21
	v_max_f32_e32 v24, v23, v23
	v_min_f32_e32 v22, v24, v35
	v_cmp_u_f32_e32 vcc, v23, v23
	v_max_f32_e32 v24, v24, v35
	v_cndmask_b32_e32 v22, v22, v23, vcc
	v_cndmask_b32_e32 v24, v24, v23, vcc
	v_cndmask_b32_e64 v22, v22, v12, s[72:73]
	v_cndmask_b32_e64 v12, v24, v12, s[72:73]
	v_cmp_neq_f32_e32 vcc, v22, v12
	v_cmp_class_f32_e64 s[0:1], v22, s4
	s_or_b64 s[2:3], vcc, s[0:1]
	s_and_saveexec_b64 s[0:1], s[2:3]
	s_cbranch_execz .LBB502_152
; %bb.151:
	v_sub_f32_e32 v22, v22, v12
	s_mov_b32 s2, 0x3fb8aa3b
	v_mul_f32_e32 v23, 0x3fb8aa3b, v22
	v_fma_f32 v24, v22, s2, -v23
	v_rndne_f32_e32 v25, v23
	v_fmac_f32_e32 v24, 0x32a5705f, v22
	v_sub_f32_e32 v23, v23, v25
	v_add_f32_e32 v23, v23, v24
	v_exp_f32_e32 v23, v23
	v_cvt_i32_f32_e32 v24, v25
	s_mov_b32 s2, 0xc2ce8ed0
	v_cmp_ngt_f32_e32 vcc, s2, v22
	s_mov_b32 s2, 0x42b17218
	v_ldexp_f32 v23, v23, v24
	v_cndmask_b32_e32 v23, 0, v23, vcc
	v_mov_b32_e32 v24, 0x7f800000
	v_cmp_nlt_f32_e32 vcc, s2, v22
	v_cndmask_b32_e32 v32, v24, v23, vcc
	v_add_f32_e32 v24, 1.0, v32
	v_add_f32_e32 v22, -1.0, v24
	v_sub_f32_e32 v23, v22, v24
	v_add_f32_e32 v23, 1.0, v23
	v_sub_f32_e32 v22, v32, v22
	v_add_f32_e32 v25, v22, v23
	v_frexp_mant_f32_e32 v26, v24
	s_mov_b32 s2, 0x3f2aaaab
	v_cvt_f64_f32_e32 v[22:23], v24
	v_frexp_exp_i32_f64_e32 v22, v[22:23]
	v_cmp_gt_f32_e32 vcc, s2, v26
	v_subbrev_co_u32_e32 v30, vcc, 0, v22, vcc
	v_sub_u32_e32 v22, 0, v30
	v_ldexp_f32 v23, v24, v22
	v_add_f32_e32 v24, -1.0, v23
	v_add_f32_e32 v26, 1.0, v23
	v_ldexp_f32 v22, v25, v22
	v_add_f32_e32 v25, 1.0, v24
	v_add_f32_e32 v27, -1.0, v26
	v_sub_f32_e32 v25, v23, v25
	v_sub_f32_e32 v23, v23, v27
	v_add_f32_e32 v25, v22, v25
	v_add_f32_e32 v22, v22, v23
	;; [unrolled: 1-line block ×3, first 2 shown]
	v_rcp_f32_e32 v35, v31
	v_sub_f32_e32 v23, v26, v31
	v_add_f32_e32 v34, v22, v23
	v_add_f32_e32 v23, v24, v25
	v_mul_f32_e32 v51, v23, v35
	v_sub_f32_e32 v22, v24, v23
	v_mul_f32_e32 v24, v31, v51
	v_fma_f32 v26, v51, v31, -v24
	v_fmac_f32_e32 v26, v51, v34
	v_add_f32_e32 v50, v25, v22
	v_add_f32_e32 v22, v24, v26
	v_sub_f32_e32 v25, v23, v22
	v_pk_add_f32 v[28:29], v[22:23], v[24:25] neg_lo:[0,1] neg_hi:[0,1]
	v_mov_b32_e32 v27, v22
	v_pk_add_f32 v[22:23], v[28:29], v[26:27] neg_lo:[0,1] neg_hi:[0,1]
	v_add_f32_e32 v23, v50, v23
	v_add_f32_e32 v22, v22, v23
	;; [unrolled: 1-line block ×3, first 2 shown]
	v_mul_f32_e32 v50, v35, v23
	v_mul_f32_e32 v24, v31, v50
	v_fma_f32 v26, v50, v31, -v24
	v_fmac_f32_e32 v26, v50, v34
	v_sub_f32_e32 v25, v25, v23
	v_add_f32_e32 v31, v22, v25
	v_add_f32_e32 v22, v24, v26
	v_sub_f32_e32 v25, v23, v22
	v_pk_add_f32 v[28:29], v[22:23], v[24:25] neg_lo:[0,1] neg_hi:[0,1]
	v_mov_b32_e32 v27, v22
	v_pk_add_f32 v[22:23], v[28:29], v[26:27] neg_lo:[0,1] neg_hi:[0,1]
	v_add_f32_e32 v23, v31, v23
	v_add_f32_e32 v22, v22, v23
	;; [unrolled: 1-line block ×4, first 2 shown]
	v_sub_f32_e32 v23, v25, v51
	v_mul_f32_e32 v22, v35, v22
	v_sub_f32_e32 v23, v50, v23
	v_add_f32_e32 v22, v23, v22
	v_add_f32_e32 v26, v25, v22
	v_mul_f32_e32 v28, v26, v26
	v_mov_b32_e32 v24, 0x3ecc95a3
	v_fmac_f32_e32 v24, 0x3e9b6dac, v28
	v_mov_b32_e32 v23, 0x3f2aaada
	v_fmac_f32_e32 v23, v28, v24
	v_cvt_f32_i32_e32 v24, v30
	v_sub_f32_e32 v25, v26, v25
	v_sub_f32_e32 v22, v22, v25
	v_ldexp_f32 v29, v22, 1
	v_mul_f32_e32 v25, v26, v28
	v_mov_b32_e32 v22, 0x3f317218
	s_mov_b32 s2, 0x3f317218
	v_pk_mul_f32 v[22:23], v[24:25], v[22:23]
	v_ldexp_f32 v27, v26, 1
	v_fma_f32 v26, v24, s2, -v22
	v_fmac_f32_e32 v26, 0xb102e308, v24
	v_pk_add_f32 v[24:25], v[22:23], v[26:27]
	v_sub_f32_e32 v27, v25, v27
	v_sub_f32_e32 v27, v23, v27
	v_add_f32_e32 v29, v29, v27
	v_mov_b32_e32 v28, v22
	v_pk_add_f32 v[22:23], v[24:25], v[22:23] neg_lo:[0,1] neg_hi:[0,1]
	v_pk_add_f32 v[30:31], v[24:25], v[28:29]
	v_mov_b32_e32 v23, v31
	v_mov_b32_e32 v27, v24
	v_pk_add_f32 v[34:35], v[26:27], v[22:23] neg_lo:[0,1] neg_hi:[0,1]
	v_pk_add_f32 v[22:23], v[26:27], v[22:23]
	v_mov_b32_e32 v26, v23
	v_pk_add_f32 v[50:51], v[26:27], v[24:25] neg_lo:[0,1] neg_hi:[0,1]
	v_mov_b32_e32 v27, v50
	v_pk_add_f32 v[52:53], v[30:31], v[26:27] neg_lo:[0,1] neg_hi:[0,1]
	v_mov_b32_e32 v22, v31
	v_mov_b32_e32 v30, v25
	;; [unrolled: 1-line block ×4, first 2 shown]
	v_pk_add_f32 v[22:23], v[22:23], v[30:31] neg_lo:[0,1] neg_hi:[0,1]
	v_mov_b32_e32 v28, v29
	v_mov_b32_e32 v29, v24
	v_pk_add_f32 v[22:23], v[28:29], v[22:23] neg_lo:[0,1] neg_hi:[0,1]
	v_mov_b32_e32 v52, v34
	v_pk_add_f32 v[24:25], v[52:53], v[22:23]
	v_mov_b32_e32 v28, v25
	v_pk_add_f32 v[28:29], v[24:25], v[28:29]
	v_pk_add_f32 v[26:27], v[26:27], v[28:29]
	v_mov_b32_e32 v25, v26
	v_pk_add_f32 v[30:31], v[24:25], v[34:35] neg_lo:[0,1] neg_hi:[0,1]
	v_mov_b32_e32 v23, v28
	v_sub_f32_e32 v24, v24, v30
	v_pk_add_f32 v[22:23], v[22:23], v[30:31] neg_lo:[0,1] neg_hi:[0,1]
	v_sub_f32_e32 v24, v34, v24
	s_mov_b32 s3, 0x7f800000
	v_add_f32_e32 v22, v22, v24
	s_mov_b32 s2, 0x33800000
	v_add_f32_e32 v22, v22, v23
	v_cmp_eq_f32_e32 vcc, s3, v32
	v_cmp_lt_f32_e64 s[2:3], |v32|, s2
	v_add_f32_e32 v22, v26, v22
	s_or_b64 vcc, vcc, s[2:3]
	v_cndmask_b32_e32 v22, v22, v32, vcc
	v_add_f32_e32 v23, v12, v22
.LBB502_152:
	s_or_b64 exec, exec, s[0:1]
	v_bfe_u32 v12, v23, 16, 1
	v_add3_u32 v12, v23, v12, s5
	v_lshrrev_b32_e32 v12, 16, v12
	v_mov_b32_e32 v22, 0x7fc0
	v_cmp_o_f32_e32 vcc, v23, v23
	v_cndmask_b32_e32 v12, v22, v12, vcc
	v_lshlrev_b32_e32 v24, 16, v12
	v_max_f32_e32 v23, v24, v24
	v_min_f32_e32 v25, v23, v37
	v_cmp_u_f32_e32 vcc, v24, v24
	v_max_f32_e32 v23, v23, v37
	v_cndmask_b32_e32 v25, v25, v24, vcc
	v_cndmask_b32_e32 v23, v23, v24, vcc
	v_cndmask_b32_e64 v25, v25, v33, s[74:75]
	v_cndmask_b32_e64 v23, v23, v33, s[74:75]
	v_cmp_neq_f32_e32 vcc, v25, v23
	v_cmp_class_f32_e64 s[0:1], v25, s4
	s_or_b64 s[2:3], vcc, s[0:1]
	s_and_saveexec_b64 s[0:1], s[2:3]
	s_cbranch_execz .LBB502_154
; %bb.153:
	v_sub_f32_e32 v24, v25, v23
	s_mov_b32 s2, 0x3fb8aa3b
	v_mul_f32_e32 v25, 0x3fb8aa3b, v24
	v_fma_f32 v26, v24, s2, -v25
	v_rndne_f32_e32 v27, v25
	v_fmac_f32_e32 v26, 0x32a5705f, v24
	v_sub_f32_e32 v25, v25, v27
	v_add_f32_e32 v25, v25, v26
	v_exp_f32_e32 v25, v25
	v_cvt_i32_f32_e32 v26, v27
	s_mov_b32 s2, 0xc2ce8ed0
	v_cmp_ngt_f32_e32 vcc, s2, v24
	s_mov_b32 s2, 0x42b17218
	v_ldexp_f32 v25, v25, v26
	v_cndmask_b32_e32 v25, 0, v25, vcc
	v_mov_b32_e32 v26, 0x7f800000
	v_cmp_nlt_f32_e32 vcc, s2, v24
	v_cndmask_b32_e32 v37, v26, v25, vcc
	v_add_f32_e32 v26, 1.0, v37
	v_add_f32_e32 v24, -1.0, v26
	v_sub_f32_e32 v25, v24, v26
	v_add_f32_e32 v25, 1.0, v25
	v_sub_f32_e32 v24, v37, v24
	v_add_f32_e32 v27, v24, v25
	v_frexp_mant_f32_e32 v28, v26
	s_mov_b32 s2, 0x3f2aaaab
	v_cvt_f64_f32_e32 v[24:25], v26
	v_frexp_exp_i32_f64_e32 v24, v[24:25]
	v_cmp_gt_f32_e32 vcc, s2, v28
	v_subbrev_co_u32_e32 v32, vcc, 0, v24, vcc
	v_sub_u32_e32 v24, 0, v32
	v_ldexp_f32 v25, v26, v24
	v_add_f32_e32 v26, -1.0, v25
	v_add_f32_e32 v28, 1.0, v25
	v_ldexp_f32 v24, v27, v24
	v_add_f32_e32 v27, 1.0, v26
	v_add_f32_e32 v29, -1.0, v28
	v_sub_f32_e32 v27, v25, v27
	v_sub_f32_e32 v25, v25, v29
	v_add_f32_e32 v27, v24, v27
	v_add_f32_e32 v24, v24, v25
	;; [unrolled: 1-line block ×3, first 2 shown]
	v_rcp_f32_e32 v35, v33
	v_sub_f32_e32 v25, v28, v33
	v_add_f32_e32 v34, v24, v25
	v_add_f32_e32 v25, v26, v27
	v_mul_f32_e32 v51, v25, v35
	v_sub_f32_e32 v24, v26, v25
	v_mul_f32_e32 v26, v33, v51
	v_fma_f32 v28, v51, v33, -v26
	v_fmac_f32_e32 v28, v51, v34
	v_add_f32_e32 v50, v27, v24
	v_add_f32_e32 v24, v26, v28
	v_sub_f32_e32 v27, v25, v24
	v_pk_add_f32 v[30:31], v[24:25], v[26:27] neg_lo:[0,1] neg_hi:[0,1]
	v_mov_b32_e32 v29, v24
	v_pk_add_f32 v[24:25], v[30:31], v[28:29] neg_lo:[0,1] neg_hi:[0,1]
	v_add_f32_e32 v25, v50, v25
	v_add_f32_e32 v24, v24, v25
	;; [unrolled: 1-line block ×3, first 2 shown]
	v_mul_f32_e32 v50, v35, v25
	v_mul_f32_e32 v26, v33, v50
	v_fma_f32 v28, v50, v33, -v26
	v_fmac_f32_e32 v28, v50, v34
	v_sub_f32_e32 v27, v27, v25
	v_add_f32_e32 v33, v24, v27
	v_add_f32_e32 v24, v26, v28
	v_sub_f32_e32 v27, v25, v24
	v_pk_add_f32 v[30:31], v[24:25], v[26:27] neg_lo:[0,1] neg_hi:[0,1]
	v_mov_b32_e32 v29, v24
	v_pk_add_f32 v[24:25], v[30:31], v[28:29] neg_lo:[0,1] neg_hi:[0,1]
	v_add_f32_e32 v25, v33, v25
	v_add_f32_e32 v24, v24, v25
	;; [unrolled: 1-line block ×4, first 2 shown]
	v_sub_f32_e32 v25, v27, v51
	v_mul_f32_e32 v24, v35, v24
	v_sub_f32_e32 v25, v50, v25
	v_add_f32_e32 v24, v25, v24
	v_add_f32_e32 v28, v27, v24
	v_mul_f32_e32 v30, v28, v28
	v_mov_b32_e32 v26, 0x3ecc95a3
	v_fmac_f32_e32 v26, 0x3e9b6dac, v30
	v_mov_b32_e32 v25, 0x3f2aaada
	v_fmac_f32_e32 v25, v30, v26
	v_cvt_f32_i32_e32 v26, v32
	v_sub_f32_e32 v27, v28, v27
	v_sub_f32_e32 v24, v24, v27
	v_ldexp_f32 v31, v24, 1
	v_mul_f32_e32 v27, v28, v30
	v_mov_b32_e32 v24, 0x3f317218
	s_mov_b32 s2, 0x3f317218
	v_pk_mul_f32 v[24:25], v[26:27], v[24:25]
	v_ldexp_f32 v29, v28, 1
	v_fma_f32 v28, v26, s2, -v24
	v_fmac_f32_e32 v28, 0xb102e308, v26
	v_pk_add_f32 v[26:27], v[24:25], v[28:29]
	v_sub_f32_e32 v29, v27, v29
	v_sub_f32_e32 v29, v25, v29
	v_add_f32_e32 v31, v31, v29
	v_mov_b32_e32 v30, v24
	v_pk_add_f32 v[24:25], v[26:27], v[24:25] neg_lo:[0,1] neg_hi:[0,1]
	v_pk_add_f32 v[32:33], v[26:27], v[30:31]
	v_mov_b32_e32 v25, v33
	v_mov_b32_e32 v29, v26
	v_pk_add_f32 v[34:35], v[28:29], v[24:25] neg_lo:[0,1] neg_hi:[0,1]
	v_pk_add_f32 v[24:25], v[28:29], v[24:25]
	v_mov_b32_e32 v28, v25
	v_pk_add_f32 v[50:51], v[28:29], v[26:27] neg_lo:[0,1] neg_hi:[0,1]
	v_mov_b32_e32 v29, v50
	v_pk_add_f32 v[52:53], v[32:33], v[28:29] neg_lo:[0,1] neg_hi:[0,1]
	v_mov_b32_e32 v24, v33
	v_mov_b32_e32 v32, v27
	;; [unrolled: 1-line block ×4, first 2 shown]
	v_pk_add_f32 v[24:25], v[24:25], v[32:33] neg_lo:[0,1] neg_hi:[0,1]
	v_mov_b32_e32 v30, v31
	v_mov_b32_e32 v31, v26
	v_pk_add_f32 v[24:25], v[30:31], v[24:25] neg_lo:[0,1] neg_hi:[0,1]
	v_mov_b32_e32 v52, v34
	v_pk_add_f32 v[26:27], v[52:53], v[24:25]
	v_mov_b32_e32 v30, v27
	v_pk_add_f32 v[30:31], v[26:27], v[30:31]
	v_pk_add_f32 v[28:29], v[28:29], v[30:31]
	v_mov_b32_e32 v27, v28
	v_pk_add_f32 v[32:33], v[26:27], v[34:35] neg_lo:[0,1] neg_hi:[0,1]
	v_mov_b32_e32 v25, v30
	v_sub_f32_e32 v26, v26, v32
	v_pk_add_f32 v[24:25], v[24:25], v[32:33] neg_lo:[0,1] neg_hi:[0,1]
	v_sub_f32_e32 v26, v34, v26
	s_mov_b32 s3, 0x7f800000
	v_add_f32_e32 v24, v24, v26
	s_mov_b32 s2, 0x33800000
	v_add_f32_e32 v24, v24, v25
	v_cmp_eq_f32_e32 vcc, s3, v37
	v_cmp_lt_f32_e64 s[2:3], |v37|, s2
	v_add_f32_e32 v24, v28, v24
	s_or_b64 vcc, vcc, s[2:3]
	v_cndmask_b32_e32 v24, v24, v37, vcc
	v_add_f32_e32 v24, v23, v24
.LBB502_154:
	s_or_b64 exec, exec, s[0:1]
	v_bfe_u32 v23, v24, 16, 1
	v_add3_u32 v23, v24, v23, s5
	v_lshrrev_b32_e32 v23, 16, v23
	v_cmp_o_f32_e32 vcc, v24, v24
	v_cndmask_b32_e32 v22, v22, v23, vcc
	v_lshlrev_b32_e32 v24, 16, v22
	v_max_f32_e32 v25, v24, v24
	v_min_f32_e32 v23, v25, v38
	v_cmp_u_f32_e32 vcc, v24, v24
	v_max_f32_e32 v25, v25, v38
	v_cndmask_b32_e32 v23, v23, v24, vcc
	v_cndmask_b32_e32 v25, v25, v24, vcc
	v_cndmask_b32_e64 v23, v23, v13, s[76:77]
	v_cndmask_b32_e64 v13, v25, v13, s[76:77]
	v_cmp_neq_f32_e32 vcc, v23, v13
	v_cmp_class_f32_e64 s[0:1], v23, s4
	s_or_b64 s[2:3], vcc, s[0:1]
	s_and_saveexec_b64 s[0:1], s[2:3]
	s_cbranch_execz .LBB502_156
; %bb.155:
	v_sub_f32_e32 v23, v23, v13
	s_mov_b32 s2, 0x3fb8aa3b
	v_mul_f32_e32 v24, 0x3fb8aa3b, v23
	v_fma_f32 v25, v23, s2, -v24
	v_rndne_f32_e32 v26, v24
	v_fmac_f32_e32 v25, 0x32a5705f, v23
	v_sub_f32_e32 v24, v24, v26
	v_add_f32_e32 v24, v24, v25
	v_exp_f32_e32 v24, v24
	v_cvt_i32_f32_e32 v25, v26
	s_mov_b32 s2, 0xc2ce8ed0
	v_cmp_ngt_f32_e32 vcc, s2, v23
	s_mov_b32 s2, 0x42b17218
	v_ldexp_f32 v24, v24, v25
	v_cndmask_b32_e32 v24, 0, v24, vcc
	v_mov_b32_e32 v25, 0x7f800000
	v_cmp_nlt_f32_e32 vcc, s2, v23
	v_cndmask_b32_e32 v37, v25, v24, vcc
	v_add_f32_e32 v23, 1.0, v37
	v_add_f32_e32 v24, -1.0, v23
	v_sub_f32_e32 v25, v24, v23
	v_add_f32_e32 v25, 1.0, v25
	v_sub_f32_e32 v24, v37, v24
	v_add_f32_e32 v26, v24, v25
	v_frexp_mant_f32_e32 v27, v23
	s_mov_b32 s2, 0x3f2aaaab
	v_cvt_f64_f32_e32 v[24:25], v23
	v_frexp_exp_i32_f64_e32 v24, v[24:25]
	v_cmp_gt_f32_e32 vcc, s2, v27
	v_subbrev_co_u32_e32 v32, vcc, 0, v24, vcc
	v_sub_u32_e32 v24, 0, v32
	v_ldexp_f32 v23, v23, v24
	v_ldexp_f32 v24, v26, v24
	v_add_f32_e32 v26, -1.0, v23
	v_add_f32_e32 v25, 1.0, v26
	v_sub_f32_e32 v25, v23, v25
	v_add_f32_e32 v27, v24, v25
	v_add_f32_e32 v25, 1.0, v23
	v_add_f32_e32 v28, -1.0, v25
	v_sub_f32_e32 v23, v23, v28
	v_add_f32_e32 v23, v24, v23
	v_add_f32_e32 v33, v25, v23
	v_rcp_f32_e32 v34, v33
	v_sub_f32_e32 v24, v25, v33
	v_add_f32_e32 v25, v26, v27
	v_add_f32_e32 v23, v23, v24
	v_mul_f32_e32 v38, v25, v34
	v_sub_f32_e32 v24, v26, v25
	v_mul_f32_e32 v26, v33, v38
	v_fma_f32 v28, v38, v33, -v26
	v_fmac_f32_e32 v28, v38, v23
	v_add_f32_e32 v35, v27, v24
	v_add_f32_e32 v24, v26, v28
	v_sub_f32_e32 v27, v25, v24
	v_pk_add_f32 v[30:31], v[24:25], v[26:27] neg_lo:[0,1] neg_hi:[0,1]
	v_mov_b32_e32 v29, v24
	v_pk_add_f32 v[24:25], v[30:31], v[28:29] neg_lo:[0,1] neg_hi:[0,1]
	v_add_f32_e32 v25, v35, v25
	v_add_f32_e32 v24, v24, v25
	;; [unrolled: 1-line block ×3, first 2 shown]
	v_mul_f32_e32 v35, v34, v25
	v_mul_f32_e32 v26, v33, v35
	v_fma_f32 v28, v35, v33, -v26
	v_fmac_f32_e32 v28, v35, v23
	v_sub_f32_e32 v23, v27, v25
	v_add_f32_e32 v23, v24, v23
	v_add_f32_e32 v24, v26, v28
	v_sub_f32_e32 v27, v25, v24
	v_pk_add_f32 v[30:31], v[24:25], v[26:27] neg_lo:[0,1] neg_hi:[0,1]
	v_mov_b32_e32 v29, v24
	v_pk_add_f32 v[24:25], v[30:31], v[28:29] neg_lo:[0,1] neg_hi:[0,1]
	v_add_f32_e32 v23, v23, v25
	v_add_f32_e32 v23, v24, v23
	;; [unrolled: 1-line block ×4, first 2 shown]
	v_sub_f32_e32 v25, v24, v38
	v_mul_f32_e32 v23, v34, v23
	v_sub_f32_e32 v25, v35, v25
	v_add_f32_e32 v23, v25, v23
	v_add_f32_e32 v27, v24, v23
	v_mul_f32_e32 v28, v27, v27
	v_mov_b32_e32 v26, 0x3ecc95a3
	v_fmac_f32_e32 v26, 0x3e9b6dac, v28
	v_mov_b32_e32 v25, 0x3f2aaada
	v_fmac_f32_e32 v25, v28, v26
	v_cvt_f32_i32_e32 v26, v32
	v_sub_f32_e32 v24, v27, v24
	v_sub_f32_e32 v23, v23, v24
	v_ldexp_f32 v29, v27, 1
	v_mul_f32_e32 v27, v27, v28
	v_mov_b32_e32 v24, 0x3f317218
	s_mov_b32 s2, 0x3f317218
	v_pk_mul_f32 v[24:25], v[26:27], v[24:25]
	v_fma_f32 v28, v26, s2, -v24
	v_fmac_f32_e32 v28, 0xb102e308, v26
	v_pk_add_f32 v[26:27], v[24:25], v[28:29]
	v_sub_f32_e32 v29, v27, v29
	v_ldexp_f32 v23, v23, 1
	v_sub_f32_e32 v29, v25, v29
	v_add_f32_e32 v31, v23, v29
	v_mov_b32_e32 v30, v24
	v_pk_add_f32 v[24:25], v[26:27], v[24:25] neg_lo:[0,1] neg_hi:[0,1]
	v_pk_add_f32 v[32:33], v[26:27], v[30:31]
	v_mov_b32_e32 v25, v33
	v_mov_b32_e32 v29, v26
	v_pk_add_f32 v[34:35], v[28:29], v[24:25] neg_lo:[0,1] neg_hi:[0,1]
	v_pk_add_f32 v[24:25], v[28:29], v[24:25]
	v_mov_b32_e32 v28, v25
	v_pk_add_f32 v[50:51], v[28:29], v[26:27] neg_lo:[0,1] neg_hi:[0,1]
	v_mov_b32_e32 v23, v50
	v_pk_add_f32 v[52:53], v[32:33], v[22:23] neg_lo:[0,1] neg_hi:[0,1]
	v_mov_b32_e32 v24, v33
	v_mov_b32_e32 v32, v27
	;; [unrolled: 1-line block ×4, first 2 shown]
	v_pk_add_f32 v[24:25], v[24:25], v[32:33] neg_lo:[0,1] neg_hi:[0,1]
	v_mov_b32_e32 v30, v31
	v_mov_b32_e32 v31, v26
	v_pk_add_f32 v[24:25], v[30:31], v[24:25] neg_lo:[0,1] neg_hi:[0,1]
	v_mov_b32_e32 v52, v34
	v_pk_add_f32 v[26:27], v[52:53], v[24:25]
	v_mov_b32_e32 v30, v27
	v_pk_add_f32 v[30:31], v[26:27], v[30:31]
	v_pk_add_f32 v[28:29], v[28:29], v[30:31]
	v_mov_b32_e32 v27, v28
	v_pk_add_f32 v[32:33], v[26:27], v[34:35] neg_lo:[0,1] neg_hi:[0,1]
	v_mov_b32_e32 v25, v30
	v_sub_f32_e32 v23, v26, v32
	v_pk_add_f32 v[24:25], v[24:25], v[32:33] neg_lo:[0,1] neg_hi:[0,1]
	v_sub_f32_e32 v23, v34, v23
	s_mov_b32 s3, 0x7f800000
	v_add_f32_e32 v23, v24, v23
	s_mov_b32 s2, 0x33800000
	v_add_f32_e32 v23, v23, v25
	v_cmp_eq_f32_e32 vcc, s3, v37
	v_cmp_lt_f32_e64 s[2:3], |v37|, s2
	v_add_f32_e32 v23, v28, v23
	s_or_b64 vcc, vcc, s[2:3]
	v_cndmask_b32_e32 v23, v23, v37, vcc
	v_add_f32_e32 v24, v13, v23
.LBB502_156:
	s_or_b64 exec, exec, s[0:1]
	v_bfe_u32 v13, v24, 16, 1
	v_add3_u32 v13, v24, v13, s5
	v_lshrrev_b32_e32 v13, 16, v13
	v_mov_b32_e32 v23, 0x7fc0
	v_cmp_o_f32_e32 vcc, v24, v24
	v_cndmask_b32_e32 v13, v23, v13, vcc
	v_lshlrev_b32_e32 v25, 16, v13
	v_max_f32_e32 v24, v25, v25
	v_min_f32_e32 v26, v24, v40
	v_cmp_u_f32_e32 vcc, v25, v25
	v_max_f32_e32 v24, v24, v40
	v_cndmask_b32_e32 v26, v26, v25, vcc
	v_cndmask_b32_e32 v24, v24, v25, vcc
	v_cndmask_b32_e64 v26, v26, v36, s[78:79]
	v_cndmask_b32_e64 v24, v24, v36, s[78:79]
	v_cmp_neq_f32_e32 vcc, v26, v24
	v_cmp_class_f32_e64 s[0:1], v26, s4
	s_or_b64 s[2:3], vcc, s[0:1]
	s_and_saveexec_b64 s[0:1], s[2:3]
	s_cbranch_execz .LBB502_158
; %bb.157:
	v_sub_f32_e32 v25, v26, v24
	s_mov_b32 s2, 0x3fb8aa3b
	v_mul_f32_e32 v26, 0x3fb8aa3b, v25
	v_fma_f32 v27, v25, s2, -v26
	v_rndne_f32_e32 v28, v26
	v_fmac_f32_e32 v27, 0x32a5705f, v25
	v_sub_f32_e32 v26, v26, v28
	v_add_f32_e32 v26, v26, v27
	v_exp_f32_e32 v26, v26
	v_cvt_i32_f32_e32 v27, v28
	s_mov_b32 s2, 0xc2ce8ed0
	v_cmp_ngt_f32_e32 vcc, s2, v25
	s_mov_b32 s2, 0x42b17218
	v_ldexp_f32 v26, v26, v27
	v_cndmask_b32_e32 v26, 0, v26, vcc
	v_mov_b32_e32 v27, 0x7f800000
	v_cmp_nlt_f32_e32 vcc, s2, v25
	v_cndmask_b32_e32 v38, v27, v26, vcc
	v_add_f32_e32 v25, 1.0, v38
	v_add_f32_e32 v26, -1.0, v25
	v_sub_f32_e32 v27, v26, v25
	v_add_f32_e32 v27, 1.0, v27
	v_sub_f32_e32 v26, v38, v26
	v_add_f32_e32 v28, v26, v27
	v_frexp_mant_f32_e32 v29, v25
	s_mov_b32 s2, 0x3f2aaaab
	v_cvt_f64_f32_e32 v[26:27], v25
	v_frexp_exp_i32_f64_e32 v26, v[26:27]
	v_cmp_gt_f32_e32 vcc, s2, v29
	v_subbrev_co_u32_e32 v34, vcc, 0, v26, vcc
	v_sub_u32_e32 v26, 0, v34
	v_ldexp_f32 v25, v25, v26
	v_ldexp_f32 v26, v28, v26
	v_add_f32_e32 v28, -1.0, v25
	v_add_f32_e32 v27, 1.0, v28
	v_sub_f32_e32 v27, v25, v27
	v_add_f32_e32 v29, v26, v27
	v_add_f32_e32 v27, 1.0, v25
	v_add_f32_e32 v30, -1.0, v27
	v_sub_f32_e32 v25, v25, v30
	v_add_f32_e32 v25, v26, v25
	v_add_f32_e32 v35, v27, v25
	v_rcp_f32_e32 v36, v35
	v_sub_f32_e32 v26, v27, v35
	v_add_f32_e32 v27, v28, v29
	v_add_f32_e32 v25, v25, v26
	v_mul_f32_e32 v40, v27, v36
	v_sub_f32_e32 v26, v28, v27
	v_mul_f32_e32 v28, v35, v40
	v_fma_f32 v30, v40, v35, -v28
	v_fmac_f32_e32 v30, v40, v25
	v_add_f32_e32 v37, v29, v26
	v_add_f32_e32 v26, v28, v30
	v_sub_f32_e32 v29, v27, v26
	v_pk_add_f32 v[32:33], v[26:27], v[28:29] neg_lo:[0,1] neg_hi:[0,1]
	v_mov_b32_e32 v31, v26
	v_pk_add_f32 v[26:27], v[32:33], v[30:31] neg_lo:[0,1] neg_hi:[0,1]
	v_add_f32_e32 v27, v37, v27
	v_add_f32_e32 v26, v26, v27
	;; [unrolled: 1-line block ×3, first 2 shown]
	v_mul_f32_e32 v37, v36, v27
	v_mul_f32_e32 v28, v35, v37
	v_fma_f32 v30, v37, v35, -v28
	v_fmac_f32_e32 v30, v37, v25
	v_sub_f32_e32 v25, v29, v27
	v_add_f32_e32 v25, v26, v25
	v_add_f32_e32 v26, v28, v30
	v_sub_f32_e32 v29, v27, v26
	v_pk_add_f32 v[32:33], v[26:27], v[28:29] neg_lo:[0,1] neg_hi:[0,1]
	v_mov_b32_e32 v31, v26
	v_pk_add_f32 v[26:27], v[32:33], v[30:31] neg_lo:[0,1] neg_hi:[0,1]
	v_add_f32_e32 v25, v25, v27
	v_add_f32_e32 v25, v26, v25
	;; [unrolled: 1-line block ×4, first 2 shown]
	v_sub_f32_e32 v27, v26, v40
	v_mul_f32_e32 v25, v36, v25
	v_sub_f32_e32 v27, v37, v27
	v_add_f32_e32 v25, v27, v25
	v_add_f32_e32 v29, v26, v25
	v_mul_f32_e32 v30, v29, v29
	v_mov_b32_e32 v28, 0x3ecc95a3
	v_fmac_f32_e32 v28, 0x3e9b6dac, v30
	v_mov_b32_e32 v27, 0x3f2aaada
	v_fmac_f32_e32 v27, v30, v28
	v_cvt_f32_i32_e32 v28, v34
	v_sub_f32_e32 v26, v29, v26
	v_sub_f32_e32 v25, v25, v26
	v_ldexp_f32 v31, v29, 1
	v_mul_f32_e32 v29, v29, v30
	v_mov_b32_e32 v26, 0x3f317218
	s_mov_b32 s2, 0x3f317218
	v_pk_mul_f32 v[26:27], v[28:29], v[26:27]
	v_fma_f32 v30, v28, s2, -v26
	v_fmac_f32_e32 v30, 0xb102e308, v28
	v_pk_add_f32 v[28:29], v[26:27], v[30:31]
	v_sub_f32_e32 v31, v29, v31
	v_ldexp_f32 v25, v25, 1
	v_sub_f32_e32 v31, v27, v31
	v_add_f32_e32 v33, v25, v31
	v_mov_b32_e32 v32, v26
	v_pk_add_f32 v[26:27], v[28:29], v[26:27] neg_lo:[0,1] neg_hi:[0,1]
	v_pk_add_f32 v[34:35], v[28:29], v[32:33]
	v_mov_b32_e32 v27, v35
	v_mov_b32_e32 v31, v28
	v_pk_add_f32 v[36:37], v[30:31], v[26:27] neg_lo:[0,1] neg_hi:[0,1]
	v_pk_add_f32 v[26:27], v[30:31], v[26:27]
	v_mov_b32_e32 v30, v27
	v_pk_add_f32 v[50:51], v[30:31], v[28:29] neg_lo:[0,1] neg_hi:[0,1]
	v_mov_b32_e32 v25, v50
	v_pk_add_f32 v[52:53], v[34:35], v[24:25] neg_lo:[0,1] neg_hi:[0,1]
	v_mov_b32_e32 v26, v35
	v_mov_b32_e32 v34, v29
	;; [unrolled: 1-line block ×4, first 2 shown]
	v_pk_add_f32 v[26:27], v[26:27], v[34:35] neg_lo:[0,1] neg_hi:[0,1]
	v_mov_b32_e32 v32, v33
	v_mov_b32_e32 v33, v28
	v_pk_add_f32 v[26:27], v[32:33], v[26:27] neg_lo:[0,1] neg_hi:[0,1]
	v_mov_b32_e32 v52, v36
	v_pk_add_f32 v[28:29], v[52:53], v[26:27]
	v_mov_b32_e32 v32, v29
	v_pk_add_f32 v[32:33], v[28:29], v[32:33]
	v_pk_add_f32 v[30:31], v[30:31], v[32:33]
	v_mov_b32_e32 v29, v30
	v_pk_add_f32 v[34:35], v[28:29], v[36:37] neg_lo:[0,1] neg_hi:[0,1]
	v_mov_b32_e32 v27, v32
	v_sub_f32_e32 v25, v28, v34
	v_pk_add_f32 v[26:27], v[26:27], v[34:35] neg_lo:[0,1] neg_hi:[0,1]
	v_sub_f32_e32 v25, v36, v25
	s_mov_b32 s3, 0x7f800000
	v_add_f32_e32 v25, v26, v25
	s_mov_b32 s2, 0x33800000
	v_add_f32_e32 v25, v25, v27
	v_cmp_eq_f32_e32 vcc, s3, v38
	v_cmp_lt_f32_e64 s[2:3], |v38|, s2
	v_add_f32_e32 v25, v30, v25
	s_or_b64 vcc, vcc, s[2:3]
	v_cndmask_b32_e32 v25, v25, v38, vcc
	v_add_f32_e32 v25, v24, v25
.LBB502_158:
	s_or_b64 exec, exec, s[0:1]
	v_bfe_u32 v24, v25, 16, 1
	v_add3_u32 v24, v25, v24, s5
	v_lshrrev_b32_e32 v24, 16, v24
	v_cmp_o_f32_e32 vcc, v25, v25
	v_cndmask_b32_e32 v23, v23, v24, vcc
	v_lshlrev_b32_e32 v25, 16, v23
	v_max_f32_e32 v26, v25, v25
	v_min_f32_e32 v24, v26, v41
	v_cmp_u_f32_e32 vcc, v25, v25
	v_max_f32_e32 v26, v26, v41
	v_cndmask_b32_e32 v24, v24, v25, vcc
	v_cndmask_b32_e32 v26, v26, v25, vcc
	v_cndmask_b32_e64 v24, v24, v6, s[80:81]
	v_cndmask_b32_e64 v6, v26, v6, s[80:81]
	v_cmp_neq_f32_e32 vcc, v24, v6
	v_cmp_class_f32_e64 s[0:1], v24, s4
	s_or_b64 s[2:3], vcc, s[0:1]
	s_and_saveexec_b64 s[0:1], s[2:3]
	s_cbranch_execz .LBB502_160
; %bb.159:
	v_sub_f32_e32 v24, v24, v6
	s_mov_b32 s2, 0x3fb8aa3b
	v_mul_f32_e32 v25, 0x3fb8aa3b, v24
	v_fma_f32 v26, v24, s2, -v25
	v_rndne_f32_e32 v27, v25
	v_fmac_f32_e32 v26, 0x32a5705f, v24
	v_sub_f32_e32 v25, v25, v27
	v_add_f32_e32 v25, v25, v26
	v_exp_f32_e32 v25, v25
	v_cvt_i32_f32_e32 v26, v27
	s_mov_b32 s2, 0xc2ce8ed0
	v_cmp_ngt_f32_e32 vcc, s2, v24
	s_mov_b32 s2, 0x42b17218
	v_ldexp_f32 v25, v25, v26
	v_cndmask_b32_e32 v25, 0, v25, vcc
	v_mov_b32_e32 v26, 0x7f800000
	v_cmp_nlt_f32_e32 vcc, s2, v24
	v_cndmask_b32_e32 v38, v26, v25, vcc
	v_add_f32_e32 v26, 1.0, v38
	v_add_f32_e32 v24, -1.0, v26
	v_sub_f32_e32 v25, v24, v26
	v_add_f32_e32 v25, 1.0, v25
	v_sub_f32_e32 v24, v38, v24
	v_add_f32_e32 v27, v24, v25
	v_frexp_mant_f32_e32 v28, v26
	s_mov_b32 s2, 0x3f2aaaab
	v_cvt_f64_f32_e32 v[24:25], v26
	v_frexp_exp_i32_f64_e32 v24, v[24:25]
	v_cmp_gt_f32_e32 vcc, s2, v28
	v_subbrev_co_u32_e32 v32, vcc, 0, v24, vcc
	v_sub_u32_e32 v24, 0, v32
	v_ldexp_f32 v25, v26, v24
	v_add_f32_e32 v26, -1.0, v25
	v_add_f32_e32 v28, 1.0, v25
	v_ldexp_f32 v24, v27, v24
	v_add_f32_e32 v27, 1.0, v26
	v_add_f32_e32 v29, -1.0, v28
	v_sub_f32_e32 v27, v25, v27
	v_sub_f32_e32 v25, v25, v29
	v_add_f32_e32 v27, v24, v27
	v_add_f32_e32 v24, v24, v25
	;; [unrolled: 1-line block ×3, first 2 shown]
	v_rcp_f32_e32 v35, v33
	v_sub_f32_e32 v25, v28, v33
	v_add_f32_e32 v34, v24, v25
	v_add_f32_e32 v25, v26, v27
	v_mul_f32_e32 v37, v25, v35
	v_sub_f32_e32 v24, v26, v25
	v_mul_f32_e32 v26, v33, v37
	v_fma_f32 v28, v37, v33, -v26
	v_fmac_f32_e32 v28, v37, v34
	v_add_f32_e32 v36, v27, v24
	v_add_f32_e32 v24, v26, v28
	v_sub_f32_e32 v27, v25, v24
	v_pk_add_f32 v[30:31], v[24:25], v[26:27] neg_lo:[0,1] neg_hi:[0,1]
	v_mov_b32_e32 v29, v24
	v_pk_add_f32 v[24:25], v[30:31], v[28:29] neg_lo:[0,1] neg_hi:[0,1]
	v_add_f32_e32 v25, v36, v25
	v_add_f32_e32 v24, v24, v25
	;; [unrolled: 1-line block ×3, first 2 shown]
	v_mul_f32_e32 v36, v35, v25
	v_mul_f32_e32 v26, v33, v36
	v_fma_f32 v28, v36, v33, -v26
	v_fmac_f32_e32 v28, v36, v34
	v_sub_f32_e32 v27, v27, v25
	v_add_f32_e32 v33, v24, v27
	v_add_f32_e32 v24, v26, v28
	v_sub_f32_e32 v27, v25, v24
	v_pk_add_f32 v[30:31], v[24:25], v[26:27] neg_lo:[0,1] neg_hi:[0,1]
	v_mov_b32_e32 v29, v24
	v_pk_add_f32 v[24:25], v[30:31], v[28:29] neg_lo:[0,1] neg_hi:[0,1]
	v_add_f32_e32 v25, v33, v25
	v_add_f32_e32 v24, v24, v25
	v_add_f32_e32 v24, v27, v24
	v_add_f32_e32 v27, v37, v36
	v_sub_f32_e32 v25, v27, v37
	v_mul_f32_e32 v24, v35, v24
	v_sub_f32_e32 v25, v36, v25
	v_add_f32_e32 v24, v25, v24
	v_add_f32_e32 v28, v27, v24
	v_mul_f32_e32 v30, v28, v28
	v_mov_b32_e32 v26, 0x3ecc95a3
	v_fmac_f32_e32 v26, 0x3e9b6dac, v30
	v_mov_b32_e32 v25, 0x3f2aaada
	v_fmac_f32_e32 v25, v30, v26
	v_cvt_f32_i32_e32 v26, v32
	v_sub_f32_e32 v27, v28, v27
	v_sub_f32_e32 v24, v24, v27
	v_ldexp_f32 v31, v24, 1
	v_mul_f32_e32 v27, v28, v30
	v_mov_b32_e32 v24, 0x3f317218
	s_mov_b32 s2, 0x3f317218
	v_pk_mul_f32 v[24:25], v[26:27], v[24:25]
	v_ldexp_f32 v29, v28, 1
	v_fma_f32 v28, v26, s2, -v24
	v_fmac_f32_e32 v28, 0xb102e308, v26
	v_pk_add_f32 v[26:27], v[24:25], v[28:29]
	v_sub_f32_e32 v29, v27, v29
	v_sub_f32_e32 v29, v25, v29
	v_add_f32_e32 v31, v31, v29
	v_mov_b32_e32 v30, v24
	v_pk_add_f32 v[24:25], v[26:27], v[24:25] neg_lo:[0,1] neg_hi:[0,1]
	v_pk_add_f32 v[32:33], v[26:27], v[30:31]
	v_mov_b32_e32 v25, v33
	v_mov_b32_e32 v29, v26
	v_pk_add_f32 v[34:35], v[28:29], v[24:25] neg_lo:[0,1] neg_hi:[0,1]
	v_pk_add_f32 v[24:25], v[28:29], v[24:25]
	v_mov_b32_e32 v28, v25
	v_pk_add_f32 v[36:37], v[28:29], v[26:27] neg_lo:[0,1] neg_hi:[0,1]
	v_mov_b32_e32 v29, v36
	v_pk_add_f32 v[40:41], v[32:33], v[28:29] neg_lo:[0,1] neg_hi:[0,1]
	v_mov_b32_e32 v24, v33
	v_mov_b32_e32 v32, v27
	;; [unrolled: 1-line block ×4, first 2 shown]
	v_pk_add_f32 v[24:25], v[24:25], v[32:33] neg_lo:[0,1] neg_hi:[0,1]
	v_mov_b32_e32 v30, v31
	v_mov_b32_e32 v31, v26
	v_pk_add_f32 v[24:25], v[30:31], v[24:25] neg_lo:[0,1] neg_hi:[0,1]
	v_mov_b32_e32 v40, v34
	v_pk_add_f32 v[26:27], v[40:41], v[24:25]
	v_mov_b32_e32 v30, v27
	v_pk_add_f32 v[30:31], v[26:27], v[30:31]
	v_pk_add_f32 v[28:29], v[28:29], v[30:31]
	v_mov_b32_e32 v27, v28
	v_pk_add_f32 v[32:33], v[26:27], v[34:35] neg_lo:[0,1] neg_hi:[0,1]
	v_mov_b32_e32 v25, v30
	v_sub_f32_e32 v26, v26, v32
	v_pk_add_f32 v[24:25], v[24:25], v[32:33] neg_lo:[0,1] neg_hi:[0,1]
	v_sub_f32_e32 v26, v34, v26
	s_mov_b32 s3, 0x7f800000
	v_add_f32_e32 v24, v24, v26
	s_mov_b32 s2, 0x33800000
	v_add_f32_e32 v24, v24, v25
	v_cmp_eq_f32_e32 vcc, s3, v38
	v_cmp_lt_f32_e64 s[2:3], |v38|, s2
	v_add_f32_e32 v24, v28, v24
	s_or_b64 vcc, vcc, s[2:3]
	v_cndmask_b32_e32 v24, v24, v38, vcc
	v_add_f32_e32 v25, v6, v24
.LBB502_160:
	s_or_b64 exec, exec, s[0:1]
	v_bfe_u32 v6, v25, 16, 1
	v_add3_u32 v6, v25, v6, s5
	v_lshrrev_b32_e32 v6, 16, v6
	v_mov_b32_e32 v24, 0x7fc0
	v_cmp_o_f32_e32 vcc, v25, v25
	v_cndmask_b32_e32 v6, v24, v6, vcc
	v_lshlrev_b32_e32 v26, 16, v6
	v_max_f32_e32 v25, v26, v26
	v_min_f32_e32 v27, v25, v43
	v_cmp_u_f32_e32 vcc, v26, v26
	v_max_f32_e32 v25, v25, v43
	v_cndmask_b32_e32 v27, v27, v26, vcc
	v_cndmask_b32_e32 v25, v25, v26, vcc
	v_cndmask_b32_e64 v27, v27, v39, s[82:83]
	v_cndmask_b32_e64 v25, v25, v39, s[82:83]
	v_cmp_neq_f32_e32 vcc, v27, v25
	v_cmp_class_f32_e64 s[0:1], v27, s4
	s_or_b64 s[2:3], vcc, s[0:1]
	s_and_saveexec_b64 s[0:1], s[2:3]
	s_cbranch_execz .LBB502_162
; %bb.161:
	v_sub_f32_e32 v26, v27, v25
	s_mov_b32 s2, 0x3fb8aa3b
	v_mul_f32_e32 v27, 0x3fb8aa3b, v26
	v_fma_f32 v28, v26, s2, -v27
	v_rndne_f32_e32 v29, v27
	v_fmac_f32_e32 v28, 0x32a5705f, v26
	v_sub_f32_e32 v27, v27, v29
	v_add_f32_e32 v27, v27, v28
	v_exp_f32_e32 v27, v27
	v_cvt_i32_f32_e32 v28, v29
	s_mov_b32 s2, 0xc2ce8ed0
	v_cmp_ngt_f32_e32 vcc, s2, v26
	s_mov_b32 s2, 0x42b17218
	v_ldexp_f32 v27, v27, v28
	v_cndmask_b32_e32 v27, 0, v27, vcc
	v_mov_b32_e32 v28, 0x7f800000
	v_cmp_nlt_f32_e32 vcc, s2, v26
	v_cndmask_b32_e32 v43, v28, v27, vcc
	v_add_f32_e32 v28, 1.0, v43
	v_add_f32_e32 v26, -1.0, v28
	v_sub_f32_e32 v27, v26, v28
	v_add_f32_e32 v27, 1.0, v27
	v_sub_f32_e32 v26, v43, v26
	v_add_f32_e32 v29, v26, v27
	v_frexp_mant_f32_e32 v30, v28
	s_mov_b32 s2, 0x3f2aaaab
	v_cvt_f64_f32_e32 v[26:27], v28
	v_frexp_exp_i32_f64_e32 v26, v[26:27]
	v_cmp_gt_f32_e32 vcc, s2, v30
	v_subbrev_co_u32_e32 v34, vcc, 0, v26, vcc
	v_sub_u32_e32 v26, 0, v34
	v_ldexp_f32 v27, v28, v26
	v_add_f32_e32 v28, -1.0, v27
	v_add_f32_e32 v30, 1.0, v27
	v_ldexp_f32 v26, v29, v26
	v_add_f32_e32 v29, 1.0, v28
	v_add_f32_e32 v31, -1.0, v30
	v_sub_f32_e32 v29, v27, v29
	v_sub_f32_e32 v27, v27, v31
	v_add_f32_e32 v29, v26, v29
	v_add_f32_e32 v26, v26, v27
	;; [unrolled: 1-line block ×3, first 2 shown]
	v_rcp_f32_e32 v37, v35
	v_sub_f32_e32 v27, v30, v35
	v_add_f32_e32 v36, v26, v27
	v_add_f32_e32 v27, v28, v29
	v_mul_f32_e32 v39, v27, v37
	v_sub_f32_e32 v26, v28, v27
	v_mul_f32_e32 v28, v35, v39
	v_fma_f32 v30, v39, v35, -v28
	v_fmac_f32_e32 v30, v39, v36
	v_add_f32_e32 v38, v29, v26
	v_add_f32_e32 v26, v28, v30
	v_sub_f32_e32 v29, v27, v26
	v_pk_add_f32 v[32:33], v[26:27], v[28:29] neg_lo:[0,1] neg_hi:[0,1]
	v_mov_b32_e32 v31, v26
	v_pk_add_f32 v[26:27], v[32:33], v[30:31] neg_lo:[0,1] neg_hi:[0,1]
	v_add_f32_e32 v27, v38, v27
	v_add_f32_e32 v26, v26, v27
	;; [unrolled: 1-line block ×3, first 2 shown]
	v_mul_f32_e32 v38, v37, v27
	v_mul_f32_e32 v28, v35, v38
	v_fma_f32 v30, v38, v35, -v28
	v_fmac_f32_e32 v30, v38, v36
	v_sub_f32_e32 v29, v29, v27
	v_add_f32_e32 v35, v26, v29
	v_add_f32_e32 v26, v28, v30
	v_sub_f32_e32 v29, v27, v26
	v_pk_add_f32 v[32:33], v[26:27], v[28:29] neg_lo:[0,1] neg_hi:[0,1]
	v_mov_b32_e32 v31, v26
	v_pk_add_f32 v[26:27], v[32:33], v[30:31] neg_lo:[0,1] neg_hi:[0,1]
	v_add_f32_e32 v27, v35, v27
	v_add_f32_e32 v26, v26, v27
	;; [unrolled: 1-line block ×4, first 2 shown]
	v_sub_f32_e32 v27, v29, v39
	v_mul_f32_e32 v26, v37, v26
	v_sub_f32_e32 v27, v38, v27
	v_add_f32_e32 v26, v27, v26
	v_add_f32_e32 v30, v29, v26
	v_mul_f32_e32 v32, v30, v30
	v_mov_b32_e32 v28, 0x3ecc95a3
	v_fmac_f32_e32 v28, 0x3e9b6dac, v32
	v_mov_b32_e32 v27, 0x3f2aaada
	v_fmac_f32_e32 v27, v32, v28
	v_cvt_f32_i32_e32 v28, v34
	v_sub_f32_e32 v29, v30, v29
	v_sub_f32_e32 v26, v26, v29
	v_ldexp_f32 v33, v26, 1
	v_mul_f32_e32 v29, v30, v32
	v_mov_b32_e32 v26, 0x3f317218
	s_mov_b32 s2, 0x3f317218
	v_pk_mul_f32 v[26:27], v[28:29], v[26:27]
	v_ldexp_f32 v31, v30, 1
	v_fma_f32 v30, v28, s2, -v26
	v_fmac_f32_e32 v30, 0xb102e308, v28
	v_pk_add_f32 v[28:29], v[26:27], v[30:31]
	v_sub_f32_e32 v31, v29, v31
	v_sub_f32_e32 v31, v27, v31
	v_add_f32_e32 v33, v33, v31
	v_mov_b32_e32 v32, v26
	v_pk_add_f32 v[26:27], v[28:29], v[26:27] neg_lo:[0,1] neg_hi:[0,1]
	v_pk_add_f32 v[34:35], v[28:29], v[32:33]
	v_mov_b32_e32 v27, v35
	v_mov_b32_e32 v31, v28
	v_pk_add_f32 v[36:37], v[30:31], v[26:27] neg_lo:[0,1] neg_hi:[0,1]
	v_pk_add_f32 v[26:27], v[30:31], v[26:27]
	v_mov_b32_e32 v30, v27
	v_pk_add_f32 v[38:39], v[30:31], v[28:29] neg_lo:[0,1] neg_hi:[0,1]
	v_mov_b32_e32 v31, v38
	v_pk_add_f32 v[40:41], v[34:35], v[30:31] neg_lo:[0,1] neg_hi:[0,1]
	v_mov_b32_e32 v26, v35
	v_mov_b32_e32 v34, v29
	;; [unrolled: 1-line block ×4, first 2 shown]
	v_pk_add_f32 v[26:27], v[26:27], v[34:35] neg_lo:[0,1] neg_hi:[0,1]
	v_mov_b32_e32 v32, v33
	v_mov_b32_e32 v33, v28
	v_pk_add_f32 v[26:27], v[32:33], v[26:27] neg_lo:[0,1] neg_hi:[0,1]
	v_mov_b32_e32 v40, v36
	v_pk_add_f32 v[28:29], v[40:41], v[26:27]
	v_mov_b32_e32 v32, v29
	v_pk_add_f32 v[32:33], v[28:29], v[32:33]
	v_pk_add_f32 v[30:31], v[30:31], v[32:33]
	v_mov_b32_e32 v29, v30
	v_pk_add_f32 v[34:35], v[28:29], v[36:37] neg_lo:[0,1] neg_hi:[0,1]
	v_mov_b32_e32 v27, v32
	v_sub_f32_e32 v28, v28, v34
	v_pk_add_f32 v[26:27], v[26:27], v[34:35] neg_lo:[0,1] neg_hi:[0,1]
	v_sub_f32_e32 v28, v36, v28
	s_mov_b32 s3, 0x7f800000
	v_add_f32_e32 v26, v26, v28
	s_mov_b32 s2, 0x33800000
	v_add_f32_e32 v26, v26, v27
	v_cmp_eq_f32_e32 vcc, s3, v43
	v_cmp_lt_f32_e64 s[2:3], |v43|, s2
	v_add_f32_e32 v26, v30, v26
	s_or_b64 vcc, vcc, s[2:3]
	v_cndmask_b32_e32 v26, v26, v43, vcc
	v_add_f32_e32 v26, v25, v26
.LBB502_162:
	s_or_b64 exec, exec, s[0:1]
	v_bfe_u32 v25, v26, 16, 1
	v_add3_u32 v25, v26, v25, s5
	v_lshrrev_b32_e32 v25, 16, v25
	v_cmp_o_f32_e32 vcc, v26, v26
	v_cndmask_b32_e32 v24, v24, v25, vcc
	v_lshlrev_b32_e32 v26, 16, v24
	v_max_f32_e32 v27, v26, v26
	v_min_f32_e32 v25, v27, v44
	v_cmp_u_f32_e32 vcc, v26, v26
	v_max_f32_e32 v27, v27, v44
	v_cndmask_b32_e32 v25, v25, v26, vcc
	v_cndmask_b32_e32 v27, v27, v26, vcc
	v_cndmask_b32_e64 v25, v25, v7, s[84:85]
	v_cndmask_b32_e64 v7, v27, v7, s[84:85]
	v_cmp_neq_f32_e32 vcc, v25, v7
	v_cmp_class_f32_e64 s[0:1], v25, s4
	s_or_b64 s[2:3], vcc, s[0:1]
	s_and_saveexec_b64 s[0:1], s[2:3]
	s_cbranch_execz .LBB502_164
; %bb.163:
	v_sub_f32_e32 v25, v25, v7
	s_mov_b32 s2, 0x3fb8aa3b
	v_mul_f32_e32 v26, 0x3fb8aa3b, v25
	v_fma_f32 v27, v25, s2, -v26
	v_rndne_f32_e32 v28, v26
	v_fmac_f32_e32 v27, 0x32a5705f, v25
	v_sub_f32_e32 v26, v26, v28
	v_add_f32_e32 v26, v26, v27
	v_exp_f32_e32 v26, v26
	v_cvt_i32_f32_e32 v27, v28
	s_mov_b32 s2, 0xc2ce8ed0
	v_cmp_ngt_f32_e32 vcc, s2, v25
	s_mov_b32 s2, 0x42b17218
	v_ldexp_f32 v26, v26, v27
	v_cndmask_b32_e32 v26, 0, v26, vcc
	v_mov_b32_e32 v27, 0x7f800000
	v_cmp_nlt_f32_e32 vcc, s2, v25
	v_cndmask_b32_e32 v43, v27, v26, vcc
	v_add_f32_e32 v25, 1.0, v43
	v_add_f32_e32 v26, -1.0, v25
	v_sub_f32_e32 v27, v26, v25
	v_add_f32_e32 v27, 1.0, v27
	v_sub_f32_e32 v26, v43, v26
	v_add_f32_e32 v28, v26, v27
	v_frexp_mant_f32_e32 v29, v25
	s_mov_b32 s2, 0x3f2aaaab
	v_cvt_f64_f32_e32 v[26:27], v25
	v_frexp_exp_i32_f64_e32 v26, v[26:27]
	v_cmp_gt_f32_e32 vcc, s2, v29
	v_subbrev_co_u32_e32 v34, vcc, 0, v26, vcc
	v_sub_u32_e32 v26, 0, v34
	v_ldexp_f32 v25, v25, v26
	v_ldexp_f32 v26, v28, v26
	v_add_f32_e32 v28, -1.0, v25
	v_add_f32_e32 v27, 1.0, v28
	v_sub_f32_e32 v27, v25, v27
	v_add_f32_e32 v29, v26, v27
	v_add_f32_e32 v27, 1.0, v25
	v_add_f32_e32 v30, -1.0, v27
	v_sub_f32_e32 v25, v25, v30
	v_add_f32_e32 v25, v26, v25
	v_add_f32_e32 v35, v27, v25
	v_rcp_f32_e32 v36, v35
	v_sub_f32_e32 v26, v27, v35
	v_add_f32_e32 v27, v28, v29
	v_add_f32_e32 v25, v25, v26
	v_mul_f32_e32 v38, v27, v36
	v_sub_f32_e32 v26, v28, v27
	v_mul_f32_e32 v28, v35, v38
	v_fma_f32 v30, v38, v35, -v28
	v_fmac_f32_e32 v30, v38, v25
	v_add_f32_e32 v37, v29, v26
	v_add_f32_e32 v26, v28, v30
	v_sub_f32_e32 v29, v27, v26
	v_pk_add_f32 v[32:33], v[26:27], v[28:29] neg_lo:[0,1] neg_hi:[0,1]
	v_mov_b32_e32 v31, v26
	v_pk_add_f32 v[26:27], v[32:33], v[30:31] neg_lo:[0,1] neg_hi:[0,1]
	v_add_f32_e32 v27, v37, v27
	v_add_f32_e32 v26, v26, v27
	;; [unrolled: 1-line block ×3, first 2 shown]
	v_mul_f32_e32 v37, v36, v27
	v_mul_f32_e32 v28, v35, v37
	v_fma_f32 v30, v37, v35, -v28
	v_fmac_f32_e32 v30, v37, v25
	v_sub_f32_e32 v25, v29, v27
	v_add_f32_e32 v25, v26, v25
	v_add_f32_e32 v26, v28, v30
	v_sub_f32_e32 v29, v27, v26
	v_pk_add_f32 v[32:33], v[26:27], v[28:29] neg_lo:[0,1] neg_hi:[0,1]
	v_mov_b32_e32 v31, v26
	v_pk_add_f32 v[26:27], v[32:33], v[30:31] neg_lo:[0,1] neg_hi:[0,1]
	v_add_f32_e32 v25, v25, v27
	v_add_f32_e32 v25, v26, v25
	;; [unrolled: 1-line block ×4, first 2 shown]
	v_sub_f32_e32 v27, v26, v38
	v_mul_f32_e32 v25, v36, v25
	v_sub_f32_e32 v27, v37, v27
	v_add_f32_e32 v25, v27, v25
	v_add_f32_e32 v29, v26, v25
	v_mul_f32_e32 v30, v29, v29
	v_mov_b32_e32 v28, 0x3ecc95a3
	v_fmac_f32_e32 v28, 0x3e9b6dac, v30
	v_mov_b32_e32 v27, 0x3f2aaada
	v_fmac_f32_e32 v27, v30, v28
	v_cvt_f32_i32_e32 v28, v34
	v_sub_f32_e32 v26, v29, v26
	v_sub_f32_e32 v25, v25, v26
	v_ldexp_f32 v31, v29, 1
	v_mul_f32_e32 v29, v29, v30
	v_mov_b32_e32 v26, 0x3f317218
	s_mov_b32 s2, 0x3f317218
	v_pk_mul_f32 v[26:27], v[28:29], v[26:27]
	v_fma_f32 v30, v28, s2, -v26
	v_fmac_f32_e32 v30, 0xb102e308, v28
	v_pk_add_f32 v[28:29], v[26:27], v[30:31]
	v_sub_f32_e32 v31, v29, v31
	v_ldexp_f32 v25, v25, 1
	v_sub_f32_e32 v31, v27, v31
	v_add_f32_e32 v33, v25, v31
	v_mov_b32_e32 v32, v26
	v_pk_add_f32 v[26:27], v[28:29], v[26:27] neg_lo:[0,1] neg_hi:[0,1]
	v_pk_add_f32 v[34:35], v[28:29], v[32:33]
	v_mov_b32_e32 v27, v35
	v_mov_b32_e32 v31, v28
	v_pk_add_f32 v[36:37], v[30:31], v[26:27] neg_lo:[0,1] neg_hi:[0,1]
	v_pk_add_f32 v[26:27], v[30:31], v[26:27]
	v_mov_b32_e32 v30, v27
	v_pk_add_f32 v[38:39], v[30:31], v[28:29] neg_lo:[0,1] neg_hi:[0,1]
	v_mov_b32_e32 v25, v38
	v_pk_add_f32 v[40:41], v[34:35], v[24:25] neg_lo:[0,1] neg_hi:[0,1]
	v_mov_b32_e32 v26, v35
	v_mov_b32_e32 v34, v29
	;; [unrolled: 1-line block ×4, first 2 shown]
	v_pk_add_f32 v[26:27], v[26:27], v[34:35] neg_lo:[0,1] neg_hi:[0,1]
	v_mov_b32_e32 v32, v33
	v_mov_b32_e32 v33, v28
	v_pk_add_f32 v[26:27], v[32:33], v[26:27] neg_lo:[0,1] neg_hi:[0,1]
	v_mov_b32_e32 v40, v36
	v_pk_add_f32 v[28:29], v[40:41], v[26:27]
	v_mov_b32_e32 v32, v29
	v_pk_add_f32 v[32:33], v[28:29], v[32:33]
	v_pk_add_f32 v[30:31], v[30:31], v[32:33]
	v_mov_b32_e32 v29, v30
	v_pk_add_f32 v[34:35], v[28:29], v[36:37] neg_lo:[0,1] neg_hi:[0,1]
	v_mov_b32_e32 v27, v32
	v_sub_f32_e32 v25, v28, v34
	v_pk_add_f32 v[26:27], v[26:27], v[34:35] neg_lo:[0,1] neg_hi:[0,1]
	v_sub_f32_e32 v25, v36, v25
	s_mov_b32 s3, 0x7f800000
	v_add_f32_e32 v25, v26, v25
	s_mov_b32 s2, 0x33800000
	v_add_f32_e32 v25, v25, v27
	v_cmp_eq_f32_e32 vcc, s3, v43
	v_cmp_lt_f32_e64 s[2:3], |v43|, s2
	v_add_f32_e32 v25, v30, v25
	s_or_b64 vcc, vcc, s[2:3]
	v_cndmask_b32_e32 v25, v25, v43, vcc
	v_add_f32_e32 v26, v7, v25
.LBB502_164:
	s_or_b64 exec, exec, s[0:1]
	v_bfe_u32 v7, v26, 16, 1
	v_add3_u32 v7, v26, v7, s5
	v_lshrrev_b32_e32 v7, 16, v7
	v_mov_b32_e32 v25, 0x7fc0
	v_cmp_o_f32_e32 vcc, v26, v26
	v_cndmask_b32_e32 v7, v25, v7, vcc
	v_lshlrev_b32_e32 v27, 16, v7
	v_max_f32_e32 v26, v27, v27
	v_min_f32_e32 v28, v26, v46
	v_cmp_u_f32_e32 vcc, v27, v27
	v_max_f32_e32 v26, v26, v46
	v_cndmask_b32_e32 v28, v28, v27, vcc
	v_cndmask_b32_e32 v26, v26, v27, vcc
	v_cndmask_b32_e64 v28, v28, v42, s[86:87]
	v_cndmask_b32_e64 v26, v26, v42, s[86:87]
	v_cmp_neq_f32_e32 vcc, v28, v26
	v_cmp_class_f32_e64 s[0:1], v28, s4
	s_or_b64 s[2:3], vcc, s[0:1]
	s_and_saveexec_b64 s[0:1], s[2:3]
	s_cbranch_execz .LBB502_166
; %bb.165:
	v_sub_f32_e32 v27, v28, v26
	s_mov_b32 s2, 0x3fb8aa3b
	v_mul_f32_e32 v28, 0x3fb8aa3b, v27
	v_fma_f32 v29, v27, s2, -v28
	v_rndne_f32_e32 v30, v28
	v_fmac_f32_e32 v29, 0x32a5705f, v27
	v_sub_f32_e32 v28, v28, v30
	v_add_f32_e32 v28, v28, v29
	v_exp_f32_e32 v28, v28
	v_cvt_i32_f32_e32 v29, v30
	s_mov_b32 s2, 0xc2ce8ed0
	v_cmp_ngt_f32_e32 vcc, s2, v27
	s_mov_b32 s2, 0x42b17218
	v_ldexp_f32 v28, v28, v29
	v_cndmask_b32_e32 v28, 0, v28, vcc
	v_mov_b32_e32 v29, 0x7f800000
	v_cmp_nlt_f32_e32 vcc, s2, v27
	v_cndmask_b32_e32 v44, v29, v28, vcc
	v_add_f32_e32 v27, 1.0, v44
	v_add_f32_e32 v28, -1.0, v27
	v_sub_f32_e32 v29, v28, v27
	v_add_f32_e32 v29, 1.0, v29
	v_sub_f32_e32 v28, v44, v28
	v_add_f32_e32 v30, v28, v29
	v_frexp_mant_f32_e32 v31, v27
	s_mov_b32 s2, 0x3f2aaaab
	v_cvt_f64_f32_e32 v[28:29], v27
	v_frexp_exp_i32_f64_e32 v28, v[28:29]
	v_cmp_gt_f32_e32 vcc, s2, v31
	v_subbrev_co_u32_e32 v36, vcc, 0, v28, vcc
	v_sub_u32_e32 v28, 0, v36
	v_ldexp_f32 v27, v27, v28
	v_ldexp_f32 v28, v30, v28
	v_add_f32_e32 v30, -1.0, v27
	v_add_f32_e32 v29, 1.0, v30
	v_sub_f32_e32 v29, v27, v29
	v_add_f32_e32 v31, v28, v29
	v_add_f32_e32 v29, 1.0, v27
	v_add_f32_e32 v32, -1.0, v29
	v_sub_f32_e32 v27, v27, v32
	v_add_f32_e32 v27, v28, v27
	v_add_f32_e32 v37, v29, v27
	v_rcp_f32_e32 v38, v37
	v_sub_f32_e32 v28, v29, v37
	v_add_f32_e32 v29, v30, v31
	v_add_f32_e32 v27, v27, v28
	v_mul_f32_e32 v40, v29, v38
	v_sub_f32_e32 v28, v30, v29
	v_mul_f32_e32 v30, v37, v40
	v_fma_f32 v32, v40, v37, -v30
	v_fmac_f32_e32 v32, v40, v27
	v_add_f32_e32 v39, v31, v28
	v_add_f32_e32 v28, v30, v32
	v_sub_f32_e32 v31, v29, v28
	v_pk_add_f32 v[34:35], v[28:29], v[30:31] neg_lo:[0,1] neg_hi:[0,1]
	v_mov_b32_e32 v33, v28
	v_pk_add_f32 v[28:29], v[34:35], v[32:33] neg_lo:[0,1] neg_hi:[0,1]
	v_add_f32_e32 v29, v39, v29
	v_add_f32_e32 v28, v28, v29
	;; [unrolled: 1-line block ×3, first 2 shown]
	v_mul_f32_e32 v39, v38, v29
	v_mul_f32_e32 v30, v37, v39
	v_fma_f32 v32, v39, v37, -v30
	v_fmac_f32_e32 v32, v39, v27
	v_sub_f32_e32 v27, v31, v29
	v_add_f32_e32 v27, v28, v27
	v_add_f32_e32 v28, v30, v32
	v_sub_f32_e32 v31, v29, v28
	v_pk_add_f32 v[34:35], v[28:29], v[30:31] neg_lo:[0,1] neg_hi:[0,1]
	v_mov_b32_e32 v33, v28
	v_pk_add_f32 v[28:29], v[34:35], v[32:33] neg_lo:[0,1] neg_hi:[0,1]
	v_add_f32_e32 v27, v27, v29
	v_add_f32_e32 v27, v28, v27
	;; [unrolled: 1-line block ×4, first 2 shown]
	v_sub_f32_e32 v29, v28, v40
	v_mul_f32_e32 v27, v38, v27
	v_sub_f32_e32 v29, v39, v29
	v_add_f32_e32 v27, v29, v27
	v_add_f32_e32 v31, v28, v27
	v_mul_f32_e32 v32, v31, v31
	v_mov_b32_e32 v30, 0x3ecc95a3
	v_fmac_f32_e32 v30, 0x3e9b6dac, v32
	v_mov_b32_e32 v29, 0x3f2aaada
	v_fmac_f32_e32 v29, v32, v30
	v_cvt_f32_i32_e32 v30, v36
	v_sub_f32_e32 v28, v31, v28
	v_sub_f32_e32 v27, v27, v28
	v_ldexp_f32 v33, v31, 1
	v_mul_f32_e32 v31, v31, v32
	v_mov_b32_e32 v28, 0x3f317218
	s_mov_b32 s2, 0x3f317218
	v_pk_mul_f32 v[28:29], v[30:31], v[28:29]
	v_fma_f32 v32, v30, s2, -v28
	v_fmac_f32_e32 v32, 0xb102e308, v30
	v_pk_add_f32 v[30:31], v[28:29], v[32:33]
	v_sub_f32_e32 v33, v31, v33
	v_ldexp_f32 v27, v27, 1
	v_sub_f32_e32 v33, v29, v33
	v_add_f32_e32 v35, v27, v33
	v_mov_b32_e32 v34, v28
	v_pk_add_f32 v[28:29], v[30:31], v[28:29] neg_lo:[0,1] neg_hi:[0,1]
	v_pk_add_f32 v[36:37], v[30:31], v[34:35]
	v_mov_b32_e32 v29, v37
	v_mov_b32_e32 v33, v30
	v_pk_add_f32 v[38:39], v[32:33], v[28:29] neg_lo:[0,1] neg_hi:[0,1]
	v_pk_add_f32 v[28:29], v[32:33], v[28:29]
	v_mov_b32_e32 v32, v29
	v_pk_add_f32 v[40:41], v[32:33], v[30:31] neg_lo:[0,1] neg_hi:[0,1]
	v_mov_b32_e32 v27, v40
	v_pk_add_f32 v[42:43], v[36:37], v[26:27] neg_lo:[0,1] neg_hi:[0,1]
	v_mov_b32_e32 v28, v37
	v_mov_b32_e32 v36, v31
	;; [unrolled: 1-line block ×4, first 2 shown]
	v_pk_add_f32 v[28:29], v[28:29], v[36:37] neg_lo:[0,1] neg_hi:[0,1]
	v_mov_b32_e32 v34, v35
	v_mov_b32_e32 v35, v30
	v_pk_add_f32 v[28:29], v[34:35], v[28:29] neg_lo:[0,1] neg_hi:[0,1]
	v_mov_b32_e32 v42, v38
	v_pk_add_f32 v[30:31], v[42:43], v[28:29]
	v_mov_b32_e32 v34, v31
	v_pk_add_f32 v[34:35], v[30:31], v[34:35]
	v_pk_add_f32 v[32:33], v[32:33], v[34:35]
	v_mov_b32_e32 v31, v32
	v_pk_add_f32 v[36:37], v[30:31], v[38:39] neg_lo:[0,1] neg_hi:[0,1]
	v_mov_b32_e32 v29, v34
	v_sub_f32_e32 v27, v30, v36
	v_pk_add_f32 v[28:29], v[28:29], v[36:37] neg_lo:[0,1] neg_hi:[0,1]
	v_sub_f32_e32 v27, v38, v27
	s_mov_b32 s3, 0x7f800000
	v_add_f32_e32 v27, v28, v27
	s_mov_b32 s2, 0x33800000
	v_add_f32_e32 v27, v27, v29
	v_cmp_eq_f32_e32 vcc, s3, v44
	v_cmp_lt_f32_e64 s[2:3], |v44|, s2
	v_add_f32_e32 v27, v32, v27
	s_or_b64 vcc, vcc, s[2:3]
	v_cndmask_b32_e32 v27, v27, v44, vcc
	v_add_f32_e32 v27, v26, v27
.LBB502_166:
	s_or_b64 exec, exec, s[0:1]
	v_bfe_u32 v26, v27, 16, 1
	v_add3_u32 v26, v27, v26, s5
	v_lshrrev_b32_e32 v26, 16, v26
	v_cmp_o_f32_e32 vcc, v27, v27
	v_cndmask_b32_e32 v25, v25, v26, vcc
	v_lshlrev_b32_e32 v27, 16, v25
	v_max_f32_e32 v28, v27, v27
	v_min_f32_e32 v26, v28, v47
	v_cmp_u_f32_e32 vcc, v27, v27
	v_max_f32_e32 v28, v28, v47
	v_cndmask_b32_e32 v26, v26, v27, vcc
	v_cndmask_b32_e32 v28, v28, v27, vcc
	v_cndmask_b32_e64 v26, v26, v8, s[88:89]
	v_cndmask_b32_e64 v8, v28, v8, s[88:89]
	v_cmp_neq_f32_e32 vcc, v26, v8
	v_cmp_class_f32_e64 s[0:1], v26, s4
	s_or_b64 s[2:3], vcc, s[0:1]
	s_and_saveexec_b64 s[0:1], s[2:3]
	s_cbranch_execz .LBB502_168
; %bb.167:
	v_sub_f32_e32 v26, v26, v8
	s_mov_b32 s2, 0x3fb8aa3b
	v_mul_f32_e32 v27, 0x3fb8aa3b, v26
	v_fma_f32 v28, v26, s2, -v27
	v_rndne_f32_e32 v29, v27
	v_fmac_f32_e32 v28, 0x32a5705f, v26
	v_sub_f32_e32 v27, v27, v29
	v_add_f32_e32 v27, v27, v28
	v_exp_f32_e32 v27, v27
	v_cvt_i32_f32_e32 v28, v29
	s_mov_b32 s2, 0xc2ce8ed0
	v_cmp_ngt_f32_e32 vcc, s2, v26
	s_mov_b32 s2, 0x42b17218
	v_ldexp_f32 v27, v27, v28
	v_cndmask_b32_e32 v27, 0, v27, vcc
	v_mov_b32_e32 v28, 0x7f800000
	v_cmp_nlt_f32_e32 vcc, s2, v26
	v_cndmask_b32_e32 v42, v28, v27, vcc
	v_add_f32_e32 v28, 1.0, v42
	v_add_f32_e32 v26, -1.0, v28
	v_sub_f32_e32 v27, v26, v28
	v_add_f32_e32 v27, 1.0, v27
	v_sub_f32_e32 v26, v42, v26
	v_add_f32_e32 v29, v26, v27
	v_frexp_mant_f32_e32 v30, v28
	s_mov_b32 s2, 0x3f2aaaab
	v_cvt_f64_f32_e32 v[26:27], v28
	v_frexp_exp_i32_f64_e32 v26, v[26:27]
	v_cmp_gt_f32_e32 vcc, s2, v30
	v_subbrev_co_u32_e32 v34, vcc, 0, v26, vcc
	v_sub_u32_e32 v26, 0, v34
	v_ldexp_f32 v27, v28, v26
	v_add_f32_e32 v28, -1.0, v27
	v_add_f32_e32 v30, 1.0, v27
	v_ldexp_f32 v26, v29, v26
	v_add_f32_e32 v29, 1.0, v28
	v_add_f32_e32 v31, -1.0, v30
	v_sub_f32_e32 v29, v27, v29
	v_sub_f32_e32 v27, v27, v31
	v_add_f32_e32 v29, v26, v29
	v_add_f32_e32 v26, v26, v27
	;; [unrolled: 1-line block ×3, first 2 shown]
	v_rcp_f32_e32 v37, v35
	v_sub_f32_e32 v27, v30, v35
	v_add_f32_e32 v36, v26, v27
	v_add_f32_e32 v27, v28, v29
	v_mul_f32_e32 v39, v27, v37
	v_sub_f32_e32 v26, v28, v27
	v_mul_f32_e32 v28, v35, v39
	v_fma_f32 v30, v39, v35, -v28
	v_fmac_f32_e32 v30, v39, v36
	v_add_f32_e32 v38, v29, v26
	v_add_f32_e32 v26, v28, v30
	v_sub_f32_e32 v29, v27, v26
	v_pk_add_f32 v[32:33], v[26:27], v[28:29] neg_lo:[0,1] neg_hi:[0,1]
	v_mov_b32_e32 v31, v26
	v_pk_add_f32 v[26:27], v[32:33], v[30:31] neg_lo:[0,1] neg_hi:[0,1]
	v_add_f32_e32 v27, v38, v27
	v_add_f32_e32 v26, v26, v27
	;; [unrolled: 1-line block ×3, first 2 shown]
	v_mul_f32_e32 v38, v37, v27
	v_mul_f32_e32 v28, v35, v38
	v_fma_f32 v30, v38, v35, -v28
	v_fmac_f32_e32 v30, v38, v36
	v_sub_f32_e32 v29, v29, v27
	v_add_f32_e32 v35, v26, v29
	v_add_f32_e32 v26, v28, v30
	v_sub_f32_e32 v29, v27, v26
	v_pk_add_f32 v[32:33], v[26:27], v[28:29] neg_lo:[0,1] neg_hi:[0,1]
	v_mov_b32_e32 v31, v26
	v_pk_add_f32 v[26:27], v[32:33], v[30:31] neg_lo:[0,1] neg_hi:[0,1]
	v_add_f32_e32 v27, v35, v27
	v_add_f32_e32 v26, v26, v27
	;; [unrolled: 1-line block ×4, first 2 shown]
	v_sub_f32_e32 v27, v29, v39
	v_mul_f32_e32 v26, v37, v26
	v_sub_f32_e32 v27, v38, v27
	v_add_f32_e32 v26, v27, v26
	v_add_f32_e32 v30, v29, v26
	v_mul_f32_e32 v32, v30, v30
	v_mov_b32_e32 v28, 0x3ecc95a3
	v_fmac_f32_e32 v28, 0x3e9b6dac, v32
	v_mov_b32_e32 v27, 0x3f2aaada
	v_fmac_f32_e32 v27, v32, v28
	v_cvt_f32_i32_e32 v28, v34
	v_sub_f32_e32 v29, v30, v29
	v_sub_f32_e32 v26, v26, v29
	v_ldexp_f32 v33, v26, 1
	v_mul_f32_e32 v29, v30, v32
	v_mov_b32_e32 v26, 0x3f317218
	s_mov_b32 s2, 0x3f317218
	v_pk_mul_f32 v[26:27], v[28:29], v[26:27]
	v_ldexp_f32 v31, v30, 1
	v_fma_f32 v30, v28, s2, -v26
	v_fmac_f32_e32 v30, 0xb102e308, v28
	v_pk_add_f32 v[28:29], v[26:27], v[30:31]
	v_sub_f32_e32 v31, v29, v31
	v_sub_f32_e32 v31, v27, v31
	v_add_f32_e32 v33, v33, v31
	v_mov_b32_e32 v32, v26
	v_pk_add_f32 v[26:27], v[28:29], v[26:27] neg_lo:[0,1] neg_hi:[0,1]
	v_pk_add_f32 v[34:35], v[28:29], v[32:33]
	v_mov_b32_e32 v27, v35
	v_mov_b32_e32 v31, v28
	v_pk_add_f32 v[36:37], v[30:31], v[26:27] neg_lo:[0,1] neg_hi:[0,1]
	v_pk_add_f32 v[26:27], v[30:31], v[26:27]
	v_mov_b32_e32 v30, v27
	v_pk_add_f32 v[38:39], v[30:31], v[28:29] neg_lo:[0,1] neg_hi:[0,1]
	v_mov_b32_e32 v31, v38
	v_pk_add_f32 v[40:41], v[34:35], v[30:31] neg_lo:[0,1] neg_hi:[0,1]
	v_mov_b32_e32 v26, v35
	v_mov_b32_e32 v34, v29
	;; [unrolled: 1-line block ×4, first 2 shown]
	v_pk_add_f32 v[26:27], v[26:27], v[34:35] neg_lo:[0,1] neg_hi:[0,1]
	v_mov_b32_e32 v32, v33
	v_mov_b32_e32 v33, v28
	v_pk_add_f32 v[26:27], v[32:33], v[26:27] neg_lo:[0,1] neg_hi:[0,1]
	v_mov_b32_e32 v40, v36
	v_pk_add_f32 v[28:29], v[40:41], v[26:27]
	v_mov_b32_e32 v32, v29
	v_pk_add_f32 v[32:33], v[28:29], v[32:33]
	v_pk_add_f32 v[30:31], v[30:31], v[32:33]
	v_mov_b32_e32 v29, v30
	v_pk_add_f32 v[34:35], v[28:29], v[36:37] neg_lo:[0,1] neg_hi:[0,1]
	v_mov_b32_e32 v27, v32
	v_sub_f32_e32 v28, v28, v34
	v_pk_add_f32 v[26:27], v[26:27], v[34:35] neg_lo:[0,1] neg_hi:[0,1]
	v_sub_f32_e32 v28, v36, v28
	s_mov_b32 s3, 0x7f800000
	v_add_f32_e32 v26, v26, v28
	s_mov_b32 s2, 0x33800000
	v_add_f32_e32 v26, v26, v27
	v_cmp_eq_f32_e32 vcc, s3, v42
	v_cmp_lt_f32_e64 s[2:3], |v42|, s2
	v_add_f32_e32 v26, v30, v26
	s_or_b64 vcc, vcc, s[2:3]
	v_cndmask_b32_e32 v26, v26, v42, vcc
	v_add_f32_e32 v27, v8, v26
.LBB502_168:
	s_or_b64 exec, exec, s[0:1]
	v_bfe_u32 v8, v27, 16, 1
	v_add3_u32 v8, v27, v8, s5
	v_lshrrev_b32_e32 v8, 16, v8
	v_mov_b32_e32 v26, 0x7fc0
	v_cmp_o_f32_e32 vcc, v27, v27
	v_cndmask_b32_e32 v8, v26, v8, vcc
	v_lshlrev_b32_e32 v28, 16, v8
	v_max_f32_e32 v27, v28, v28
	v_min_f32_e32 v29, v27, v48
	v_cmp_u_f32_e32 vcc, v28, v28
	v_max_f32_e32 v27, v27, v48
	v_cndmask_b32_e32 v29, v29, v28, vcc
	v_cndmask_b32_e32 v27, v27, v28, vcc
	v_cndmask_b32_e64 v29, v29, v45, s[90:91]
	v_cndmask_b32_e64 v27, v27, v45, s[90:91]
	v_cmp_neq_f32_e32 vcc, v29, v27
	v_cmp_class_f32_e64 s[0:1], v29, s4
	s_or_b64 s[2:3], vcc, s[0:1]
	s_and_saveexec_b64 s[0:1], s[2:3]
	s_cbranch_execz .LBB502_170
; %bb.169:
	v_sub_f32_e32 v28, v29, v27
	s_mov_b32 s2, 0x3fb8aa3b
	v_mul_f32_e32 v29, 0x3fb8aa3b, v28
	v_fma_f32 v30, v28, s2, -v29
	v_rndne_f32_e32 v31, v29
	v_fmac_f32_e32 v30, 0x32a5705f, v28
	v_sub_f32_e32 v29, v29, v31
	v_add_f32_e32 v29, v29, v30
	v_exp_f32_e32 v29, v29
	v_cvt_i32_f32_e32 v30, v31
	s_mov_b32 s2, 0xc2ce8ed0
	v_cmp_ngt_f32_e32 vcc, s2, v28
	s_mov_b32 s2, 0x42b17218
	v_ldexp_f32 v29, v29, v30
	v_cndmask_b32_e32 v29, 0, v29, vcc
	v_mov_b32_e32 v30, 0x7f800000
	v_cmp_nlt_f32_e32 vcc, s2, v28
	v_cndmask_b32_e32 v44, v30, v29, vcc
	v_add_f32_e32 v30, 1.0, v44
	v_add_f32_e32 v28, -1.0, v30
	v_sub_f32_e32 v29, v28, v30
	v_add_f32_e32 v29, 1.0, v29
	v_sub_f32_e32 v28, v44, v28
	v_add_f32_e32 v31, v28, v29
	v_frexp_mant_f32_e32 v32, v30
	s_mov_b32 s2, 0x3f2aaaab
	v_cvt_f64_f32_e32 v[28:29], v30
	v_frexp_exp_i32_f64_e32 v28, v[28:29]
	v_cmp_gt_f32_e32 vcc, s2, v32
	v_subbrev_co_u32_e32 v36, vcc, 0, v28, vcc
	v_sub_u32_e32 v28, 0, v36
	v_ldexp_f32 v29, v30, v28
	v_add_f32_e32 v30, -1.0, v29
	v_add_f32_e32 v32, 1.0, v29
	v_ldexp_f32 v28, v31, v28
	v_add_f32_e32 v31, 1.0, v30
	v_add_f32_e32 v33, -1.0, v32
	v_sub_f32_e32 v31, v29, v31
	v_sub_f32_e32 v29, v29, v33
	v_add_f32_e32 v31, v28, v31
	v_add_f32_e32 v28, v28, v29
	;; [unrolled: 1-line block ×3, first 2 shown]
	v_rcp_f32_e32 v39, v37
	v_sub_f32_e32 v29, v32, v37
	v_add_f32_e32 v38, v28, v29
	v_add_f32_e32 v29, v30, v31
	v_mul_f32_e32 v41, v29, v39
	v_sub_f32_e32 v28, v30, v29
	v_mul_f32_e32 v30, v37, v41
	v_fma_f32 v32, v41, v37, -v30
	v_fmac_f32_e32 v32, v41, v38
	v_add_f32_e32 v40, v31, v28
	v_add_f32_e32 v28, v30, v32
	v_sub_f32_e32 v31, v29, v28
	v_pk_add_f32 v[34:35], v[28:29], v[30:31] neg_lo:[0,1] neg_hi:[0,1]
	v_mov_b32_e32 v33, v28
	v_pk_add_f32 v[28:29], v[34:35], v[32:33] neg_lo:[0,1] neg_hi:[0,1]
	v_add_f32_e32 v29, v40, v29
	v_add_f32_e32 v28, v28, v29
	;; [unrolled: 1-line block ×3, first 2 shown]
	v_mul_f32_e32 v40, v39, v29
	v_mul_f32_e32 v30, v37, v40
	v_fma_f32 v32, v40, v37, -v30
	v_fmac_f32_e32 v32, v40, v38
	v_sub_f32_e32 v31, v31, v29
	v_add_f32_e32 v37, v28, v31
	v_add_f32_e32 v28, v30, v32
	v_sub_f32_e32 v31, v29, v28
	v_pk_add_f32 v[34:35], v[28:29], v[30:31] neg_lo:[0,1] neg_hi:[0,1]
	v_mov_b32_e32 v33, v28
	v_pk_add_f32 v[28:29], v[34:35], v[32:33] neg_lo:[0,1] neg_hi:[0,1]
	v_add_f32_e32 v29, v37, v29
	v_add_f32_e32 v28, v28, v29
	;; [unrolled: 1-line block ×4, first 2 shown]
	v_sub_f32_e32 v29, v31, v41
	v_mul_f32_e32 v28, v39, v28
	v_sub_f32_e32 v29, v40, v29
	v_add_f32_e32 v28, v29, v28
	v_add_f32_e32 v32, v31, v28
	v_mul_f32_e32 v34, v32, v32
	v_mov_b32_e32 v30, 0x3ecc95a3
	v_fmac_f32_e32 v30, 0x3e9b6dac, v34
	v_mov_b32_e32 v29, 0x3f2aaada
	v_fmac_f32_e32 v29, v34, v30
	v_cvt_f32_i32_e32 v30, v36
	v_sub_f32_e32 v31, v32, v31
	v_sub_f32_e32 v28, v28, v31
	v_ldexp_f32 v35, v28, 1
	v_mul_f32_e32 v31, v32, v34
	v_mov_b32_e32 v28, 0x3f317218
	s_mov_b32 s2, 0x3f317218
	v_pk_mul_f32 v[28:29], v[30:31], v[28:29]
	v_ldexp_f32 v33, v32, 1
	v_fma_f32 v32, v30, s2, -v28
	v_fmac_f32_e32 v32, 0xb102e308, v30
	v_pk_add_f32 v[30:31], v[28:29], v[32:33]
	v_sub_f32_e32 v33, v31, v33
	v_sub_f32_e32 v33, v29, v33
	v_add_f32_e32 v35, v35, v33
	v_mov_b32_e32 v34, v28
	v_pk_add_f32 v[28:29], v[30:31], v[28:29] neg_lo:[0,1] neg_hi:[0,1]
	v_pk_add_f32 v[36:37], v[30:31], v[34:35]
	v_mov_b32_e32 v29, v37
	v_mov_b32_e32 v33, v30
	v_pk_add_f32 v[38:39], v[32:33], v[28:29] neg_lo:[0,1] neg_hi:[0,1]
	v_pk_add_f32 v[28:29], v[32:33], v[28:29]
	v_mov_b32_e32 v32, v29
	v_pk_add_f32 v[40:41], v[32:33], v[30:31] neg_lo:[0,1] neg_hi:[0,1]
	v_mov_b32_e32 v33, v40
	v_pk_add_f32 v[42:43], v[36:37], v[32:33] neg_lo:[0,1] neg_hi:[0,1]
	v_mov_b32_e32 v28, v37
	v_mov_b32_e32 v36, v31
	;; [unrolled: 1-line block ×4, first 2 shown]
	v_pk_add_f32 v[28:29], v[28:29], v[36:37] neg_lo:[0,1] neg_hi:[0,1]
	v_mov_b32_e32 v34, v35
	v_mov_b32_e32 v35, v30
	v_pk_add_f32 v[28:29], v[34:35], v[28:29] neg_lo:[0,1] neg_hi:[0,1]
	v_mov_b32_e32 v42, v38
	v_pk_add_f32 v[30:31], v[42:43], v[28:29]
	v_mov_b32_e32 v34, v31
	v_pk_add_f32 v[34:35], v[30:31], v[34:35]
	v_pk_add_f32 v[32:33], v[32:33], v[34:35]
	v_mov_b32_e32 v31, v32
	v_pk_add_f32 v[36:37], v[30:31], v[38:39] neg_lo:[0,1] neg_hi:[0,1]
	v_mov_b32_e32 v29, v34
	v_sub_f32_e32 v30, v30, v36
	v_pk_add_f32 v[28:29], v[28:29], v[36:37] neg_lo:[0,1] neg_hi:[0,1]
	v_sub_f32_e32 v30, v38, v30
	s_mov_b32 s3, 0x7f800000
	v_add_f32_e32 v28, v28, v30
	s_mov_b32 s2, 0x33800000
	v_add_f32_e32 v28, v28, v29
	v_cmp_eq_f32_e32 vcc, s3, v44
	v_cmp_lt_f32_e64 s[2:3], |v44|, s2
	v_add_f32_e32 v28, v32, v28
	s_or_b64 vcc, vcc, s[2:3]
	v_cndmask_b32_e32 v28, v28, v44, vcc
	v_add_f32_e32 v28, v27, v28
.LBB502_170:
	s_or_b64 exec, exec, s[0:1]
	v_bfe_u32 v27, v28, 16, 1
	v_add3_u32 v27, v28, v27, s5
	v_lshrrev_b32_e32 v27, 16, v27
	v_cmp_o_f32_e32 vcc, v28, v28
	v_cndmask_b32_e32 v26, v26, v27, vcc
	v_lshlrev_b32_e32 v27, 16, v26
	v_max_f32_e32 v29, v27, v27
	v_min_f32_e32 v28, v29, v49
	v_cmp_u_f32_e32 vcc, v27, v27
	v_max_f32_e32 v29, v29, v49
	v_cndmask_b32_e32 v28, v28, v27, vcc
	v_cndmask_b32_e32 v29, v29, v27, vcc
	v_cndmask_b32_e64 v28, v28, v9, s[92:93]
	v_cndmask_b32_e64 v9, v29, v9, s[92:93]
	s_movk_i32 s0, 0x1f8
	v_cmp_neq_f32_e32 vcc, v28, v9
	v_cmp_class_f32_e64 s[0:1], v28, s0
	s_or_b64 s[2:3], vcc, s[0:1]
	s_and_saveexec_b64 s[0:1], s[2:3]
	s_cbranch_execz .LBB502_172
; %bb.171:
	v_sub_f32_e32 v27, v28, v9
	s_mov_b32 s2, 0x3fb8aa3b
	v_mul_f32_e32 v28, 0x3fb8aa3b, v27
	v_fma_f32 v29, v27, s2, -v28
	v_rndne_f32_e32 v30, v28
	v_fmac_f32_e32 v29, 0x32a5705f, v27
	v_sub_f32_e32 v28, v28, v30
	v_add_f32_e32 v28, v28, v29
	v_exp_f32_e32 v28, v28
	v_cvt_i32_f32_e32 v29, v30
	s_mov_b32 s2, 0xc2ce8ed0
	v_cmp_ngt_f32_e32 vcc, s2, v27
	s_mov_b32 s2, 0x42b17218
	v_ldexp_f32 v28, v28, v29
	v_cndmask_b32_e32 v28, 0, v28, vcc
	v_mov_b32_e32 v29, 0x7f800000
	v_cmp_nlt_f32_e32 vcc, s2, v27
	v_cndmask_b32_e32 v44, v29, v28, vcc
	v_add_f32_e32 v27, 1.0, v44
	v_add_f32_e32 v28, -1.0, v27
	v_sub_f32_e32 v29, v28, v27
	v_add_f32_e32 v29, 1.0, v29
	v_sub_f32_e32 v28, v44, v28
	v_add_f32_e32 v30, v28, v29
	v_frexp_mant_f32_e32 v31, v27
	s_mov_b32 s2, 0x3f2aaaab
	v_cvt_f64_f32_e32 v[28:29], v27
	v_frexp_exp_i32_f64_e32 v28, v[28:29]
	v_cmp_gt_f32_e32 vcc, s2, v31
	v_subbrev_co_u32_e32 v36, vcc, 0, v28, vcc
	v_sub_u32_e32 v28, 0, v36
	v_ldexp_f32 v27, v27, v28
	v_ldexp_f32 v28, v30, v28
	v_add_f32_e32 v30, -1.0, v27
	v_add_f32_e32 v29, 1.0, v30
	v_sub_f32_e32 v29, v27, v29
	v_add_f32_e32 v31, v28, v29
	v_add_f32_e32 v29, 1.0, v27
	v_add_f32_e32 v32, -1.0, v29
	v_sub_f32_e32 v27, v27, v32
	v_add_f32_e32 v27, v28, v27
	v_add_f32_e32 v37, v29, v27
	v_rcp_f32_e32 v38, v37
	v_sub_f32_e32 v28, v29, v37
	v_add_f32_e32 v29, v30, v31
	v_add_f32_e32 v27, v27, v28
	v_mul_f32_e32 v40, v29, v38
	v_sub_f32_e32 v28, v30, v29
	v_mul_f32_e32 v30, v37, v40
	v_fma_f32 v32, v40, v37, -v30
	v_fmac_f32_e32 v32, v40, v27
	v_add_f32_e32 v39, v31, v28
	v_add_f32_e32 v28, v30, v32
	v_sub_f32_e32 v31, v29, v28
	v_pk_add_f32 v[34:35], v[28:29], v[30:31] neg_lo:[0,1] neg_hi:[0,1]
	v_mov_b32_e32 v33, v28
	v_pk_add_f32 v[28:29], v[34:35], v[32:33] neg_lo:[0,1] neg_hi:[0,1]
	v_add_f32_e32 v29, v39, v29
	v_add_f32_e32 v28, v28, v29
	;; [unrolled: 1-line block ×3, first 2 shown]
	v_mul_f32_e32 v39, v38, v29
	v_mul_f32_e32 v30, v37, v39
	v_fma_f32 v32, v39, v37, -v30
	v_fmac_f32_e32 v32, v39, v27
	v_sub_f32_e32 v27, v31, v29
	v_add_f32_e32 v27, v28, v27
	v_add_f32_e32 v28, v30, v32
	v_sub_f32_e32 v31, v29, v28
	v_pk_add_f32 v[34:35], v[28:29], v[30:31] neg_lo:[0,1] neg_hi:[0,1]
	v_mov_b32_e32 v33, v28
	v_pk_add_f32 v[28:29], v[34:35], v[32:33] neg_lo:[0,1] neg_hi:[0,1]
	v_add_f32_e32 v27, v27, v29
	v_add_f32_e32 v27, v28, v27
	;; [unrolled: 1-line block ×4, first 2 shown]
	v_sub_f32_e32 v29, v28, v40
	v_mul_f32_e32 v27, v38, v27
	v_sub_f32_e32 v29, v39, v29
	v_add_f32_e32 v27, v29, v27
	v_add_f32_e32 v31, v28, v27
	v_mul_f32_e32 v32, v31, v31
	v_mov_b32_e32 v30, 0x3ecc95a3
	v_fmac_f32_e32 v30, 0x3e9b6dac, v32
	v_mov_b32_e32 v29, 0x3f2aaada
	v_fmac_f32_e32 v29, v32, v30
	v_cvt_f32_i32_e32 v30, v36
	v_sub_f32_e32 v28, v31, v28
	v_sub_f32_e32 v27, v27, v28
	v_ldexp_f32 v33, v31, 1
	v_mul_f32_e32 v31, v31, v32
	v_mov_b32_e32 v28, 0x3f317218
	s_mov_b32 s2, 0x3f317218
	v_pk_mul_f32 v[28:29], v[30:31], v[28:29]
	v_fma_f32 v32, v30, s2, -v28
	v_fmac_f32_e32 v32, 0xb102e308, v30
	v_pk_add_f32 v[30:31], v[28:29], v[32:33]
	v_sub_f32_e32 v33, v31, v33
	v_ldexp_f32 v27, v27, 1
	v_sub_f32_e32 v33, v29, v33
	v_add_f32_e32 v35, v27, v33
	v_mov_b32_e32 v34, v28
	v_pk_add_f32 v[28:29], v[30:31], v[28:29] neg_lo:[0,1] neg_hi:[0,1]
	v_pk_add_f32 v[36:37], v[30:31], v[34:35]
	v_mov_b32_e32 v29, v37
	v_mov_b32_e32 v33, v30
	v_pk_add_f32 v[38:39], v[32:33], v[28:29] neg_lo:[0,1] neg_hi:[0,1]
	v_pk_add_f32 v[28:29], v[32:33], v[28:29]
	v_mov_b32_e32 v32, v29
	v_pk_add_f32 v[40:41], v[32:33], v[30:31] neg_lo:[0,1] neg_hi:[0,1]
	v_mov_b32_e32 v27, v40
	v_pk_add_f32 v[42:43], v[36:37], v[26:27] neg_lo:[0,1] neg_hi:[0,1]
	v_mov_b32_e32 v28, v37
	v_mov_b32_e32 v36, v31
	;; [unrolled: 1-line block ×4, first 2 shown]
	v_pk_add_f32 v[28:29], v[28:29], v[36:37] neg_lo:[0,1] neg_hi:[0,1]
	v_mov_b32_e32 v34, v35
	v_mov_b32_e32 v35, v30
	v_pk_add_f32 v[28:29], v[34:35], v[28:29] neg_lo:[0,1] neg_hi:[0,1]
	v_mov_b32_e32 v42, v38
	v_pk_add_f32 v[30:31], v[42:43], v[28:29]
	v_mov_b32_e32 v34, v31
	v_pk_add_f32 v[34:35], v[30:31], v[34:35]
	v_pk_add_f32 v[32:33], v[32:33], v[34:35]
	v_mov_b32_e32 v31, v32
	v_pk_add_f32 v[36:37], v[30:31], v[38:39] neg_lo:[0,1] neg_hi:[0,1]
	v_mov_b32_e32 v29, v34
	v_sub_f32_e32 v27, v30, v36
	v_pk_add_f32 v[28:29], v[28:29], v[36:37] neg_lo:[0,1] neg_hi:[0,1]
	v_sub_f32_e32 v27, v38, v27
	s_mov_b32 s3, 0x7f800000
	v_add_f32_e32 v27, v28, v27
	s_mov_b32 s2, 0x33800000
	v_add_f32_e32 v27, v27, v29
	v_cmp_eq_f32_e32 vcc, s3, v44
	v_cmp_lt_f32_e64 s[2:3], |v44|, s2
	v_add_f32_e32 v27, v32, v27
	s_or_b64 vcc, vcc, s[2:3]
	v_cndmask_b32_e32 v27, v27, v44, vcc
	v_add_f32_e32 v27, v9, v27
.LBB502_172:
	s_or_b64 exec, exec, s[0:1]
	v_bfe_u32 v9, v27, 16, 1
	s_movk_i32 s0, 0x7fff
	v_add3_u32 v9, v27, v9, s0
	s_mov_b32 s0, 0x5040100
	v_lshrrev_b32_e32 v9, 16, v9
	v_mov_b32_e32 v28, 0x7fc0
	v_cmp_o_f32_e32 vcc, v27, v27
	v_add_u32_e32 v27, v14, v54
	v_perm_b32 v5, v5, v18, s0
	v_perm_b32 v4, v4, v17, s0
	;; [unrolled: 1-line block ×4, first 2 shown]
	v_cndmask_b32_e32 v9, v28, v9, vcc
	s_waitcnt lgkmcnt(0)
	; wave barrier
	ds_write_b128 v27, v[2:5]
	v_perm_b32 v5, v13, v22, s0
	v_perm_b32 v4, v12, v21, s0
	;; [unrolled: 1-line block ×4, first 2 shown]
	ds_write_b128 v27, v[2:5] offset:16
	v_perm_b32 v4, v8, v25, s0
	v_perm_b32 v3, v7, v24, s0
	;; [unrolled: 1-line block ×4, first 2 shown]
	ds_write_b128 v27, v[2:5] offset:32
	s_waitcnt lgkmcnt(0)
	; wave barrier
	s_waitcnt lgkmcnt(0)
	ds_read_u16 v25, v14 offset:128
	ds_read_u16 v24, v14 offset:256
	;; [unrolled: 1-line block ×23, first 2 shown]
	v_readlane_b32 s0, v75, 8
	v_lshlrev_b64 v[0:1], 1, v[0:1]
	v_readlane_b32 s1, v75, 9
	v_mov_b32_e32 v26, s1
	v_add_co_u32_e32 v0, vcc, s0, v0
	v_addc_co_u32_e32 v1, vcc, v26, v1, vcc
	s_mov_b64 s[0:1], exec
	v_readlane_b32 s2, v75, 0
	v_readlane_b32 s3, v75, 1
	s_and_b64 s[2:3], s[0:1], s[2:3]
	s_mov_b64 exec, s[2:3]
	s_cbranch_execz .LBB502_174
; %bb.173:
	ds_read_u16 v14, v14
	s_waitcnt lgkmcnt(0)
	global_store_short v[0:1], v14, off
.LBB502_174:
	s_or_b64 exec, exec, s[0:1]
	s_mov_b64 s[0:1], exec
	v_readlane_b32 s2, v75, 2
	v_readlane_b32 s3, v75, 3
	s_and_b64 s[2:3], s[0:1], s[2:3]
	s_mov_b64 exec, s[2:3]
	s_cbranch_execz .LBB502_176
; %bb.175:
	s_waitcnt lgkmcnt(14)
	global_store_short v[0:1], v25, off offset:128
.LBB502_176:
	s_or_b64 exec, exec, s[0:1]
	s_mov_b64 s[0:1], exec
	v_readlane_b32 s2, v75, 4
	v_readlane_b32 s3, v75, 5
	s_and_b64 s[2:3], s[0:1], s[2:3]
	s_mov_b64 exec, s[2:3]
	s_cbranch_execnz .LBB502_201
; %bb.177:
	s_or_b64 exec, exec, s[0:1]
	s_and_saveexec_b64 s[0:1], s[46:47]
	s_cbranch_execnz .LBB502_202
.LBB502_178:
	s_or_b64 exec, exec, s[0:1]
	s_and_saveexec_b64 s[0:1], s[6:7]
	s_cbranch_execnz .LBB502_203
.LBB502_179:
	s_or_b64 exec, exec, s[0:1]
	s_and_saveexec_b64 s[0:1], s[8:9]
	s_cbranch_execnz .LBB502_204
.LBB502_180:
	s_or_b64 exec, exec, s[0:1]
	s_and_saveexec_b64 s[0:1], s[10:11]
	s_cbranch_execnz .LBB502_205
.LBB502_181:
	s_or_b64 exec, exec, s[0:1]
	s_and_saveexec_b64 s[0:1], s[12:13]
	s_cbranch_execnz .LBB502_206
.LBB502_182:
	s_or_b64 exec, exec, s[0:1]
	s_and_saveexec_b64 s[0:1], s[14:15]
	s_cbranch_execnz .LBB502_207
.LBB502_183:
	s_or_b64 exec, exec, s[0:1]
	s_and_saveexec_b64 s[0:1], s[16:17]
	s_cbranch_execnz .LBB502_208
.LBB502_184:
	s_or_b64 exec, exec, s[0:1]
	s_and_saveexec_b64 s[0:1], s[18:19]
	s_cbranch_execnz .LBB502_209
.LBB502_185:
	s_or_b64 exec, exec, s[0:1]
	s_and_saveexec_b64 s[0:1], s[20:21]
	s_cbranch_execnz .LBB502_210
.LBB502_186:
	s_or_b64 exec, exec, s[0:1]
	s_and_saveexec_b64 s[0:1], s[22:23]
	s_cbranch_execnz .LBB502_211
.LBB502_187:
	s_or_b64 exec, exec, s[0:1]
	s_and_saveexec_b64 s[0:1], s[24:25]
	s_cbranch_execnz .LBB502_212
.LBB502_188:
	s_or_b64 exec, exec, s[0:1]
	s_and_saveexec_b64 s[0:1], s[26:27]
	s_cbranch_execnz .LBB502_213
.LBB502_189:
	s_or_b64 exec, exec, s[0:1]
	s_and_saveexec_b64 s[0:1], s[28:29]
	s_cbranch_execnz .LBB502_214
.LBB502_190:
	s_or_b64 exec, exec, s[0:1]
	s_and_saveexec_b64 s[0:1], s[30:31]
	s_cbranch_execnz .LBB502_215
.LBB502_191:
	s_or_b64 exec, exec, s[0:1]
	s_and_saveexec_b64 s[0:1], s[34:35]
	s_cbranch_execnz .LBB502_216
.LBB502_192:
	s_or_b64 exec, exec, s[0:1]
	s_and_saveexec_b64 s[0:1], s[36:37]
	s_cbranch_execnz .LBB502_217
.LBB502_193:
	s_or_b64 exec, exec, s[0:1]
	s_and_saveexec_b64 s[0:1], s[38:39]
	s_cbranch_execnz .LBB502_218
.LBB502_194:
	s_or_b64 exec, exec, s[0:1]
	s_and_saveexec_b64 s[0:1], s[40:41]
	s_cbranch_execnz .LBB502_219
.LBB502_195:
	s_or_b64 exec, exec, s[0:1]
	s_and_saveexec_b64 s[0:1], s[42:43]
	s_cbranch_execnz .LBB502_220
.LBB502_196:
	s_or_b64 exec, exec, s[0:1]
	s_and_saveexec_b64 s[0:1], s[44:45]
	s_cbranch_execz .LBB502_198
.LBB502_197:
	s_waitcnt lgkmcnt(1)
	global_store_short v[0:1], v3, off offset:2816
.LBB502_198:
	s_or_b64 exec, exec, s[0:1]
	v_readlane_b32 s2, v75, 6
	v_readlane_b32 s3, v75, 7
	s_and_saveexec_b64 s[0:1], s[2:3]
	s_cbranch_execz .LBB502_200
; %bb.199:
	s_waitcnt lgkmcnt(0)
	global_store_short v[0:1], v2, off offset:2944
.LBB502_200:
	s_endpgm
.LBB502_201:
	s_waitcnt lgkmcnt(14)
	global_store_short v[0:1], v24, off offset:256
	s_or_b64 exec, exec, s[0:1]
	s_and_saveexec_b64 s[0:1], s[46:47]
	s_cbranch_execz .LBB502_178
.LBB502_202:
	s_waitcnt lgkmcnt(14)
	global_store_short v[0:1], v23, off offset:384
	s_or_b64 exec, exec, s[0:1]
	s_and_saveexec_b64 s[0:1], s[6:7]
	s_cbranch_execz .LBB502_179
.LBB502_203:
	s_waitcnt lgkmcnt(14)
	global_store_short v[0:1], v22, off offset:512
	s_or_b64 exec, exec, s[0:1]
	s_and_saveexec_b64 s[0:1], s[8:9]
	s_cbranch_execz .LBB502_180
.LBB502_204:
	s_waitcnt lgkmcnt(14)
	global_store_short v[0:1], v21, off offset:640
	s_or_b64 exec, exec, s[0:1]
	s_and_saveexec_b64 s[0:1], s[10:11]
	s_cbranch_execz .LBB502_181
.LBB502_205:
	s_waitcnt lgkmcnt(14)
	global_store_short v[0:1], v20, off offset:768
	s_or_b64 exec, exec, s[0:1]
	s_and_saveexec_b64 s[0:1], s[12:13]
	s_cbranch_execz .LBB502_182
.LBB502_206:
	s_waitcnt lgkmcnt(14)
	global_store_short v[0:1], v19, off offset:896
	s_or_b64 exec, exec, s[0:1]
	s_and_saveexec_b64 s[0:1], s[14:15]
	s_cbranch_execz .LBB502_183
.LBB502_207:
	s_waitcnt lgkmcnt(14)
	global_store_short v[0:1], v18, off offset:1024
	s_or_b64 exec, exec, s[0:1]
	s_and_saveexec_b64 s[0:1], s[16:17]
	s_cbranch_execz .LBB502_184
.LBB502_208:
	s_waitcnt lgkmcnt(14)
	global_store_short v[0:1], v17, off offset:1152
	s_or_b64 exec, exec, s[0:1]
	s_and_saveexec_b64 s[0:1], s[18:19]
	s_cbranch_execz .LBB502_185
.LBB502_209:
	s_waitcnt lgkmcnt(13)
	global_store_short v[0:1], v16, off offset:1280
	s_or_b64 exec, exec, s[0:1]
	s_and_saveexec_b64 s[0:1], s[20:21]
	s_cbranch_execz .LBB502_186
.LBB502_210:
	s_waitcnt lgkmcnt(12)
	global_store_short v[0:1], v15, off offset:1408
	s_or_b64 exec, exec, s[0:1]
	s_and_saveexec_b64 s[0:1], s[22:23]
	s_cbranch_execz .LBB502_187
.LBB502_211:
	s_waitcnt lgkmcnt(11)
	global_store_short v[0:1], v13, off offset:1536
	s_or_b64 exec, exec, s[0:1]
	s_and_saveexec_b64 s[0:1], s[24:25]
	s_cbranch_execz .LBB502_188
.LBB502_212:
	s_waitcnt lgkmcnt(10)
	global_store_short v[0:1], v12, off offset:1664
	s_or_b64 exec, exec, s[0:1]
	s_and_saveexec_b64 s[0:1], s[26:27]
	s_cbranch_execz .LBB502_189
.LBB502_213:
	s_waitcnt lgkmcnt(9)
	global_store_short v[0:1], v11, off offset:1792
	s_or_b64 exec, exec, s[0:1]
	s_and_saveexec_b64 s[0:1], s[28:29]
	s_cbranch_execz .LBB502_190
.LBB502_214:
	s_waitcnt lgkmcnt(8)
	global_store_short v[0:1], v10, off offset:1920
	s_or_b64 exec, exec, s[0:1]
	s_and_saveexec_b64 s[0:1], s[30:31]
	s_cbranch_execz .LBB502_191
.LBB502_215:
	s_waitcnt lgkmcnt(7)
	global_store_short v[0:1], v9, off offset:2048
	s_or_b64 exec, exec, s[0:1]
	s_and_saveexec_b64 s[0:1], s[34:35]
	s_cbranch_execz .LBB502_192
.LBB502_216:
	s_waitcnt lgkmcnt(6)
	global_store_short v[0:1], v8, off offset:2176
	s_or_b64 exec, exec, s[0:1]
	s_and_saveexec_b64 s[0:1], s[36:37]
	s_cbranch_execz .LBB502_193
.LBB502_217:
	s_waitcnt lgkmcnt(5)
	global_store_short v[0:1], v7, off offset:2304
	s_or_b64 exec, exec, s[0:1]
	s_and_saveexec_b64 s[0:1], s[38:39]
	s_cbranch_execz .LBB502_194
.LBB502_218:
	s_waitcnt lgkmcnt(4)
	global_store_short v[0:1], v6, off offset:2432
	s_or_b64 exec, exec, s[0:1]
	s_and_saveexec_b64 s[0:1], s[40:41]
	s_cbranch_execz .LBB502_195
.LBB502_219:
	s_waitcnt lgkmcnt(3)
	global_store_short v[0:1], v5, off offset:2560
	s_or_b64 exec, exec, s[0:1]
	s_and_saveexec_b64 s[0:1], s[42:43]
	s_cbranch_execz .LBB502_196
.LBB502_220:
	s_waitcnt lgkmcnt(2)
	global_store_short v[0:1], v4, off offset:2688
	s_or_b64 exec, exec, s[0:1]
	s_and_saveexec_b64 s[0:1], s[44:45]
	s_cbranch_execnz .LBB502_197
	s_branch .LBB502_198
	.section	.rodata,"a",@progbits
	.p2align	6, 0x0
	.amdhsa_kernel _ZN7rocprim17ROCPRIM_400000_NS6detail17trampoline_kernelINS0_14default_configENS1_20scan_config_selectorIN3c108BFloat16EEEZZNS1_9scan_implILNS1_25lookback_scan_determinismE0ELb0ELb0ES3_PKS6_PS6_S6_ZZZN2at6native31launch_logcumsumexp_cuda_kernelERKNSD_10TensorBaseESH_lENKUlvE_clEvENKUlvE4_clEvEUlS6_S6_E_S6_EEDaPvRmT3_T4_T5_mT6_P12ihipStream_tbENKUlT_T0_E_clISt17integral_constantIbLb1EESX_IbLb0EEEEDaST_SU_EUlST_E0_NS1_11comp_targetILNS1_3genE4ELNS1_11target_archE910ELNS1_3gpuE8ELNS1_3repE0EEENS1_30default_config_static_selectorELNS0_4arch9wavefront6targetE1EEEvT1_
		.amdhsa_group_segment_fixed_size 3072
		.amdhsa_private_segment_fixed_size 0
		.amdhsa_kernarg_size 32
		.amdhsa_user_sgpr_count 6
		.amdhsa_user_sgpr_private_segment_buffer 1
		.amdhsa_user_sgpr_dispatch_ptr 0
		.amdhsa_user_sgpr_queue_ptr 0
		.amdhsa_user_sgpr_kernarg_segment_ptr 1
		.amdhsa_user_sgpr_dispatch_id 0
		.amdhsa_user_sgpr_flat_scratch_init 0
		.amdhsa_user_sgpr_kernarg_preload_length 0
		.amdhsa_user_sgpr_kernarg_preload_offset 0
		.amdhsa_user_sgpr_private_segment_size 0
		.amdhsa_uses_dynamic_stack 0
		.amdhsa_system_sgpr_private_segment_wavefront_offset 0
		.amdhsa_system_sgpr_workgroup_id_x 1
		.amdhsa_system_sgpr_workgroup_id_y 0
		.amdhsa_system_sgpr_workgroup_id_z 0
		.amdhsa_system_sgpr_workgroup_info 0
		.amdhsa_system_vgpr_workitem_id 0
		.amdhsa_next_free_vgpr 76
		.amdhsa_next_free_sgpr 96
		.amdhsa_accum_offset 76
		.amdhsa_reserve_vcc 1
		.amdhsa_reserve_flat_scratch 0
		.amdhsa_float_round_mode_32 0
		.amdhsa_float_round_mode_16_64 0
		.amdhsa_float_denorm_mode_32 3
		.amdhsa_float_denorm_mode_16_64 3
		.amdhsa_dx10_clamp 1
		.amdhsa_ieee_mode 1
		.amdhsa_fp16_overflow 0
		.amdhsa_tg_split 0
		.amdhsa_exception_fp_ieee_invalid_op 0
		.amdhsa_exception_fp_denorm_src 0
		.amdhsa_exception_fp_ieee_div_zero 0
		.amdhsa_exception_fp_ieee_overflow 0
		.amdhsa_exception_fp_ieee_underflow 0
		.amdhsa_exception_fp_ieee_inexact 0
		.amdhsa_exception_int_div_zero 0
	.end_amdhsa_kernel
	.section	.text._ZN7rocprim17ROCPRIM_400000_NS6detail17trampoline_kernelINS0_14default_configENS1_20scan_config_selectorIN3c108BFloat16EEEZZNS1_9scan_implILNS1_25lookback_scan_determinismE0ELb0ELb0ES3_PKS6_PS6_S6_ZZZN2at6native31launch_logcumsumexp_cuda_kernelERKNSD_10TensorBaseESH_lENKUlvE_clEvENKUlvE4_clEvEUlS6_S6_E_S6_EEDaPvRmT3_T4_T5_mT6_P12ihipStream_tbENKUlT_T0_E_clISt17integral_constantIbLb1EESX_IbLb0EEEEDaST_SU_EUlST_E0_NS1_11comp_targetILNS1_3genE4ELNS1_11target_archE910ELNS1_3gpuE8ELNS1_3repE0EEENS1_30default_config_static_selectorELNS0_4arch9wavefront6targetE1EEEvT1_,"axG",@progbits,_ZN7rocprim17ROCPRIM_400000_NS6detail17trampoline_kernelINS0_14default_configENS1_20scan_config_selectorIN3c108BFloat16EEEZZNS1_9scan_implILNS1_25lookback_scan_determinismE0ELb0ELb0ES3_PKS6_PS6_S6_ZZZN2at6native31launch_logcumsumexp_cuda_kernelERKNSD_10TensorBaseESH_lENKUlvE_clEvENKUlvE4_clEvEUlS6_S6_E_S6_EEDaPvRmT3_T4_T5_mT6_P12ihipStream_tbENKUlT_T0_E_clISt17integral_constantIbLb1EESX_IbLb0EEEEDaST_SU_EUlST_E0_NS1_11comp_targetILNS1_3genE4ELNS1_11target_archE910ELNS1_3gpuE8ELNS1_3repE0EEENS1_30default_config_static_selectorELNS0_4arch9wavefront6targetE1EEEvT1_,comdat
.Lfunc_end502:
	.size	_ZN7rocprim17ROCPRIM_400000_NS6detail17trampoline_kernelINS0_14default_configENS1_20scan_config_selectorIN3c108BFloat16EEEZZNS1_9scan_implILNS1_25lookback_scan_determinismE0ELb0ELb0ES3_PKS6_PS6_S6_ZZZN2at6native31launch_logcumsumexp_cuda_kernelERKNSD_10TensorBaseESH_lENKUlvE_clEvENKUlvE4_clEvEUlS6_S6_E_S6_EEDaPvRmT3_T4_T5_mT6_P12ihipStream_tbENKUlT_T0_E_clISt17integral_constantIbLb1EESX_IbLb0EEEEDaST_SU_EUlST_E0_NS1_11comp_targetILNS1_3genE4ELNS1_11target_archE910ELNS1_3gpuE8ELNS1_3repE0EEENS1_30default_config_static_selectorELNS0_4arch9wavefront6targetE1EEEvT1_, .Lfunc_end502-_ZN7rocprim17ROCPRIM_400000_NS6detail17trampoline_kernelINS0_14default_configENS1_20scan_config_selectorIN3c108BFloat16EEEZZNS1_9scan_implILNS1_25lookback_scan_determinismE0ELb0ELb0ES3_PKS6_PS6_S6_ZZZN2at6native31launch_logcumsumexp_cuda_kernelERKNSD_10TensorBaseESH_lENKUlvE_clEvENKUlvE4_clEvEUlS6_S6_E_S6_EEDaPvRmT3_T4_T5_mT6_P12ihipStream_tbENKUlT_T0_E_clISt17integral_constantIbLb1EESX_IbLb0EEEEDaST_SU_EUlST_E0_NS1_11comp_targetILNS1_3genE4ELNS1_11target_archE910ELNS1_3gpuE8ELNS1_3repE0EEENS1_30default_config_static_selectorELNS0_4arch9wavefront6targetE1EEEvT1_
                                        ; -- End function
	.section	.AMDGPU.csdata,"",@progbits
; Kernel info:
; codeLenInByte = 49384
; NumSgprs: 100
; NumVgprs: 76
; NumAgprs: 0
; TotalNumVgprs: 76
; ScratchSize: 0
; MemoryBound: 0
; FloatMode: 240
; IeeeMode: 1
; LDSByteSize: 3072 bytes/workgroup (compile time only)
; SGPRBlocks: 12
; VGPRBlocks: 9
; NumSGPRsForWavesPerEU: 100
; NumVGPRsForWavesPerEU: 76
; AccumOffset: 76
; Occupancy: 6
; WaveLimiterHint : 0
; COMPUTE_PGM_RSRC2:SCRATCH_EN: 0
; COMPUTE_PGM_RSRC2:USER_SGPR: 6
; COMPUTE_PGM_RSRC2:TRAP_HANDLER: 0
; COMPUTE_PGM_RSRC2:TGID_X_EN: 1
; COMPUTE_PGM_RSRC2:TGID_Y_EN: 0
; COMPUTE_PGM_RSRC2:TGID_Z_EN: 0
; COMPUTE_PGM_RSRC2:TIDIG_COMP_CNT: 0
; COMPUTE_PGM_RSRC3_GFX90A:ACCUM_OFFSET: 18
; COMPUTE_PGM_RSRC3_GFX90A:TG_SPLIT: 0
	.section	.text._ZN7rocprim17ROCPRIM_400000_NS6detail17trampoline_kernelINS0_14default_configENS1_20scan_config_selectorIN3c108BFloat16EEEZZNS1_9scan_implILNS1_25lookback_scan_determinismE0ELb0ELb0ES3_PKS6_PS6_S6_ZZZN2at6native31launch_logcumsumexp_cuda_kernelERKNSD_10TensorBaseESH_lENKUlvE_clEvENKUlvE4_clEvEUlS6_S6_E_S6_EEDaPvRmT3_T4_T5_mT6_P12ihipStream_tbENKUlT_T0_E_clISt17integral_constantIbLb1EESX_IbLb0EEEEDaST_SU_EUlST_E0_NS1_11comp_targetILNS1_3genE3ELNS1_11target_archE908ELNS1_3gpuE7ELNS1_3repE0EEENS1_30default_config_static_selectorELNS0_4arch9wavefront6targetE1EEEvT1_,"axG",@progbits,_ZN7rocprim17ROCPRIM_400000_NS6detail17trampoline_kernelINS0_14default_configENS1_20scan_config_selectorIN3c108BFloat16EEEZZNS1_9scan_implILNS1_25lookback_scan_determinismE0ELb0ELb0ES3_PKS6_PS6_S6_ZZZN2at6native31launch_logcumsumexp_cuda_kernelERKNSD_10TensorBaseESH_lENKUlvE_clEvENKUlvE4_clEvEUlS6_S6_E_S6_EEDaPvRmT3_T4_T5_mT6_P12ihipStream_tbENKUlT_T0_E_clISt17integral_constantIbLb1EESX_IbLb0EEEEDaST_SU_EUlST_E0_NS1_11comp_targetILNS1_3genE3ELNS1_11target_archE908ELNS1_3gpuE7ELNS1_3repE0EEENS1_30default_config_static_selectorELNS0_4arch9wavefront6targetE1EEEvT1_,comdat
	.globl	_ZN7rocprim17ROCPRIM_400000_NS6detail17trampoline_kernelINS0_14default_configENS1_20scan_config_selectorIN3c108BFloat16EEEZZNS1_9scan_implILNS1_25lookback_scan_determinismE0ELb0ELb0ES3_PKS6_PS6_S6_ZZZN2at6native31launch_logcumsumexp_cuda_kernelERKNSD_10TensorBaseESH_lENKUlvE_clEvENKUlvE4_clEvEUlS6_S6_E_S6_EEDaPvRmT3_T4_T5_mT6_P12ihipStream_tbENKUlT_T0_E_clISt17integral_constantIbLb1EESX_IbLb0EEEEDaST_SU_EUlST_E0_NS1_11comp_targetILNS1_3genE3ELNS1_11target_archE908ELNS1_3gpuE7ELNS1_3repE0EEENS1_30default_config_static_selectorELNS0_4arch9wavefront6targetE1EEEvT1_ ; -- Begin function _ZN7rocprim17ROCPRIM_400000_NS6detail17trampoline_kernelINS0_14default_configENS1_20scan_config_selectorIN3c108BFloat16EEEZZNS1_9scan_implILNS1_25lookback_scan_determinismE0ELb0ELb0ES3_PKS6_PS6_S6_ZZZN2at6native31launch_logcumsumexp_cuda_kernelERKNSD_10TensorBaseESH_lENKUlvE_clEvENKUlvE4_clEvEUlS6_S6_E_S6_EEDaPvRmT3_T4_T5_mT6_P12ihipStream_tbENKUlT_T0_E_clISt17integral_constantIbLb1EESX_IbLb0EEEEDaST_SU_EUlST_E0_NS1_11comp_targetILNS1_3genE3ELNS1_11target_archE908ELNS1_3gpuE7ELNS1_3repE0EEENS1_30default_config_static_selectorELNS0_4arch9wavefront6targetE1EEEvT1_
	.p2align	8
	.type	_ZN7rocprim17ROCPRIM_400000_NS6detail17trampoline_kernelINS0_14default_configENS1_20scan_config_selectorIN3c108BFloat16EEEZZNS1_9scan_implILNS1_25lookback_scan_determinismE0ELb0ELb0ES3_PKS6_PS6_S6_ZZZN2at6native31launch_logcumsumexp_cuda_kernelERKNSD_10TensorBaseESH_lENKUlvE_clEvENKUlvE4_clEvEUlS6_S6_E_S6_EEDaPvRmT3_T4_T5_mT6_P12ihipStream_tbENKUlT_T0_E_clISt17integral_constantIbLb1EESX_IbLb0EEEEDaST_SU_EUlST_E0_NS1_11comp_targetILNS1_3genE3ELNS1_11target_archE908ELNS1_3gpuE7ELNS1_3repE0EEENS1_30default_config_static_selectorELNS0_4arch9wavefront6targetE1EEEvT1_,@function
_ZN7rocprim17ROCPRIM_400000_NS6detail17trampoline_kernelINS0_14default_configENS1_20scan_config_selectorIN3c108BFloat16EEEZZNS1_9scan_implILNS1_25lookback_scan_determinismE0ELb0ELb0ES3_PKS6_PS6_S6_ZZZN2at6native31launch_logcumsumexp_cuda_kernelERKNSD_10TensorBaseESH_lENKUlvE_clEvENKUlvE4_clEvEUlS6_S6_E_S6_EEDaPvRmT3_T4_T5_mT6_P12ihipStream_tbENKUlT_T0_E_clISt17integral_constantIbLb1EESX_IbLb0EEEEDaST_SU_EUlST_E0_NS1_11comp_targetILNS1_3genE3ELNS1_11target_archE908ELNS1_3gpuE7ELNS1_3repE0EEENS1_30default_config_static_selectorELNS0_4arch9wavefront6targetE1EEEvT1_: ; @_ZN7rocprim17ROCPRIM_400000_NS6detail17trampoline_kernelINS0_14default_configENS1_20scan_config_selectorIN3c108BFloat16EEEZZNS1_9scan_implILNS1_25lookback_scan_determinismE0ELb0ELb0ES3_PKS6_PS6_S6_ZZZN2at6native31launch_logcumsumexp_cuda_kernelERKNSD_10TensorBaseESH_lENKUlvE_clEvENKUlvE4_clEvEUlS6_S6_E_S6_EEDaPvRmT3_T4_T5_mT6_P12ihipStream_tbENKUlT_T0_E_clISt17integral_constantIbLb1EESX_IbLb0EEEEDaST_SU_EUlST_E0_NS1_11comp_targetILNS1_3genE3ELNS1_11target_archE908ELNS1_3gpuE7ELNS1_3repE0EEENS1_30default_config_static_selectorELNS0_4arch9wavefront6targetE1EEEvT1_
; %bb.0:
	.section	.rodata,"a",@progbits
	.p2align	6, 0x0
	.amdhsa_kernel _ZN7rocprim17ROCPRIM_400000_NS6detail17trampoline_kernelINS0_14default_configENS1_20scan_config_selectorIN3c108BFloat16EEEZZNS1_9scan_implILNS1_25lookback_scan_determinismE0ELb0ELb0ES3_PKS6_PS6_S6_ZZZN2at6native31launch_logcumsumexp_cuda_kernelERKNSD_10TensorBaseESH_lENKUlvE_clEvENKUlvE4_clEvEUlS6_S6_E_S6_EEDaPvRmT3_T4_T5_mT6_P12ihipStream_tbENKUlT_T0_E_clISt17integral_constantIbLb1EESX_IbLb0EEEEDaST_SU_EUlST_E0_NS1_11comp_targetILNS1_3genE3ELNS1_11target_archE908ELNS1_3gpuE7ELNS1_3repE0EEENS1_30default_config_static_selectorELNS0_4arch9wavefront6targetE1EEEvT1_
		.amdhsa_group_segment_fixed_size 0
		.amdhsa_private_segment_fixed_size 0
		.amdhsa_kernarg_size 32
		.amdhsa_user_sgpr_count 6
		.amdhsa_user_sgpr_private_segment_buffer 1
		.amdhsa_user_sgpr_dispatch_ptr 0
		.amdhsa_user_sgpr_queue_ptr 0
		.amdhsa_user_sgpr_kernarg_segment_ptr 1
		.amdhsa_user_sgpr_dispatch_id 0
		.amdhsa_user_sgpr_flat_scratch_init 0
		.amdhsa_user_sgpr_kernarg_preload_length 0
		.amdhsa_user_sgpr_kernarg_preload_offset 0
		.amdhsa_user_sgpr_private_segment_size 0
		.amdhsa_uses_dynamic_stack 0
		.amdhsa_system_sgpr_private_segment_wavefront_offset 0
		.amdhsa_system_sgpr_workgroup_id_x 1
		.amdhsa_system_sgpr_workgroup_id_y 0
		.amdhsa_system_sgpr_workgroup_id_z 0
		.amdhsa_system_sgpr_workgroup_info 0
		.amdhsa_system_vgpr_workitem_id 0
		.amdhsa_next_free_vgpr 1
		.amdhsa_next_free_sgpr 0
		.amdhsa_accum_offset 4
		.amdhsa_reserve_vcc 0
		.amdhsa_reserve_flat_scratch 0
		.amdhsa_float_round_mode_32 0
		.amdhsa_float_round_mode_16_64 0
		.amdhsa_float_denorm_mode_32 3
		.amdhsa_float_denorm_mode_16_64 3
		.amdhsa_dx10_clamp 1
		.amdhsa_ieee_mode 1
		.amdhsa_fp16_overflow 0
		.amdhsa_tg_split 0
		.amdhsa_exception_fp_ieee_invalid_op 0
		.amdhsa_exception_fp_denorm_src 0
		.amdhsa_exception_fp_ieee_div_zero 0
		.amdhsa_exception_fp_ieee_overflow 0
		.amdhsa_exception_fp_ieee_underflow 0
		.amdhsa_exception_fp_ieee_inexact 0
		.amdhsa_exception_int_div_zero 0
	.end_amdhsa_kernel
	.section	.text._ZN7rocprim17ROCPRIM_400000_NS6detail17trampoline_kernelINS0_14default_configENS1_20scan_config_selectorIN3c108BFloat16EEEZZNS1_9scan_implILNS1_25lookback_scan_determinismE0ELb0ELb0ES3_PKS6_PS6_S6_ZZZN2at6native31launch_logcumsumexp_cuda_kernelERKNSD_10TensorBaseESH_lENKUlvE_clEvENKUlvE4_clEvEUlS6_S6_E_S6_EEDaPvRmT3_T4_T5_mT6_P12ihipStream_tbENKUlT_T0_E_clISt17integral_constantIbLb1EESX_IbLb0EEEEDaST_SU_EUlST_E0_NS1_11comp_targetILNS1_3genE3ELNS1_11target_archE908ELNS1_3gpuE7ELNS1_3repE0EEENS1_30default_config_static_selectorELNS0_4arch9wavefront6targetE1EEEvT1_,"axG",@progbits,_ZN7rocprim17ROCPRIM_400000_NS6detail17trampoline_kernelINS0_14default_configENS1_20scan_config_selectorIN3c108BFloat16EEEZZNS1_9scan_implILNS1_25lookback_scan_determinismE0ELb0ELb0ES3_PKS6_PS6_S6_ZZZN2at6native31launch_logcumsumexp_cuda_kernelERKNSD_10TensorBaseESH_lENKUlvE_clEvENKUlvE4_clEvEUlS6_S6_E_S6_EEDaPvRmT3_T4_T5_mT6_P12ihipStream_tbENKUlT_T0_E_clISt17integral_constantIbLb1EESX_IbLb0EEEEDaST_SU_EUlST_E0_NS1_11comp_targetILNS1_3genE3ELNS1_11target_archE908ELNS1_3gpuE7ELNS1_3repE0EEENS1_30default_config_static_selectorELNS0_4arch9wavefront6targetE1EEEvT1_,comdat
.Lfunc_end503:
	.size	_ZN7rocprim17ROCPRIM_400000_NS6detail17trampoline_kernelINS0_14default_configENS1_20scan_config_selectorIN3c108BFloat16EEEZZNS1_9scan_implILNS1_25lookback_scan_determinismE0ELb0ELb0ES3_PKS6_PS6_S6_ZZZN2at6native31launch_logcumsumexp_cuda_kernelERKNSD_10TensorBaseESH_lENKUlvE_clEvENKUlvE4_clEvEUlS6_S6_E_S6_EEDaPvRmT3_T4_T5_mT6_P12ihipStream_tbENKUlT_T0_E_clISt17integral_constantIbLb1EESX_IbLb0EEEEDaST_SU_EUlST_E0_NS1_11comp_targetILNS1_3genE3ELNS1_11target_archE908ELNS1_3gpuE7ELNS1_3repE0EEENS1_30default_config_static_selectorELNS0_4arch9wavefront6targetE1EEEvT1_, .Lfunc_end503-_ZN7rocprim17ROCPRIM_400000_NS6detail17trampoline_kernelINS0_14default_configENS1_20scan_config_selectorIN3c108BFloat16EEEZZNS1_9scan_implILNS1_25lookback_scan_determinismE0ELb0ELb0ES3_PKS6_PS6_S6_ZZZN2at6native31launch_logcumsumexp_cuda_kernelERKNSD_10TensorBaseESH_lENKUlvE_clEvENKUlvE4_clEvEUlS6_S6_E_S6_EEDaPvRmT3_T4_T5_mT6_P12ihipStream_tbENKUlT_T0_E_clISt17integral_constantIbLb1EESX_IbLb0EEEEDaST_SU_EUlST_E0_NS1_11comp_targetILNS1_3genE3ELNS1_11target_archE908ELNS1_3gpuE7ELNS1_3repE0EEENS1_30default_config_static_selectorELNS0_4arch9wavefront6targetE1EEEvT1_
                                        ; -- End function
	.section	.AMDGPU.csdata,"",@progbits
; Kernel info:
; codeLenInByte = 0
; NumSgprs: 4
; NumVgprs: 0
; NumAgprs: 0
; TotalNumVgprs: 0
; ScratchSize: 0
; MemoryBound: 0
; FloatMode: 240
; IeeeMode: 1
; LDSByteSize: 0 bytes/workgroup (compile time only)
; SGPRBlocks: 0
; VGPRBlocks: 0
; NumSGPRsForWavesPerEU: 4
; NumVGPRsForWavesPerEU: 1
; AccumOffset: 4
; Occupancy: 8
; WaveLimiterHint : 0
; COMPUTE_PGM_RSRC2:SCRATCH_EN: 0
; COMPUTE_PGM_RSRC2:USER_SGPR: 6
; COMPUTE_PGM_RSRC2:TRAP_HANDLER: 0
; COMPUTE_PGM_RSRC2:TGID_X_EN: 1
; COMPUTE_PGM_RSRC2:TGID_Y_EN: 0
; COMPUTE_PGM_RSRC2:TGID_Z_EN: 0
; COMPUTE_PGM_RSRC2:TIDIG_COMP_CNT: 0
; COMPUTE_PGM_RSRC3_GFX90A:ACCUM_OFFSET: 0
; COMPUTE_PGM_RSRC3_GFX90A:TG_SPLIT: 0
	.section	.text._ZN7rocprim17ROCPRIM_400000_NS6detail17trampoline_kernelINS0_14default_configENS1_20scan_config_selectorIN3c108BFloat16EEEZZNS1_9scan_implILNS1_25lookback_scan_determinismE0ELb0ELb0ES3_PKS6_PS6_S6_ZZZN2at6native31launch_logcumsumexp_cuda_kernelERKNSD_10TensorBaseESH_lENKUlvE_clEvENKUlvE4_clEvEUlS6_S6_E_S6_EEDaPvRmT3_T4_T5_mT6_P12ihipStream_tbENKUlT_T0_E_clISt17integral_constantIbLb1EESX_IbLb0EEEEDaST_SU_EUlST_E0_NS1_11comp_targetILNS1_3genE2ELNS1_11target_archE906ELNS1_3gpuE6ELNS1_3repE0EEENS1_30default_config_static_selectorELNS0_4arch9wavefront6targetE1EEEvT1_,"axG",@progbits,_ZN7rocprim17ROCPRIM_400000_NS6detail17trampoline_kernelINS0_14default_configENS1_20scan_config_selectorIN3c108BFloat16EEEZZNS1_9scan_implILNS1_25lookback_scan_determinismE0ELb0ELb0ES3_PKS6_PS6_S6_ZZZN2at6native31launch_logcumsumexp_cuda_kernelERKNSD_10TensorBaseESH_lENKUlvE_clEvENKUlvE4_clEvEUlS6_S6_E_S6_EEDaPvRmT3_T4_T5_mT6_P12ihipStream_tbENKUlT_T0_E_clISt17integral_constantIbLb1EESX_IbLb0EEEEDaST_SU_EUlST_E0_NS1_11comp_targetILNS1_3genE2ELNS1_11target_archE906ELNS1_3gpuE6ELNS1_3repE0EEENS1_30default_config_static_selectorELNS0_4arch9wavefront6targetE1EEEvT1_,comdat
	.globl	_ZN7rocprim17ROCPRIM_400000_NS6detail17trampoline_kernelINS0_14default_configENS1_20scan_config_selectorIN3c108BFloat16EEEZZNS1_9scan_implILNS1_25lookback_scan_determinismE0ELb0ELb0ES3_PKS6_PS6_S6_ZZZN2at6native31launch_logcumsumexp_cuda_kernelERKNSD_10TensorBaseESH_lENKUlvE_clEvENKUlvE4_clEvEUlS6_S6_E_S6_EEDaPvRmT3_T4_T5_mT6_P12ihipStream_tbENKUlT_T0_E_clISt17integral_constantIbLb1EESX_IbLb0EEEEDaST_SU_EUlST_E0_NS1_11comp_targetILNS1_3genE2ELNS1_11target_archE906ELNS1_3gpuE6ELNS1_3repE0EEENS1_30default_config_static_selectorELNS0_4arch9wavefront6targetE1EEEvT1_ ; -- Begin function _ZN7rocprim17ROCPRIM_400000_NS6detail17trampoline_kernelINS0_14default_configENS1_20scan_config_selectorIN3c108BFloat16EEEZZNS1_9scan_implILNS1_25lookback_scan_determinismE0ELb0ELb0ES3_PKS6_PS6_S6_ZZZN2at6native31launch_logcumsumexp_cuda_kernelERKNSD_10TensorBaseESH_lENKUlvE_clEvENKUlvE4_clEvEUlS6_S6_E_S6_EEDaPvRmT3_T4_T5_mT6_P12ihipStream_tbENKUlT_T0_E_clISt17integral_constantIbLb1EESX_IbLb0EEEEDaST_SU_EUlST_E0_NS1_11comp_targetILNS1_3genE2ELNS1_11target_archE906ELNS1_3gpuE6ELNS1_3repE0EEENS1_30default_config_static_selectorELNS0_4arch9wavefront6targetE1EEEvT1_
	.p2align	8
	.type	_ZN7rocprim17ROCPRIM_400000_NS6detail17trampoline_kernelINS0_14default_configENS1_20scan_config_selectorIN3c108BFloat16EEEZZNS1_9scan_implILNS1_25lookback_scan_determinismE0ELb0ELb0ES3_PKS6_PS6_S6_ZZZN2at6native31launch_logcumsumexp_cuda_kernelERKNSD_10TensorBaseESH_lENKUlvE_clEvENKUlvE4_clEvEUlS6_S6_E_S6_EEDaPvRmT3_T4_T5_mT6_P12ihipStream_tbENKUlT_T0_E_clISt17integral_constantIbLb1EESX_IbLb0EEEEDaST_SU_EUlST_E0_NS1_11comp_targetILNS1_3genE2ELNS1_11target_archE906ELNS1_3gpuE6ELNS1_3repE0EEENS1_30default_config_static_selectorELNS0_4arch9wavefront6targetE1EEEvT1_,@function
_ZN7rocprim17ROCPRIM_400000_NS6detail17trampoline_kernelINS0_14default_configENS1_20scan_config_selectorIN3c108BFloat16EEEZZNS1_9scan_implILNS1_25lookback_scan_determinismE0ELb0ELb0ES3_PKS6_PS6_S6_ZZZN2at6native31launch_logcumsumexp_cuda_kernelERKNSD_10TensorBaseESH_lENKUlvE_clEvENKUlvE4_clEvEUlS6_S6_E_S6_EEDaPvRmT3_T4_T5_mT6_P12ihipStream_tbENKUlT_T0_E_clISt17integral_constantIbLb1EESX_IbLb0EEEEDaST_SU_EUlST_E0_NS1_11comp_targetILNS1_3genE2ELNS1_11target_archE906ELNS1_3gpuE6ELNS1_3repE0EEENS1_30default_config_static_selectorELNS0_4arch9wavefront6targetE1EEEvT1_: ; @_ZN7rocprim17ROCPRIM_400000_NS6detail17trampoline_kernelINS0_14default_configENS1_20scan_config_selectorIN3c108BFloat16EEEZZNS1_9scan_implILNS1_25lookback_scan_determinismE0ELb0ELb0ES3_PKS6_PS6_S6_ZZZN2at6native31launch_logcumsumexp_cuda_kernelERKNSD_10TensorBaseESH_lENKUlvE_clEvENKUlvE4_clEvEUlS6_S6_E_S6_EEDaPvRmT3_T4_T5_mT6_P12ihipStream_tbENKUlT_T0_E_clISt17integral_constantIbLb1EESX_IbLb0EEEEDaST_SU_EUlST_E0_NS1_11comp_targetILNS1_3genE2ELNS1_11target_archE906ELNS1_3gpuE6ELNS1_3repE0EEENS1_30default_config_static_selectorELNS0_4arch9wavefront6targetE1EEEvT1_
; %bb.0:
	.section	.rodata,"a",@progbits
	.p2align	6, 0x0
	.amdhsa_kernel _ZN7rocprim17ROCPRIM_400000_NS6detail17trampoline_kernelINS0_14default_configENS1_20scan_config_selectorIN3c108BFloat16EEEZZNS1_9scan_implILNS1_25lookback_scan_determinismE0ELb0ELb0ES3_PKS6_PS6_S6_ZZZN2at6native31launch_logcumsumexp_cuda_kernelERKNSD_10TensorBaseESH_lENKUlvE_clEvENKUlvE4_clEvEUlS6_S6_E_S6_EEDaPvRmT3_T4_T5_mT6_P12ihipStream_tbENKUlT_T0_E_clISt17integral_constantIbLb1EESX_IbLb0EEEEDaST_SU_EUlST_E0_NS1_11comp_targetILNS1_3genE2ELNS1_11target_archE906ELNS1_3gpuE6ELNS1_3repE0EEENS1_30default_config_static_selectorELNS0_4arch9wavefront6targetE1EEEvT1_
		.amdhsa_group_segment_fixed_size 0
		.amdhsa_private_segment_fixed_size 0
		.amdhsa_kernarg_size 32
		.amdhsa_user_sgpr_count 6
		.amdhsa_user_sgpr_private_segment_buffer 1
		.amdhsa_user_sgpr_dispatch_ptr 0
		.amdhsa_user_sgpr_queue_ptr 0
		.amdhsa_user_sgpr_kernarg_segment_ptr 1
		.amdhsa_user_sgpr_dispatch_id 0
		.amdhsa_user_sgpr_flat_scratch_init 0
		.amdhsa_user_sgpr_kernarg_preload_length 0
		.amdhsa_user_sgpr_kernarg_preload_offset 0
		.amdhsa_user_sgpr_private_segment_size 0
		.amdhsa_uses_dynamic_stack 0
		.amdhsa_system_sgpr_private_segment_wavefront_offset 0
		.amdhsa_system_sgpr_workgroup_id_x 1
		.amdhsa_system_sgpr_workgroup_id_y 0
		.amdhsa_system_sgpr_workgroup_id_z 0
		.amdhsa_system_sgpr_workgroup_info 0
		.amdhsa_system_vgpr_workitem_id 0
		.amdhsa_next_free_vgpr 1
		.amdhsa_next_free_sgpr 0
		.amdhsa_accum_offset 4
		.amdhsa_reserve_vcc 0
		.amdhsa_reserve_flat_scratch 0
		.amdhsa_float_round_mode_32 0
		.amdhsa_float_round_mode_16_64 0
		.amdhsa_float_denorm_mode_32 3
		.amdhsa_float_denorm_mode_16_64 3
		.amdhsa_dx10_clamp 1
		.amdhsa_ieee_mode 1
		.amdhsa_fp16_overflow 0
		.amdhsa_tg_split 0
		.amdhsa_exception_fp_ieee_invalid_op 0
		.amdhsa_exception_fp_denorm_src 0
		.amdhsa_exception_fp_ieee_div_zero 0
		.amdhsa_exception_fp_ieee_overflow 0
		.amdhsa_exception_fp_ieee_underflow 0
		.amdhsa_exception_fp_ieee_inexact 0
		.amdhsa_exception_int_div_zero 0
	.end_amdhsa_kernel
	.section	.text._ZN7rocprim17ROCPRIM_400000_NS6detail17trampoline_kernelINS0_14default_configENS1_20scan_config_selectorIN3c108BFloat16EEEZZNS1_9scan_implILNS1_25lookback_scan_determinismE0ELb0ELb0ES3_PKS6_PS6_S6_ZZZN2at6native31launch_logcumsumexp_cuda_kernelERKNSD_10TensorBaseESH_lENKUlvE_clEvENKUlvE4_clEvEUlS6_S6_E_S6_EEDaPvRmT3_T4_T5_mT6_P12ihipStream_tbENKUlT_T0_E_clISt17integral_constantIbLb1EESX_IbLb0EEEEDaST_SU_EUlST_E0_NS1_11comp_targetILNS1_3genE2ELNS1_11target_archE906ELNS1_3gpuE6ELNS1_3repE0EEENS1_30default_config_static_selectorELNS0_4arch9wavefront6targetE1EEEvT1_,"axG",@progbits,_ZN7rocprim17ROCPRIM_400000_NS6detail17trampoline_kernelINS0_14default_configENS1_20scan_config_selectorIN3c108BFloat16EEEZZNS1_9scan_implILNS1_25lookback_scan_determinismE0ELb0ELb0ES3_PKS6_PS6_S6_ZZZN2at6native31launch_logcumsumexp_cuda_kernelERKNSD_10TensorBaseESH_lENKUlvE_clEvENKUlvE4_clEvEUlS6_S6_E_S6_EEDaPvRmT3_T4_T5_mT6_P12ihipStream_tbENKUlT_T0_E_clISt17integral_constantIbLb1EESX_IbLb0EEEEDaST_SU_EUlST_E0_NS1_11comp_targetILNS1_3genE2ELNS1_11target_archE906ELNS1_3gpuE6ELNS1_3repE0EEENS1_30default_config_static_selectorELNS0_4arch9wavefront6targetE1EEEvT1_,comdat
.Lfunc_end504:
	.size	_ZN7rocprim17ROCPRIM_400000_NS6detail17trampoline_kernelINS0_14default_configENS1_20scan_config_selectorIN3c108BFloat16EEEZZNS1_9scan_implILNS1_25lookback_scan_determinismE0ELb0ELb0ES3_PKS6_PS6_S6_ZZZN2at6native31launch_logcumsumexp_cuda_kernelERKNSD_10TensorBaseESH_lENKUlvE_clEvENKUlvE4_clEvEUlS6_S6_E_S6_EEDaPvRmT3_T4_T5_mT6_P12ihipStream_tbENKUlT_T0_E_clISt17integral_constantIbLb1EESX_IbLb0EEEEDaST_SU_EUlST_E0_NS1_11comp_targetILNS1_3genE2ELNS1_11target_archE906ELNS1_3gpuE6ELNS1_3repE0EEENS1_30default_config_static_selectorELNS0_4arch9wavefront6targetE1EEEvT1_, .Lfunc_end504-_ZN7rocprim17ROCPRIM_400000_NS6detail17trampoline_kernelINS0_14default_configENS1_20scan_config_selectorIN3c108BFloat16EEEZZNS1_9scan_implILNS1_25lookback_scan_determinismE0ELb0ELb0ES3_PKS6_PS6_S6_ZZZN2at6native31launch_logcumsumexp_cuda_kernelERKNSD_10TensorBaseESH_lENKUlvE_clEvENKUlvE4_clEvEUlS6_S6_E_S6_EEDaPvRmT3_T4_T5_mT6_P12ihipStream_tbENKUlT_T0_E_clISt17integral_constantIbLb1EESX_IbLb0EEEEDaST_SU_EUlST_E0_NS1_11comp_targetILNS1_3genE2ELNS1_11target_archE906ELNS1_3gpuE6ELNS1_3repE0EEENS1_30default_config_static_selectorELNS0_4arch9wavefront6targetE1EEEvT1_
                                        ; -- End function
	.section	.AMDGPU.csdata,"",@progbits
; Kernel info:
; codeLenInByte = 0
; NumSgprs: 4
; NumVgprs: 0
; NumAgprs: 0
; TotalNumVgprs: 0
; ScratchSize: 0
; MemoryBound: 0
; FloatMode: 240
; IeeeMode: 1
; LDSByteSize: 0 bytes/workgroup (compile time only)
; SGPRBlocks: 0
; VGPRBlocks: 0
; NumSGPRsForWavesPerEU: 4
; NumVGPRsForWavesPerEU: 1
; AccumOffset: 4
; Occupancy: 8
; WaveLimiterHint : 0
; COMPUTE_PGM_RSRC2:SCRATCH_EN: 0
; COMPUTE_PGM_RSRC2:USER_SGPR: 6
; COMPUTE_PGM_RSRC2:TRAP_HANDLER: 0
; COMPUTE_PGM_RSRC2:TGID_X_EN: 1
; COMPUTE_PGM_RSRC2:TGID_Y_EN: 0
; COMPUTE_PGM_RSRC2:TGID_Z_EN: 0
; COMPUTE_PGM_RSRC2:TIDIG_COMP_CNT: 0
; COMPUTE_PGM_RSRC3_GFX90A:ACCUM_OFFSET: 0
; COMPUTE_PGM_RSRC3_GFX90A:TG_SPLIT: 0
	.section	.text._ZN7rocprim17ROCPRIM_400000_NS6detail17trampoline_kernelINS0_14default_configENS1_20scan_config_selectorIN3c108BFloat16EEEZZNS1_9scan_implILNS1_25lookback_scan_determinismE0ELb0ELb0ES3_PKS6_PS6_S6_ZZZN2at6native31launch_logcumsumexp_cuda_kernelERKNSD_10TensorBaseESH_lENKUlvE_clEvENKUlvE4_clEvEUlS6_S6_E_S6_EEDaPvRmT3_T4_T5_mT6_P12ihipStream_tbENKUlT_T0_E_clISt17integral_constantIbLb1EESX_IbLb0EEEEDaST_SU_EUlST_E0_NS1_11comp_targetILNS1_3genE10ELNS1_11target_archE1201ELNS1_3gpuE5ELNS1_3repE0EEENS1_30default_config_static_selectorELNS0_4arch9wavefront6targetE1EEEvT1_,"axG",@progbits,_ZN7rocprim17ROCPRIM_400000_NS6detail17trampoline_kernelINS0_14default_configENS1_20scan_config_selectorIN3c108BFloat16EEEZZNS1_9scan_implILNS1_25lookback_scan_determinismE0ELb0ELb0ES3_PKS6_PS6_S6_ZZZN2at6native31launch_logcumsumexp_cuda_kernelERKNSD_10TensorBaseESH_lENKUlvE_clEvENKUlvE4_clEvEUlS6_S6_E_S6_EEDaPvRmT3_T4_T5_mT6_P12ihipStream_tbENKUlT_T0_E_clISt17integral_constantIbLb1EESX_IbLb0EEEEDaST_SU_EUlST_E0_NS1_11comp_targetILNS1_3genE10ELNS1_11target_archE1201ELNS1_3gpuE5ELNS1_3repE0EEENS1_30default_config_static_selectorELNS0_4arch9wavefront6targetE1EEEvT1_,comdat
	.globl	_ZN7rocprim17ROCPRIM_400000_NS6detail17trampoline_kernelINS0_14default_configENS1_20scan_config_selectorIN3c108BFloat16EEEZZNS1_9scan_implILNS1_25lookback_scan_determinismE0ELb0ELb0ES3_PKS6_PS6_S6_ZZZN2at6native31launch_logcumsumexp_cuda_kernelERKNSD_10TensorBaseESH_lENKUlvE_clEvENKUlvE4_clEvEUlS6_S6_E_S6_EEDaPvRmT3_T4_T5_mT6_P12ihipStream_tbENKUlT_T0_E_clISt17integral_constantIbLb1EESX_IbLb0EEEEDaST_SU_EUlST_E0_NS1_11comp_targetILNS1_3genE10ELNS1_11target_archE1201ELNS1_3gpuE5ELNS1_3repE0EEENS1_30default_config_static_selectorELNS0_4arch9wavefront6targetE1EEEvT1_ ; -- Begin function _ZN7rocprim17ROCPRIM_400000_NS6detail17trampoline_kernelINS0_14default_configENS1_20scan_config_selectorIN3c108BFloat16EEEZZNS1_9scan_implILNS1_25lookback_scan_determinismE0ELb0ELb0ES3_PKS6_PS6_S6_ZZZN2at6native31launch_logcumsumexp_cuda_kernelERKNSD_10TensorBaseESH_lENKUlvE_clEvENKUlvE4_clEvEUlS6_S6_E_S6_EEDaPvRmT3_T4_T5_mT6_P12ihipStream_tbENKUlT_T0_E_clISt17integral_constantIbLb1EESX_IbLb0EEEEDaST_SU_EUlST_E0_NS1_11comp_targetILNS1_3genE10ELNS1_11target_archE1201ELNS1_3gpuE5ELNS1_3repE0EEENS1_30default_config_static_selectorELNS0_4arch9wavefront6targetE1EEEvT1_
	.p2align	8
	.type	_ZN7rocprim17ROCPRIM_400000_NS6detail17trampoline_kernelINS0_14default_configENS1_20scan_config_selectorIN3c108BFloat16EEEZZNS1_9scan_implILNS1_25lookback_scan_determinismE0ELb0ELb0ES3_PKS6_PS6_S6_ZZZN2at6native31launch_logcumsumexp_cuda_kernelERKNSD_10TensorBaseESH_lENKUlvE_clEvENKUlvE4_clEvEUlS6_S6_E_S6_EEDaPvRmT3_T4_T5_mT6_P12ihipStream_tbENKUlT_T0_E_clISt17integral_constantIbLb1EESX_IbLb0EEEEDaST_SU_EUlST_E0_NS1_11comp_targetILNS1_3genE10ELNS1_11target_archE1201ELNS1_3gpuE5ELNS1_3repE0EEENS1_30default_config_static_selectorELNS0_4arch9wavefront6targetE1EEEvT1_,@function
_ZN7rocprim17ROCPRIM_400000_NS6detail17trampoline_kernelINS0_14default_configENS1_20scan_config_selectorIN3c108BFloat16EEEZZNS1_9scan_implILNS1_25lookback_scan_determinismE0ELb0ELb0ES3_PKS6_PS6_S6_ZZZN2at6native31launch_logcumsumexp_cuda_kernelERKNSD_10TensorBaseESH_lENKUlvE_clEvENKUlvE4_clEvEUlS6_S6_E_S6_EEDaPvRmT3_T4_T5_mT6_P12ihipStream_tbENKUlT_T0_E_clISt17integral_constantIbLb1EESX_IbLb0EEEEDaST_SU_EUlST_E0_NS1_11comp_targetILNS1_3genE10ELNS1_11target_archE1201ELNS1_3gpuE5ELNS1_3repE0EEENS1_30default_config_static_selectorELNS0_4arch9wavefront6targetE1EEEvT1_: ; @_ZN7rocprim17ROCPRIM_400000_NS6detail17trampoline_kernelINS0_14default_configENS1_20scan_config_selectorIN3c108BFloat16EEEZZNS1_9scan_implILNS1_25lookback_scan_determinismE0ELb0ELb0ES3_PKS6_PS6_S6_ZZZN2at6native31launch_logcumsumexp_cuda_kernelERKNSD_10TensorBaseESH_lENKUlvE_clEvENKUlvE4_clEvEUlS6_S6_E_S6_EEDaPvRmT3_T4_T5_mT6_P12ihipStream_tbENKUlT_T0_E_clISt17integral_constantIbLb1EESX_IbLb0EEEEDaST_SU_EUlST_E0_NS1_11comp_targetILNS1_3genE10ELNS1_11target_archE1201ELNS1_3gpuE5ELNS1_3repE0EEENS1_30default_config_static_selectorELNS0_4arch9wavefront6targetE1EEEvT1_
; %bb.0:
	.section	.rodata,"a",@progbits
	.p2align	6, 0x0
	.amdhsa_kernel _ZN7rocprim17ROCPRIM_400000_NS6detail17trampoline_kernelINS0_14default_configENS1_20scan_config_selectorIN3c108BFloat16EEEZZNS1_9scan_implILNS1_25lookback_scan_determinismE0ELb0ELb0ES3_PKS6_PS6_S6_ZZZN2at6native31launch_logcumsumexp_cuda_kernelERKNSD_10TensorBaseESH_lENKUlvE_clEvENKUlvE4_clEvEUlS6_S6_E_S6_EEDaPvRmT3_T4_T5_mT6_P12ihipStream_tbENKUlT_T0_E_clISt17integral_constantIbLb1EESX_IbLb0EEEEDaST_SU_EUlST_E0_NS1_11comp_targetILNS1_3genE10ELNS1_11target_archE1201ELNS1_3gpuE5ELNS1_3repE0EEENS1_30default_config_static_selectorELNS0_4arch9wavefront6targetE1EEEvT1_
		.amdhsa_group_segment_fixed_size 0
		.amdhsa_private_segment_fixed_size 0
		.amdhsa_kernarg_size 32
		.amdhsa_user_sgpr_count 6
		.amdhsa_user_sgpr_private_segment_buffer 1
		.amdhsa_user_sgpr_dispatch_ptr 0
		.amdhsa_user_sgpr_queue_ptr 0
		.amdhsa_user_sgpr_kernarg_segment_ptr 1
		.amdhsa_user_sgpr_dispatch_id 0
		.amdhsa_user_sgpr_flat_scratch_init 0
		.amdhsa_user_sgpr_kernarg_preload_length 0
		.amdhsa_user_sgpr_kernarg_preload_offset 0
		.amdhsa_user_sgpr_private_segment_size 0
		.amdhsa_uses_dynamic_stack 0
		.amdhsa_system_sgpr_private_segment_wavefront_offset 0
		.amdhsa_system_sgpr_workgroup_id_x 1
		.amdhsa_system_sgpr_workgroup_id_y 0
		.amdhsa_system_sgpr_workgroup_id_z 0
		.amdhsa_system_sgpr_workgroup_info 0
		.amdhsa_system_vgpr_workitem_id 0
		.amdhsa_next_free_vgpr 1
		.amdhsa_next_free_sgpr 0
		.amdhsa_accum_offset 4
		.amdhsa_reserve_vcc 0
		.amdhsa_reserve_flat_scratch 0
		.amdhsa_float_round_mode_32 0
		.amdhsa_float_round_mode_16_64 0
		.amdhsa_float_denorm_mode_32 3
		.amdhsa_float_denorm_mode_16_64 3
		.amdhsa_dx10_clamp 1
		.amdhsa_ieee_mode 1
		.amdhsa_fp16_overflow 0
		.amdhsa_tg_split 0
		.amdhsa_exception_fp_ieee_invalid_op 0
		.amdhsa_exception_fp_denorm_src 0
		.amdhsa_exception_fp_ieee_div_zero 0
		.amdhsa_exception_fp_ieee_overflow 0
		.amdhsa_exception_fp_ieee_underflow 0
		.amdhsa_exception_fp_ieee_inexact 0
		.amdhsa_exception_int_div_zero 0
	.end_amdhsa_kernel
	.section	.text._ZN7rocprim17ROCPRIM_400000_NS6detail17trampoline_kernelINS0_14default_configENS1_20scan_config_selectorIN3c108BFloat16EEEZZNS1_9scan_implILNS1_25lookback_scan_determinismE0ELb0ELb0ES3_PKS6_PS6_S6_ZZZN2at6native31launch_logcumsumexp_cuda_kernelERKNSD_10TensorBaseESH_lENKUlvE_clEvENKUlvE4_clEvEUlS6_S6_E_S6_EEDaPvRmT3_T4_T5_mT6_P12ihipStream_tbENKUlT_T0_E_clISt17integral_constantIbLb1EESX_IbLb0EEEEDaST_SU_EUlST_E0_NS1_11comp_targetILNS1_3genE10ELNS1_11target_archE1201ELNS1_3gpuE5ELNS1_3repE0EEENS1_30default_config_static_selectorELNS0_4arch9wavefront6targetE1EEEvT1_,"axG",@progbits,_ZN7rocprim17ROCPRIM_400000_NS6detail17trampoline_kernelINS0_14default_configENS1_20scan_config_selectorIN3c108BFloat16EEEZZNS1_9scan_implILNS1_25lookback_scan_determinismE0ELb0ELb0ES3_PKS6_PS6_S6_ZZZN2at6native31launch_logcumsumexp_cuda_kernelERKNSD_10TensorBaseESH_lENKUlvE_clEvENKUlvE4_clEvEUlS6_S6_E_S6_EEDaPvRmT3_T4_T5_mT6_P12ihipStream_tbENKUlT_T0_E_clISt17integral_constantIbLb1EESX_IbLb0EEEEDaST_SU_EUlST_E0_NS1_11comp_targetILNS1_3genE10ELNS1_11target_archE1201ELNS1_3gpuE5ELNS1_3repE0EEENS1_30default_config_static_selectorELNS0_4arch9wavefront6targetE1EEEvT1_,comdat
.Lfunc_end505:
	.size	_ZN7rocprim17ROCPRIM_400000_NS6detail17trampoline_kernelINS0_14default_configENS1_20scan_config_selectorIN3c108BFloat16EEEZZNS1_9scan_implILNS1_25lookback_scan_determinismE0ELb0ELb0ES3_PKS6_PS6_S6_ZZZN2at6native31launch_logcumsumexp_cuda_kernelERKNSD_10TensorBaseESH_lENKUlvE_clEvENKUlvE4_clEvEUlS6_S6_E_S6_EEDaPvRmT3_T4_T5_mT6_P12ihipStream_tbENKUlT_T0_E_clISt17integral_constantIbLb1EESX_IbLb0EEEEDaST_SU_EUlST_E0_NS1_11comp_targetILNS1_3genE10ELNS1_11target_archE1201ELNS1_3gpuE5ELNS1_3repE0EEENS1_30default_config_static_selectorELNS0_4arch9wavefront6targetE1EEEvT1_, .Lfunc_end505-_ZN7rocprim17ROCPRIM_400000_NS6detail17trampoline_kernelINS0_14default_configENS1_20scan_config_selectorIN3c108BFloat16EEEZZNS1_9scan_implILNS1_25lookback_scan_determinismE0ELb0ELb0ES3_PKS6_PS6_S6_ZZZN2at6native31launch_logcumsumexp_cuda_kernelERKNSD_10TensorBaseESH_lENKUlvE_clEvENKUlvE4_clEvEUlS6_S6_E_S6_EEDaPvRmT3_T4_T5_mT6_P12ihipStream_tbENKUlT_T0_E_clISt17integral_constantIbLb1EESX_IbLb0EEEEDaST_SU_EUlST_E0_NS1_11comp_targetILNS1_3genE10ELNS1_11target_archE1201ELNS1_3gpuE5ELNS1_3repE0EEENS1_30default_config_static_selectorELNS0_4arch9wavefront6targetE1EEEvT1_
                                        ; -- End function
	.section	.AMDGPU.csdata,"",@progbits
; Kernel info:
; codeLenInByte = 0
; NumSgprs: 4
; NumVgprs: 0
; NumAgprs: 0
; TotalNumVgprs: 0
; ScratchSize: 0
; MemoryBound: 0
; FloatMode: 240
; IeeeMode: 1
; LDSByteSize: 0 bytes/workgroup (compile time only)
; SGPRBlocks: 0
; VGPRBlocks: 0
; NumSGPRsForWavesPerEU: 4
; NumVGPRsForWavesPerEU: 1
; AccumOffset: 4
; Occupancy: 8
; WaveLimiterHint : 0
; COMPUTE_PGM_RSRC2:SCRATCH_EN: 0
; COMPUTE_PGM_RSRC2:USER_SGPR: 6
; COMPUTE_PGM_RSRC2:TRAP_HANDLER: 0
; COMPUTE_PGM_RSRC2:TGID_X_EN: 1
; COMPUTE_PGM_RSRC2:TGID_Y_EN: 0
; COMPUTE_PGM_RSRC2:TGID_Z_EN: 0
; COMPUTE_PGM_RSRC2:TIDIG_COMP_CNT: 0
; COMPUTE_PGM_RSRC3_GFX90A:ACCUM_OFFSET: 0
; COMPUTE_PGM_RSRC3_GFX90A:TG_SPLIT: 0
	.section	.text._ZN7rocprim17ROCPRIM_400000_NS6detail17trampoline_kernelINS0_14default_configENS1_20scan_config_selectorIN3c108BFloat16EEEZZNS1_9scan_implILNS1_25lookback_scan_determinismE0ELb0ELb0ES3_PKS6_PS6_S6_ZZZN2at6native31launch_logcumsumexp_cuda_kernelERKNSD_10TensorBaseESH_lENKUlvE_clEvENKUlvE4_clEvEUlS6_S6_E_S6_EEDaPvRmT3_T4_T5_mT6_P12ihipStream_tbENKUlT_T0_E_clISt17integral_constantIbLb1EESX_IbLb0EEEEDaST_SU_EUlST_E0_NS1_11comp_targetILNS1_3genE10ELNS1_11target_archE1200ELNS1_3gpuE4ELNS1_3repE0EEENS1_30default_config_static_selectorELNS0_4arch9wavefront6targetE1EEEvT1_,"axG",@progbits,_ZN7rocprim17ROCPRIM_400000_NS6detail17trampoline_kernelINS0_14default_configENS1_20scan_config_selectorIN3c108BFloat16EEEZZNS1_9scan_implILNS1_25lookback_scan_determinismE0ELb0ELb0ES3_PKS6_PS6_S6_ZZZN2at6native31launch_logcumsumexp_cuda_kernelERKNSD_10TensorBaseESH_lENKUlvE_clEvENKUlvE4_clEvEUlS6_S6_E_S6_EEDaPvRmT3_T4_T5_mT6_P12ihipStream_tbENKUlT_T0_E_clISt17integral_constantIbLb1EESX_IbLb0EEEEDaST_SU_EUlST_E0_NS1_11comp_targetILNS1_3genE10ELNS1_11target_archE1200ELNS1_3gpuE4ELNS1_3repE0EEENS1_30default_config_static_selectorELNS0_4arch9wavefront6targetE1EEEvT1_,comdat
	.globl	_ZN7rocprim17ROCPRIM_400000_NS6detail17trampoline_kernelINS0_14default_configENS1_20scan_config_selectorIN3c108BFloat16EEEZZNS1_9scan_implILNS1_25lookback_scan_determinismE0ELb0ELb0ES3_PKS6_PS6_S6_ZZZN2at6native31launch_logcumsumexp_cuda_kernelERKNSD_10TensorBaseESH_lENKUlvE_clEvENKUlvE4_clEvEUlS6_S6_E_S6_EEDaPvRmT3_T4_T5_mT6_P12ihipStream_tbENKUlT_T0_E_clISt17integral_constantIbLb1EESX_IbLb0EEEEDaST_SU_EUlST_E0_NS1_11comp_targetILNS1_3genE10ELNS1_11target_archE1200ELNS1_3gpuE4ELNS1_3repE0EEENS1_30default_config_static_selectorELNS0_4arch9wavefront6targetE1EEEvT1_ ; -- Begin function _ZN7rocprim17ROCPRIM_400000_NS6detail17trampoline_kernelINS0_14default_configENS1_20scan_config_selectorIN3c108BFloat16EEEZZNS1_9scan_implILNS1_25lookback_scan_determinismE0ELb0ELb0ES3_PKS6_PS6_S6_ZZZN2at6native31launch_logcumsumexp_cuda_kernelERKNSD_10TensorBaseESH_lENKUlvE_clEvENKUlvE4_clEvEUlS6_S6_E_S6_EEDaPvRmT3_T4_T5_mT6_P12ihipStream_tbENKUlT_T0_E_clISt17integral_constantIbLb1EESX_IbLb0EEEEDaST_SU_EUlST_E0_NS1_11comp_targetILNS1_3genE10ELNS1_11target_archE1200ELNS1_3gpuE4ELNS1_3repE0EEENS1_30default_config_static_selectorELNS0_4arch9wavefront6targetE1EEEvT1_
	.p2align	8
	.type	_ZN7rocprim17ROCPRIM_400000_NS6detail17trampoline_kernelINS0_14default_configENS1_20scan_config_selectorIN3c108BFloat16EEEZZNS1_9scan_implILNS1_25lookback_scan_determinismE0ELb0ELb0ES3_PKS6_PS6_S6_ZZZN2at6native31launch_logcumsumexp_cuda_kernelERKNSD_10TensorBaseESH_lENKUlvE_clEvENKUlvE4_clEvEUlS6_S6_E_S6_EEDaPvRmT3_T4_T5_mT6_P12ihipStream_tbENKUlT_T0_E_clISt17integral_constantIbLb1EESX_IbLb0EEEEDaST_SU_EUlST_E0_NS1_11comp_targetILNS1_3genE10ELNS1_11target_archE1200ELNS1_3gpuE4ELNS1_3repE0EEENS1_30default_config_static_selectorELNS0_4arch9wavefront6targetE1EEEvT1_,@function
_ZN7rocprim17ROCPRIM_400000_NS6detail17trampoline_kernelINS0_14default_configENS1_20scan_config_selectorIN3c108BFloat16EEEZZNS1_9scan_implILNS1_25lookback_scan_determinismE0ELb0ELb0ES3_PKS6_PS6_S6_ZZZN2at6native31launch_logcumsumexp_cuda_kernelERKNSD_10TensorBaseESH_lENKUlvE_clEvENKUlvE4_clEvEUlS6_S6_E_S6_EEDaPvRmT3_T4_T5_mT6_P12ihipStream_tbENKUlT_T0_E_clISt17integral_constantIbLb1EESX_IbLb0EEEEDaST_SU_EUlST_E0_NS1_11comp_targetILNS1_3genE10ELNS1_11target_archE1200ELNS1_3gpuE4ELNS1_3repE0EEENS1_30default_config_static_selectorELNS0_4arch9wavefront6targetE1EEEvT1_: ; @_ZN7rocprim17ROCPRIM_400000_NS6detail17trampoline_kernelINS0_14default_configENS1_20scan_config_selectorIN3c108BFloat16EEEZZNS1_9scan_implILNS1_25lookback_scan_determinismE0ELb0ELb0ES3_PKS6_PS6_S6_ZZZN2at6native31launch_logcumsumexp_cuda_kernelERKNSD_10TensorBaseESH_lENKUlvE_clEvENKUlvE4_clEvEUlS6_S6_E_S6_EEDaPvRmT3_T4_T5_mT6_P12ihipStream_tbENKUlT_T0_E_clISt17integral_constantIbLb1EESX_IbLb0EEEEDaST_SU_EUlST_E0_NS1_11comp_targetILNS1_3genE10ELNS1_11target_archE1200ELNS1_3gpuE4ELNS1_3repE0EEENS1_30default_config_static_selectorELNS0_4arch9wavefront6targetE1EEEvT1_
; %bb.0:
	.section	.rodata,"a",@progbits
	.p2align	6, 0x0
	.amdhsa_kernel _ZN7rocprim17ROCPRIM_400000_NS6detail17trampoline_kernelINS0_14default_configENS1_20scan_config_selectorIN3c108BFloat16EEEZZNS1_9scan_implILNS1_25lookback_scan_determinismE0ELb0ELb0ES3_PKS6_PS6_S6_ZZZN2at6native31launch_logcumsumexp_cuda_kernelERKNSD_10TensorBaseESH_lENKUlvE_clEvENKUlvE4_clEvEUlS6_S6_E_S6_EEDaPvRmT3_T4_T5_mT6_P12ihipStream_tbENKUlT_T0_E_clISt17integral_constantIbLb1EESX_IbLb0EEEEDaST_SU_EUlST_E0_NS1_11comp_targetILNS1_3genE10ELNS1_11target_archE1200ELNS1_3gpuE4ELNS1_3repE0EEENS1_30default_config_static_selectorELNS0_4arch9wavefront6targetE1EEEvT1_
		.amdhsa_group_segment_fixed_size 0
		.amdhsa_private_segment_fixed_size 0
		.amdhsa_kernarg_size 32
		.amdhsa_user_sgpr_count 6
		.amdhsa_user_sgpr_private_segment_buffer 1
		.amdhsa_user_sgpr_dispatch_ptr 0
		.amdhsa_user_sgpr_queue_ptr 0
		.amdhsa_user_sgpr_kernarg_segment_ptr 1
		.amdhsa_user_sgpr_dispatch_id 0
		.amdhsa_user_sgpr_flat_scratch_init 0
		.amdhsa_user_sgpr_kernarg_preload_length 0
		.amdhsa_user_sgpr_kernarg_preload_offset 0
		.amdhsa_user_sgpr_private_segment_size 0
		.amdhsa_uses_dynamic_stack 0
		.amdhsa_system_sgpr_private_segment_wavefront_offset 0
		.amdhsa_system_sgpr_workgroup_id_x 1
		.amdhsa_system_sgpr_workgroup_id_y 0
		.amdhsa_system_sgpr_workgroup_id_z 0
		.amdhsa_system_sgpr_workgroup_info 0
		.amdhsa_system_vgpr_workitem_id 0
		.amdhsa_next_free_vgpr 1
		.amdhsa_next_free_sgpr 0
		.amdhsa_accum_offset 4
		.amdhsa_reserve_vcc 0
		.amdhsa_reserve_flat_scratch 0
		.amdhsa_float_round_mode_32 0
		.amdhsa_float_round_mode_16_64 0
		.amdhsa_float_denorm_mode_32 3
		.amdhsa_float_denorm_mode_16_64 3
		.amdhsa_dx10_clamp 1
		.amdhsa_ieee_mode 1
		.amdhsa_fp16_overflow 0
		.amdhsa_tg_split 0
		.amdhsa_exception_fp_ieee_invalid_op 0
		.amdhsa_exception_fp_denorm_src 0
		.amdhsa_exception_fp_ieee_div_zero 0
		.amdhsa_exception_fp_ieee_overflow 0
		.amdhsa_exception_fp_ieee_underflow 0
		.amdhsa_exception_fp_ieee_inexact 0
		.amdhsa_exception_int_div_zero 0
	.end_amdhsa_kernel
	.section	.text._ZN7rocprim17ROCPRIM_400000_NS6detail17trampoline_kernelINS0_14default_configENS1_20scan_config_selectorIN3c108BFloat16EEEZZNS1_9scan_implILNS1_25lookback_scan_determinismE0ELb0ELb0ES3_PKS6_PS6_S6_ZZZN2at6native31launch_logcumsumexp_cuda_kernelERKNSD_10TensorBaseESH_lENKUlvE_clEvENKUlvE4_clEvEUlS6_S6_E_S6_EEDaPvRmT3_T4_T5_mT6_P12ihipStream_tbENKUlT_T0_E_clISt17integral_constantIbLb1EESX_IbLb0EEEEDaST_SU_EUlST_E0_NS1_11comp_targetILNS1_3genE10ELNS1_11target_archE1200ELNS1_3gpuE4ELNS1_3repE0EEENS1_30default_config_static_selectorELNS0_4arch9wavefront6targetE1EEEvT1_,"axG",@progbits,_ZN7rocprim17ROCPRIM_400000_NS6detail17trampoline_kernelINS0_14default_configENS1_20scan_config_selectorIN3c108BFloat16EEEZZNS1_9scan_implILNS1_25lookback_scan_determinismE0ELb0ELb0ES3_PKS6_PS6_S6_ZZZN2at6native31launch_logcumsumexp_cuda_kernelERKNSD_10TensorBaseESH_lENKUlvE_clEvENKUlvE4_clEvEUlS6_S6_E_S6_EEDaPvRmT3_T4_T5_mT6_P12ihipStream_tbENKUlT_T0_E_clISt17integral_constantIbLb1EESX_IbLb0EEEEDaST_SU_EUlST_E0_NS1_11comp_targetILNS1_3genE10ELNS1_11target_archE1200ELNS1_3gpuE4ELNS1_3repE0EEENS1_30default_config_static_selectorELNS0_4arch9wavefront6targetE1EEEvT1_,comdat
.Lfunc_end506:
	.size	_ZN7rocprim17ROCPRIM_400000_NS6detail17trampoline_kernelINS0_14default_configENS1_20scan_config_selectorIN3c108BFloat16EEEZZNS1_9scan_implILNS1_25lookback_scan_determinismE0ELb0ELb0ES3_PKS6_PS6_S6_ZZZN2at6native31launch_logcumsumexp_cuda_kernelERKNSD_10TensorBaseESH_lENKUlvE_clEvENKUlvE4_clEvEUlS6_S6_E_S6_EEDaPvRmT3_T4_T5_mT6_P12ihipStream_tbENKUlT_T0_E_clISt17integral_constantIbLb1EESX_IbLb0EEEEDaST_SU_EUlST_E0_NS1_11comp_targetILNS1_3genE10ELNS1_11target_archE1200ELNS1_3gpuE4ELNS1_3repE0EEENS1_30default_config_static_selectorELNS0_4arch9wavefront6targetE1EEEvT1_, .Lfunc_end506-_ZN7rocprim17ROCPRIM_400000_NS6detail17trampoline_kernelINS0_14default_configENS1_20scan_config_selectorIN3c108BFloat16EEEZZNS1_9scan_implILNS1_25lookback_scan_determinismE0ELb0ELb0ES3_PKS6_PS6_S6_ZZZN2at6native31launch_logcumsumexp_cuda_kernelERKNSD_10TensorBaseESH_lENKUlvE_clEvENKUlvE4_clEvEUlS6_S6_E_S6_EEDaPvRmT3_T4_T5_mT6_P12ihipStream_tbENKUlT_T0_E_clISt17integral_constantIbLb1EESX_IbLb0EEEEDaST_SU_EUlST_E0_NS1_11comp_targetILNS1_3genE10ELNS1_11target_archE1200ELNS1_3gpuE4ELNS1_3repE0EEENS1_30default_config_static_selectorELNS0_4arch9wavefront6targetE1EEEvT1_
                                        ; -- End function
	.section	.AMDGPU.csdata,"",@progbits
; Kernel info:
; codeLenInByte = 0
; NumSgprs: 4
; NumVgprs: 0
; NumAgprs: 0
; TotalNumVgprs: 0
; ScratchSize: 0
; MemoryBound: 0
; FloatMode: 240
; IeeeMode: 1
; LDSByteSize: 0 bytes/workgroup (compile time only)
; SGPRBlocks: 0
; VGPRBlocks: 0
; NumSGPRsForWavesPerEU: 4
; NumVGPRsForWavesPerEU: 1
; AccumOffset: 4
; Occupancy: 8
; WaveLimiterHint : 0
; COMPUTE_PGM_RSRC2:SCRATCH_EN: 0
; COMPUTE_PGM_RSRC2:USER_SGPR: 6
; COMPUTE_PGM_RSRC2:TRAP_HANDLER: 0
; COMPUTE_PGM_RSRC2:TGID_X_EN: 1
; COMPUTE_PGM_RSRC2:TGID_Y_EN: 0
; COMPUTE_PGM_RSRC2:TGID_Z_EN: 0
; COMPUTE_PGM_RSRC2:TIDIG_COMP_CNT: 0
; COMPUTE_PGM_RSRC3_GFX90A:ACCUM_OFFSET: 0
; COMPUTE_PGM_RSRC3_GFX90A:TG_SPLIT: 0
	.section	.text._ZN7rocprim17ROCPRIM_400000_NS6detail17trampoline_kernelINS0_14default_configENS1_20scan_config_selectorIN3c108BFloat16EEEZZNS1_9scan_implILNS1_25lookback_scan_determinismE0ELb0ELb0ES3_PKS6_PS6_S6_ZZZN2at6native31launch_logcumsumexp_cuda_kernelERKNSD_10TensorBaseESH_lENKUlvE_clEvENKUlvE4_clEvEUlS6_S6_E_S6_EEDaPvRmT3_T4_T5_mT6_P12ihipStream_tbENKUlT_T0_E_clISt17integral_constantIbLb1EESX_IbLb0EEEEDaST_SU_EUlST_E0_NS1_11comp_targetILNS1_3genE9ELNS1_11target_archE1100ELNS1_3gpuE3ELNS1_3repE0EEENS1_30default_config_static_selectorELNS0_4arch9wavefront6targetE1EEEvT1_,"axG",@progbits,_ZN7rocprim17ROCPRIM_400000_NS6detail17trampoline_kernelINS0_14default_configENS1_20scan_config_selectorIN3c108BFloat16EEEZZNS1_9scan_implILNS1_25lookback_scan_determinismE0ELb0ELb0ES3_PKS6_PS6_S6_ZZZN2at6native31launch_logcumsumexp_cuda_kernelERKNSD_10TensorBaseESH_lENKUlvE_clEvENKUlvE4_clEvEUlS6_S6_E_S6_EEDaPvRmT3_T4_T5_mT6_P12ihipStream_tbENKUlT_T0_E_clISt17integral_constantIbLb1EESX_IbLb0EEEEDaST_SU_EUlST_E0_NS1_11comp_targetILNS1_3genE9ELNS1_11target_archE1100ELNS1_3gpuE3ELNS1_3repE0EEENS1_30default_config_static_selectorELNS0_4arch9wavefront6targetE1EEEvT1_,comdat
	.globl	_ZN7rocprim17ROCPRIM_400000_NS6detail17trampoline_kernelINS0_14default_configENS1_20scan_config_selectorIN3c108BFloat16EEEZZNS1_9scan_implILNS1_25lookback_scan_determinismE0ELb0ELb0ES3_PKS6_PS6_S6_ZZZN2at6native31launch_logcumsumexp_cuda_kernelERKNSD_10TensorBaseESH_lENKUlvE_clEvENKUlvE4_clEvEUlS6_S6_E_S6_EEDaPvRmT3_T4_T5_mT6_P12ihipStream_tbENKUlT_T0_E_clISt17integral_constantIbLb1EESX_IbLb0EEEEDaST_SU_EUlST_E0_NS1_11comp_targetILNS1_3genE9ELNS1_11target_archE1100ELNS1_3gpuE3ELNS1_3repE0EEENS1_30default_config_static_selectorELNS0_4arch9wavefront6targetE1EEEvT1_ ; -- Begin function _ZN7rocprim17ROCPRIM_400000_NS6detail17trampoline_kernelINS0_14default_configENS1_20scan_config_selectorIN3c108BFloat16EEEZZNS1_9scan_implILNS1_25lookback_scan_determinismE0ELb0ELb0ES3_PKS6_PS6_S6_ZZZN2at6native31launch_logcumsumexp_cuda_kernelERKNSD_10TensorBaseESH_lENKUlvE_clEvENKUlvE4_clEvEUlS6_S6_E_S6_EEDaPvRmT3_T4_T5_mT6_P12ihipStream_tbENKUlT_T0_E_clISt17integral_constantIbLb1EESX_IbLb0EEEEDaST_SU_EUlST_E0_NS1_11comp_targetILNS1_3genE9ELNS1_11target_archE1100ELNS1_3gpuE3ELNS1_3repE0EEENS1_30default_config_static_selectorELNS0_4arch9wavefront6targetE1EEEvT1_
	.p2align	8
	.type	_ZN7rocprim17ROCPRIM_400000_NS6detail17trampoline_kernelINS0_14default_configENS1_20scan_config_selectorIN3c108BFloat16EEEZZNS1_9scan_implILNS1_25lookback_scan_determinismE0ELb0ELb0ES3_PKS6_PS6_S6_ZZZN2at6native31launch_logcumsumexp_cuda_kernelERKNSD_10TensorBaseESH_lENKUlvE_clEvENKUlvE4_clEvEUlS6_S6_E_S6_EEDaPvRmT3_T4_T5_mT6_P12ihipStream_tbENKUlT_T0_E_clISt17integral_constantIbLb1EESX_IbLb0EEEEDaST_SU_EUlST_E0_NS1_11comp_targetILNS1_3genE9ELNS1_11target_archE1100ELNS1_3gpuE3ELNS1_3repE0EEENS1_30default_config_static_selectorELNS0_4arch9wavefront6targetE1EEEvT1_,@function
_ZN7rocprim17ROCPRIM_400000_NS6detail17trampoline_kernelINS0_14default_configENS1_20scan_config_selectorIN3c108BFloat16EEEZZNS1_9scan_implILNS1_25lookback_scan_determinismE0ELb0ELb0ES3_PKS6_PS6_S6_ZZZN2at6native31launch_logcumsumexp_cuda_kernelERKNSD_10TensorBaseESH_lENKUlvE_clEvENKUlvE4_clEvEUlS6_S6_E_S6_EEDaPvRmT3_T4_T5_mT6_P12ihipStream_tbENKUlT_T0_E_clISt17integral_constantIbLb1EESX_IbLb0EEEEDaST_SU_EUlST_E0_NS1_11comp_targetILNS1_3genE9ELNS1_11target_archE1100ELNS1_3gpuE3ELNS1_3repE0EEENS1_30default_config_static_selectorELNS0_4arch9wavefront6targetE1EEEvT1_: ; @_ZN7rocprim17ROCPRIM_400000_NS6detail17trampoline_kernelINS0_14default_configENS1_20scan_config_selectorIN3c108BFloat16EEEZZNS1_9scan_implILNS1_25lookback_scan_determinismE0ELb0ELb0ES3_PKS6_PS6_S6_ZZZN2at6native31launch_logcumsumexp_cuda_kernelERKNSD_10TensorBaseESH_lENKUlvE_clEvENKUlvE4_clEvEUlS6_S6_E_S6_EEDaPvRmT3_T4_T5_mT6_P12ihipStream_tbENKUlT_T0_E_clISt17integral_constantIbLb1EESX_IbLb0EEEEDaST_SU_EUlST_E0_NS1_11comp_targetILNS1_3genE9ELNS1_11target_archE1100ELNS1_3gpuE3ELNS1_3repE0EEENS1_30default_config_static_selectorELNS0_4arch9wavefront6targetE1EEEvT1_
; %bb.0:
	.section	.rodata,"a",@progbits
	.p2align	6, 0x0
	.amdhsa_kernel _ZN7rocprim17ROCPRIM_400000_NS6detail17trampoline_kernelINS0_14default_configENS1_20scan_config_selectorIN3c108BFloat16EEEZZNS1_9scan_implILNS1_25lookback_scan_determinismE0ELb0ELb0ES3_PKS6_PS6_S6_ZZZN2at6native31launch_logcumsumexp_cuda_kernelERKNSD_10TensorBaseESH_lENKUlvE_clEvENKUlvE4_clEvEUlS6_S6_E_S6_EEDaPvRmT3_T4_T5_mT6_P12ihipStream_tbENKUlT_T0_E_clISt17integral_constantIbLb1EESX_IbLb0EEEEDaST_SU_EUlST_E0_NS1_11comp_targetILNS1_3genE9ELNS1_11target_archE1100ELNS1_3gpuE3ELNS1_3repE0EEENS1_30default_config_static_selectorELNS0_4arch9wavefront6targetE1EEEvT1_
		.amdhsa_group_segment_fixed_size 0
		.amdhsa_private_segment_fixed_size 0
		.amdhsa_kernarg_size 32
		.amdhsa_user_sgpr_count 6
		.amdhsa_user_sgpr_private_segment_buffer 1
		.amdhsa_user_sgpr_dispatch_ptr 0
		.amdhsa_user_sgpr_queue_ptr 0
		.amdhsa_user_sgpr_kernarg_segment_ptr 1
		.amdhsa_user_sgpr_dispatch_id 0
		.amdhsa_user_sgpr_flat_scratch_init 0
		.amdhsa_user_sgpr_kernarg_preload_length 0
		.amdhsa_user_sgpr_kernarg_preload_offset 0
		.amdhsa_user_sgpr_private_segment_size 0
		.amdhsa_uses_dynamic_stack 0
		.amdhsa_system_sgpr_private_segment_wavefront_offset 0
		.amdhsa_system_sgpr_workgroup_id_x 1
		.amdhsa_system_sgpr_workgroup_id_y 0
		.amdhsa_system_sgpr_workgroup_id_z 0
		.amdhsa_system_sgpr_workgroup_info 0
		.amdhsa_system_vgpr_workitem_id 0
		.amdhsa_next_free_vgpr 1
		.amdhsa_next_free_sgpr 0
		.amdhsa_accum_offset 4
		.amdhsa_reserve_vcc 0
		.amdhsa_reserve_flat_scratch 0
		.amdhsa_float_round_mode_32 0
		.amdhsa_float_round_mode_16_64 0
		.amdhsa_float_denorm_mode_32 3
		.amdhsa_float_denorm_mode_16_64 3
		.amdhsa_dx10_clamp 1
		.amdhsa_ieee_mode 1
		.amdhsa_fp16_overflow 0
		.amdhsa_tg_split 0
		.amdhsa_exception_fp_ieee_invalid_op 0
		.amdhsa_exception_fp_denorm_src 0
		.amdhsa_exception_fp_ieee_div_zero 0
		.amdhsa_exception_fp_ieee_overflow 0
		.amdhsa_exception_fp_ieee_underflow 0
		.amdhsa_exception_fp_ieee_inexact 0
		.amdhsa_exception_int_div_zero 0
	.end_amdhsa_kernel
	.section	.text._ZN7rocprim17ROCPRIM_400000_NS6detail17trampoline_kernelINS0_14default_configENS1_20scan_config_selectorIN3c108BFloat16EEEZZNS1_9scan_implILNS1_25lookback_scan_determinismE0ELb0ELb0ES3_PKS6_PS6_S6_ZZZN2at6native31launch_logcumsumexp_cuda_kernelERKNSD_10TensorBaseESH_lENKUlvE_clEvENKUlvE4_clEvEUlS6_S6_E_S6_EEDaPvRmT3_T4_T5_mT6_P12ihipStream_tbENKUlT_T0_E_clISt17integral_constantIbLb1EESX_IbLb0EEEEDaST_SU_EUlST_E0_NS1_11comp_targetILNS1_3genE9ELNS1_11target_archE1100ELNS1_3gpuE3ELNS1_3repE0EEENS1_30default_config_static_selectorELNS0_4arch9wavefront6targetE1EEEvT1_,"axG",@progbits,_ZN7rocprim17ROCPRIM_400000_NS6detail17trampoline_kernelINS0_14default_configENS1_20scan_config_selectorIN3c108BFloat16EEEZZNS1_9scan_implILNS1_25lookback_scan_determinismE0ELb0ELb0ES3_PKS6_PS6_S6_ZZZN2at6native31launch_logcumsumexp_cuda_kernelERKNSD_10TensorBaseESH_lENKUlvE_clEvENKUlvE4_clEvEUlS6_S6_E_S6_EEDaPvRmT3_T4_T5_mT6_P12ihipStream_tbENKUlT_T0_E_clISt17integral_constantIbLb1EESX_IbLb0EEEEDaST_SU_EUlST_E0_NS1_11comp_targetILNS1_3genE9ELNS1_11target_archE1100ELNS1_3gpuE3ELNS1_3repE0EEENS1_30default_config_static_selectorELNS0_4arch9wavefront6targetE1EEEvT1_,comdat
.Lfunc_end507:
	.size	_ZN7rocprim17ROCPRIM_400000_NS6detail17trampoline_kernelINS0_14default_configENS1_20scan_config_selectorIN3c108BFloat16EEEZZNS1_9scan_implILNS1_25lookback_scan_determinismE0ELb0ELb0ES3_PKS6_PS6_S6_ZZZN2at6native31launch_logcumsumexp_cuda_kernelERKNSD_10TensorBaseESH_lENKUlvE_clEvENKUlvE4_clEvEUlS6_S6_E_S6_EEDaPvRmT3_T4_T5_mT6_P12ihipStream_tbENKUlT_T0_E_clISt17integral_constantIbLb1EESX_IbLb0EEEEDaST_SU_EUlST_E0_NS1_11comp_targetILNS1_3genE9ELNS1_11target_archE1100ELNS1_3gpuE3ELNS1_3repE0EEENS1_30default_config_static_selectorELNS0_4arch9wavefront6targetE1EEEvT1_, .Lfunc_end507-_ZN7rocprim17ROCPRIM_400000_NS6detail17trampoline_kernelINS0_14default_configENS1_20scan_config_selectorIN3c108BFloat16EEEZZNS1_9scan_implILNS1_25lookback_scan_determinismE0ELb0ELb0ES3_PKS6_PS6_S6_ZZZN2at6native31launch_logcumsumexp_cuda_kernelERKNSD_10TensorBaseESH_lENKUlvE_clEvENKUlvE4_clEvEUlS6_S6_E_S6_EEDaPvRmT3_T4_T5_mT6_P12ihipStream_tbENKUlT_T0_E_clISt17integral_constantIbLb1EESX_IbLb0EEEEDaST_SU_EUlST_E0_NS1_11comp_targetILNS1_3genE9ELNS1_11target_archE1100ELNS1_3gpuE3ELNS1_3repE0EEENS1_30default_config_static_selectorELNS0_4arch9wavefront6targetE1EEEvT1_
                                        ; -- End function
	.section	.AMDGPU.csdata,"",@progbits
; Kernel info:
; codeLenInByte = 0
; NumSgprs: 4
; NumVgprs: 0
; NumAgprs: 0
; TotalNumVgprs: 0
; ScratchSize: 0
; MemoryBound: 0
; FloatMode: 240
; IeeeMode: 1
; LDSByteSize: 0 bytes/workgroup (compile time only)
; SGPRBlocks: 0
; VGPRBlocks: 0
; NumSGPRsForWavesPerEU: 4
; NumVGPRsForWavesPerEU: 1
; AccumOffset: 4
; Occupancy: 8
; WaveLimiterHint : 0
; COMPUTE_PGM_RSRC2:SCRATCH_EN: 0
; COMPUTE_PGM_RSRC2:USER_SGPR: 6
; COMPUTE_PGM_RSRC2:TRAP_HANDLER: 0
; COMPUTE_PGM_RSRC2:TGID_X_EN: 1
; COMPUTE_PGM_RSRC2:TGID_Y_EN: 0
; COMPUTE_PGM_RSRC2:TGID_Z_EN: 0
; COMPUTE_PGM_RSRC2:TIDIG_COMP_CNT: 0
; COMPUTE_PGM_RSRC3_GFX90A:ACCUM_OFFSET: 0
; COMPUTE_PGM_RSRC3_GFX90A:TG_SPLIT: 0
	.section	.text._ZN7rocprim17ROCPRIM_400000_NS6detail17trampoline_kernelINS0_14default_configENS1_20scan_config_selectorIN3c108BFloat16EEEZZNS1_9scan_implILNS1_25lookback_scan_determinismE0ELb0ELb0ES3_PKS6_PS6_S6_ZZZN2at6native31launch_logcumsumexp_cuda_kernelERKNSD_10TensorBaseESH_lENKUlvE_clEvENKUlvE4_clEvEUlS6_S6_E_S6_EEDaPvRmT3_T4_T5_mT6_P12ihipStream_tbENKUlT_T0_E_clISt17integral_constantIbLb1EESX_IbLb0EEEEDaST_SU_EUlST_E0_NS1_11comp_targetILNS1_3genE8ELNS1_11target_archE1030ELNS1_3gpuE2ELNS1_3repE0EEENS1_30default_config_static_selectorELNS0_4arch9wavefront6targetE1EEEvT1_,"axG",@progbits,_ZN7rocprim17ROCPRIM_400000_NS6detail17trampoline_kernelINS0_14default_configENS1_20scan_config_selectorIN3c108BFloat16EEEZZNS1_9scan_implILNS1_25lookback_scan_determinismE0ELb0ELb0ES3_PKS6_PS6_S6_ZZZN2at6native31launch_logcumsumexp_cuda_kernelERKNSD_10TensorBaseESH_lENKUlvE_clEvENKUlvE4_clEvEUlS6_S6_E_S6_EEDaPvRmT3_T4_T5_mT6_P12ihipStream_tbENKUlT_T0_E_clISt17integral_constantIbLb1EESX_IbLb0EEEEDaST_SU_EUlST_E0_NS1_11comp_targetILNS1_3genE8ELNS1_11target_archE1030ELNS1_3gpuE2ELNS1_3repE0EEENS1_30default_config_static_selectorELNS0_4arch9wavefront6targetE1EEEvT1_,comdat
	.globl	_ZN7rocprim17ROCPRIM_400000_NS6detail17trampoline_kernelINS0_14default_configENS1_20scan_config_selectorIN3c108BFloat16EEEZZNS1_9scan_implILNS1_25lookback_scan_determinismE0ELb0ELb0ES3_PKS6_PS6_S6_ZZZN2at6native31launch_logcumsumexp_cuda_kernelERKNSD_10TensorBaseESH_lENKUlvE_clEvENKUlvE4_clEvEUlS6_S6_E_S6_EEDaPvRmT3_T4_T5_mT6_P12ihipStream_tbENKUlT_T0_E_clISt17integral_constantIbLb1EESX_IbLb0EEEEDaST_SU_EUlST_E0_NS1_11comp_targetILNS1_3genE8ELNS1_11target_archE1030ELNS1_3gpuE2ELNS1_3repE0EEENS1_30default_config_static_selectorELNS0_4arch9wavefront6targetE1EEEvT1_ ; -- Begin function _ZN7rocprim17ROCPRIM_400000_NS6detail17trampoline_kernelINS0_14default_configENS1_20scan_config_selectorIN3c108BFloat16EEEZZNS1_9scan_implILNS1_25lookback_scan_determinismE0ELb0ELb0ES3_PKS6_PS6_S6_ZZZN2at6native31launch_logcumsumexp_cuda_kernelERKNSD_10TensorBaseESH_lENKUlvE_clEvENKUlvE4_clEvEUlS6_S6_E_S6_EEDaPvRmT3_T4_T5_mT6_P12ihipStream_tbENKUlT_T0_E_clISt17integral_constantIbLb1EESX_IbLb0EEEEDaST_SU_EUlST_E0_NS1_11comp_targetILNS1_3genE8ELNS1_11target_archE1030ELNS1_3gpuE2ELNS1_3repE0EEENS1_30default_config_static_selectorELNS0_4arch9wavefront6targetE1EEEvT1_
	.p2align	8
	.type	_ZN7rocprim17ROCPRIM_400000_NS6detail17trampoline_kernelINS0_14default_configENS1_20scan_config_selectorIN3c108BFloat16EEEZZNS1_9scan_implILNS1_25lookback_scan_determinismE0ELb0ELb0ES3_PKS6_PS6_S6_ZZZN2at6native31launch_logcumsumexp_cuda_kernelERKNSD_10TensorBaseESH_lENKUlvE_clEvENKUlvE4_clEvEUlS6_S6_E_S6_EEDaPvRmT3_T4_T5_mT6_P12ihipStream_tbENKUlT_T0_E_clISt17integral_constantIbLb1EESX_IbLb0EEEEDaST_SU_EUlST_E0_NS1_11comp_targetILNS1_3genE8ELNS1_11target_archE1030ELNS1_3gpuE2ELNS1_3repE0EEENS1_30default_config_static_selectorELNS0_4arch9wavefront6targetE1EEEvT1_,@function
_ZN7rocprim17ROCPRIM_400000_NS6detail17trampoline_kernelINS0_14default_configENS1_20scan_config_selectorIN3c108BFloat16EEEZZNS1_9scan_implILNS1_25lookback_scan_determinismE0ELb0ELb0ES3_PKS6_PS6_S6_ZZZN2at6native31launch_logcumsumexp_cuda_kernelERKNSD_10TensorBaseESH_lENKUlvE_clEvENKUlvE4_clEvEUlS6_S6_E_S6_EEDaPvRmT3_T4_T5_mT6_P12ihipStream_tbENKUlT_T0_E_clISt17integral_constantIbLb1EESX_IbLb0EEEEDaST_SU_EUlST_E0_NS1_11comp_targetILNS1_3genE8ELNS1_11target_archE1030ELNS1_3gpuE2ELNS1_3repE0EEENS1_30default_config_static_selectorELNS0_4arch9wavefront6targetE1EEEvT1_: ; @_ZN7rocprim17ROCPRIM_400000_NS6detail17trampoline_kernelINS0_14default_configENS1_20scan_config_selectorIN3c108BFloat16EEEZZNS1_9scan_implILNS1_25lookback_scan_determinismE0ELb0ELb0ES3_PKS6_PS6_S6_ZZZN2at6native31launch_logcumsumexp_cuda_kernelERKNSD_10TensorBaseESH_lENKUlvE_clEvENKUlvE4_clEvEUlS6_S6_E_S6_EEDaPvRmT3_T4_T5_mT6_P12ihipStream_tbENKUlT_T0_E_clISt17integral_constantIbLb1EESX_IbLb0EEEEDaST_SU_EUlST_E0_NS1_11comp_targetILNS1_3genE8ELNS1_11target_archE1030ELNS1_3gpuE2ELNS1_3repE0EEENS1_30default_config_static_selectorELNS0_4arch9wavefront6targetE1EEEvT1_
; %bb.0:
	.section	.rodata,"a",@progbits
	.p2align	6, 0x0
	.amdhsa_kernel _ZN7rocprim17ROCPRIM_400000_NS6detail17trampoline_kernelINS0_14default_configENS1_20scan_config_selectorIN3c108BFloat16EEEZZNS1_9scan_implILNS1_25lookback_scan_determinismE0ELb0ELb0ES3_PKS6_PS6_S6_ZZZN2at6native31launch_logcumsumexp_cuda_kernelERKNSD_10TensorBaseESH_lENKUlvE_clEvENKUlvE4_clEvEUlS6_S6_E_S6_EEDaPvRmT3_T4_T5_mT6_P12ihipStream_tbENKUlT_T0_E_clISt17integral_constantIbLb1EESX_IbLb0EEEEDaST_SU_EUlST_E0_NS1_11comp_targetILNS1_3genE8ELNS1_11target_archE1030ELNS1_3gpuE2ELNS1_3repE0EEENS1_30default_config_static_selectorELNS0_4arch9wavefront6targetE1EEEvT1_
		.amdhsa_group_segment_fixed_size 0
		.amdhsa_private_segment_fixed_size 0
		.amdhsa_kernarg_size 32
		.amdhsa_user_sgpr_count 6
		.amdhsa_user_sgpr_private_segment_buffer 1
		.amdhsa_user_sgpr_dispatch_ptr 0
		.amdhsa_user_sgpr_queue_ptr 0
		.amdhsa_user_sgpr_kernarg_segment_ptr 1
		.amdhsa_user_sgpr_dispatch_id 0
		.amdhsa_user_sgpr_flat_scratch_init 0
		.amdhsa_user_sgpr_kernarg_preload_length 0
		.amdhsa_user_sgpr_kernarg_preload_offset 0
		.amdhsa_user_sgpr_private_segment_size 0
		.amdhsa_uses_dynamic_stack 0
		.amdhsa_system_sgpr_private_segment_wavefront_offset 0
		.amdhsa_system_sgpr_workgroup_id_x 1
		.amdhsa_system_sgpr_workgroup_id_y 0
		.amdhsa_system_sgpr_workgroup_id_z 0
		.amdhsa_system_sgpr_workgroup_info 0
		.amdhsa_system_vgpr_workitem_id 0
		.amdhsa_next_free_vgpr 1
		.amdhsa_next_free_sgpr 0
		.amdhsa_accum_offset 4
		.amdhsa_reserve_vcc 0
		.amdhsa_reserve_flat_scratch 0
		.amdhsa_float_round_mode_32 0
		.amdhsa_float_round_mode_16_64 0
		.amdhsa_float_denorm_mode_32 3
		.amdhsa_float_denorm_mode_16_64 3
		.amdhsa_dx10_clamp 1
		.amdhsa_ieee_mode 1
		.amdhsa_fp16_overflow 0
		.amdhsa_tg_split 0
		.amdhsa_exception_fp_ieee_invalid_op 0
		.amdhsa_exception_fp_denorm_src 0
		.amdhsa_exception_fp_ieee_div_zero 0
		.amdhsa_exception_fp_ieee_overflow 0
		.amdhsa_exception_fp_ieee_underflow 0
		.amdhsa_exception_fp_ieee_inexact 0
		.amdhsa_exception_int_div_zero 0
	.end_amdhsa_kernel
	.section	.text._ZN7rocprim17ROCPRIM_400000_NS6detail17trampoline_kernelINS0_14default_configENS1_20scan_config_selectorIN3c108BFloat16EEEZZNS1_9scan_implILNS1_25lookback_scan_determinismE0ELb0ELb0ES3_PKS6_PS6_S6_ZZZN2at6native31launch_logcumsumexp_cuda_kernelERKNSD_10TensorBaseESH_lENKUlvE_clEvENKUlvE4_clEvEUlS6_S6_E_S6_EEDaPvRmT3_T4_T5_mT6_P12ihipStream_tbENKUlT_T0_E_clISt17integral_constantIbLb1EESX_IbLb0EEEEDaST_SU_EUlST_E0_NS1_11comp_targetILNS1_3genE8ELNS1_11target_archE1030ELNS1_3gpuE2ELNS1_3repE0EEENS1_30default_config_static_selectorELNS0_4arch9wavefront6targetE1EEEvT1_,"axG",@progbits,_ZN7rocprim17ROCPRIM_400000_NS6detail17trampoline_kernelINS0_14default_configENS1_20scan_config_selectorIN3c108BFloat16EEEZZNS1_9scan_implILNS1_25lookback_scan_determinismE0ELb0ELb0ES3_PKS6_PS6_S6_ZZZN2at6native31launch_logcumsumexp_cuda_kernelERKNSD_10TensorBaseESH_lENKUlvE_clEvENKUlvE4_clEvEUlS6_S6_E_S6_EEDaPvRmT3_T4_T5_mT6_P12ihipStream_tbENKUlT_T0_E_clISt17integral_constantIbLb1EESX_IbLb0EEEEDaST_SU_EUlST_E0_NS1_11comp_targetILNS1_3genE8ELNS1_11target_archE1030ELNS1_3gpuE2ELNS1_3repE0EEENS1_30default_config_static_selectorELNS0_4arch9wavefront6targetE1EEEvT1_,comdat
.Lfunc_end508:
	.size	_ZN7rocprim17ROCPRIM_400000_NS6detail17trampoline_kernelINS0_14default_configENS1_20scan_config_selectorIN3c108BFloat16EEEZZNS1_9scan_implILNS1_25lookback_scan_determinismE0ELb0ELb0ES3_PKS6_PS6_S6_ZZZN2at6native31launch_logcumsumexp_cuda_kernelERKNSD_10TensorBaseESH_lENKUlvE_clEvENKUlvE4_clEvEUlS6_S6_E_S6_EEDaPvRmT3_T4_T5_mT6_P12ihipStream_tbENKUlT_T0_E_clISt17integral_constantIbLb1EESX_IbLb0EEEEDaST_SU_EUlST_E0_NS1_11comp_targetILNS1_3genE8ELNS1_11target_archE1030ELNS1_3gpuE2ELNS1_3repE0EEENS1_30default_config_static_selectorELNS0_4arch9wavefront6targetE1EEEvT1_, .Lfunc_end508-_ZN7rocprim17ROCPRIM_400000_NS6detail17trampoline_kernelINS0_14default_configENS1_20scan_config_selectorIN3c108BFloat16EEEZZNS1_9scan_implILNS1_25lookback_scan_determinismE0ELb0ELb0ES3_PKS6_PS6_S6_ZZZN2at6native31launch_logcumsumexp_cuda_kernelERKNSD_10TensorBaseESH_lENKUlvE_clEvENKUlvE4_clEvEUlS6_S6_E_S6_EEDaPvRmT3_T4_T5_mT6_P12ihipStream_tbENKUlT_T0_E_clISt17integral_constantIbLb1EESX_IbLb0EEEEDaST_SU_EUlST_E0_NS1_11comp_targetILNS1_3genE8ELNS1_11target_archE1030ELNS1_3gpuE2ELNS1_3repE0EEENS1_30default_config_static_selectorELNS0_4arch9wavefront6targetE1EEEvT1_
                                        ; -- End function
	.section	.AMDGPU.csdata,"",@progbits
; Kernel info:
; codeLenInByte = 0
; NumSgprs: 4
; NumVgprs: 0
; NumAgprs: 0
; TotalNumVgprs: 0
; ScratchSize: 0
; MemoryBound: 0
; FloatMode: 240
; IeeeMode: 1
; LDSByteSize: 0 bytes/workgroup (compile time only)
; SGPRBlocks: 0
; VGPRBlocks: 0
; NumSGPRsForWavesPerEU: 4
; NumVGPRsForWavesPerEU: 1
; AccumOffset: 4
; Occupancy: 8
; WaveLimiterHint : 0
; COMPUTE_PGM_RSRC2:SCRATCH_EN: 0
; COMPUTE_PGM_RSRC2:USER_SGPR: 6
; COMPUTE_PGM_RSRC2:TRAP_HANDLER: 0
; COMPUTE_PGM_RSRC2:TGID_X_EN: 1
; COMPUTE_PGM_RSRC2:TGID_Y_EN: 0
; COMPUTE_PGM_RSRC2:TGID_Z_EN: 0
; COMPUTE_PGM_RSRC2:TIDIG_COMP_CNT: 0
; COMPUTE_PGM_RSRC3_GFX90A:ACCUM_OFFSET: 0
; COMPUTE_PGM_RSRC3_GFX90A:TG_SPLIT: 0
	.section	.text._ZN7rocprim17ROCPRIM_400000_NS6detail31init_lookback_scan_state_kernelINS1_19lookback_scan_stateIN3c108BFloat16ELb0ELb1EEENS1_16block_id_wrapperIjLb1EEEEEvT_jT0_jPNS9_10value_typeE,"axG",@progbits,_ZN7rocprim17ROCPRIM_400000_NS6detail31init_lookback_scan_state_kernelINS1_19lookback_scan_stateIN3c108BFloat16ELb0ELb1EEENS1_16block_id_wrapperIjLb1EEEEEvT_jT0_jPNS9_10value_typeE,comdat
	.protected	_ZN7rocprim17ROCPRIM_400000_NS6detail31init_lookback_scan_state_kernelINS1_19lookback_scan_stateIN3c108BFloat16ELb0ELb1EEENS1_16block_id_wrapperIjLb1EEEEEvT_jT0_jPNS9_10value_typeE ; -- Begin function _ZN7rocprim17ROCPRIM_400000_NS6detail31init_lookback_scan_state_kernelINS1_19lookback_scan_stateIN3c108BFloat16ELb0ELb1EEENS1_16block_id_wrapperIjLb1EEEEEvT_jT0_jPNS9_10value_typeE
	.globl	_ZN7rocprim17ROCPRIM_400000_NS6detail31init_lookback_scan_state_kernelINS1_19lookback_scan_stateIN3c108BFloat16ELb0ELb1EEENS1_16block_id_wrapperIjLb1EEEEEvT_jT0_jPNS9_10value_typeE
	.p2align	8
	.type	_ZN7rocprim17ROCPRIM_400000_NS6detail31init_lookback_scan_state_kernelINS1_19lookback_scan_stateIN3c108BFloat16ELb0ELb1EEENS1_16block_id_wrapperIjLb1EEEEEvT_jT0_jPNS9_10value_typeE,@function
_ZN7rocprim17ROCPRIM_400000_NS6detail31init_lookback_scan_state_kernelINS1_19lookback_scan_stateIN3c108BFloat16ELb0ELb1EEENS1_16block_id_wrapperIjLb1EEEEEvT_jT0_jPNS9_10value_typeE: ; @_ZN7rocprim17ROCPRIM_400000_NS6detail31init_lookback_scan_state_kernelINS1_19lookback_scan_stateIN3c108BFloat16ELb0ELb1EEENS1_16block_id_wrapperIjLb1EEEEEvT_jT0_jPNS9_10value_typeE
; %bb.0:
	s_load_dword s7, s[4:5], 0x34
	s_load_dwordx2 s[2:3], s[4:5], 0x20
	s_load_dwordx2 s[0:1], s[4:5], 0x0
	s_load_dword s10, s[4:5], 0x8
	s_waitcnt lgkmcnt(0)
	s_and_b32 s7, s7, 0xffff
	s_mul_i32 s6, s6, s7
	s_cmp_eq_u64 s[2:3], 0
	v_add_u32_e32 v0, s6, v0
	s_cbranch_scc1 .LBB509_6
; %bb.1:
	s_load_dword s8, s[4:5], 0x18
	s_mov_b32 s9, 0
	s_waitcnt lgkmcnt(0)
	s_cmp_lt_u32 s8, s10
	s_cselect_b32 s6, s8, 0
	v_cmp_eq_u32_e32 vcc, s6, v0
	s_and_saveexec_b64 s[6:7], vcc
	s_cbranch_execz .LBB509_5
; %bb.2:
	s_add_i32 s8, s8, 64
	s_lshl_b64 s[8:9], s[8:9], 2
	s_add_u32 s8, s0, s8
	s_addc_u32 s9, s1, s9
	v_mov_b32_e32 v2, 0
	global_load_dword v1, v2, s[8:9] glc
	s_waitcnt vmcnt(0)
	v_and_b32_e32 v3, 0xff0000, v1
	v_cmp_ne_u32_e32 vcc, 0, v3
	s_cbranch_vccnz .LBB509_4
.LBB509_3:                              ; =>This Inner Loop Header: Depth=1
	global_load_dword v1, v2, s[8:9] glc
	s_waitcnt vmcnt(0)
	v_and_b32_e32 v3, 0xff0000, v1
	v_cmp_eq_u32_e32 vcc, 0, v3
	s_cbranch_vccnz .LBB509_3
.LBB509_4:
	v_mov_b32_e32 v2, 0
	global_store_short v2, v1, s[2:3]
.LBB509_5:
	s_or_b64 exec, exec, s[6:7]
.LBB509_6:
	v_cmp_eq_u32_e32 vcc, 0, v0
	s_and_saveexec_b64 s[2:3], vcc
	s_cbranch_execnz .LBB509_10
; %bb.7:
	s_or_b64 exec, exec, s[2:3]
	v_cmp_gt_u32_e32 vcc, s10, v0
	s_and_saveexec_b64 s[2:3], vcc
	s_cbranch_execnz .LBB509_11
.LBB509_8:
	s_or_b64 exec, exec, s[2:3]
	v_cmp_gt_u32_e32 vcc, 64, v0
	s_and_saveexec_b64 s[2:3], vcc
	s_cbranch_execnz .LBB509_12
.LBB509_9:
	s_endpgm
.LBB509_10:
	s_load_dwordx2 s[4:5], s[4:5], 0x10
	v_mov_b32_e32 v1, 0
	s_waitcnt lgkmcnt(0)
	global_store_dword v1, v1, s[4:5]
	s_or_b64 exec, exec, s[2:3]
	v_cmp_gt_u32_e32 vcc, s10, v0
	s_and_saveexec_b64 s[2:3], vcc
	s_cbranch_execz .LBB509_8
.LBB509_11:
	v_add_u32_e32 v2, 64, v0
	v_mov_b32_e32 v3, 0
	v_lshlrev_b64 v[4:5], 2, v[2:3]
	v_mov_b32_e32 v1, s1
	v_add_co_u32_e32 v4, vcc, s0, v4
	v_addc_co_u32_e32 v5, vcc, v1, v5, vcc
	global_store_dword v[4:5], v3, off
	s_or_b64 exec, exec, s[2:3]
	v_cmp_gt_u32_e32 vcc, 64, v0
	s_and_saveexec_b64 s[2:3], vcc
	s_cbranch_execz .LBB509_9
.LBB509_12:
	v_mov_b32_e32 v1, 0
	v_lshlrev_b64 v[0:1], 2, v[0:1]
	v_mov_b32_e32 v2, s1
	v_add_co_u32_e32 v0, vcc, s0, v0
	v_addc_co_u32_e32 v1, vcc, v2, v1, vcc
	v_mov_b32_e32 v2, 0xff0000
	global_store_dword v[0:1], v2, off
	s_endpgm
	.section	.rodata,"a",@progbits
	.p2align	6, 0x0
	.amdhsa_kernel _ZN7rocprim17ROCPRIM_400000_NS6detail31init_lookback_scan_state_kernelINS1_19lookback_scan_stateIN3c108BFloat16ELb0ELb1EEENS1_16block_id_wrapperIjLb1EEEEEvT_jT0_jPNS9_10value_typeE
		.amdhsa_group_segment_fixed_size 0
		.amdhsa_private_segment_fixed_size 0
		.amdhsa_kernarg_size 296
		.amdhsa_user_sgpr_count 6
		.amdhsa_user_sgpr_private_segment_buffer 1
		.amdhsa_user_sgpr_dispatch_ptr 0
		.amdhsa_user_sgpr_queue_ptr 0
		.amdhsa_user_sgpr_kernarg_segment_ptr 1
		.amdhsa_user_sgpr_dispatch_id 0
		.amdhsa_user_sgpr_flat_scratch_init 0
		.amdhsa_user_sgpr_kernarg_preload_length 0
		.amdhsa_user_sgpr_kernarg_preload_offset 0
		.amdhsa_user_sgpr_private_segment_size 0
		.amdhsa_uses_dynamic_stack 0
		.amdhsa_system_sgpr_private_segment_wavefront_offset 0
		.amdhsa_system_sgpr_workgroup_id_x 1
		.amdhsa_system_sgpr_workgroup_id_y 0
		.amdhsa_system_sgpr_workgroup_id_z 0
		.amdhsa_system_sgpr_workgroup_info 0
		.amdhsa_system_vgpr_workitem_id 0
		.amdhsa_next_free_vgpr 6
		.amdhsa_next_free_sgpr 11
		.amdhsa_accum_offset 8
		.amdhsa_reserve_vcc 1
		.amdhsa_reserve_flat_scratch 0
		.amdhsa_float_round_mode_32 0
		.amdhsa_float_round_mode_16_64 0
		.amdhsa_float_denorm_mode_32 3
		.amdhsa_float_denorm_mode_16_64 3
		.amdhsa_dx10_clamp 1
		.amdhsa_ieee_mode 1
		.amdhsa_fp16_overflow 0
		.amdhsa_tg_split 0
		.amdhsa_exception_fp_ieee_invalid_op 0
		.amdhsa_exception_fp_denorm_src 0
		.amdhsa_exception_fp_ieee_div_zero 0
		.amdhsa_exception_fp_ieee_overflow 0
		.amdhsa_exception_fp_ieee_underflow 0
		.amdhsa_exception_fp_ieee_inexact 0
		.amdhsa_exception_int_div_zero 0
	.end_amdhsa_kernel
	.section	.text._ZN7rocprim17ROCPRIM_400000_NS6detail31init_lookback_scan_state_kernelINS1_19lookback_scan_stateIN3c108BFloat16ELb0ELb1EEENS1_16block_id_wrapperIjLb1EEEEEvT_jT0_jPNS9_10value_typeE,"axG",@progbits,_ZN7rocprim17ROCPRIM_400000_NS6detail31init_lookback_scan_state_kernelINS1_19lookback_scan_stateIN3c108BFloat16ELb0ELb1EEENS1_16block_id_wrapperIjLb1EEEEEvT_jT0_jPNS9_10value_typeE,comdat
.Lfunc_end509:
	.size	_ZN7rocprim17ROCPRIM_400000_NS6detail31init_lookback_scan_state_kernelINS1_19lookback_scan_stateIN3c108BFloat16ELb0ELb1EEENS1_16block_id_wrapperIjLb1EEEEEvT_jT0_jPNS9_10value_typeE, .Lfunc_end509-_ZN7rocprim17ROCPRIM_400000_NS6detail31init_lookback_scan_state_kernelINS1_19lookback_scan_stateIN3c108BFloat16ELb0ELb1EEENS1_16block_id_wrapperIjLb1EEEEEvT_jT0_jPNS9_10value_typeE
                                        ; -- End function
	.section	.AMDGPU.csdata,"",@progbits
; Kernel info:
; codeLenInByte = 372
; NumSgprs: 15
; NumVgprs: 6
; NumAgprs: 0
; TotalNumVgprs: 6
; ScratchSize: 0
; MemoryBound: 0
; FloatMode: 240
; IeeeMode: 1
; LDSByteSize: 0 bytes/workgroup (compile time only)
; SGPRBlocks: 1
; VGPRBlocks: 0
; NumSGPRsForWavesPerEU: 15
; NumVGPRsForWavesPerEU: 6
; AccumOffset: 8
; Occupancy: 8
; WaveLimiterHint : 0
; COMPUTE_PGM_RSRC2:SCRATCH_EN: 0
; COMPUTE_PGM_RSRC2:USER_SGPR: 6
; COMPUTE_PGM_RSRC2:TRAP_HANDLER: 0
; COMPUTE_PGM_RSRC2:TGID_X_EN: 1
; COMPUTE_PGM_RSRC2:TGID_Y_EN: 0
; COMPUTE_PGM_RSRC2:TGID_Z_EN: 0
; COMPUTE_PGM_RSRC2:TIDIG_COMP_CNT: 0
; COMPUTE_PGM_RSRC3_GFX90A:ACCUM_OFFSET: 1
; COMPUTE_PGM_RSRC3_GFX90A:TG_SPLIT: 0
	.section	.text._ZN7rocprim17ROCPRIM_400000_NS6detail17trampoline_kernelINS0_14default_configENS1_20scan_config_selectorIN3c108BFloat16EEEZZNS1_9scan_implILNS1_25lookback_scan_determinismE0ELb0ELb0ES3_PKS6_PS6_S6_ZZZN2at6native31launch_logcumsumexp_cuda_kernelERKNSD_10TensorBaseESH_lENKUlvE_clEvENKUlvE4_clEvEUlS6_S6_E_S6_EEDaPvRmT3_T4_T5_mT6_P12ihipStream_tbENKUlT_T0_E_clISt17integral_constantIbLb0EESX_IbLb1EEEEDaST_SU_EUlST_E_NS1_11comp_targetILNS1_3genE0ELNS1_11target_archE4294967295ELNS1_3gpuE0ELNS1_3repE0EEENS1_30default_config_static_selectorELNS0_4arch9wavefront6targetE1EEEvT1_,"axG",@progbits,_ZN7rocprim17ROCPRIM_400000_NS6detail17trampoline_kernelINS0_14default_configENS1_20scan_config_selectorIN3c108BFloat16EEEZZNS1_9scan_implILNS1_25lookback_scan_determinismE0ELb0ELb0ES3_PKS6_PS6_S6_ZZZN2at6native31launch_logcumsumexp_cuda_kernelERKNSD_10TensorBaseESH_lENKUlvE_clEvENKUlvE4_clEvEUlS6_S6_E_S6_EEDaPvRmT3_T4_T5_mT6_P12ihipStream_tbENKUlT_T0_E_clISt17integral_constantIbLb0EESX_IbLb1EEEEDaST_SU_EUlST_E_NS1_11comp_targetILNS1_3genE0ELNS1_11target_archE4294967295ELNS1_3gpuE0ELNS1_3repE0EEENS1_30default_config_static_selectorELNS0_4arch9wavefront6targetE1EEEvT1_,comdat
	.globl	_ZN7rocprim17ROCPRIM_400000_NS6detail17trampoline_kernelINS0_14default_configENS1_20scan_config_selectorIN3c108BFloat16EEEZZNS1_9scan_implILNS1_25lookback_scan_determinismE0ELb0ELb0ES3_PKS6_PS6_S6_ZZZN2at6native31launch_logcumsumexp_cuda_kernelERKNSD_10TensorBaseESH_lENKUlvE_clEvENKUlvE4_clEvEUlS6_S6_E_S6_EEDaPvRmT3_T4_T5_mT6_P12ihipStream_tbENKUlT_T0_E_clISt17integral_constantIbLb0EESX_IbLb1EEEEDaST_SU_EUlST_E_NS1_11comp_targetILNS1_3genE0ELNS1_11target_archE4294967295ELNS1_3gpuE0ELNS1_3repE0EEENS1_30default_config_static_selectorELNS0_4arch9wavefront6targetE1EEEvT1_ ; -- Begin function _ZN7rocprim17ROCPRIM_400000_NS6detail17trampoline_kernelINS0_14default_configENS1_20scan_config_selectorIN3c108BFloat16EEEZZNS1_9scan_implILNS1_25lookback_scan_determinismE0ELb0ELb0ES3_PKS6_PS6_S6_ZZZN2at6native31launch_logcumsumexp_cuda_kernelERKNSD_10TensorBaseESH_lENKUlvE_clEvENKUlvE4_clEvEUlS6_S6_E_S6_EEDaPvRmT3_T4_T5_mT6_P12ihipStream_tbENKUlT_T0_E_clISt17integral_constantIbLb0EESX_IbLb1EEEEDaST_SU_EUlST_E_NS1_11comp_targetILNS1_3genE0ELNS1_11target_archE4294967295ELNS1_3gpuE0ELNS1_3repE0EEENS1_30default_config_static_selectorELNS0_4arch9wavefront6targetE1EEEvT1_
	.p2align	8
	.type	_ZN7rocprim17ROCPRIM_400000_NS6detail17trampoline_kernelINS0_14default_configENS1_20scan_config_selectorIN3c108BFloat16EEEZZNS1_9scan_implILNS1_25lookback_scan_determinismE0ELb0ELb0ES3_PKS6_PS6_S6_ZZZN2at6native31launch_logcumsumexp_cuda_kernelERKNSD_10TensorBaseESH_lENKUlvE_clEvENKUlvE4_clEvEUlS6_S6_E_S6_EEDaPvRmT3_T4_T5_mT6_P12ihipStream_tbENKUlT_T0_E_clISt17integral_constantIbLb0EESX_IbLb1EEEEDaST_SU_EUlST_E_NS1_11comp_targetILNS1_3genE0ELNS1_11target_archE4294967295ELNS1_3gpuE0ELNS1_3repE0EEENS1_30default_config_static_selectorELNS0_4arch9wavefront6targetE1EEEvT1_,@function
_ZN7rocprim17ROCPRIM_400000_NS6detail17trampoline_kernelINS0_14default_configENS1_20scan_config_selectorIN3c108BFloat16EEEZZNS1_9scan_implILNS1_25lookback_scan_determinismE0ELb0ELb0ES3_PKS6_PS6_S6_ZZZN2at6native31launch_logcumsumexp_cuda_kernelERKNSD_10TensorBaseESH_lENKUlvE_clEvENKUlvE4_clEvEUlS6_S6_E_S6_EEDaPvRmT3_T4_T5_mT6_P12ihipStream_tbENKUlT_T0_E_clISt17integral_constantIbLb0EESX_IbLb1EEEEDaST_SU_EUlST_E_NS1_11comp_targetILNS1_3genE0ELNS1_11target_archE4294967295ELNS1_3gpuE0ELNS1_3repE0EEENS1_30default_config_static_selectorELNS0_4arch9wavefront6targetE1EEEvT1_: ; @_ZN7rocprim17ROCPRIM_400000_NS6detail17trampoline_kernelINS0_14default_configENS1_20scan_config_selectorIN3c108BFloat16EEEZZNS1_9scan_implILNS1_25lookback_scan_determinismE0ELb0ELb0ES3_PKS6_PS6_S6_ZZZN2at6native31launch_logcumsumexp_cuda_kernelERKNSD_10TensorBaseESH_lENKUlvE_clEvENKUlvE4_clEvEUlS6_S6_E_S6_EEDaPvRmT3_T4_T5_mT6_P12ihipStream_tbENKUlT_T0_E_clISt17integral_constantIbLb0EESX_IbLb1EEEEDaST_SU_EUlST_E_NS1_11comp_targetILNS1_3genE0ELNS1_11target_archE4294967295ELNS1_3gpuE0ELNS1_3repE0EEENS1_30default_config_static_selectorELNS0_4arch9wavefront6targetE1EEEvT1_
; %bb.0:
	.section	.rodata,"a",@progbits
	.p2align	6, 0x0
	.amdhsa_kernel _ZN7rocprim17ROCPRIM_400000_NS6detail17trampoline_kernelINS0_14default_configENS1_20scan_config_selectorIN3c108BFloat16EEEZZNS1_9scan_implILNS1_25lookback_scan_determinismE0ELb0ELb0ES3_PKS6_PS6_S6_ZZZN2at6native31launch_logcumsumexp_cuda_kernelERKNSD_10TensorBaseESH_lENKUlvE_clEvENKUlvE4_clEvEUlS6_S6_E_S6_EEDaPvRmT3_T4_T5_mT6_P12ihipStream_tbENKUlT_T0_E_clISt17integral_constantIbLb0EESX_IbLb1EEEEDaST_SU_EUlST_E_NS1_11comp_targetILNS1_3genE0ELNS1_11target_archE4294967295ELNS1_3gpuE0ELNS1_3repE0EEENS1_30default_config_static_selectorELNS0_4arch9wavefront6targetE1EEEvT1_
		.amdhsa_group_segment_fixed_size 0
		.amdhsa_private_segment_fixed_size 0
		.amdhsa_kernarg_size 96
		.amdhsa_user_sgpr_count 6
		.amdhsa_user_sgpr_private_segment_buffer 1
		.amdhsa_user_sgpr_dispatch_ptr 0
		.amdhsa_user_sgpr_queue_ptr 0
		.amdhsa_user_sgpr_kernarg_segment_ptr 1
		.amdhsa_user_sgpr_dispatch_id 0
		.amdhsa_user_sgpr_flat_scratch_init 0
		.amdhsa_user_sgpr_kernarg_preload_length 0
		.amdhsa_user_sgpr_kernarg_preload_offset 0
		.amdhsa_user_sgpr_private_segment_size 0
		.amdhsa_uses_dynamic_stack 0
		.amdhsa_system_sgpr_private_segment_wavefront_offset 0
		.amdhsa_system_sgpr_workgroup_id_x 1
		.amdhsa_system_sgpr_workgroup_id_y 0
		.amdhsa_system_sgpr_workgroup_id_z 0
		.amdhsa_system_sgpr_workgroup_info 0
		.amdhsa_system_vgpr_workitem_id 0
		.amdhsa_next_free_vgpr 1
		.amdhsa_next_free_sgpr 0
		.amdhsa_accum_offset 4
		.amdhsa_reserve_vcc 0
		.amdhsa_reserve_flat_scratch 0
		.amdhsa_float_round_mode_32 0
		.amdhsa_float_round_mode_16_64 0
		.amdhsa_float_denorm_mode_32 3
		.amdhsa_float_denorm_mode_16_64 3
		.amdhsa_dx10_clamp 1
		.amdhsa_ieee_mode 1
		.amdhsa_fp16_overflow 0
		.amdhsa_tg_split 0
		.amdhsa_exception_fp_ieee_invalid_op 0
		.amdhsa_exception_fp_denorm_src 0
		.amdhsa_exception_fp_ieee_div_zero 0
		.amdhsa_exception_fp_ieee_overflow 0
		.amdhsa_exception_fp_ieee_underflow 0
		.amdhsa_exception_fp_ieee_inexact 0
		.amdhsa_exception_int_div_zero 0
	.end_amdhsa_kernel
	.section	.text._ZN7rocprim17ROCPRIM_400000_NS6detail17trampoline_kernelINS0_14default_configENS1_20scan_config_selectorIN3c108BFloat16EEEZZNS1_9scan_implILNS1_25lookback_scan_determinismE0ELb0ELb0ES3_PKS6_PS6_S6_ZZZN2at6native31launch_logcumsumexp_cuda_kernelERKNSD_10TensorBaseESH_lENKUlvE_clEvENKUlvE4_clEvEUlS6_S6_E_S6_EEDaPvRmT3_T4_T5_mT6_P12ihipStream_tbENKUlT_T0_E_clISt17integral_constantIbLb0EESX_IbLb1EEEEDaST_SU_EUlST_E_NS1_11comp_targetILNS1_3genE0ELNS1_11target_archE4294967295ELNS1_3gpuE0ELNS1_3repE0EEENS1_30default_config_static_selectorELNS0_4arch9wavefront6targetE1EEEvT1_,"axG",@progbits,_ZN7rocprim17ROCPRIM_400000_NS6detail17trampoline_kernelINS0_14default_configENS1_20scan_config_selectorIN3c108BFloat16EEEZZNS1_9scan_implILNS1_25lookback_scan_determinismE0ELb0ELb0ES3_PKS6_PS6_S6_ZZZN2at6native31launch_logcumsumexp_cuda_kernelERKNSD_10TensorBaseESH_lENKUlvE_clEvENKUlvE4_clEvEUlS6_S6_E_S6_EEDaPvRmT3_T4_T5_mT6_P12ihipStream_tbENKUlT_T0_E_clISt17integral_constantIbLb0EESX_IbLb1EEEEDaST_SU_EUlST_E_NS1_11comp_targetILNS1_3genE0ELNS1_11target_archE4294967295ELNS1_3gpuE0ELNS1_3repE0EEENS1_30default_config_static_selectorELNS0_4arch9wavefront6targetE1EEEvT1_,comdat
.Lfunc_end510:
	.size	_ZN7rocprim17ROCPRIM_400000_NS6detail17trampoline_kernelINS0_14default_configENS1_20scan_config_selectorIN3c108BFloat16EEEZZNS1_9scan_implILNS1_25lookback_scan_determinismE0ELb0ELb0ES3_PKS6_PS6_S6_ZZZN2at6native31launch_logcumsumexp_cuda_kernelERKNSD_10TensorBaseESH_lENKUlvE_clEvENKUlvE4_clEvEUlS6_S6_E_S6_EEDaPvRmT3_T4_T5_mT6_P12ihipStream_tbENKUlT_T0_E_clISt17integral_constantIbLb0EESX_IbLb1EEEEDaST_SU_EUlST_E_NS1_11comp_targetILNS1_3genE0ELNS1_11target_archE4294967295ELNS1_3gpuE0ELNS1_3repE0EEENS1_30default_config_static_selectorELNS0_4arch9wavefront6targetE1EEEvT1_, .Lfunc_end510-_ZN7rocprim17ROCPRIM_400000_NS6detail17trampoline_kernelINS0_14default_configENS1_20scan_config_selectorIN3c108BFloat16EEEZZNS1_9scan_implILNS1_25lookback_scan_determinismE0ELb0ELb0ES3_PKS6_PS6_S6_ZZZN2at6native31launch_logcumsumexp_cuda_kernelERKNSD_10TensorBaseESH_lENKUlvE_clEvENKUlvE4_clEvEUlS6_S6_E_S6_EEDaPvRmT3_T4_T5_mT6_P12ihipStream_tbENKUlT_T0_E_clISt17integral_constantIbLb0EESX_IbLb1EEEEDaST_SU_EUlST_E_NS1_11comp_targetILNS1_3genE0ELNS1_11target_archE4294967295ELNS1_3gpuE0ELNS1_3repE0EEENS1_30default_config_static_selectorELNS0_4arch9wavefront6targetE1EEEvT1_
                                        ; -- End function
	.section	.AMDGPU.csdata,"",@progbits
; Kernel info:
; codeLenInByte = 0
; NumSgprs: 4
; NumVgprs: 0
; NumAgprs: 0
; TotalNumVgprs: 0
; ScratchSize: 0
; MemoryBound: 0
; FloatMode: 240
; IeeeMode: 1
; LDSByteSize: 0 bytes/workgroup (compile time only)
; SGPRBlocks: 0
; VGPRBlocks: 0
; NumSGPRsForWavesPerEU: 4
; NumVGPRsForWavesPerEU: 1
; AccumOffset: 4
; Occupancy: 8
; WaveLimiterHint : 0
; COMPUTE_PGM_RSRC2:SCRATCH_EN: 0
; COMPUTE_PGM_RSRC2:USER_SGPR: 6
; COMPUTE_PGM_RSRC2:TRAP_HANDLER: 0
; COMPUTE_PGM_RSRC2:TGID_X_EN: 1
; COMPUTE_PGM_RSRC2:TGID_Y_EN: 0
; COMPUTE_PGM_RSRC2:TGID_Z_EN: 0
; COMPUTE_PGM_RSRC2:TIDIG_COMP_CNT: 0
; COMPUTE_PGM_RSRC3_GFX90A:ACCUM_OFFSET: 0
; COMPUTE_PGM_RSRC3_GFX90A:TG_SPLIT: 0
	.section	.text._ZN7rocprim17ROCPRIM_400000_NS6detail17trampoline_kernelINS0_14default_configENS1_20scan_config_selectorIN3c108BFloat16EEEZZNS1_9scan_implILNS1_25lookback_scan_determinismE0ELb0ELb0ES3_PKS6_PS6_S6_ZZZN2at6native31launch_logcumsumexp_cuda_kernelERKNSD_10TensorBaseESH_lENKUlvE_clEvENKUlvE4_clEvEUlS6_S6_E_S6_EEDaPvRmT3_T4_T5_mT6_P12ihipStream_tbENKUlT_T0_E_clISt17integral_constantIbLb0EESX_IbLb1EEEEDaST_SU_EUlST_E_NS1_11comp_targetILNS1_3genE5ELNS1_11target_archE942ELNS1_3gpuE9ELNS1_3repE0EEENS1_30default_config_static_selectorELNS0_4arch9wavefront6targetE1EEEvT1_,"axG",@progbits,_ZN7rocprim17ROCPRIM_400000_NS6detail17trampoline_kernelINS0_14default_configENS1_20scan_config_selectorIN3c108BFloat16EEEZZNS1_9scan_implILNS1_25lookback_scan_determinismE0ELb0ELb0ES3_PKS6_PS6_S6_ZZZN2at6native31launch_logcumsumexp_cuda_kernelERKNSD_10TensorBaseESH_lENKUlvE_clEvENKUlvE4_clEvEUlS6_S6_E_S6_EEDaPvRmT3_T4_T5_mT6_P12ihipStream_tbENKUlT_T0_E_clISt17integral_constantIbLb0EESX_IbLb1EEEEDaST_SU_EUlST_E_NS1_11comp_targetILNS1_3genE5ELNS1_11target_archE942ELNS1_3gpuE9ELNS1_3repE0EEENS1_30default_config_static_selectorELNS0_4arch9wavefront6targetE1EEEvT1_,comdat
	.globl	_ZN7rocprim17ROCPRIM_400000_NS6detail17trampoline_kernelINS0_14default_configENS1_20scan_config_selectorIN3c108BFloat16EEEZZNS1_9scan_implILNS1_25lookback_scan_determinismE0ELb0ELb0ES3_PKS6_PS6_S6_ZZZN2at6native31launch_logcumsumexp_cuda_kernelERKNSD_10TensorBaseESH_lENKUlvE_clEvENKUlvE4_clEvEUlS6_S6_E_S6_EEDaPvRmT3_T4_T5_mT6_P12ihipStream_tbENKUlT_T0_E_clISt17integral_constantIbLb0EESX_IbLb1EEEEDaST_SU_EUlST_E_NS1_11comp_targetILNS1_3genE5ELNS1_11target_archE942ELNS1_3gpuE9ELNS1_3repE0EEENS1_30default_config_static_selectorELNS0_4arch9wavefront6targetE1EEEvT1_ ; -- Begin function _ZN7rocprim17ROCPRIM_400000_NS6detail17trampoline_kernelINS0_14default_configENS1_20scan_config_selectorIN3c108BFloat16EEEZZNS1_9scan_implILNS1_25lookback_scan_determinismE0ELb0ELb0ES3_PKS6_PS6_S6_ZZZN2at6native31launch_logcumsumexp_cuda_kernelERKNSD_10TensorBaseESH_lENKUlvE_clEvENKUlvE4_clEvEUlS6_S6_E_S6_EEDaPvRmT3_T4_T5_mT6_P12ihipStream_tbENKUlT_T0_E_clISt17integral_constantIbLb0EESX_IbLb1EEEEDaST_SU_EUlST_E_NS1_11comp_targetILNS1_3genE5ELNS1_11target_archE942ELNS1_3gpuE9ELNS1_3repE0EEENS1_30default_config_static_selectorELNS0_4arch9wavefront6targetE1EEEvT1_
	.p2align	8
	.type	_ZN7rocprim17ROCPRIM_400000_NS6detail17trampoline_kernelINS0_14default_configENS1_20scan_config_selectorIN3c108BFloat16EEEZZNS1_9scan_implILNS1_25lookback_scan_determinismE0ELb0ELb0ES3_PKS6_PS6_S6_ZZZN2at6native31launch_logcumsumexp_cuda_kernelERKNSD_10TensorBaseESH_lENKUlvE_clEvENKUlvE4_clEvEUlS6_S6_E_S6_EEDaPvRmT3_T4_T5_mT6_P12ihipStream_tbENKUlT_T0_E_clISt17integral_constantIbLb0EESX_IbLb1EEEEDaST_SU_EUlST_E_NS1_11comp_targetILNS1_3genE5ELNS1_11target_archE942ELNS1_3gpuE9ELNS1_3repE0EEENS1_30default_config_static_selectorELNS0_4arch9wavefront6targetE1EEEvT1_,@function
_ZN7rocprim17ROCPRIM_400000_NS6detail17trampoline_kernelINS0_14default_configENS1_20scan_config_selectorIN3c108BFloat16EEEZZNS1_9scan_implILNS1_25lookback_scan_determinismE0ELb0ELb0ES3_PKS6_PS6_S6_ZZZN2at6native31launch_logcumsumexp_cuda_kernelERKNSD_10TensorBaseESH_lENKUlvE_clEvENKUlvE4_clEvEUlS6_S6_E_S6_EEDaPvRmT3_T4_T5_mT6_P12ihipStream_tbENKUlT_T0_E_clISt17integral_constantIbLb0EESX_IbLb1EEEEDaST_SU_EUlST_E_NS1_11comp_targetILNS1_3genE5ELNS1_11target_archE942ELNS1_3gpuE9ELNS1_3repE0EEENS1_30default_config_static_selectorELNS0_4arch9wavefront6targetE1EEEvT1_: ; @_ZN7rocprim17ROCPRIM_400000_NS6detail17trampoline_kernelINS0_14default_configENS1_20scan_config_selectorIN3c108BFloat16EEEZZNS1_9scan_implILNS1_25lookback_scan_determinismE0ELb0ELb0ES3_PKS6_PS6_S6_ZZZN2at6native31launch_logcumsumexp_cuda_kernelERKNSD_10TensorBaseESH_lENKUlvE_clEvENKUlvE4_clEvEUlS6_S6_E_S6_EEDaPvRmT3_T4_T5_mT6_P12ihipStream_tbENKUlT_T0_E_clISt17integral_constantIbLb0EESX_IbLb1EEEEDaST_SU_EUlST_E_NS1_11comp_targetILNS1_3genE5ELNS1_11target_archE942ELNS1_3gpuE9ELNS1_3repE0EEENS1_30default_config_static_selectorELNS0_4arch9wavefront6targetE1EEEvT1_
; %bb.0:
	.section	.rodata,"a",@progbits
	.p2align	6, 0x0
	.amdhsa_kernel _ZN7rocprim17ROCPRIM_400000_NS6detail17trampoline_kernelINS0_14default_configENS1_20scan_config_selectorIN3c108BFloat16EEEZZNS1_9scan_implILNS1_25lookback_scan_determinismE0ELb0ELb0ES3_PKS6_PS6_S6_ZZZN2at6native31launch_logcumsumexp_cuda_kernelERKNSD_10TensorBaseESH_lENKUlvE_clEvENKUlvE4_clEvEUlS6_S6_E_S6_EEDaPvRmT3_T4_T5_mT6_P12ihipStream_tbENKUlT_T0_E_clISt17integral_constantIbLb0EESX_IbLb1EEEEDaST_SU_EUlST_E_NS1_11comp_targetILNS1_3genE5ELNS1_11target_archE942ELNS1_3gpuE9ELNS1_3repE0EEENS1_30default_config_static_selectorELNS0_4arch9wavefront6targetE1EEEvT1_
		.amdhsa_group_segment_fixed_size 0
		.amdhsa_private_segment_fixed_size 0
		.amdhsa_kernarg_size 96
		.amdhsa_user_sgpr_count 6
		.amdhsa_user_sgpr_private_segment_buffer 1
		.amdhsa_user_sgpr_dispatch_ptr 0
		.amdhsa_user_sgpr_queue_ptr 0
		.amdhsa_user_sgpr_kernarg_segment_ptr 1
		.amdhsa_user_sgpr_dispatch_id 0
		.amdhsa_user_sgpr_flat_scratch_init 0
		.amdhsa_user_sgpr_kernarg_preload_length 0
		.amdhsa_user_sgpr_kernarg_preload_offset 0
		.amdhsa_user_sgpr_private_segment_size 0
		.amdhsa_uses_dynamic_stack 0
		.amdhsa_system_sgpr_private_segment_wavefront_offset 0
		.amdhsa_system_sgpr_workgroup_id_x 1
		.amdhsa_system_sgpr_workgroup_id_y 0
		.amdhsa_system_sgpr_workgroup_id_z 0
		.amdhsa_system_sgpr_workgroup_info 0
		.amdhsa_system_vgpr_workitem_id 0
		.amdhsa_next_free_vgpr 1
		.amdhsa_next_free_sgpr 0
		.amdhsa_accum_offset 4
		.amdhsa_reserve_vcc 0
		.amdhsa_reserve_flat_scratch 0
		.amdhsa_float_round_mode_32 0
		.amdhsa_float_round_mode_16_64 0
		.amdhsa_float_denorm_mode_32 3
		.amdhsa_float_denorm_mode_16_64 3
		.amdhsa_dx10_clamp 1
		.amdhsa_ieee_mode 1
		.amdhsa_fp16_overflow 0
		.amdhsa_tg_split 0
		.amdhsa_exception_fp_ieee_invalid_op 0
		.amdhsa_exception_fp_denorm_src 0
		.amdhsa_exception_fp_ieee_div_zero 0
		.amdhsa_exception_fp_ieee_overflow 0
		.amdhsa_exception_fp_ieee_underflow 0
		.amdhsa_exception_fp_ieee_inexact 0
		.amdhsa_exception_int_div_zero 0
	.end_amdhsa_kernel
	.section	.text._ZN7rocprim17ROCPRIM_400000_NS6detail17trampoline_kernelINS0_14default_configENS1_20scan_config_selectorIN3c108BFloat16EEEZZNS1_9scan_implILNS1_25lookback_scan_determinismE0ELb0ELb0ES3_PKS6_PS6_S6_ZZZN2at6native31launch_logcumsumexp_cuda_kernelERKNSD_10TensorBaseESH_lENKUlvE_clEvENKUlvE4_clEvEUlS6_S6_E_S6_EEDaPvRmT3_T4_T5_mT6_P12ihipStream_tbENKUlT_T0_E_clISt17integral_constantIbLb0EESX_IbLb1EEEEDaST_SU_EUlST_E_NS1_11comp_targetILNS1_3genE5ELNS1_11target_archE942ELNS1_3gpuE9ELNS1_3repE0EEENS1_30default_config_static_selectorELNS0_4arch9wavefront6targetE1EEEvT1_,"axG",@progbits,_ZN7rocprim17ROCPRIM_400000_NS6detail17trampoline_kernelINS0_14default_configENS1_20scan_config_selectorIN3c108BFloat16EEEZZNS1_9scan_implILNS1_25lookback_scan_determinismE0ELb0ELb0ES3_PKS6_PS6_S6_ZZZN2at6native31launch_logcumsumexp_cuda_kernelERKNSD_10TensorBaseESH_lENKUlvE_clEvENKUlvE4_clEvEUlS6_S6_E_S6_EEDaPvRmT3_T4_T5_mT6_P12ihipStream_tbENKUlT_T0_E_clISt17integral_constantIbLb0EESX_IbLb1EEEEDaST_SU_EUlST_E_NS1_11comp_targetILNS1_3genE5ELNS1_11target_archE942ELNS1_3gpuE9ELNS1_3repE0EEENS1_30default_config_static_selectorELNS0_4arch9wavefront6targetE1EEEvT1_,comdat
.Lfunc_end511:
	.size	_ZN7rocprim17ROCPRIM_400000_NS6detail17trampoline_kernelINS0_14default_configENS1_20scan_config_selectorIN3c108BFloat16EEEZZNS1_9scan_implILNS1_25lookback_scan_determinismE0ELb0ELb0ES3_PKS6_PS6_S6_ZZZN2at6native31launch_logcumsumexp_cuda_kernelERKNSD_10TensorBaseESH_lENKUlvE_clEvENKUlvE4_clEvEUlS6_S6_E_S6_EEDaPvRmT3_T4_T5_mT6_P12ihipStream_tbENKUlT_T0_E_clISt17integral_constantIbLb0EESX_IbLb1EEEEDaST_SU_EUlST_E_NS1_11comp_targetILNS1_3genE5ELNS1_11target_archE942ELNS1_3gpuE9ELNS1_3repE0EEENS1_30default_config_static_selectorELNS0_4arch9wavefront6targetE1EEEvT1_, .Lfunc_end511-_ZN7rocprim17ROCPRIM_400000_NS6detail17trampoline_kernelINS0_14default_configENS1_20scan_config_selectorIN3c108BFloat16EEEZZNS1_9scan_implILNS1_25lookback_scan_determinismE0ELb0ELb0ES3_PKS6_PS6_S6_ZZZN2at6native31launch_logcumsumexp_cuda_kernelERKNSD_10TensorBaseESH_lENKUlvE_clEvENKUlvE4_clEvEUlS6_S6_E_S6_EEDaPvRmT3_T4_T5_mT6_P12ihipStream_tbENKUlT_T0_E_clISt17integral_constantIbLb0EESX_IbLb1EEEEDaST_SU_EUlST_E_NS1_11comp_targetILNS1_3genE5ELNS1_11target_archE942ELNS1_3gpuE9ELNS1_3repE0EEENS1_30default_config_static_selectorELNS0_4arch9wavefront6targetE1EEEvT1_
                                        ; -- End function
	.section	.AMDGPU.csdata,"",@progbits
; Kernel info:
; codeLenInByte = 0
; NumSgprs: 4
; NumVgprs: 0
; NumAgprs: 0
; TotalNumVgprs: 0
; ScratchSize: 0
; MemoryBound: 0
; FloatMode: 240
; IeeeMode: 1
; LDSByteSize: 0 bytes/workgroup (compile time only)
; SGPRBlocks: 0
; VGPRBlocks: 0
; NumSGPRsForWavesPerEU: 4
; NumVGPRsForWavesPerEU: 1
; AccumOffset: 4
; Occupancy: 8
; WaveLimiterHint : 0
; COMPUTE_PGM_RSRC2:SCRATCH_EN: 0
; COMPUTE_PGM_RSRC2:USER_SGPR: 6
; COMPUTE_PGM_RSRC2:TRAP_HANDLER: 0
; COMPUTE_PGM_RSRC2:TGID_X_EN: 1
; COMPUTE_PGM_RSRC2:TGID_Y_EN: 0
; COMPUTE_PGM_RSRC2:TGID_Z_EN: 0
; COMPUTE_PGM_RSRC2:TIDIG_COMP_CNT: 0
; COMPUTE_PGM_RSRC3_GFX90A:ACCUM_OFFSET: 0
; COMPUTE_PGM_RSRC3_GFX90A:TG_SPLIT: 0
	.text
	.p2align	2                               ; -- Begin function _ZZZN7rocprim17ROCPRIM_400000_NS6detail9scan_implILNS1_25lookback_scan_determinismE0ELb0ELb0ENS0_14default_configEPKN3c108BFloat16EPS6_S6_ZZZN2at6native31launch_logcumsumexp_cuda_kernelERKNSA_10TensorBaseESE_lENKUlvE_clEvENKUlvE4_clEvEUlS6_S6_E_S6_EEDaPvRmT3_T4_T5_mT6_P12ihipStream_tbENKUlT_T0_E_clISt17integral_constantIbLb0EESU_IbLb1EEEEDaSQ_SR_ENKUlSQ_E_clINS1_13target_configIS4_NS1_20scan_config_selectorIS6_EENS1_11comp_targetILNS1_3genE4ELNS1_11target_archE910ELNS1_3gpuE8ELNS1_3repE0EEELNS0_4arch9wavefront6targetE1EEEEEDaSQ_
	.type	_ZZZN7rocprim17ROCPRIM_400000_NS6detail9scan_implILNS1_25lookback_scan_determinismE0ELb0ELb0ENS0_14default_configEPKN3c108BFloat16EPS6_S6_ZZZN2at6native31launch_logcumsumexp_cuda_kernelERKNSA_10TensorBaseESE_lENKUlvE_clEvENKUlvE4_clEvEUlS6_S6_E_S6_EEDaPvRmT3_T4_T5_mT6_P12ihipStream_tbENKUlT_T0_E_clISt17integral_constantIbLb0EESU_IbLb1EEEEDaSQ_SR_ENKUlSQ_E_clINS1_13target_configIS4_NS1_20scan_config_selectorIS6_EENS1_11comp_targetILNS1_3genE4ELNS1_11target_archE910ELNS1_3gpuE8ELNS1_3repE0EEELNS0_4arch9wavefront6targetE1EEEEEDaSQ_,@function
_ZZZN7rocprim17ROCPRIM_400000_NS6detail9scan_implILNS1_25lookback_scan_determinismE0ELb0ELb0ENS0_14default_configEPKN3c108BFloat16EPS6_S6_ZZZN2at6native31launch_logcumsumexp_cuda_kernelERKNSA_10TensorBaseESE_lENKUlvE_clEvENKUlvE4_clEvEUlS6_S6_E_S6_EEDaPvRmT3_T4_T5_mT6_P12ihipStream_tbENKUlT_T0_E_clISt17integral_constantIbLb0EESU_IbLb1EEEEDaSQ_SR_ENKUlSQ_E_clINS1_13target_configIS4_NS1_20scan_config_selectorIS6_EENS1_11comp_targetILNS1_3genE4ELNS1_11target_archE910ELNS1_3gpuE8ELNS1_3repE0EEELNS0_4arch9wavefront6targetE1EEEEEDaSQ_: ; @_ZZZN7rocprim17ROCPRIM_400000_NS6detail9scan_implILNS1_25lookback_scan_determinismE0ELb0ELb0ENS0_14default_configEPKN3c108BFloat16EPS6_S6_ZZZN2at6native31launch_logcumsumexp_cuda_kernelERKNSA_10TensorBaseESE_lENKUlvE_clEvENKUlvE4_clEvEUlS6_S6_E_S6_EEDaPvRmT3_T4_T5_mT6_P12ihipStream_tbENKUlT_T0_E_clISt17integral_constantIbLb0EESU_IbLb1EEEEDaSQ_SR_ENKUlSQ_E_clINS1_13target_configIS4_NS1_20scan_config_selectorIS6_EENS1_11comp_targetILNS1_3genE4ELNS1_11target_archE910ELNS1_3gpuE8ELNS1_3repE0EEELNS0_4arch9wavefront6targetE1EEEEEDaSQ_
; %bb.0:
	s_waitcnt vmcnt(0) expcnt(0) lgkmcnt(0)
	s_or_saveexec_b64 s[4:5], -1
	buffer_store_dword v40, off, s[0:3], s32 ; 4-byte Folded Spill
	s_mov_b64 exec, s[4:5]
	v_writelane_b32 v40, s30, 0
	v_writelane_b32 v40, s31, 1
	flat_load_dwordx4 v[14:17], v[0:1]
	flat_load_dwordx4 v[10:13], v[0:1] offset:16
	flat_load_dwordx3 v[24:26], v[0:1] offset:40
	flat_load_dwordx4 v[2:5], v[0:1] offset:56
	flat_load_dwordx4 v[6:9], v[0:1] offset:72
	v_and_b32_e32 v28, 0x3ff, v31
	v_cmp_ne_u32_e64 s[6:7], 0, v28
	v_cmp_eq_u32_e64 s[8:9], 0, v28
	s_and_saveexec_b64 s[4:5], s[8:9]
	s_cbranch_execz .LBB512_2
; %bb.1:
	flat_load_dwordx2 v[0:1], v[0:1] offset:88
	v_mov_b32_e32 v18, 1
	s_waitcnt vmcnt(0) lgkmcnt(0)
	flat_atomic_add v0, v[0:1], v18 glc
	v_mov_b32_e32 v1, 0
	s_waitcnt vmcnt(0) lgkmcnt(0)
	ds_write_b32 v1, v0
.LBB512_2:
	s_or_b64 exec, exec, s[4:5]
	s_waitcnt vmcnt(0) lgkmcnt(0)
	v_lshlrev_b64 v[0:1], 1, v[16:17]
	v_mov_b32_e32 v17, 0
	s_waitcnt lgkmcnt(0)
	; wave barrier
	ds_read_b32 v18, v17
	v_add_co_u32_e32 v14, vcc, v14, v0
	s_movk_i32 s4, 0x600
	v_add_u32_e32 v19, -1, v26
	v_addc_co_u32_e32 v15, vcc, v15, v1, vcc
	v_mul_lo_u32 v20, v19, s4
	s_waitcnt lgkmcnt(0)
	v_mul_lo_u32 v16, v18, s4
	v_sub_co_u32_e32 v38, vcc, v12, v20
	v_subbrev_co_u32_e32 v39, vcc, 0, v13, vcc
	v_lshlrev_b64 v[26:27], 1, v[16:17]
	v_add_co_u32_e32 v12, vcc, v14, v26
	v_readfirstlane_b32 s68, v18
	v_cmp_ne_u32_e64 s[4:5], v18, v19
	v_addc_co_u32_e32 v13, vcc, v15, v27, vcc
	v_lshlrev_b32_e32 v48, 1, v28
	s_waitcnt lgkmcnt(0)
	; wave barrier
	s_and_saveexec_b64 s[10:11], s[4:5]
	s_xor_b64 s[10:11], exec, s[10:11]
	s_cbranch_execz .LBB512_4
; %bb.3:
	v_add_co_u32_e32 v12, vcc, v12, v48
	v_addc_co_u32_e32 v13, vcc, 0, v13, vcc
	flat_load_ushort v14, v[12:13]
	flat_load_ushort v15, v[12:13] offset:128
	flat_load_ushort v16, v[12:13] offset:256
	;; [unrolled: 1-line block ×23, first 2 shown]
                                        ; implicit-def: $vgpr12
	s_waitcnt vmcnt(0) lgkmcnt(0)
	ds_write_b16 v48, v14
	ds_write_b16 v48, v15 offset:128
	ds_write_b16 v48, v16 offset:256
	;; [unrolled: 1-line block ×23, first 2 shown]
	s_waitcnt lgkmcnt(0)
	; wave barrier
.LBB512_4:
	s_andn2_saveexec_b64 s[10:11], s[10:11]
	s_cbranch_execz .LBB512_54
; %bb.5:
	flat_load_ushort v14, v[12:13]
	v_cmp_lt_u32_e32 vcc, v28, v38
	s_waitcnt vmcnt(0) lgkmcnt(0)
	v_mov_b32_e32 v15, v14
	s_and_saveexec_b64 s[12:13], vcc
	s_cbranch_execz .LBB512_7
; %bb.6:
	v_add_co_u32_e32 v16, vcc, v12, v48
	v_addc_co_u32_e32 v17, vcc, 0, v13, vcc
	flat_load_ushort v15, v[16:17]
.LBB512_7:
	s_or_b64 exec, exec, s[12:13]
	v_add_u32_e32 v16, 64, v28
	v_cmp_lt_u32_e32 vcc, v16, v38
	v_mov_b32_e32 v16, v14
	s_and_saveexec_b64 s[12:13], vcc
	s_cbranch_execz .LBB512_9
; %bb.8:
	v_add_co_u32_e32 v16, vcc, v12, v48
	v_addc_co_u32_e32 v17, vcc, 0, v13, vcc
	flat_load_ushort v16, v[16:17] offset:128
.LBB512_9:
	s_or_b64 exec, exec, s[12:13]
	v_add_u32_e32 v17, 0x80, v28
	v_cmp_lt_u32_e32 vcc, v17, v38
	v_mov_b32_e32 v17, v14
	s_and_saveexec_b64 s[12:13], vcc
	s_cbranch_execz .LBB512_11
; %bb.10:
	v_add_co_u32_e32 v18, vcc, v12, v48
	v_addc_co_u32_e32 v19, vcc, 0, v13, vcc
	flat_load_ushort v17, v[18:19] offset:256
.LBB512_11:
	;; [unrolled: 11-line block ×15, first 2 shown]
	s_or_b64 exec, exec, s[12:13]
	v_or_b32_e32 v36, 0x400, v28
	v_cmp_lt_u32_e32 vcc, v36, v38
	v_mov_b32_e32 v36, v14
	s_and_saveexec_b64 s[12:13], vcc
	s_cbranch_execz .LBB512_39
; %bb.38:
	v_add_co_u32_e32 v36, vcc, v12, v48
	v_addc_co_u32_e32 v37, vcc, 0, v13, vcc
	flat_load_ushort v36, v[36:37] offset:2048
.LBB512_39:
	s_or_b64 exec, exec, s[12:13]
	v_add_u32_e32 v37, 0x440, v28
	v_cmp_lt_u32_e32 vcc, v37, v38
	v_mov_b32_e32 v37, v14
	s_and_saveexec_b64 s[12:13], vcc
	s_cbranch_execz .LBB512_41
; %bb.40:
	v_add_co_u32_e32 v50, vcc, v12, v48
	v_addc_co_u32_e32 v51, vcc, 0, v13, vcc
	flat_load_ushort v37, v[50:51] offset:2176
.LBB512_41:
	s_or_b64 exec, exec, s[12:13]
	v_add_u32_e32 v49, 0x480, v28
	v_cmp_lt_u32_e32 vcc, v49, v38
	v_mov_b32_e32 v49, v14
	s_and_saveexec_b64 s[12:13], vcc
	s_cbranch_execz .LBB512_43
; %bb.42:
	v_add_co_u32_e32 v50, vcc, v12, v48
	v_addc_co_u32_e32 v51, vcc, 0, v13, vcc
	flat_load_ushort v49, v[50:51] offset:2304
.LBB512_43:
	s_or_b64 exec, exec, s[12:13]
	v_add_u32_e32 v50, 0x4c0, v28
	v_cmp_lt_u32_e32 vcc, v50, v38
	v_mov_b32_e32 v50, v14
	s_and_saveexec_b64 s[12:13], vcc
	s_cbranch_execz .LBB512_45
; %bb.44:
	v_add_co_u32_e32 v50, vcc, v12, v48
	v_addc_co_u32_e32 v51, vcc, 0, v13, vcc
	flat_load_ushort v50, v[50:51] offset:2432
.LBB512_45:
	s_or_b64 exec, exec, s[12:13]
	v_add_u32_e32 v51, 0x500, v28
	v_cmp_lt_u32_e32 vcc, v51, v38
	v_mov_b32_e32 v51, v14
	s_and_saveexec_b64 s[12:13], vcc
	s_cbranch_execz .LBB512_47
; %bb.46:
	v_add_co_u32_e32 v52, vcc, v12, v48
	v_addc_co_u32_e32 v53, vcc, 0, v13, vcc
	flat_load_ushort v51, v[52:53] offset:2560
.LBB512_47:
	s_or_b64 exec, exec, s[12:13]
	v_add_u32_e32 v52, 0x540, v28
	v_cmp_lt_u32_e32 vcc, v52, v38
	v_mov_b32_e32 v52, v14
	s_and_saveexec_b64 s[12:13], vcc
	s_cbranch_execz .LBB512_49
; %bb.48:
	v_add_co_u32_e32 v52, vcc, v12, v48
	v_addc_co_u32_e32 v53, vcc, 0, v13, vcc
	flat_load_ushort v52, v[52:53] offset:2688
.LBB512_49:
	s_or_b64 exec, exec, s[12:13]
	v_add_u32_e32 v53, 0x580, v28
	v_cmp_lt_u32_e32 vcc, v53, v38
	v_mov_b32_e32 v53, v14
	s_and_saveexec_b64 s[12:13], vcc
	s_cbranch_execz .LBB512_51
; %bb.50:
	v_add_co_u32_e32 v54, vcc, v12, v48
	v_addc_co_u32_e32 v55, vcc, 0, v13, vcc
	flat_load_ushort v53, v[54:55] offset:2816
.LBB512_51:
	s_or_b64 exec, exec, s[12:13]
	v_add_u32_e32 v54, 0x5c0, v28
	v_cmp_lt_u32_e32 vcc, v54, v38
	s_and_saveexec_b64 s[12:13], vcc
	s_cbranch_execz .LBB512_53
; %bb.52:
	v_add_co_u32_e32 v12, vcc, v12, v48
	v_addc_co_u32_e32 v13, vcc, 0, v13, vcc
	flat_load_ushort v14, v[12:13] offset:2944
.LBB512_53:
	s_or_b64 exec, exec, s[12:13]
	s_waitcnt vmcnt(0) lgkmcnt(0)
	ds_write_b16 v48, v15
	ds_write_b16 v48, v16 offset:128
	ds_write_b16 v48, v17 offset:256
	;; [unrolled: 1-line block ×23, first 2 shown]
	s_waitcnt lgkmcnt(0)
	; wave barrier
.LBB512_54:
	s_or_b64 exec, exec, s[10:11]
	v_mul_u32_u24_e32 v49, 24, v28
	v_lshlrev_b32_e32 v29, 1, v49
	s_waitcnt lgkmcnt(0)
	ds_read_b128 v[20:23], v29
	ds_read_b128 v[16:19], v29 offset:16
	ds_read_b128 v[12:15], v29 offset:32
	s_cmp_lg_u32 s68, 0
	s_waitcnt lgkmcnt(0)
	; wave barrier
	s_waitcnt lgkmcnt(0)
	s_cbranch_scc0 .LBB512_251
; %bb.55:
	v_mov_b32_e32 v30, 16
	v_lshlrev_b32_e32 v144, 16, v20
	v_lshlrev_b32_sdwa v50, v30, v20 dst_sel:DWORD dst_unused:UNUSED_PAD src0_sel:DWORD src1_sel:WORD_1
	v_max_f32_e32 v51, v50, v50
	v_max_f32_e32 v145, v144, v144
	v_min_f32_e32 v31, v145, v51
	v_cmp_u_f32_e64 s[58:59], v144, v144
	v_cndmask_b32_e64 v31, v31, v144, s[58:59]
	v_cmp_u_f32_e64 s[10:11], v50, v50
	v_cndmask_b32_e64 v33, v31, v50, s[10:11]
	v_max_f32_e32 v31, v145, v51
	v_cndmask_b32_e64 v31, v31, v144, s[58:59]
	v_cndmask_b32_e64 v31, v31, v50, s[10:11]
	s_movk_i32 s14, 0x1f8
	v_cmp_neq_f32_e32 vcc, v33, v31
	v_cmp_class_f32_e64 s[12:13], v33, s14
	s_or_b64 s[16:17], vcc, s[12:13]
	v_mov_b32_e32 v32, v144
	s_and_saveexec_b64 s[12:13], s[16:17]
	s_cbranch_execz .LBB512_57
; %bb.56:
	v_sub_f32_e32 v32, v33, v31
	s_mov_b32 s15, 0x3fb8aa3b
	v_mul_f32_e32 v33, 0x3fb8aa3b, v32
	v_fma_f32 v34, v32, s15, -v33
	v_rndne_f32_e32 v35, v33
	v_fmac_f32_e32 v34, 0x32a5705f, v32
	v_sub_f32_e32 v33, v33, v35
	v_add_f32_e32 v33, v33, v34
	v_exp_f32_e32 v33, v33
	v_cvt_i32_f32_e32 v34, v35
	s_mov_b32 s15, 0xc2ce8ed0
	v_cmp_ngt_f32_e32 vcc, s15, v32
	s_mov_b32 s15, 0x42b17218
	v_ldexp_f32 v33, v33, v34
	v_cndmask_b32_e32 v33, 0, v33, vcc
	v_mov_b32_e32 v34, 0x7f800000
	v_cmp_nlt_f32_e32 vcc, s15, v32
	v_cndmask_b32_e32 v70, v34, v33, vcc
	v_add_f32_e32 v34, 1.0, v70
	v_add_f32_e32 v32, -1.0, v34
	v_sub_f32_e32 v33, v32, v34
	v_add_f32_e32 v33, 1.0, v33
	v_sub_f32_e32 v32, v70, v32
	v_add_f32_e32 v35, v32, v33
	v_frexp_mant_f32_e32 v36, v34
	s_mov_b32 s15, 0x3f2aaaab
	v_cvt_f64_f32_e32 v[32:33], v34
	v_frexp_exp_i32_f64_e32 v32, v[32:33]
	v_cmp_gt_f32_e32 vcc, s15, v36
	v_subbrev_co_u32_e32 v54, vcc, 0, v32, vcc
	v_sub_u32_e32 v32, 0, v54
	v_ldexp_f32 v33, v34, v32
	v_add_f32_e32 v34, -1.0, v33
	v_add_f32_e32 v36, 1.0, v33
	v_ldexp_f32 v32, v35, v32
	v_add_f32_e32 v35, 1.0, v34
	v_add_f32_e32 v37, -1.0, v36
	v_sub_f32_e32 v35, v33, v35
	v_sub_f32_e32 v33, v33, v37
	v_add_f32_e32 v35, v32, v35
	v_add_f32_e32 v32, v32, v33
	;; [unrolled: 1-line block ×3, first 2 shown]
	v_rcp_f32_e32 v65, v55
	v_sub_f32_e32 v33, v36, v55
	v_add_f32_e32 v64, v32, v33
	v_add_f32_e32 v33, v34, v35
	v_mul_f32_e32 v67, v33, v65
	v_sub_f32_e32 v32, v34, v33
	v_mul_f32_e32 v34, v55, v67
	v_fma_f32 v36, v67, v55, -v34
	v_fmac_f32_e32 v36, v67, v64
	v_add_f32_e32 v66, v35, v32
	v_add_f32_e32 v32, v34, v36
	v_sub_f32_e32 v35, v33, v32
	v_pk_add_f32 v[52:53], v[32:33], v[34:35] neg_lo:[0,1] neg_hi:[0,1]
	v_mov_b32_e32 v37, v32
	v_pk_add_f32 v[32:33], v[52:53], v[36:37] neg_lo:[0,1] neg_hi:[0,1]
	v_add_f32_e32 v33, v66, v33
	v_add_f32_e32 v32, v32, v33
	;; [unrolled: 1-line block ×3, first 2 shown]
	v_mul_f32_e32 v66, v65, v33
	v_mul_f32_e32 v34, v55, v66
	v_fma_f32 v36, v66, v55, -v34
	v_fmac_f32_e32 v36, v66, v64
	v_sub_f32_e32 v35, v35, v33
	v_add_f32_e32 v55, v32, v35
	v_add_f32_e32 v32, v34, v36
	v_sub_f32_e32 v35, v33, v32
	v_pk_add_f32 v[52:53], v[32:33], v[34:35] neg_lo:[0,1] neg_hi:[0,1]
	v_mov_b32_e32 v37, v32
	v_pk_add_f32 v[32:33], v[52:53], v[36:37] neg_lo:[0,1] neg_hi:[0,1]
	v_add_f32_e32 v33, v55, v33
	v_add_f32_e32 v32, v32, v33
	v_add_f32_e32 v32, v35, v32
	v_add_f32_e32 v35, v67, v66
	v_sub_f32_e32 v33, v35, v67
	v_mul_f32_e32 v32, v65, v32
	v_sub_f32_e32 v33, v66, v33
	v_add_f32_e32 v32, v33, v32
	v_add_f32_e32 v36, v35, v32
	v_mul_f32_e32 v52, v36, v36
	v_mov_b32_e32 v34, 0x3ecc95a3
	v_fmac_f32_e32 v34, 0x3e9b6dac, v52
	v_mov_b32_e32 v33, 0x3f2aaada
	v_fmac_f32_e32 v33, v52, v34
	v_cvt_f32_i32_e32 v34, v54
	v_sub_f32_e32 v35, v36, v35
	v_sub_f32_e32 v32, v32, v35
	v_ldexp_f32 v53, v32, 1
	v_mul_f32_e32 v35, v36, v52
	v_mov_b32_e32 v32, 0x3f317218
	s_mov_b32 s15, 0x3f317218
	v_pk_mul_f32 v[32:33], v[34:35], v[32:33]
	v_ldexp_f32 v37, v36, 1
	v_fma_f32 v36, v34, s15, -v32
	v_fmac_f32_e32 v36, 0xb102e308, v34
	v_pk_add_f32 v[34:35], v[32:33], v[36:37]
	v_sub_f32_e32 v37, v35, v37
	v_sub_f32_e32 v37, v33, v37
	v_add_f32_e32 v53, v53, v37
	v_mov_b32_e32 v52, v32
	v_pk_add_f32 v[32:33], v[34:35], v[32:33] neg_lo:[0,1] neg_hi:[0,1]
	v_pk_add_f32 v[54:55], v[34:35], v[52:53]
	v_mov_b32_e32 v33, v55
	v_mov_b32_e32 v37, v34
	v_pk_add_f32 v[64:65], v[36:37], v[32:33] neg_lo:[0,1] neg_hi:[0,1]
	v_pk_add_f32 v[32:33], v[36:37], v[32:33]
	v_mov_b32_e32 v36, v33
	v_pk_add_f32 v[66:67], v[36:37], v[34:35] neg_lo:[0,1] neg_hi:[0,1]
	v_mov_b32_e32 v37, v66
	v_pk_add_f32 v[68:69], v[54:55], v[36:37] neg_lo:[0,1] neg_hi:[0,1]
	v_mov_b32_e32 v32, v55
	v_mov_b32_e32 v54, v35
	;; [unrolled: 1-line block ×4, first 2 shown]
	v_pk_add_f32 v[32:33], v[32:33], v[54:55] neg_lo:[0,1] neg_hi:[0,1]
	v_mov_b32_e32 v52, v53
	v_mov_b32_e32 v53, v34
	v_pk_add_f32 v[32:33], v[52:53], v[32:33] neg_lo:[0,1] neg_hi:[0,1]
	v_mov_b32_e32 v68, v64
	v_pk_add_f32 v[34:35], v[68:69], v[32:33]
	v_mov_b32_e32 v52, v35
	v_pk_add_f32 v[52:53], v[34:35], v[52:53]
	v_pk_add_f32 v[36:37], v[36:37], v[52:53]
	v_mov_b32_e32 v35, v36
	v_pk_add_f32 v[54:55], v[34:35], v[64:65] neg_lo:[0,1] neg_hi:[0,1]
	v_mov_b32_e32 v33, v52
	v_sub_f32_e32 v34, v34, v54
	v_pk_add_f32 v[32:33], v[32:33], v[54:55] neg_lo:[0,1] neg_hi:[0,1]
	v_sub_f32_e32 v34, v64, v34
	s_mov_b32 s16, 0x7f800000
	v_add_f32_e32 v32, v32, v34
	s_mov_b32 s15, 0x33800000
	v_add_f32_e32 v32, v32, v33
	v_cmp_eq_f32_e32 vcc, s16, v70
	v_cmp_lt_f32_e64 s[16:17], |v70|, s15
	v_add_f32_e32 v32, v36, v32
	s_or_b64 vcc, vcc, s[16:17]
	v_cndmask_b32_e32 v32, v32, v70, vcc
	v_add_f32_e32 v32, v31, v32
.LBB512_57:
	s_or_b64 exec, exec, s[12:13]
	v_bfe_u32 v31, v32, 16, 1
	s_movk_i32 s16, 0x7fff
	v_add3_u32 v31, v32, v31, s16
	v_and_b32_e32 v33, 0xffff0000, v31
	v_mov_b32_e32 v31, 0x7fc00000
	v_cmp_o_f32_e32 vcc, v32, v32
	v_cndmask_b32_e32 v32, v31, v33, vcc
	v_lshlrev_b32_sdwa v52, v30, v21 dst_sel:DWORD dst_unused:UNUSED_PAD src0_sel:DWORD src1_sel:WORD_0
	v_max_f32_e32 v30, v32, v32
	v_max_f32_e32 v64, v52, v52
	v_min_f32_e32 v33, v30, v64
	v_cmp_u_f32_e32 vcc, v32, v32
	v_max_f32_e32 v30, v30, v64
	v_cndmask_b32_e32 v33, v33, v32, vcc
	v_cmp_u_f32_e64 s[12:13], v52, v52
	v_cndmask_b32_e32 v30, v30, v32, vcc
	v_cndmask_b32_e64 v33, v33, v52, s[12:13]
	v_cndmask_b32_e64 v30, v30, v52, s[12:13]
	v_cmp_neq_f32_e32 vcc, v33, v30
	v_cmp_class_f32_e64 s[14:15], v33, s14
	s_or_b64 s[18:19], vcc, s[14:15]
	s_and_saveexec_b64 s[14:15], s[18:19]
	s_cbranch_execz .LBB512_59
; %bb.58:
	v_sub_f32_e32 v32, v33, v30
	s_mov_b32 s17, 0x3fb8aa3b
	v_mul_f32_e32 v33, 0x3fb8aa3b, v32
	v_fma_f32 v34, v32, s17, -v33
	v_rndne_f32_e32 v35, v33
	v_fmac_f32_e32 v34, 0x32a5705f, v32
	v_sub_f32_e32 v33, v33, v35
	v_add_f32_e32 v33, v33, v34
	v_exp_f32_e32 v33, v33
	v_cvt_i32_f32_e32 v34, v35
	s_mov_b32 s17, 0xc2ce8ed0
	v_cmp_ngt_f32_e32 vcc, s17, v32
	s_mov_b32 s17, 0x42b17218
	v_ldexp_f32 v33, v33, v34
	v_cndmask_b32_e32 v33, 0, v33, vcc
	v_mov_b32_e32 v34, 0x7f800000
	v_cmp_nlt_f32_e32 vcc, s17, v32
	v_cndmask_b32_e32 v53, v34, v33, vcc
	v_add_f32_e32 v34, 1.0, v53
	v_add_f32_e32 v32, -1.0, v34
	v_sub_f32_e32 v33, v32, v34
	v_add_f32_e32 v33, 1.0, v33
	v_sub_f32_e32 v32, v53, v32
	v_add_f32_e32 v35, v32, v33
	v_frexp_mant_f32_e32 v36, v34
	s_mov_b32 s17, 0x3f2aaaab
	v_cvt_f64_f32_e32 v[32:33], v34
	v_frexp_exp_i32_f64_e32 v32, v[32:33]
	v_cmp_gt_f32_e32 vcc, s17, v36
	v_subbrev_co_u32_e32 v65, vcc, 0, v32, vcc
	v_sub_u32_e32 v32, 0, v65
	v_ldexp_f32 v33, v34, v32
	v_add_f32_e32 v34, -1.0, v33
	v_add_f32_e32 v36, 1.0, v33
	v_ldexp_f32 v32, v35, v32
	v_add_f32_e32 v35, 1.0, v34
	v_add_f32_e32 v37, -1.0, v36
	v_sub_f32_e32 v35, v33, v35
	v_sub_f32_e32 v33, v33, v37
	v_add_f32_e32 v35, v32, v35
	v_add_f32_e32 v32, v32, v33
	;; [unrolled: 1-line block ×3, first 2 shown]
	v_rcp_f32_e32 v68, v66
	v_sub_f32_e32 v33, v36, v66
	v_add_f32_e32 v67, v32, v33
	v_add_f32_e32 v33, v34, v35
	v_mul_f32_e32 v70, v33, v68
	v_sub_f32_e32 v32, v34, v33
	v_mul_f32_e32 v34, v66, v70
	v_fma_f32 v36, v70, v66, -v34
	v_fmac_f32_e32 v36, v70, v67
	v_add_f32_e32 v69, v35, v32
	v_add_f32_e32 v32, v34, v36
	v_sub_f32_e32 v35, v33, v32
	v_pk_add_f32 v[54:55], v[32:33], v[34:35] neg_lo:[0,1] neg_hi:[0,1]
	v_mov_b32_e32 v37, v32
	v_pk_add_f32 v[32:33], v[54:55], v[36:37] neg_lo:[0,1] neg_hi:[0,1]
	v_add_f32_e32 v33, v69, v33
	v_add_f32_e32 v32, v32, v33
	;; [unrolled: 1-line block ×3, first 2 shown]
	v_mul_f32_e32 v69, v68, v33
	v_mul_f32_e32 v34, v66, v69
	v_fma_f32 v36, v69, v66, -v34
	v_fmac_f32_e32 v36, v69, v67
	v_sub_f32_e32 v35, v35, v33
	v_add_f32_e32 v66, v32, v35
	v_add_f32_e32 v32, v34, v36
	v_sub_f32_e32 v35, v33, v32
	v_pk_add_f32 v[54:55], v[32:33], v[34:35] neg_lo:[0,1] neg_hi:[0,1]
	v_mov_b32_e32 v37, v32
	v_pk_add_f32 v[32:33], v[54:55], v[36:37] neg_lo:[0,1] neg_hi:[0,1]
	v_add_f32_e32 v33, v66, v33
	v_add_f32_e32 v32, v32, v33
	;; [unrolled: 1-line block ×4, first 2 shown]
	v_sub_f32_e32 v33, v35, v70
	v_mul_f32_e32 v32, v68, v32
	v_sub_f32_e32 v33, v69, v33
	v_add_f32_e32 v32, v33, v32
	v_add_f32_e32 v36, v35, v32
	v_mul_f32_e32 v54, v36, v36
	v_mov_b32_e32 v34, 0x3ecc95a3
	v_fmac_f32_e32 v34, 0x3e9b6dac, v54
	v_mov_b32_e32 v33, 0x3f2aaada
	v_fmac_f32_e32 v33, v54, v34
	v_cvt_f32_i32_e32 v34, v65
	v_sub_f32_e32 v35, v36, v35
	v_sub_f32_e32 v32, v32, v35
	v_ldexp_f32 v55, v32, 1
	v_mul_f32_e32 v35, v36, v54
	v_mov_b32_e32 v32, 0x3f317218
	s_mov_b32 s17, 0x3f317218
	v_pk_mul_f32 v[32:33], v[34:35], v[32:33]
	v_ldexp_f32 v37, v36, 1
	v_fma_f32 v36, v34, s17, -v32
	v_fmac_f32_e32 v36, 0xb102e308, v34
	v_pk_add_f32 v[34:35], v[32:33], v[36:37]
	v_sub_f32_e32 v37, v35, v37
	v_sub_f32_e32 v37, v33, v37
	v_add_f32_e32 v55, v55, v37
	v_mov_b32_e32 v54, v32
	v_pk_add_f32 v[32:33], v[34:35], v[32:33] neg_lo:[0,1] neg_hi:[0,1]
	v_pk_add_f32 v[66:67], v[34:35], v[54:55]
	v_mov_b32_e32 v33, v67
	v_mov_b32_e32 v37, v34
	v_pk_add_f32 v[68:69], v[36:37], v[32:33] neg_lo:[0,1] neg_hi:[0,1]
	v_pk_add_f32 v[32:33], v[36:37], v[32:33]
	v_mov_b32_e32 v36, v33
	v_pk_add_f32 v[70:71], v[36:37], v[34:35] neg_lo:[0,1] neg_hi:[0,1]
	v_mov_b32_e32 v37, v70
	v_pk_add_f32 v[80:81], v[66:67], v[36:37] neg_lo:[0,1] neg_hi:[0,1]
	v_mov_b32_e32 v32, v67
	v_mov_b32_e32 v66, v35
	;; [unrolled: 1-line block ×4, first 2 shown]
	v_pk_add_f32 v[32:33], v[32:33], v[66:67] neg_lo:[0,1] neg_hi:[0,1]
	v_mov_b32_e32 v54, v55
	v_mov_b32_e32 v55, v34
	v_pk_add_f32 v[32:33], v[54:55], v[32:33] neg_lo:[0,1] neg_hi:[0,1]
	v_mov_b32_e32 v80, v68
	v_pk_add_f32 v[34:35], v[80:81], v[32:33]
	v_mov_b32_e32 v54, v35
	v_pk_add_f32 v[54:55], v[34:35], v[54:55]
	v_pk_add_f32 v[36:37], v[36:37], v[54:55]
	v_mov_b32_e32 v35, v36
	v_pk_add_f32 v[66:67], v[34:35], v[68:69] neg_lo:[0,1] neg_hi:[0,1]
	v_mov_b32_e32 v33, v54
	v_sub_f32_e32 v34, v34, v66
	v_pk_add_f32 v[32:33], v[32:33], v[66:67] neg_lo:[0,1] neg_hi:[0,1]
	v_sub_f32_e32 v34, v68, v34
	s_mov_b32 s18, 0x7f800000
	v_add_f32_e32 v32, v32, v34
	s_mov_b32 s17, 0x33800000
	v_add_f32_e32 v32, v32, v33
	v_cmp_eq_f32_e32 vcc, s18, v53
	v_cmp_lt_f32_e64 s[18:19], |v53|, s17
	v_add_f32_e32 v32, v36, v32
	s_or_b64 vcc, vcc, s[18:19]
	v_cndmask_b32_e32 v32, v32, v53, vcc
	v_add_f32_e32 v32, v30, v32
.LBB512_59:
	s_or_b64 exec, exec, s[14:15]
	v_bfe_u32 v30, v32, 16, 1
	v_add3_u32 v30, v32, v30, s16
	v_and_b32_e32 v30, 0xffff0000, v30
	v_cmp_o_f32_e32 vcc, v32, v32
	v_cndmask_b32_e32 v32, v31, v30, vcc
	v_mov_b32_e32 v30, 16
	v_lshlrev_b32_sdwa v53, v30, v21 dst_sel:DWORD dst_unused:UNUSED_PAD src0_sel:DWORD src1_sel:WORD_1
	v_max_f32_e32 v31, v32, v32
	v_max_f32_e32 v65, v53, v53
	v_min_f32_e32 v33, v31, v65
	v_cmp_u_f32_e32 vcc, v32, v32
	v_max_f32_e32 v31, v31, v65
	v_cndmask_b32_e32 v33, v33, v32, vcc
	v_cmp_u_f32_e64 s[14:15], v53, v53
	v_cndmask_b32_e32 v31, v31, v32, vcc
	v_cndmask_b32_e64 v33, v33, v53, s[14:15]
	v_cndmask_b32_e64 v31, v31, v53, s[14:15]
	s_movk_i32 s18, 0x1f8
	v_cmp_neq_f32_e32 vcc, v33, v31
	v_cmp_class_f32_e64 s[16:17], v33, s18
	s_or_b64 s[20:21], vcc, s[16:17]
	s_and_saveexec_b64 s[16:17], s[20:21]
	s_cbranch_execz .LBB512_61
; %bb.60:
	v_sub_f32_e32 v32, v33, v31
	s_mov_b32 s19, 0x3fb8aa3b
	v_mul_f32_e32 v33, 0x3fb8aa3b, v32
	v_fma_f32 v34, v32, s19, -v33
	v_rndne_f32_e32 v35, v33
	v_fmac_f32_e32 v34, 0x32a5705f, v32
	v_sub_f32_e32 v33, v33, v35
	v_add_f32_e32 v33, v33, v34
	v_exp_f32_e32 v33, v33
	v_cvt_i32_f32_e32 v34, v35
	s_mov_b32 s19, 0xc2ce8ed0
	v_cmp_ngt_f32_e32 vcc, s19, v32
	s_mov_b32 s19, 0x42b17218
	v_ldexp_f32 v33, v33, v34
	v_cndmask_b32_e32 v33, 0, v33, vcc
	v_mov_b32_e32 v34, 0x7f800000
	v_cmp_nlt_f32_e32 vcc, s19, v32
	v_cndmask_b32_e32 v82, v34, v33, vcc
	v_add_f32_e32 v34, 1.0, v82
	v_add_f32_e32 v32, -1.0, v34
	v_sub_f32_e32 v33, v32, v34
	v_add_f32_e32 v33, 1.0, v33
	v_sub_f32_e32 v32, v82, v32
	v_add_f32_e32 v35, v32, v33
	v_frexp_mant_f32_e32 v36, v34
	s_mov_b32 s19, 0x3f2aaaab
	v_cvt_f64_f32_e32 v[32:33], v34
	v_frexp_exp_i32_f64_e32 v32, v[32:33]
	v_cmp_gt_f32_e32 vcc, s19, v36
	v_subbrev_co_u32_e32 v66, vcc, 0, v32, vcc
	v_sub_u32_e32 v32, 0, v66
	v_ldexp_f32 v33, v34, v32
	v_add_f32_e32 v34, -1.0, v33
	v_add_f32_e32 v36, 1.0, v33
	v_ldexp_f32 v32, v35, v32
	v_add_f32_e32 v35, 1.0, v34
	v_add_f32_e32 v37, -1.0, v36
	v_sub_f32_e32 v35, v33, v35
	v_sub_f32_e32 v33, v33, v37
	v_add_f32_e32 v35, v32, v35
	v_add_f32_e32 v32, v32, v33
	;; [unrolled: 1-line block ×3, first 2 shown]
	v_rcp_f32_e32 v69, v67
	v_sub_f32_e32 v33, v36, v67
	v_add_f32_e32 v68, v32, v33
	v_add_f32_e32 v33, v34, v35
	v_mul_f32_e32 v71, v33, v69
	v_sub_f32_e32 v32, v34, v33
	v_mul_f32_e32 v34, v67, v71
	v_fma_f32 v36, v71, v67, -v34
	v_fmac_f32_e32 v36, v71, v68
	v_add_f32_e32 v70, v35, v32
	v_add_f32_e32 v32, v34, v36
	v_sub_f32_e32 v35, v33, v32
	v_pk_add_f32 v[54:55], v[32:33], v[34:35] neg_lo:[0,1] neg_hi:[0,1]
	v_mov_b32_e32 v37, v32
	v_pk_add_f32 v[32:33], v[54:55], v[36:37] neg_lo:[0,1] neg_hi:[0,1]
	v_add_f32_e32 v33, v70, v33
	v_add_f32_e32 v32, v32, v33
	;; [unrolled: 1-line block ×3, first 2 shown]
	v_mul_f32_e32 v70, v69, v33
	v_mul_f32_e32 v34, v67, v70
	v_fma_f32 v36, v70, v67, -v34
	v_fmac_f32_e32 v36, v70, v68
	v_sub_f32_e32 v35, v35, v33
	v_add_f32_e32 v67, v32, v35
	v_add_f32_e32 v32, v34, v36
	v_sub_f32_e32 v35, v33, v32
	v_pk_add_f32 v[54:55], v[32:33], v[34:35] neg_lo:[0,1] neg_hi:[0,1]
	v_mov_b32_e32 v37, v32
	v_pk_add_f32 v[32:33], v[54:55], v[36:37] neg_lo:[0,1] neg_hi:[0,1]
	v_add_f32_e32 v33, v67, v33
	v_add_f32_e32 v32, v32, v33
	;; [unrolled: 1-line block ×4, first 2 shown]
	v_sub_f32_e32 v33, v35, v71
	v_mul_f32_e32 v32, v69, v32
	v_sub_f32_e32 v33, v70, v33
	v_add_f32_e32 v32, v33, v32
	v_add_f32_e32 v36, v35, v32
	v_mul_f32_e32 v54, v36, v36
	v_mov_b32_e32 v34, 0x3ecc95a3
	v_fmac_f32_e32 v34, 0x3e9b6dac, v54
	v_mov_b32_e32 v33, 0x3f2aaada
	v_fmac_f32_e32 v33, v54, v34
	v_cvt_f32_i32_e32 v34, v66
	v_sub_f32_e32 v35, v36, v35
	v_sub_f32_e32 v32, v32, v35
	v_ldexp_f32 v55, v32, 1
	v_mul_f32_e32 v35, v36, v54
	v_mov_b32_e32 v32, 0x3f317218
	s_mov_b32 s19, 0x3f317218
	v_pk_mul_f32 v[32:33], v[34:35], v[32:33]
	v_ldexp_f32 v37, v36, 1
	v_fma_f32 v36, v34, s19, -v32
	v_fmac_f32_e32 v36, 0xb102e308, v34
	v_pk_add_f32 v[34:35], v[32:33], v[36:37]
	v_sub_f32_e32 v37, v35, v37
	v_sub_f32_e32 v37, v33, v37
	v_add_f32_e32 v55, v55, v37
	v_mov_b32_e32 v54, v32
	v_pk_add_f32 v[32:33], v[34:35], v[32:33] neg_lo:[0,1] neg_hi:[0,1]
	v_pk_add_f32 v[66:67], v[34:35], v[54:55]
	v_mov_b32_e32 v33, v67
	v_mov_b32_e32 v37, v34
	v_pk_add_f32 v[68:69], v[36:37], v[32:33] neg_lo:[0,1] neg_hi:[0,1]
	v_pk_add_f32 v[32:33], v[36:37], v[32:33]
	v_mov_b32_e32 v36, v33
	v_pk_add_f32 v[70:71], v[36:37], v[34:35] neg_lo:[0,1] neg_hi:[0,1]
	v_mov_b32_e32 v37, v70
	v_pk_add_f32 v[80:81], v[66:67], v[36:37] neg_lo:[0,1] neg_hi:[0,1]
	v_mov_b32_e32 v32, v67
	v_mov_b32_e32 v66, v35
	;; [unrolled: 1-line block ×4, first 2 shown]
	v_pk_add_f32 v[32:33], v[32:33], v[66:67] neg_lo:[0,1] neg_hi:[0,1]
	v_mov_b32_e32 v54, v55
	v_mov_b32_e32 v55, v34
	v_pk_add_f32 v[32:33], v[54:55], v[32:33] neg_lo:[0,1] neg_hi:[0,1]
	v_mov_b32_e32 v80, v68
	v_pk_add_f32 v[34:35], v[80:81], v[32:33]
	v_mov_b32_e32 v54, v35
	v_pk_add_f32 v[54:55], v[34:35], v[54:55]
	v_pk_add_f32 v[36:37], v[36:37], v[54:55]
	v_mov_b32_e32 v35, v36
	v_pk_add_f32 v[66:67], v[34:35], v[68:69] neg_lo:[0,1] neg_hi:[0,1]
	v_mov_b32_e32 v33, v54
	v_sub_f32_e32 v34, v34, v66
	v_pk_add_f32 v[32:33], v[32:33], v[66:67] neg_lo:[0,1] neg_hi:[0,1]
	v_sub_f32_e32 v34, v68, v34
	s_mov_b32 s20, 0x7f800000
	v_add_f32_e32 v32, v32, v34
	s_mov_b32 s19, 0x33800000
	v_add_f32_e32 v32, v32, v33
	v_cmp_eq_f32_e32 vcc, s20, v82
	v_cmp_lt_f32_e64 s[20:21], |v82|, s19
	v_add_f32_e32 v32, v36, v32
	s_or_b64 vcc, vcc, s[20:21]
	v_cndmask_b32_e32 v32, v32, v82, vcc
	v_add_f32_e32 v32, v31, v32
.LBB512_61:
	s_or_b64 exec, exec, s[16:17]
	v_bfe_u32 v31, v32, 16, 1
	s_movk_i32 s20, 0x7fff
	v_add3_u32 v31, v32, v31, s20
	v_and_b32_e32 v33, 0xffff0000, v31
	v_mov_b32_e32 v31, 0x7fc00000
	v_cmp_o_f32_e32 vcc, v32, v32
	v_cndmask_b32_e32 v32, v31, v33, vcc
	v_lshlrev_b32_sdwa v54, v30, v22 dst_sel:DWORD dst_unused:UNUSED_PAD src0_sel:DWORD src1_sel:WORD_0
	v_max_f32_e32 v30, v32, v32
	v_max_f32_e32 v68, v54, v54
	v_min_f32_e32 v33, v30, v68
	v_cmp_u_f32_e32 vcc, v32, v32
	v_max_f32_e32 v30, v30, v68
	v_cndmask_b32_e32 v33, v33, v32, vcc
	v_cmp_u_f32_e64 s[16:17], v54, v54
	v_cndmask_b32_e32 v30, v30, v32, vcc
	v_cndmask_b32_e64 v33, v33, v54, s[16:17]
	v_cndmask_b32_e64 v30, v30, v54, s[16:17]
	v_cmp_neq_f32_e32 vcc, v33, v30
	v_cmp_class_f32_e64 s[18:19], v33, s18
	s_or_b64 s[22:23], vcc, s[18:19]
	s_and_saveexec_b64 s[18:19], s[22:23]
	s_cbranch_execz .LBB512_63
; %bb.62:
	v_sub_f32_e32 v32, v33, v30
	s_mov_b32 s21, 0x3fb8aa3b
	v_mul_f32_e32 v33, 0x3fb8aa3b, v32
	v_fma_f32 v34, v32, s21, -v33
	v_rndne_f32_e32 v35, v33
	v_fmac_f32_e32 v34, 0x32a5705f, v32
	v_sub_f32_e32 v33, v33, v35
	v_add_f32_e32 v33, v33, v34
	v_exp_f32_e32 v33, v33
	v_cvt_i32_f32_e32 v34, v35
	s_mov_b32 s21, 0xc2ce8ed0
	v_cmp_ngt_f32_e32 vcc, s21, v32
	s_mov_b32 s21, 0x42b17218
	v_ldexp_f32 v33, v33, v34
	v_cndmask_b32_e32 v33, 0, v33, vcc
	v_mov_b32_e32 v34, 0x7f800000
	v_cmp_nlt_f32_e32 vcc, s21, v32
	v_cndmask_b32_e32 v55, v34, v33, vcc
	v_add_f32_e32 v34, 1.0, v55
	v_add_f32_e32 v32, -1.0, v34
	v_sub_f32_e32 v33, v32, v34
	v_add_f32_e32 v33, 1.0, v33
	v_sub_f32_e32 v32, v55, v32
	v_add_f32_e32 v35, v32, v33
	v_frexp_mant_f32_e32 v36, v34
	s_mov_b32 s21, 0x3f2aaaab
	v_cvt_f64_f32_e32 v[32:33], v34
	v_frexp_exp_i32_f64_e32 v32, v[32:33]
	v_cmp_gt_f32_e32 vcc, s21, v36
	v_subbrev_co_u32_e32 v69, vcc, 0, v32, vcc
	v_sub_u32_e32 v32, 0, v69
	v_ldexp_f32 v33, v34, v32
	v_add_f32_e32 v34, -1.0, v33
	v_add_f32_e32 v36, 1.0, v33
	v_ldexp_f32 v32, v35, v32
	v_add_f32_e32 v35, 1.0, v34
	v_add_f32_e32 v37, -1.0, v36
	v_sub_f32_e32 v35, v33, v35
	v_sub_f32_e32 v33, v33, v37
	v_add_f32_e32 v35, v32, v35
	v_add_f32_e32 v32, v32, v33
	;; [unrolled: 1-line block ×3, first 2 shown]
	v_rcp_f32_e32 v80, v70
	v_sub_f32_e32 v33, v36, v70
	v_add_f32_e32 v71, v32, v33
	v_add_f32_e32 v33, v34, v35
	v_mul_f32_e32 v82, v33, v80
	v_sub_f32_e32 v32, v34, v33
	v_mul_f32_e32 v34, v70, v82
	v_fma_f32 v36, v82, v70, -v34
	v_fmac_f32_e32 v36, v82, v71
	v_add_f32_e32 v81, v35, v32
	v_add_f32_e32 v32, v34, v36
	v_sub_f32_e32 v35, v33, v32
	v_pk_add_f32 v[66:67], v[32:33], v[34:35] neg_lo:[0,1] neg_hi:[0,1]
	v_mov_b32_e32 v37, v32
	v_pk_add_f32 v[32:33], v[66:67], v[36:37] neg_lo:[0,1] neg_hi:[0,1]
	v_add_f32_e32 v33, v81, v33
	v_add_f32_e32 v32, v32, v33
	v_add_f32_e32 v33, v35, v32
	v_mul_f32_e32 v81, v80, v33
	v_mul_f32_e32 v34, v70, v81
	v_fma_f32 v36, v81, v70, -v34
	v_fmac_f32_e32 v36, v81, v71
	v_sub_f32_e32 v35, v35, v33
	v_add_f32_e32 v70, v32, v35
	v_add_f32_e32 v32, v34, v36
	v_sub_f32_e32 v35, v33, v32
	v_pk_add_f32 v[66:67], v[32:33], v[34:35] neg_lo:[0,1] neg_hi:[0,1]
	v_mov_b32_e32 v37, v32
	v_pk_add_f32 v[32:33], v[66:67], v[36:37] neg_lo:[0,1] neg_hi:[0,1]
	v_add_f32_e32 v33, v70, v33
	v_add_f32_e32 v32, v32, v33
	;; [unrolled: 1-line block ×4, first 2 shown]
	v_sub_f32_e32 v33, v35, v82
	v_mul_f32_e32 v32, v80, v32
	v_sub_f32_e32 v33, v81, v33
	v_add_f32_e32 v32, v33, v32
	v_add_f32_e32 v36, v35, v32
	v_mul_f32_e32 v66, v36, v36
	v_mov_b32_e32 v34, 0x3ecc95a3
	v_fmac_f32_e32 v34, 0x3e9b6dac, v66
	v_mov_b32_e32 v33, 0x3f2aaada
	v_fmac_f32_e32 v33, v66, v34
	v_cvt_f32_i32_e32 v34, v69
	v_sub_f32_e32 v35, v36, v35
	v_sub_f32_e32 v32, v32, v35
	v_ldexp_f32 v67, v32, 1
	v_mul_f32_e32 v35, v36, v66
	v_mov_b32_e32 v32, 0x3f317218
	s_mov_b32 s21, 0x3f317218
	v_pk_mul_f32 v[32:33], v[34:35], v[32:33]
	v_ldexp_f32 v37, v36, 1
	v_fma_f32 v36, v34, s21, -v32
	v_fmac_f32_e32 v36, 0xb102e308, v34
	v_pk_add_f32 v[34:35], v[32:33], v[36:37]
	v_sub_f32_e32 v37, v35, v37
	v_sub_f32_e32 v37, v33, v37
	v_add_f32_e32 v67, v67, v37
	v_mov_b32_e32 v66, v32
	v_pk_add_f32 v[32:33], v[34:35], v[32:33] neg_lo:[0,1] neg_hi:[0,1]
	v_pk_add_f32 v[70:71], v[34:35], v[66:67]
	v_mov_b32_e32 v33, v71
	v_mov_b32_e32 v37, v34
	v_pk_add_f32 v[80:81], v[36:37], v[32:33] neg_lo:[0,1] neg_hi:[0,1]
	v_pk_add_f32 v[32:33], v[36:37], v[32:33]
	v_mov_b32_e32 v36, v33
	v_pk_add_f32 v[82:83], v[36:37], v[34:35] neg_lo:[0,1] neg_hi:[0,1]
	v_mov_b32_e32 v37, v82
	v_pk_add_f32 v[84:85], v[70:71], v[36:37] neg_lo:[0,1] neg_hi:[0,1]
	v_mov_b32_e32 v32, v71
	v_mov_b32_e32 v70, v35
	;; [unrolled: 1-line block ×4, first 2 shown]
	v_pk_add_f32 v[32:33], v[32:33], v[70:71] neg_lo:[0,1] neg_hi:[0,1]
	v_mov_b32_e32 v66, v67
	v_mov_b32_e32 v67, v34
	v_pk_add_f32 v[32:33], v[66:67], v[32:33] neg_lo:[0,1] neg_hi:[0,1]
	v_mov_b32_e32 v84, v80
	v_pk_add_f32 v[34:35], v[84:85], v[32:33]
	v_mov_b32_e32 v66, v35
	v_pk_add_f32 v[66:67], v[34:35], v[66:67]
	v_pk_add_f32 v[36:37], v[36:37], v[66:67]
	v_mov_b32_e32 v35, v36
	v_pk_add_f32 v[70:71], v[34:35], v[80:81] neg_lo:[0,1] neg_hi:[0,1]
	v_mov_b32_e32 v33, v66
	v_sub_f32_e32 v34, v34, v70
	v_pk_add_f32 v[32:33], v[32:33], v[70:71] neg_lo:[0,1] neg_hi:[0,1]
	v_sub_f32_e32 v34, v80, v34
	s_mov_b32 s22, 0x7f800000
	v_add_f32_e32 v32, v32, v34
	s_mov_b32 s21, 0x33800000
	v_add_f32_e32 v32, v32, v33
	v_cmp_eq_f32_e32 vcc, s22, v55
	v_cmp_lt_f32_e64 s[22:23], |v55|, s21
	v_add_f32_e32 v32, v36, v32
	s_or_b64 vcc, vcc, s[22:23]
	v_cndmask_b32_e32 v32, v32, v55, vcc
	v_add_f32_e32 v32, v30, v32
.LBB512_63:
	s_or_b64 exec, exec, s[18:19]
	v_bfe_u32 v30, v32, 16, 1
	v_add3_u32 v30, v32, v30, s20
	v_and_b32_e32 v30, 0xffff0000, v30
	v_cmp_o_f32_e32 vcc, v32, v32
	v_cndmask_b32_e32 v32, v31, v30, vcc
	v_mov_b32_e32 v30, 16
	v_lshlrev_b32_sdwa v55, v30, v22 dst_sel:DWORD dst_unused:UNUSED_PAD src0_sel:DWORD src1_sel:WORD_1
	v_max_f32_e32 v31, v32, v32
	v_max_f32_e32 v69, v55, v55
	v_min_f32_e32 v33, v31, v69
	v_cmp_u_f32_e32 vcc, v32, v32
	v_max_f32_e32 v31, v31, v69
	v_cndmask_b32_e32 v33, v33, v32, vcc
	v_cmp_u_f32_e64 s[18:19], v55, v55
	v_cndmask_b32_e32 v31, v31, v32, vcc
	v_cndmask_b32_e64 v33, v33, v55, s[18:19]
	v_cndmask_b32_e64 v31, v31, v55, s[18:19]
	s_movk_i32 s22, 0x1f8
	v_cmp_neq_f32_e32 vcc, v33, v31
	v_cmp_class_f32_e64 s[20:21], v33, s22
	s_or_b64 s[24:25], vcc, s[20:21]
	s_and_saveexec_b64 s[20:21], s[24:25]
	s_cbranch_execz .LBB512_65
; %bb.64:
	v_sub_f32_e32 v32, v33, v31
	s_mov_b32 s23, 0x3fb8aa3b
	v_mul_f32_e32 v33, 0x3fb8aa3b, v32
	v_fma_f32 v34, v32, s23, -v33
	v_rndne_f32_e32 v35, v33
	v_fmac_f32_e32 v34, 0x32a5705f, v32
	v_sub_f32_e32 v33, v33, v35
	v_add_f32_e32 v33, v33, v34
	v_exp_f32_e32 v33, v33
	v_cvt_i32_f32_e32 v34, v35
	s_mov_b32 s23, 0xc2ce8ed0
	v_cmp_ngt_f32_e32 vcc, s23, v32
	s_mov_b32 s23, 0x42b17218
	v_ldexp_f32 v33, v33, v34
	v_cndmask_b32_e32 v33, 0, v33, vcc
	v_mov_b32_e32 v34, 0x7f800000
	v_cmp_nlt_f32_e32 vcc, s23, v32
	v_cndmask_b32_e32 v86, v34, v33, vcc
	v_add_f32_e32 v34, 1.0, v86
	v_add_f32_e32 v32, -1.0, v34
	v_sub_f32_e32 v33, v32, v34
	v_add_f32_e32 v33, 1.0, v33
	v_sub_f32_e32 v32, v86, v32
	v_add_f32_e32 v35, v32, v33
	v_frexp_mant_f32_e32 v36, v34
	s_mov_b32 s23, 0x3f2aaaab
	v_cvt_f64_f32_e32 v[32:33], v34
	v_frexp_exp_i32_f64_e32 v32, v[32:33]
	v_cmp_gt_f32_e32 vcc, s23, v36
	v_subbrev_co_u32_e32 v70, vcc, 0, v32, vcc
	v_sub_u32_e32 v32, 0, v70
	v_ldexp_f32 v33, v34, v32
	v_add_f32_e32 v34, -1.0, v33
	v_add_f32_e32 v36, 1.0, v33
	v_ldexp_f32 v32, v35, v32
	v_add_f32_e32 v35, 1.0, v34
	v_add_f32_e32 v37, -1.0, v36
	v_sub_f32_e32 v35, v33, v35
	v_sub_f32_e32 v33, v33, v37
	v_add_f32_e32 v35, v32, v35
	v_add_f32_e32 v32, v32, v33
	;; [unrolled: 1-line block ×3, first 2 shown]
	v_rcp_f32_e32 v81, v71
	v_sub_f32_e32 v33, v36, v71
	v_add_f32_e32 v80, v32, v33
	v_add_f32_e32 v33, v34, v35
	v_mul_f32_e32 v83, v33, v81
	v_sub_f32_e32 v32, v34, v33
	v_mul_f32_e32 v34, v71, v83
	v_fma_f32 v36, v83, v71, -v34
	v_fmac_f32_e32 v36, v83, v80
	v_add_f32_e32 v82, v35, v32
	v_add_f32_e32 v32, v34, v36
	v_sub_f32_e32 v35, v33, v32
	v_pk_add_f32 v[66:67], v[32:33], v[34:35] neg_lo:[0,1] neg_hi:[0,1]
	v_mov_b32_e32 v37, v32
	v_pk_add_f32 v[32:33], v[66:67], v[36:37] neg_lo:[0,1] neg_hi:[0,1]
	v_add_f32_e32 v33, v82, v33
	v_add_f32_e32 v32, v32, v33
	;; [unrolled: 1-line block ×3, first 2 shown]
	v_mul_f32_e32 v82, v81, v33
	v_mul_f32_e32 v34, v71, v82
	v_fma_f32 v36, v82, v71, -v34
	v_fmac_f32_e32 v36, v82, v80
	v_sub_f32_e32 v35, v35, v33
	v_add_f32_e32 v71, v32, v35
	v_add_f32_e32 v32, v34, v36
	v_sub_f32_e32 v35, v33, v32
	v_pk_add_f32 v[66:67], v[32:33], v[34:35] neg_lo:[0,1] neg_hi:[0,1]
	v_mov_b32_e32 v37, v32
	v_pk_add_f32 v[32:33], v[66:67], v[36:37] neg_lo:[0,1] neg_hi:[0,1]
	v_add_f32_e32 v33, v71, v33
	v_add_f32_e32 v32, v32, v33
	;; [unrolled: 1-line block ×4, first 2 shown]
	v_sub_f32_e32 v33, v35, v83
	v_mul_f32_e32 v32, v81, v32
	v_sub_f32_e32 v33, v82, v33
	v_add_f32_e32 v32, v33, v32
	v_add_f32_e32 v36, v35, v32
	v_mul_f32_e32 v66, v36, v36
	v_mov_b32_e32 v34, 0x3ecc95a3
	v_fmac_f32_e32 v34, 0x3e9b6dac, v66
	v_mov_b32_e32 v33, 0x3f2aaada
	v_fmac_f32_e32 v33, v66, v34
	v_cvt_f32_i32_e32 v34, v70
	v_sub_f32_e32 v35, v36, v35
	v_sub_f32_e32 v32, v32, v35
	v_ldexp_f32 v67, v32, 1
	v_mul_f32_e32 v35, v36, v66
	v_mov_b32_e32 v32, 0x3f317218
	s_mov_b32 s23, 0x3f317218
	v_pk_mul_f32 v[32:33], v[34:35], v[32:33]
	v_ldexp_f32 v37, v36, 1
	v_fma_f32 v36, v34, s23, -v32
	v_fmac_f32_e32 v36, 0xb102e308, v34
	v_pk_add_f32 v[34:35], v[32:33], v[36:37]
	v_sub_f32_e32 v37, v35, v37
	v_sub_f32_e32 v37, v33, v37
	v_add_f32_e32 v67, v67, v37
	v_mov_b32_e32 v66, v32
	v_pk_add_f32 v[32:33], v[34:35], v[32:33] neg_lo:[0,1] neg_hi:[0,1]
	v_pk_add_f32 v[70:71], v[34:35], v[66:67]
	v_mov_b32_e32 v33, v71
	v_mov_b32_e32 v37, v34
	v_pk_add_f32 v[80:81], v[36:37], v[32:33] neg_lo:[0,1] neg_hi:[0,1]
	v_pk_add_f32 v[32:33], v[36:37], v[32:33]
	v_mov_b32_e32 v36, v33
	v_pk_add_f32 v[82:83], v[36:37], v[34:35] neg_lo:[0,1] neg_hi:[0,1]
	v_mov_b32_e32 v37, v82
	v_pk_add_f32 v[84:85], v[70:71], v[36:37] neg_lo:[0,1] neg_hi:[0,1]
	v_mov_b32_e32 v32, v71
	v_mov_b32_e32 v70, v35
	;; [unrolled: 1-line block ×4, first 2 shown]
	v_pk_add_f32 v[32:33], v[32:33], v[70:71] neg_lo:[0,1] neg_hi:[0,1]
	v_mov_b32_e32 v66, v67
	v_mov_b32_e32 v67, v34
	v_pk_add_f32 v[32:33], v[66:67], v[32:33] neg_lo:[0,1] neg_hi:[0,1]
	v_mov_b32_e32 v84, v80
	v_pk_add_f32 v[34:35], v[84:85], v[32:33]
	v_mov_b32_e32 v66, v35
	v_pk_add_f32 v[66:67], v[34:35], v[66:67]
	v_pk_add_f32 v[36:37], v[36:37], v[66:67]
	v_mov_b32_e32 v35, v36
	v_pk_add_f32 v[70:71], v[34:35], v[80:81] neg_lo:[0,1] neg_hi:[0,1]
	v_mov_b32_e32 v33, v66
	v_sub_f32_e32 v34, v34, v70
	v_pk_add_f32 v[32:33], v[32:33], v[70:71] neg_lo:[0,1] neg_hi:[0,1]
	v_sub_f32_e32 v34, v80, v34
	s_mov_b32 s24, 0x7f800000
	v_add_f32_e32 v32, v32, v34
	s_mov_b32 s23, 0x33800000
	v_add_f32_e32 v32, v32, v33
	v_cmp_eq_f32_e32 vcc, s24, v86
	v_cmp_lt_f32_e64 s[24:25], |v86|, s23
	v_add_f32_e32 v32, v36, v32
	s_or_b64 vcc, vcc, s[24:25]
	v_cndmask_b32_e32 v32, v32, v86, vcc
	v_add_f32_e32 v32, v31, v32
.LBB512_65:
	s_or_b64 exec, exec, s[20:21]
	v_bfe_u32 v31, v32, 16, 1
	s_movk_i32 s24, 0x7fff
	v_add3_u32 v31, v32, v31, s24
	v_and_b32_e32 v33, 0xffff0000, v31
	v_mov_b32_e32 v31, 0x7fc00000
	v_cmp_o_f32_e32 vcc, v32, v32
	v_cndmask_b32_e32 v32, v31, v33, vcc
	v_lshlrev_b32_sdwa v66, v30, v23 dst_sel:DWORD dst_unused:UNUSED_PAD src0_sel:DWORD src1_sel:WORD_0
	v_max_f32_e32 v30, v32, v32
	v_max_f32_e32 v80, v66, v66
	v_min_f32_e32 v33, v30, v80
	v_cmp_u_f32_e32 vcc, v32, v32
	v_max_f32_e32 v30, v30, v80
	v_cndmask_b32_e32 v33, v33, v32, vcc
	v_cmp_u_f32_e64 s[20:21], v66, v66
	v_cndmask_b32_e32 v30, v30, v32, vcc
	v_cndmask_b32_e64 v33, v33, v66, s[20:21]
	v_cndmask_b32_e64 v30, v30, v66, s[20:21]
	v_cmp_neq_f32_e32 vcc, v33, v30
	v_cmp_class_f32_e64 s[22:23], v33, s22
	s_or_b64 s[26:27], vcc, s[22:23]
	s_and_saveexec_b64 s[22:23], s[26:27]
	s_cbranch_execz .LBB512_67
; %bb.66:
	v_sub_f32_e32 v32, v33, v30
	s_mov_b32 s25, 0x3fb8aa3b
	v_mul_f32_e32 v33, 0x3fb8aa3b, v32
	v_fma_f32 v34, v32, s25, -v33
	v_rndne_f32_e32 v35, v33
	v_fmac_f32_e32 v34, 0x32a5705f, v32
	v_sub_f32_e32 v33, v33, v35
	v_add_f32_e32 v33, v33, v34
	v_exp_f32_e32 v33, v33
	v_cvt_i32_f32_e32 v34, v35
	s_mov_b32 s25, 0xc2ce8ed0
	v_cmp_ngt_f32_e32 vcc, s25, v32
	s_mov_b32 s25, 0x42b17218
	v_ldexp_f32 v33, v33, v34
	v_cndmask_b32_e32 v33, 0, v33, vcc
	v_mov_b32_e32 v34, 0x7f800000
	v_cmp_nlt_f32_e32 vcc, s25, v32
	v_cndmask_b32_e32 v67, v34, v33, vcc
	v_add_f32_e32 v34, 1.0, v67
	v_add_f32_e32 v32, -1.0, v34
	v_sub_f32_e32 v33, v32, v34
	v_add_f32_e32 v33, 1.0, v33
	v_sub_f32_e32 v32, v67, v32
	v_add_f32_e32 v35, v32, v33
	v_frexp_mant_f32_e32 v36, v34
	s_mov_b32 s25, 0x3f2aaaab
	v_cvt_f64_f32_e32 v[32:33], v34
	v_frexp_exp_i32_f64_e32 v32, v[32:33]
	v_cmp_gt_f32_e32 vcc, s25, v36
	v_subbrev_co_u32_e32 v81, vcc, 0, v32, vcc
	v_sub_u32_e32 v32, 0, v81
	v_ldexp_f32 v33, v34, v32
	v_add_f32_e32 v34, -1.0, v33
	v_add_f32_e32 v36, 1.0, v33
	v_ldexp_f32 v32, v35, v32
	v_add_f32_e32 v35, 1.0, v34
	v_add_f32_e32 v37, -1.0, v36
	v_sub_f32_e32 v35, v33, v35
	v_sub_f32_e32 v33, v33, v37
	v_add_f32_e32 v35, v32, v35
	v_add_f32_e32 v32, v32, v33
	;; [unrolled: 1-line block ×3, first 2 shown]
	v_rcp_f32_e32 v84, v82
	v_sub_f32_e32 v33, v36, v82
	v_add_f32_e32 v83, v32, v33
	v_add_f32_e32 v33, v34, v35
	v_mul_f32_e32 v86, v33, v84
	v_sub_f32_e32 v32, v34, v33
	v_mul_f32_e32 v34, v82, v86
	v_fma_f32 v36, v86, v82, -v34
	v_fmac_f32_e32 v36, v86, v83
	v_add_f32_e32 v85, v35, v32
	v_add_f32_e32 v32, v34, v36
	v_sub_f32_e32 v35, v33, v32
	v_pk_add_f32 v[70:71], v[32:33], v[34:35] neg_lo:[0,1] neg_hi:[0,1]
	v_mov_b32_e32 v37, v32
	v_pk_add_f32 v[32:33], v[70:71], v[36:37] neg_lo:[0,1] neg_hi:[0,1]
	v_add_f32_e32 v33, v85, v33
	v_add_f32_e32 v32, v32, v33
	;; [unrolled: 1-line block ×3, first 2 shown]
	v_mul_f32_e32 v85, v84, v33
	v_mul_f32_e32 v34, v82, v85
	v_fma_f32 v36, v85, v82, -v34
	v_fmac_f32_e32 v36, v85, v83
	v_sub_f32_e32 v35, v35, v33
	v_add_f32_e32 v82, v32, v35
	v_add_f32_e32 v32, v34, v36
	v_sub_f32_e32 v35, v33, v32
	v_pk_add_f32 v[70:71], v[32:33], v[34:35] neg_lo:[0,1] neg_hi:[0,1]
	v_mov_b32_e32 v37, v32
	v_pk_add_f32 v[32:33], v[70:71], v[36:37] neg_lo:[0,1] neg_hi:[0,1]
	v_add_f32_e32 v33, v82, v33
	v_add_f32_e32 v32, v32, v33
	;; [unrolled: 1-line block ×4, first 2 shown]
	v_sub_f32_e32 v33, v35, v86
	v_mul_f32_e32 v32, v84, v32
	v_sub_f32_e32 v33, v85, v33
	v_add_f32_e32 v32, v33, v32
	v_add_f32_e32 v36, v35, v32
	v_mul_f32_e32 v70, v36, v36
	v_mov_b32_e32 v34, 0x3ecc95a3
	v_fmac_f32_e32 v34, 0x3e9b6dac, v70
	v_mov_b32_e32 v33, 0x3f2aaada
	v_fmac_f32_e32 v33, v70, v34
	v_cvt_f32_i32_e32 v34, v81
	v_sub_f32_e32 v35, v36, v35
	v_sub_f32_e32 v32, v32, v35
	v_ldexp_f32 v71, v32, 1
	v_mul_f32_e32 v35, v36, v70
	v_mov_b32_e32 v32, 0x3f317218
	s_mov_b32 s25, 0x3f317218
	v_pk_mul_f32 v[32:33], v[34:35], v[32:33]
	v_ldexp_f32 v37, v36, 1
	v_fma_f32 v36, v34, s25, -v32
	v_fmac_f32_e32 v36, 0xb102e308, v34
	v_pk_add_f32 v[34:35], v[32:33], v[36:37]
	v_sub_f32_e32 v37, v35, v37
	v_sub_f32_e32 v37, v33, v37
	v_add_f32_e32 v71, v71, v37
	v_mov_b32_e32 v70, v32
	v_pk_add_f32 v[32:33], v[34:35], v[32:33] neg_lo:[0,1] neg_hi:[0,1]
	v_pk_add_f32 v[82:83], v[34:35], v[70:71]
	v_mov_b32_e32 v33, v83
	v_mov_b32_e32 v37, v34
	v_pk_add_f32 v[84:85], v[36:37], v[32:33] neg_lo:[0,1] neg_hi:[0,1]
	v_pk_add_f32 v[32:33], v[36:37], v[32:33]
	v_mov_b32_e32 v36, v33
	v_pk_add_f32 v[86:87], v[36:37], v[34:35] neg_lo:[0,1] neg_hi:[0,1]
	v_mov_b32_e32 v37, v86
	v_pk_add_f32 v[96:97], v[82:83], v[36:37] neg_lo:[0,1] neg_hi:[0,1]
	v_mov_b32_e32 v32, v83
	v_mov_b32_e32 v82, v35
	v_mov_b32_e32 v83, v86
	v_mov_b32_e32 v85, v33
	v_pk_add_f32 v[32:33], v[32:33], v[82:83] neg_lo:[0,1] neg_hi:[0,1]
	v_mov_b32_e32 v70, v71
	v_mov_b32_e32 v71, v34
	v_pk_add_f32 v[32:33], v[70:71], v[32:33] neg_lo:[0,1] neg_hi:[0,1]
	v_mov_b32_e32 v96, v84
	v_pk_add_f32 v[34:35], v[96:97], v[32:33]
	v_mov_b32_e32 v70, v35
	v_pk_add_f32 v[70:71], v[34:35], v[70:71]
	v_pk_add_f32 v[36:37], v[36:37], v[70:71]
	v_mov_b32_e32 v35, v36
	v_pk_add_f32 v[82:83], v[34:35], v[84:85] neg_lo:[0,1] neg_hi:[0,1]
	v_mov_b32_e32 v33, v70
	v_sub_f32_e32 v34, v34, v82
	v_pk_add_f32 v[32:33], v[32:33], v[82:83] neg_lo:[0,1] neg_hi:[0,1]
	v_sub_f32_e32 v34, v84, v34
	s_mov_b32 s26, 0x7f800000
	v_add_f32_e32 v32, v32, v34
	s_mov_b32 s25, 0x33800000
	v_add_f32_e32 v32, v32, v33
	v_cmp_eq_f32_e32 vcc, s26, v67
	v_cmp_lt_f32_e64 s[26:27], |v67|, s25
	v_add_f32_e32 v32, v36, v32
	s_or_b64 vcc, vcc, s[26:27]
	v_cndmask_b32_e32 v32, v32, v67, vcc
	v_add_f32_e32 v32, v30, v32
.LBB512_67:
	s_or_b64 exec, exec, s[22:23]
	v_bfe_u32 v30, v32, 16, 1
	v_add3_u32 v30, v32, v30, s24
	v_and_b32_e32 v30, 0xffff0000, v30
	v_cmp_o_f32_e32 vcc, v32, v32
	v_cndmask_b32_e32 v32, v31, v30, vcc
	v_mov_b32_e32 v30, 16
	v_lshlrev_b32_sdwa v67, v30, v23 dst_sel:DWORD dst_unused:UNUSED_PAD src0_sel:DWORD src1_sel:WORD_1
	v_max_f32_e32 v31, v32, v32
	v_max_f32_e32 v81, v67, v67
	v_min_f32_e32 v33, v31, v81
	v_cmp_u_f32_e32 vcc, v32, v32
	v_max_f32_e32 v31, v31, v81
	v_cndmask_b32_e32 v33, v33, v32, vcc
	v_cmp_u_f32_e64 s[22:23], v67, v67
	v_cndmask_b32_e32 v31, v31, v32, vcc
	v_cndmask_b32_e64 v33, v33, v67, s[22:23]
	v_cndmask_b32_e64 v31, v31, v67, s[22:23]
	s_movk_i32 s26, 0x1f8
	v_cmp_neq_f32_e32 vcc, v33, v31
	v_cmp_class_f32_e64 s[24:25], v33, s26
	s_or_b64 s[28:29], vcc, s[24:25]
	s_and_saveexec_b64 s[24:25], s[28:29]
	s_cbranch_execz .LBB512_69
; %bb.68:
	v_sub_f32_e32 v32, v33, v31
	s_mov_b32 s27, 0x3fb8aa3b
	v_mul_f32_e32 v33, 0x3fb8aa3b, v32
	v_fma_f32 v34, v32, s27, -v33
	v_rndne_f32_e32 v35, v33
	v_fmac_f32_e32 v34, 0x32a5705f, v32
	v_sub_f32_e32 v33, v33, v35
	v_add_f32_e32 v33, v33, v34
	v_exp_f32_e32 v33, v33
	v_cvt_i32_f32_e32 v34, v35
	s_mov_b32 s27, 0xc2ce8ed0
	v_cmp_ngt_f32_e32 vcc, s27, v32
	s_mov_b32 s27, 0x42b17218
	v_ldexp_f32 v33, v33, v34
	v_cndmask_b32_e32 v33, 0, v33, vcc
	v_mov_b32_e32 v34, 0x7f800000
	v_cmp_nlt_f32_e32 vcc, s27, v32
	v_cndmask_b32_e32 v98, v34, v33, vcc
	v_add_f32_e32 v34, 1.0, v98
	v_add_f32_e32 v32, -1.0, v34
	v_sub_f32_e32 v33, v32, v34
	v_add_f32_e32 v33, 1.0, v33
	v_sub_f32_e32 v32, v98, v32
	v_add_f32_e32 v35, v32, v33
	v_frexp_mant_f32_e32 v36, v34
	s_mov_b32 s27, 0x3f2aaaab
	v_cvt_f64_f32_e32 v[32:33], v34
	v_frexp_exp_i32_f64_e32 v32, v[32:33]
	v_cmp_gt_f32_e32 vcc, s27, v36
	v_subbrev_co_u32_e32 v82, vcc, 0, v32, vcc
	v_sub_u32_e32 v32, 0, v82
	v_ldexp_f32 v33, v34, v32
	v_add_f32_e32 v34, -1.0, v33
	v_add_f32_e32 v36, 1.0, v33
	v_ldexp_f32 v32, v35, v32
	v_add_f32_e32 v35, 1.0, v34
	v_add_f32_e32 v37, -1.0, v36
	v_sub_f32_e32 v35, v33, v35
	v_sub_f32_e32 v33, v33, v37
	v_add_f32_e32 v35, v32, v35
	v_add_f32_e32 v32, v32, v33
	;; [unrolled: 1-line block ×3, first 2 shown]
	v_rcp_f32_e32 v85, v83
	v_sub_f32_e32 v33, v36, v83
	v_add_f32_e32 v84, v32, v33
	v_add_f32_e32 v33, v34, v35
	v_mul_f32_e32 v87, v33, v85
	v_sub_f32_e32 v32, v34, v33
	v_mul_f32_e32 v34, v83, v87
	v_fma_f32 v36, v87, v83, -v34
	v_fmac_f32_e32 v36, v87, v84
	v_add_f32_e32 v86, v35, v32
	v_add_f32_e32 v32, v34, v36
	v_sub_f32_e32 v35, v33, v32
	v_pk_add_f32 v[70:71], v[32:33], v[34:35] neg_lo:[0,1] neg_hi:[0,1]
	v_mov_b32_e32 v37, v32
	v_pk_add_f32 v[32:33], v[70:71], v[36:37] neg_lo:[0,1] neg_hi:[0,1]
	v_add_f32_e32 v33, v86, v33
	v_add_f32_e32 v32, v32, v33
	;; [unrolled: 1-line block ×3, first 2 shown]
	v_mul_f32_e32 v86, v85, v33
	v_mul_f32_e32 v34, v83, v86
	v_fma_f32 v36, v86, v83, -v34
	v_fmac_f32_e32 v36, v86, v84
	v_sub_f32_e32 v35, v35, v33
	v_add_f32_e32 v83, v32, v35
	v_add_f32_e32 v32, v34, v36
	v_sub_f32_e32 v35, v33, v32
	v_pk_add_f32 v[70:71], v[32:33], v[34:35] neg_lo:[0,1] neg_hi:[0,1]
	v_mov_b32_e32 v37, v32
	v_pk_add_f32 v[32:33], v[70:71], v[36:37] neg_lo:[0,1] neg_hi:[0,1]
	v_add_f32_e32 v33, v83, v33
	v_add_f32_e32 v32, v32, v33
	;; [unrolled: 1-line block ×4, first 2 shown]
	v_sub_f32_e32 v33, v35, v87
	v_mul_f32_e32 v32, v85, v32
	v_sub_f32_e32 v33, v86, v33
	v_add_f32_e32 v32, v33, v32
	v_add_f32_e32 v36, v35, v32
	v_mul_f32_e32 v70, v36, v36
	v_mov_b32_e32 v34, 0x3ecc95a3
	v_fmac_f32_e32 v34, 0x3e9b6dac, v70
	v_mov_b32_e32 v33, 0x3f2aaada
	v_fmac_f32_e32 v33, v70, v34
	v_cvt_f32_i32_e32 v34, v82
	v_sub_f32_e32 v35, v36, v35
	v_sub_f32_e32 v32, v32, v35
	v_ldexp_f32 v71, v32, 1
	v_mul_f32_e32 v35, v36, v70
	v_mov_b32_e32 v32, 0x3f317218
	s_mov_b32 s27, 0x3f317218
	v_pk_mul_f32 v[32:33], v[34:35], v[32:33]
	v_ldexp_f32 v37, v36, 1
	v_fma_f32 v36, v34, s27, -v32
	v_fmac_f32_e32 v36, 0xb102e308, v34
	v_pk_add_f32 v[34:35], v[32:33], v[36:37]
	v_sub_f32_e32 v37, v35, v37
	v_sub_f32_e32 v37, v33, v37
	v_add_f32_e32 v71, v71, v37
	v_mov_b32_e32 v70, v32
	v_pk_add_f32 v[32:33], v[34:35], v[32:33] neg_lo:[0,1] neg_hi:[0,1]
	v_pk_add_f32 v[82:83], v[34:35], v[70:71]
	v_mov_b32_e32 v33, v83
	v_mov_b32_e32 v37, v34
	v_pk_add_f32 v[84:85], v[36:37], v[32:33] neg_lo:[0,1] neg_hi:[0,1]
	v_pk_add_f32 v[32:33], v[36:37], v[32:33]
	v_mov_b32_e32 v36, v33
	v_pk_add_f32 v[86:87], v[36:37], v[34:35] neg_lo:[0,1] neg_hi:[0,1]
	v_mov_b32_e32 v37, v86
	v_pk_add_f32 v[96:97], v[82:83], v[36:37] neg_lo:[0,1] neg_hi:[0,1]
	v_mov_b32_e32 v32, v83
	v_mov_b32_e32 v82, v35
	;; [unrolled: 1-line block ×4, first 2 shown]
	v_pk_add_f32 v[32:33], v[32:33], v[82:83] neg_lo:[0,1] neg_hi:[0,1]
	v_mov_b32_e32 v70, v71
	v_mov_b32_e32 v71, v34
	v_pk_add_f32 v[32:33], v[70:71], v[32:33] neg_lo:[0,1] neg_hi:[0,1]
	v_mov_b32_e32 v96, v84
	v_pk_add_f32 v[34:35], v[96:97], v[32:33]
	v_mov_b32_e32 v70, v35
	v_pk_add_f32 v[70:71], v[34:35], v[70:71]
	v_pk_add_f32 v[36:37], v[36:37], v[70:71]
	v_mov_b32_e32 v35, v36
	v_pk_add_f32 v[82:83], v[34:35], v[84:85] neg_lo:[0,1] neg_hi:[0,1]
	v_mov_b32_e32 v33, v70
	v_sub_f32_e32 v34, v34, v82
	v_pk_add_f32 v[32:33], v[32:33], v[82:83] neg_lo:[0,1] neg_hi:[0,1]
	v_sub_f32_e32 v34, v84, v34
	s_mov_b32 s28, 0x7f800000
	v_add_f32_e32 v32, v32, v34
	s_mov_b32 s27, 0x33800000
	v_add_f32_e32 v32, v32, v33
	v_cmp_eq_f32_e32 vcc, s28, v98
	v_cmp_lt_f32_e64 s[28:29], |v98|, s27
	v_add_f32_e32 v32, v36, v32
	s_or_b64 vcc, vcc, s[28:29]
	v_cndmask_b32_e32 v32, v32, v98, vcc
	v_add_f32_e32 v32, v31, v32
.LBB512_69:
	s_or_b64 exec, exec, s[24:25]
	v_bfe_u32 v31, v32, 16, 1
	s_movk_i32 s28, 0x7fff
	v_add3_u32 v31, v32, v31, s28
	v_and_b32_e32 v33, 0xffff0000, v31
	v_mov_b32_e32 v31, 0x7fc00000
	v_cmp_o_f32_e32 vcc, v32, v32
	v_cndmask_b32_e32 v32, v31, v33, vcc
	v_lshlrev_b32_sdwa v70, v30, v16 dst_sel:DWORD dst_unused:UNUSED_PAD src0_sel:DWORD src1_sel:WORD_0
	v_max_f32_e32 v30, v32, v32
	v_max_f32_e32 v84, v70, v70
	v_min_f32_e32 v33, v30, v84
	v_cmp_u_f32_e32 vcc, v32, v32
	v_max_f32_e32 v30, v30, v84
	v_cndmask_b32_e32 v33, v33, v32, vcc
	v_cmp_u_f32_e64 s[24:25], v70, v70
	v_cndmask_b32_e32 v30, v30, v32, vcc
	v_cndmask_b32_e64 v33, v33, v70, s[24:25]
	v_cndmask_b32_e64 v30, v30, v70, s[24:25]
	v_cmp_neq_f32_e32 vcc, v33, v30
	v_cmp_class_f32_e64 s[26:27], v33, s26
	s_or_b64 vcc, vcc, s[26:27]
	s_and_saveexec_b64 s[26:27], vcc
	s_cbranch_execz .LBB512_71
; %bb.70:
	v_sub_f32_e32 v32, v33, v30
	s_mov_b32 s29, 0x3fb8aa3b
	v_mul_f32_e32 v33, 0x3fb8aa3b, v32
	v_fma_f32 v34, v32, s29, -v33
	v_rndne_f32_e32 v35, v33
	v_fmac_f32_e32 v34, 0x32a5705f, v32
	v_sub_f32_e32 v33, v33, v35
	v_add_f32_e32 v33, v33, v34
	v_exp_f32_e32 v33, v33
	v_cvt_i32_f32_e32 v34, v35
	s_mov_b32 s29, 0xc2ce8ed0
	v_cmp_ngt_f32_e32 vcc, s29, v32
	s_mov_b32 s29, 0x42b17218
	v_ldexp_f32 v33, v33, v34
	v_cndmask_b32_e32 v33, 0, v33, vcc
	v_mov_b32_e32 v34, 0x7f800000
	v_cmp_nlt_f32_e32 vcc, s29, v32
	v_cndmask_b32_e32 v71, v34, v33, vcc
	v_add_f32_e32 v34, 1.0, v71
	v_add_f32_e32 v32, -1.0, v34
	v_sub_f32_e32 v33, v32, v34
	v_add_f32_e32 v33, 1.0, v33
	v_sub_f32_e32 v32, v71, v32
	v_add_f32_e32 v35, v32, v33
	v_frexp_mant_f32_e32 v36, v34
	s_mov_b32 s29, 0x3f2aaaab
	v_cvt_f64_f32_e32 v[32:33], v34
	v_frexp_exp_i32_f64_e32 v32, v[32:33]
	v_cmp_gt_f32_e32 vcc, s29, v36
	v_subbrev_co_u32_e32 v85, vcc, 0, v32, vcc
	v_sub_u32_e32 v32, 0, v85
	v_ldexp_f32 v33, v34, v32
	v_add_f32_e32 v34, -1.0, v33
	v_add_f32_e32 v36, 1.0, v33
	v_ldexp_f32 v32, v35, v32
	v_add_f32_e32 v35, 1.0, v34
	v_add_f32_e32 v37, -1.0, v36
	v_sub_f32_e32 v35, v33, v35
	v_sub_f32_e32 v33, v33, v37
	v_add_f32_e32 v35, v32, v35
	v_add_f32_e32 v32, v32, v33
	v_add_f32_e32 v86, v36, v32
	v_rcp_f32_e32 v96, v86
	v_sub_f32_e32 v33, v36, v86
	v_add_f32_e32 v87, v32, v33
	v_add_f32_e32 v33, v34, v35
	v_mul_f32_e32 v98, v33, v96
	v_sub_f32_e32 v32, v34, v33
	v_mul_f32_e32 v34, v86, v98
	v_fma_f32 v36, v98, v86, -v34
	v_fmac_f32_e32 v36, v98, v87
	v_add_f32_e32 v97, v35, v32
	v_add_f32_e32 v32, v34, v36
	v_sub_f32_e32 v35, v33, v32
	v_pk_add_f32 v[82:83], v[32:33], v[34:35] neg_lo:[0,1] neg_hi:[0,1]
	v_mov_b32_e32 v37, v32
	v_pk_add_f32 v[32:33], v[82:83], v[36:37] neg_lo:[0,1] neg_hi:[0,1]
	v_add_f32_e32 v33, v97, v33
	v_add_f32_e32 v32, v32, v33
	;; [unrolled: 1-line block ×3, first 2 shown]
	v_mul_f32_e32 v97, v96, v33
	v_mul_f32_e32 v34, v86, v97
	v_fma_f32 v36, v97, v86, -v34
	v_fmac_f32_e32 v36, v97, v87
	v_sub_f32_e32 v35, v35, v33
	v_add_f32_e32 v86, v32, v35
	v_add_f32_e32 v32, v34, v36
	v_sub_f32_e32 v35, v33, v32
	v_pk_add_f32 v[82:83], v[32:33], v[34:35] neg_lo:[0,1] neg_hi:[0,1]
	v_mov_b32_e32 v37, v32
	v_pk_add_f32 v[32:33], v[82:83], v[36:37] neg_lo:[0,1] neg_hi:[0,1]
	v_add_f32_e32 v33, v86, v33
	v_add_f32_e32 v32, v32, v33
	;; [unrolled: 1-line block ×4, first 2 shown]
	v_sub_f32_e32 v33, v35, v98
	v_mul_f32_e32 v32, v96, v32
	v_sub_f32_e32 v33, v97, v33
	v_add_f32_e32 v32, v33, v32
	v_add_f32_e32 v36, v35, v32
	v_mul_f32_e32 v82, v36, v36
	v_mov_b32_e32 v34, 0x3ecc95a3
	v_fmac_f32_e32 v34, 0x3e9b6dac, v82
	v_mov_b32_e32 v33, 0x3f2aaada
	v_fmac_f32_e32 v33, v82, v34
	v_cvt_f32_i32_e32 v34, v85
	v_sub_f32_e32 v35, v36, v35
	v_sub_f32_e32 v32, v32, v35
	v_ldexp_f32 v83, v32, 1
	v_mul_f32_e32 v35, v36, v82
	v_mov_b32_e32 v32, 0x3f317218
	s_mov_b32 s29, 0x3f317218
	v_pk_mul_f32 v[32:33], v[34:35], v[32:33]
	v_ldexp_f32 v37, v36, 1
	v_fma_f32 v36, v34, s29, -v32
	v_fmac_f32_e32 v36, 0xb102e308, v34
	v_pk_add_f32 v[34:35], v[32:33], v[36:37]
	v_sub_f32_e32 v37, v35, v37
	v_sub_f32_e32 v37, v33, v37
	v_add_f32_e32 v83, v83, v37
	v_mov_b32_e32 v82, v32
	v_pk_add_f32 v[32:33], v[34:35], v[32:33] neg_lo:[0,1] neg_hi:[0,1]
	v_pk_add_f32 v[86:87], v[34:35], v[82:83]
	v_mov_b32_e32 v33, v87
	v_mov_b32_e32 v37, v34
	v_pk_add_f32 v[96:97], v[36:37], v[32:33] neg_lo:[0,1] neg_hi:[0,1]
	v_pk_add_f32 v[32:33], v[36:37], v[32:33]
	v_mov_b32_e32 v36, v33
	v_pk_add_f32 v[98:99], v[36:37], v[34:35] neg_lo:[0,1] neg_hi:[0,1]
	v_mov_b32_e32 v37, v98
	v_pk_add_f32 v[100:101], v[86:87], v[36:37] neg_lo:[0,1] neg_hi:[0,1]
	v_mov_b32_e32 v32, v87
	v_mov_b32_e32 v86, v35
	;; [unrolled: 1-line block ×4, first 2 shown]
	v_pk_add_f32 v[32:33], v[32:33], v[86:87] neg_lo:[0,1] neg_hi:[0,1]
	v_mov_b32_e32 v82, v83
	v_mov_b32_e32 v83, v34
	v_pk_add_f32 v[32:33], v[82:83], v[32:33] neg_lo:[0,1] neg_hi:[0,1]
	v_mov_b32_e32 v100, v96
	v_pk_add_f32 v[34:35], v[100:101], v[32:33]
	v_mov_b32_e32 v82, v35
	v_pk_add_f32 v[82:83], v[34:35], v[82:83]
	v_pk_add_f32 v[36:37], v[36:37], v[82:83]
	v_mov_b32_e32 v35, v36
	v_pk_add_f32 v[86:87], v[34:35], v[96:97] neg_lo:[0,1] neg_hi:[0,1]
	v_mov_b32_e32 v33, v82
	v_sub_f32_e32 v34, v34, v86
	v_pk_add_f32 v[32:33], v[32:33], v[86:87] neg_lo:[0,1] neg_hi:[0,1]
	v_sub_f32_e32 v34, v96, v34
	s_mov_b32 s30, 0x7f800000
	v_add_f32_e32 v32, v32, v34
	s_mov_b32 s29, 0x33800000
	v_add_f32_e32 v32, v32, v33
	v_cmp_eq_f32_e32 vcc, s30, v71
	v_cmp_lt_f32_e64 s[30:31], |v71|, s29
	v_add_f32_e32 v32, v36, v32
	s_or_b64 vcc, vcc, s[30:31]
	v_cndmask_b32_e32 v32, v32, v71, vcc
	v_add_f32_e32 v32, v30, v32
.LBB512_71:
	s_or_b64 exec, exec, s[26:27]
	v_bfe_u32 v30, v32, 16, 1
	v_add3_u32 v30, v32, v30, s28
	v_and_b32_e32 v30, 0xffff0000, v30
	v_cmp_o_f32_e32 vcc, v32, v32
	v_cndmask_b32_e32 v32, v31, v30, vcc
	v_mov_b32_e32 v30, 16
	v_lshlrev_b32_sdwa v71, v30, v16 dst_sel:DWORD dst_unused:UNUSED_PAD src0_sel:DWORD src1_sel:WORD_1
	v_max_f32_e32 v31, v32, v32
	v_max_f32_e32 v85, v71, v71
	v_min_f32_e32 v33, v31, v85
	v_cmp_u_f32_e32 vcc, v32, v32
	v_max_f32_e32 v31, v31, v85
	v_cndmask_b32_e32 v33, v33, v32, vcc
	v_cmp_u_f32_e64 s[26:27], v71, v71
	v_cndmask_b32_e32 v31, v31, v32, vcc
	v_cndmask_b32_e64 v33, v33, v71, s[26:27]
	v_cndmask_b32_e64 v31, v31, v71, s[26:27]
	s_movk_i32 s30, 0x1f8
	v_cmp_neq_f32_e32 vcc, v33, v31
	v_cmp_class_f32_e64 s[28:29], v33, s30
	s_or_b64 vcc, vcc, s[28:29]
	s_and_saveexec_b64 s[28:29], vcc
	s_cbranch_execz .LBB512_73
; %bb.72:
	v_sub_f32_e32 v32, v33, v31
	s_mov_b32 s31, 0x3fb8aa3b
	v_mul_f32_e32 v33, 0x3fb8aa3b, v32
	v_fma_f32 v34, v32, s31, -v33
	v_rndne_f32_e32 v35, v33
	v_fmac_f32_e32 v34, 0x32a5705f, v32
	v_sub_f32_e32 v33, v33, v35
	v_add_f32_e32 v33, v33, v34
	v_exp_f32_e32 v33, v33
	v_cvt_i32_f32_e32 v34, v35
	s_mov_b32 s31, 0xc2ce8ed0
	v_cmp_ngt_f32_e32 vcc, s31, v32
	s_mov_b32 s31, 0x42b17218
	v_ldexp_f32 v33, v33, v34
	v_cndmask_b32_e32 v33, 0, v33, vcc
	v_mov_b32_e32 v34, 0x7f800000
	v_cmp_nlt_f32_e32 vcc, s31, v32
	v_cndmask_b32_e32 v102, v34, v33, vcc
	v_add_f32_e32 v34, 1.0, v102
	v_add_f32_e32 v32, -1.0, v34
	v_sub_f32_e32 v33, v32, v34
	v_add_f32_e32 v33, 1.0, v33
	v_sub_f32_e32 v32, v102, v32
	v_add_f32_e32 v35, v32, v33
	v_frexp_mant_f32_e32 v36, v34
	s_mov_b32 s31, 0x3f2aaaab
	v_cvt_f64_f32_e32 v[32:33], v34
	v_frexp_exp_i32_f64_e32 v32, v[32:33]
	v_cmp_gt_f32_e32 vcc, s31, v36
	v_subbrev_co_u32_e32 v86, vcc, 0, v32, vcc
	v_sub_u32_e32 v32, 0, v86
	v_ldexp_f32 v33, v34, v32
	v_add_f32_e32 v34, -1.0, v33
	v_add_f32_e32 v36, 1.0, v33
	v_ldexp_f32 v32, v35, v32
	v_add_f32_e32 v35, 1.0, v34
	v_add_f32_e32 v37, -1.0, v36
	v_sub_f32_e32 v35, v33, v35
	v_sub_f32_e32 v33, v33, v37
	v_add_f32_e32 v35, v32, v35
	v_add_f32_e32 v32, v32, v33
	;; [unrolled: 1-line block ×3, first 2 shown]
	v_rcp_f32_e32 v97, v87
	v_sub_f32_e32 v33, v36, v87
	v_add_f32_e32 v96, v32, v33
	v_add_f32_e32 v33, v34, v35
	v_mul_f32_e32 v99, v33, v97
	v_sub_f32_e32 v32, v34, v33
	v_mul_f32_e32 v34, v87, v99
	v_fma_f32 v36, v99, v87, -v34
	v_fmac_f32_e32 v36, v99, v96
	v_add_f32_e32 v98, v35, v32
	v_add_f32_e32 v32, v34, v36
	v_sub_f32_e32 v35, v33, v32
	v_pk_add_f32 v[82:83], v[32:33], v[34:35] neg_lo:[0,1] neg_hi:[0,1]
	v_mov_b32_e32 v37, v32
	v_pk_add_f32 v[32:33], v[82:83], v[36:37] neg_lo:[0,1] neg_hi:[0,1]
	v_add_f32_e32 v33, v98, v33
	v_add_f32_e32 v32, v32, v33
	;; [unrolled: 1-line block ×3, first 2 shown]
	v_mul_f32_e32 v98, v97, v33
	v_mul_f32_e32 v34, v87, v98
	v_fma_f32 v36, v98, v87, -v34
	v_fmac_f32_e32 v36, v98, v96
	v_sub_f32_e32 v35, v35, v33
	v_add_f32_e32 v87, v32, v35
	v_add_f32_e32 v32, v34, v36
	v_sub_f32_e32 v35, v33, v32
	v_pk_add_f32 v[82:83], v[32:33], v[34:35] neg_lo:[0,1] neg_hi:[0,1]
	v_mov_b32_e32 v37, v32
	v_pk_add_f32 v[32:33], v[82:83], v[36:37] neg_lo:[0,1] neg_hi:[0,1]
	v_add_f32_e32 v33, v87, v33
	v_add_f32_e32 v32, v32, v33
	;; [unrolled: 1-line block ×4, first 2 shown]
	v_sub_f32_e32 v33, v35, v99
	v_mul_f32_e32 v32, v97, v32
	v_sub_f32_e32 v33, v98, v33
	v_add_f32_e32 v32, v33, v32
	v_add_f32_e32 v36, v35, v32
	v_mul_f32_e32 v82, v36, v36
	v_mov_b32_e32 v34, 0x3ecc95a3
	v_fmac_f32_e32 v34, 0x3e9b6dac, v82
	v_mov_b32_e32 v33, 0x3f2aaada
	v_fmac_f32_e32 v33, v82, v34
	v_cvt_f32_i32_e32 v34, v86
	v_sub_f32_e32 v35, v36, v35
	v_sub_f32_e32 v32, v32, v35
	v_ldexp_f32 v83, v32, 1
	v_mul_f32_e32 v35, v36, v82
	v_mov_b32_e32 v32, 0x3f317218
	s_mov_b32 s31, 0x3f317218
	v_pk_mul_f32 v[32:33], v[34:35], v[32:33]
	v_ldexp_f32 v37, v36, 1
	v_fma_f32 v36, v34, s31, -v32
	v_fmac_f32_e32 v36, 0xb102e308, v34
	v_pk_add_f32 v[34:35], v[32:33], v[36:37]
	v_sub_f32_e32 v37, v35, v37
	v_sub_f32_e32 v37, v33, v37
	v_add_f32_e32 v83, v83, v37
	v_mov_b32_e32 v82, v32
	v_pk_add_f32 v[32:33], v[34:35], v[32:33] neg_lo:[0,1] neg_hi:[0,1]
	v_pk_add_f32 v[86:87], v[34:35], v[82:83]
	v_mov_b32_e32 v33, v87
	v_mov_b32_e32 v37, v34
	v_pk_add_f32 v[96:97], v[36:37], v[32:33] neg_lo:[0,1] neg_hi:[0,1]
	v_pk_add_f32 v[32:33], v[36:37], v[32:33]
	v_mov_b32_e32 v36, v33
	v_pk_add_f32 v[98:99], v[36:37], v[34:35] neg_lo:[0,1] neg_hi:[0,1]
	v_mov_b32_e32 v37, v98
	v_pk_add_f32 v[100:101], v[86:87], v[36:37] neg_lo:[0,1] neg_hi:[0,1]
	v_mov_b32_e32 v32, v87
	v_mov_b32_e32 v86, v35
	;; [unrolled: 1-line block ×4, first 2 shown]
	v_pk_add_f32 v[32:33], v[32:33], v[86:87] neg_lo:[0,1] neg_hi:[0,1]
	v_mov_b32_e32 v82, v83
	v_mov_b32_e32 v83, v34
	v_pk_add_f32 v[32:33], v[82:83], v[32:33] neg_lo:[0,1] neg_hi:[0,1]
	v_mov_b32_e32 v100, v96
	v_pk_add_f32 v[34:35], v[100:101], v[32:33]
	v_mov_b32_e32 v82, v35
	v_pk_add_f32 v[82:83], v[34:35], v[82:83]
	v_pk_add_f32 v[36:37], v[36:37], v[82:83]
	v_mov_b32_e32 v35, v36
	v_pk_add_f32 v[86:87], v[34:35], v[96:97] neg_lo:[0,1] neg_hi:[0,1]
	v_mov_b32_e32 v33, v82
	v_sub_f32_e32 v34, v34, v86
	v_pk_add_f32 v[32:33], v[32:33], v[86:87] neg_lo:[0,1] neg_hi:[0,1]
	v_sub_f32_e32 v34, v96, v34
	s_mov_b32 s34, 0x7f800000
	v_add_f32_e32 v32, v32, v34
	s_mov_b32 s31, 0x33800000
	v_add_f32_e32 v32, v32, v33
	v_cmp_eq_f32_e32 vcc, s34, v102
	v_cmp_lt_f32_e64 s[34:35], |v102|, s31
	v_add_f32_e32 v32, v36, v32
	s_or_b64 vcc, vcc, s[34:35]
	v_cndmask_b32_e32 v32, v32, v102, vcc
	v_add_f32_e32 v32, v31, v32
.LBB512_73:
	s_or_b64 exec, exec, s[28:29]
	v_bfe_u32 v31, v32, 16, 1
	s_movk_i32 s34, 0x7fff
	v_add3_u32 v31, v32, v31, s34
	v_and_b32_e32 v33, 0xffff0000, v31
	v_mov_b32_e32 v31, 0x7fc00000
	v_cmp_o_f32_e32 vcc, v32, v32
	v_cndmask_b32_e32 v32, v31, v33, vcc
	v_lshlrev_b32_sdwa v82, v30, v17 dst_sel:DWORD dst_unused:UNUSED_PAD src0_sel:DWORD src1_sel:WORD_0
	v_max_f32_e32 v30, v32, v32
	v_max_f32_e32 v96, v82, v82
	v_min_f32_e32 v33, v30, v96
	v_cmp_u_f32_e32 vcc, v32, v32
	v_max_f32_e32 v30, v30, v96
	v_cndmask_b32_e32 v33, v33, v32, vcc
	v_cmp_u_f32_e64 s[28:29], v82, v82
	v_cndmask_b32_e32 v30, v30, v32, vcc
	v_cndmask_b32_e64 v33, v33, v82, s[28:29]
	v_cndmask_b32_e64 v30, v30, v82, s[28:29]
	v_cmp_neq_f32_e32 vcc, v33, v30
	v_cmp_class_f32_e64 s[30:31], v33, s30
	s_or_b64 vcc, vcc, s[30:31]
	s_and_saveexec_b64 s[30:31], vcc
	s_cbranch_execz .LBB512_75
; %bb.74:
	v_sub_f32_e32 v32, v33, v30
	s_mov_b32 s35, 0x3fb8aa3b
	v_mul_f32_e32 v33, 0x3fb8aa3b, v32
	v_fma_f32 v34, v32, s35, -v33
	v_rndne_f32_e32 v35, v33
	v_fmac_f32_e32 v34, 0x32a5705f, v32
	v_sub_f32_e32 v33, v33, v35
	v_add_f32_e32 v33, v33, v34
	v_exp_f32_e32 v33, v33
	v_cvt_i32_f32_e32 v34, v35
	s_mov_b32 s35, 0xc2ce8ed0
	v_cmp_ngt_f32_e32 vcc, s35, v32
	s_mov_b32 s35, 0x42b17218
	v_ldexp_f32 v33, v33, v34
	v_cndmask_b32_e32 v33, 0, v33, vcc
	v_mov_b32_e32 v34, 0x7f800000
	v_cmp_nlt_f32_e32 vcc, s35, v32
	v_cndmask_b32_e32 v83, v34, v33, vcc
	v_add_f32_e32 v34, 1.0, v83
	v_add_f32_e32 v32, -1.0, v34
	v_sub_f32_e32 v33, v32, v34
	v_add_f32_e32 v33, 1.0, v33
	v_sub_f32_e32 v32, v83, v32
	v_add_f32_e32 v35, v32, v33
	v_frexp_mant_f32_e32 v36, v34
	s_mov_b32 s35, 0x3f2aaaab
	v_cvt_f64_f32_e32 v[32:33], v34
	v_frexp_exp_i32_f64_e32 v32, v[32:33]
	v_cmp_gt_f32_e32 vcc, s35, v36
	v_subbrev_co_u32_e32 v97, vcc, 0, v32, vcc
	v_sub_u32_e32 v32, 0, v97
	v_ldexp_f32 v33, v34, v32
	v_add_f32_e32 v34, -1.0, v33
	v_add_f32_e32 v36, 1.0, v33
	v_ldexp_f32 v32, v35, v32
	v_add_f32_e32 v35, 1.0, v34
	v_add_f32_e32 v37, -1.0, v36
	v_sub_f32_e32 v35, v33, v35
	v_sub_f32_e32 v33, v33, v37
	v_add_f32_e32 v35, v32, v35
	v_add_f32_e32 v32, v32, v33
	v_add_f32_e32 v98, v36, v32
	v_rcp_f32_e32 v100, v98
	v_sub_f32_e32 v33, v36, v98
	v_add_f32_e32 v99, v32, v33
	v_add_f32_e32 v33, v34, v35
	v_mul_f32_e32 v102, v33, v100
	v_sub_f32_e32 v32, v34, v33
	v_mul_f32_e32 v34, v98, v102
	v_fma_f32 v36, v102, v98, -v34
	v_fmac_f32_e32 v36, v102, v99
	v_add_f32_e32 v101, v35, v32
	v_add_f32_e32 v32, v34, v36
	v_sub_f32_e32 v35, v33, v32
	v_pk_add_f32 v[86:87], v[32:33], v[34:35] neg_lo:[0,1] neg_hi:[0,1]
	v_mov_b32_e32 v37, v32
	v_pk_add_f32 v[32:33], v[86:87], v[36:37] neg_lo:[0,1] neg_hi:[0,1]
	v_add_f32_e32 v33, v101, v33
	v_add_f32_e32 v32, v32, v33
	;; [unrolled: 1-line block ×3, first 2 shown]
	v_mul_f32_e32 v101, v100, v33
	v_mul_f32_e32 v34, v98, v101
	v_fma_f32 v36, v101, v98, -v34
	v_fmac_f32_e32 v36, v101, v99
	v_sub_f32_e32 v35, v35, v33
	v_add_f32_e32 v98, v32, v35
	v_add_f32_e32 v32, v34, v36
	v_sub_f32_e32 v35, v33, v32
	v_pk_add_f32 v[86:87], v[32:33], v[34:35] neg_lo:[0,1] neg_hi:[0,1]
	v_mov_b32_e32 v37, v32
	v_pk_add_f32 v[32:33], v[86:87], v[36:37] neg_lo:[0,1] neg_hi:[0,1]
	v_add_f32_e32 v33, v98, v33
	v_add_f32_e32 v32, v32, v33
	;; [unrolled: 1-line block ×4, first 2 shown]
	v_sub_f32_e32 v33, v35, v102
	v_mul_f32_e32 v32, v100, v32
	v_sub_f32_e32 v33, v101, v33
	v_add_f32_e32 v32, v33, v32
	v_add_f32_e32 v36, v35, v32
	v_mul_f32_e32 v86, v36, v36
	v_mov_b32_e32 v34, 0x3ecc95a3
	v_fmac_f32_e32 v34, 0x3e9b6dac, v86
	v_mov_b32_e32 v33, 0x3f2aaada
	v_fmac_f32_e32 v33, v86, v34
	v_cvt_f32_i32_e32 v34, v97
	v_sub_f32_e32 v35, v36, v35
	v_sub_f32_e32 v32, v32, v35
	v_ldexp_f32 v87, v32, 1
	v_mul_f32_e32 v35, v36, v86
	v_mov_b32_e32 v32, 0x3f317218
	s_mov_b32 s35, 0x3f317218
	v_pk_mul_f32 v[32:33], v[34:35], v[32:33]
	v_ldexp_f32 v37, v36, 1
	v_fma_f32 v36, v34, s35, -v32
	v_fmac_f32_e32 v36, 0xb102e308, v34
	v_pk_add_f32 v[34:35], v[32:33], v[36:37]
	v_sub_f32_e32 v37, v35, v37
	v_sub_f32_e32 v37, v33, v37
	v_add_f32_e32 v87, v87, v37
	v_mov_b32_e32 v86, v32
	v_pk_add_f32 v[32:33], v[34:35], v[32:33] neg_lo:[0,1] neg_hi:[0,1]
	v_pk_add_f32 v[98:99], v[34:35], v[86:87]
	v_mov_b32_e32 v33, v99
	v_mov_b32_e32 v37, v34
	v_pk_add_f32 v[100:101], v[36:37], v[32:33] neg_lo:[0,1] neg_hi:[0,1]
	v_pk_add_f32 v[32:33], v[36:37], v[32:33]
	v_mov_b32_e32 v36, v33
	v_pk_add_f32 v[102:103], v[36:37], v[34:35] neg_lo:[0,1] neg_hi:[0,1]
	v_mov_b32_e32 v37, v102
	v_pk_add_f32 v[112:113], v[98:99], v[36:37] neg_lo:[0,1] neg_hi:[0,1]
	v_mov_b32_e32 v32, v99
	v_mov_b32_e32 v98, v35
	;; [unrolled: 1-line block ×4, first 2 shown]
	v_pk_add_f32 v[32:33], v[32:33], v[98:99] neg_lo:[0,1] neg_hi:[0,1]
	v_mov_b32_e32 v86, v87
	v_mov_b32_e32 v87, v34
	v_pk_add_f32 v[32:33], v[86:87], v[32:33] neg_lo:[0,1] neg_hi:[0,1]
	v_mov_b32_e32 v112, v100
	v_pk_add_f32 v[34:35], v[112:113], v[32:33]
	v_mov_b32_e32 v86, v35
	v_pk_add_f32 v[86:87], v[34:35], v[86:87]
	v_pk_add_f32 v[36:37], v[36:37], v[86:87]
	v_mov_b32_e32 v35, v36
	v_pk_add_f32 v[98:99], v[34:35], v[100:101] neg_lo:[0,1] neg_hi:[0,1]
	v_mov_b32_e32 v33, v86
	v_sub_f32_e32 v34, v34, v98
	v_pk_add_f32 v[32:33], v[32:33], v[98:99] neg_lo:[0,1] neg_hi:[0,1]
	v_sub_f32_e32 v34, v100, v34
	s_mov_b32 s36, 0x7f800000
	v_add_f32_e32 v32, v32, v34
	s_mov_b32 s35, 0x33800000
	v_add_f32_e32 v32, v32, v33
	v_cmp_eq_f32_e32 vcc, s36, v83
	v_cmp_lt_f32_e64 s[36:37], |v83|, s35
	v_add_f32_e32 v32, v36, v32
	s_or_b64 vcc, vcc, s[36:37]
	v_cndmask_b32_e32 v32, v32, v83, vcc
	v_add_f32_e32 v32, v30, v32
.LBB512_75:
	s_or_b64 exec, exec, s[30:31]
	v_bfe_u32 v30, v32, 16, 1
	v_add3_u32 v30, v32, v30, s34
	v_and_b32_e32 v30, 0xffff0000, v30
	v_cmp_o_f32_e32 vcc, v32, v32
	v_cndmask_b32_e32 v32, v31, v30, vcc
	v_mov_b32_e32 v30, 16
	v_lshlrev_b32_sdwa v83, v30, v17 dst_sel:DWORD dst_unused:UNUSED_PAD src0_sel:DWORD src1_sel:WORD_1
	v_max_f32_e32 v31, v32, v32
	v_max_f32_e32 v97, v83, v83
	v_min_f32_e32 v33, v31, v97
	v_cmp_u_f32_e32 vcc, v32, v32
	v_max_f32_e32 v31, v31, v97
	v_cndmask_b32_e32 v33, v33, v32, vcc
	v_cmp_u_f32_e64 s[30:31], v83, v83
	v_cndmask_b32_e32 v31, v31, v32, vcc
	v_cndmask_b32_e64 v33, v33, v83, s[30:31]
	v_cndmask_b32_e64 v31, v31, v83, s[30:31]
	s_movk_i32 s36, 0x1f8
	v_cmp_neq_f32_e32 vcc, v33, v31
	v_cmp_class_f32_e64 s[34:35], v33, s36
	s_or_b64 vcc, vcc, s[34:35]
	s_and_saveexec_b64 s[34:35], vcc
	s_cbranch_execz .LBB512_77
; %bb.76:
	v_sub_f32_e32 v32, v33, v31
	s_mov_b32 s37, 0x3fb8aa3b
	v_mul_f32_e32 v33, 0x3fb8aa3b, v32
	v_fma_f32 v34, v32, s37, -v33
	v_rndne_f32_e32 v35, v33
	v_fmac_f32_e32 v34, 0x32a5705f, v32
	v_sub_f32_e32 v33, v33, v35
	v_add_f32_e32 v33, v33, v34
	v_exp_f32_e32 v33, v33
	v_cvt_i32_f32_e32 v34, v35
	s_mov_b32 s37, 0xc2ce8ed0
	v_cmp_ngt_f32_e32 vcc, s37, v32
	s_mov_b32 s37, 0x42b17218
	v_ldexp_f32 v33, v33, v34
	v_cndmask_b32_e32 v33, 0, v33, vcc
	v_mov_b32_e32 v34, 0x7f800000
	v_cmp_nlt_f32_e32 vcc, s37, v32
	v_cndmask_b32_e32 v114, v34, v33, vcc
	v_add_f32_e32 v34, 1.0, v114
	v_add_f32_e32 v32, -1.0, v34
	v_sub_f32_e32 v33, v32, v34
	v_add_f32_e32 v33, 1.0, v33
	v_sub_f32_e32 v32, v114, v32
	v_add_f32_e32 v35, v32, v33
	v_frexp_mant_f32_e32 v36, v34
	s_mov_b32 s37, 0x3f2aaaab
	v_cvt_f64_f32_e32 v[32:33], v34
	v_frexp_exp_i32_f64_e32 v32, v[32:33]
	v_cmp_gt_f32_e32 vcc, s37, v36
	v_subbrev_co_u32_e32 v98, vcc, 0, v32, vcc
	v_sub_u32_e32 v32, 0, v98
	v_ldexp_f32 v33, v34, v32
	v_add_f32_e32 v34, -1.0, v33
	v_add_f32_e32 v36, 1.0, v33
	v_ldexp_f32 v32, v35, v32
	v_add_f32_e32 v35, 1.0, v34
	v_add_f32_e32 v37, -1.0, v36
	v_sub_f32_e32 v35, v33, v35
	v_sub_f32_e32 v33, v33, v37
	v_add_f32_e32 v35, v32, v35
	v_add_f32_e32 v32, v32, v33
	;; [unrolled: 1-line block ×3, first 2 shown]
	v_rcp_f32_e32 v101, v99
	v_sub_f32_e32 v33, v36, v99
	v_add_f32_e32 v100, v32, v33
	v_add_f32_e32 v33, v34, v35
	v_mul_f32_e32 v103, v33, v101
	v_sub_f32_e32 v32, v34, v33
	v_mul_f32_e32 v34, v99, v103
	v_fma_f32 v36, v103, v99, -v34
	v_fmac_f32_e32 v36, v103, v100
	v_add_f32_e32 v102, v35, v32
	v_add_f32_e32 v32, v34, v36
	v_sub_f32_e32 v35, v33, v32
	v_pk_add_f32 v[86:87], v[32:33], v[34:35] neg_lo:[0,1] neg_hi:[0,1]
	v_mov_b32_e32 v37, v32
	v_pk_add_f32 v[32:33], v[86:87], v[36:37] neg_lo:[0,1] neg_hi:[0,1]
	v_add_f32_e32 v33, v102, v33
	v_add_f32_e32 v32, v32, v33
	;; [unrolled: 1-line block ×3, first 2 shown]
	v_mul_f32_e32 v102, v101, v33
	v_mul_f32_e32 v34, v99, v102
	v_fma_f32 v36, v102, v99, -v34
	v_fmac_f32_e32 v36, v102, v100
	v_sub_f32_e32 v35, v35, v33
	v_add_f32_e32 v99, v32, v35
	v_add_f32_e32 v32, v34, v36
	v_sub_f32_e32 v35, v33, v32
	v_pk_add_f32 v[86:87], v[32:33], v[34:35] neg_lo:[0,1] neg_hi:[0,1]
	v_mov_b32_e32 v37, v32
	v_pk_add_f32 v[32:33], v[86:87], v[36:37] neg_lo:[0,1] neg_hi:[0,1]
	v_add_f32_e32 v33, v99, v33
	v_add_f32_e32 v32, v32, v33
	;; [unrolled: 1-line block ×4, first 2 shown]
	v_sub_f32_e32 v33, v35, v103
	v_mul_f32_e32 v32, v101, v32
	v_sub_f32_e32 v33, v102, v33
	v_add_f32_e32 v32, v33, v32
	v_add_f32_e32 v36, v35, v32
	v_mul_f32_e32 v86, v36, v36
	v_mov_b32_e32 v34, 0x3ecc95a3
	v_fmac_f32_e32 v34, 0x3e9b6dac, v86
	v_mov_b32_e32 v33, 0x3f2aaada
	v_fmac_f32_e32 v33, v86, v34
	v_cvt_f32_i32_e32 v34, v98
	v_sub_f32_e32 v35, v36, v35
	v_sub_f32_e32 v32, v32, v35
	v_ldexp_f32 v87, v32, 1
	v_mul_f32_e32 v35, v36, v86
	v_mov_b32_e32 v32, 0x3f317218
	s_mov_b32 s37, 0x3f317218
	v_pk_mul_f32 v[32:33], v[34:35], v[32:33]
	v_ldexp_f32 v37, v36, 1
	v_fma_f32 v36, v34, s37, -v32
	v_fmac_f32_e32 v36, 0xb102e308, v34
	v_pk_add_f32 v[34:35], v[32:33], v[36:37]
	v_sub_f32_e32 v37, v35, v37
	v_sub_f32_e32 v37, v33, v37
	v_add_f32_e32 v87, v87, v37
	v_mov_b32_e32 v86, v32
	v_pk_add_f32 v[32:33], v[34:35], v[32:33] neg_lo:[0,1] neg_hi:[0,1]
	v_pk_add_f32 v[98:99], v[34:35], v[86:87]
	v_mov_b32_e32 v33, v99
	v_mov_b32_e32 v37, v34
	v_pk_add_f32 v[100:101], v[36:37], v[32:33] neg_lo:[0,1] neg_hi:[0,1]
	v_pk_add_f32 v[32:33], v[36:37], v[32:33]
	v_mov_b32_e32 v36, v33
	v_pk_add_f32 v[102:103], v[36:37], v[34:35] neg_lo:[0,1] neg_hi:[0,1]
	v_mov_b32_e32 v37, v102
	v_pk_add_f32 v[112:113], v[98:99], v[36:37] neg_lo:[0,1] neg_hi:[0,1]
	v_mov_b32_e32 v32, v99
	v_mov_b32_e32 v98, v35
	;; [unrolled: 1-line block ×4, first 2 shown]
	v_pk_add_f32 v[32:33], v[32:33], v[98:99] neg_lo:[0,1] neg_hi:[0,1]
	v_mov_b32_e32 v86, v87
	v_mov_b32_e32 v87, v34
	v_pk_add_f32 v[32:33], v[86:87], v[32:33] neg_lo:[0,1] neg_hi:[0,1]
	v_mov_b32_e32 v112, v100
	v_pk_add_f32 v[34:35], v[112:113], v[32:33]
	v_mov_b32_e32 v86, v35
	v_pk_add_f32 v[86:87], v[34:35], v[86:87]
	v_pk_add_f32 v[36:37], v[36:37], v[86:87]
	v_mov_b32_e32 v35, v36
	v_pk_add_f32 v[98:99], v[34:35], v[100:101] neg_lo:[0,1] neg_hi:[0,1]
	v_mov_b32_e32 v33, v86
	v_sub_f32_e32 v34, v34, v98
	v_pk_add_f32 v[32:33], v[32:33], v[98:99] neg_lo:[0,1] neg_hi:[0,1]
	v_sub_f32_e32 v34, v100, v34
	s_mov_b32 s38, 0x7f800000
	v_add_f32_e32 v32, v32, v34
	s_mov_b32 s37, 0x33800000
	v_add_f32_e32 v32, v32, v33
	v_cmp_eq_f32_e32 vcc, s38, v114
	v_cmp_lt_f32_e64 s[38:39], |v114|, s37
	v_add_f32_e32 v32, v36, v32
	s_or_b64 vcc, vcc, s[38:39]
	v_cndmask_b32_e32 v32, v32, v114, vcc
	v_add_f32_e32 v32, v31, v32
.LBB512_77:
	s_or_b64 exec, exec, s[34:35]
	v_bfe_u32 v31, v32, 16, 1
	s_movk_i32 s38, 0x7fff
	v_add3_u32 v31, v32, v31, s38
	v_and_b32_e32 v33, 0xffff0000, v31
	v_mov_b32_e32 v31, 0x7fc00000
	v_cmp_o_f32_e32 vcc, v32, v32
	v_cndmask_b32_e32 v32, v31, v33, vcc
	v_lshlrev_b32_sdwa v86, v30, v18 dst_sel:DWORD dst_unused:UNUSED_PAD src0_sel:DWORD src1_sel:WORD_0
	v_max_f32_e32 v30, v32, v32
	v_max_f32_e32 v100, v86, v86
	v_min_f32_e32 v33, v30, v100
	v_cmp_u_f32_e32 vcc, v32, v32
	v_max_f32_e32 v30, v30, v100
	v_cndmask_b32_e32 v33, v33, v32, vcc
	v_cmp_u_f32_e64 s[34:35], v86, v86
	v_cndmask_b32_e32 v30, v30, v32, vcc
	v_cndmask_b32_e64 v33, v33, v86, s[34:35]
	v_cndmask_b32_e64 v30, v30, v86, s[34:35]
	v_cmp_neq_f32_e32 vcc, v33, v30
	v_cmp_class_f32_e64 s[36:37], v33, s36
	s_or_b64 vcc, vcc, s[36:37]
	s_and_saveexec_b64 s[36:37], vcc
	s_cbranch_execz .LBB512_79
; %bb.78:
	v_sub_f32_e32 v32, v33, v30
	s_mov_b32 s39, 0x3fb8aa3b
	v_mul_f32_e32 v33, 0x3fb8aa3b, v32
	v_fma_f32 v34, v32, s39, -v33
	v_rndne_f32_e32 v35, v33
	v_fmac_f32_e32 v34, 0x32a5705f, v32
	v_sub_f32_e32 v33, v33, v35
	v_add_f32_e32 v33, v33, v34
	v_exp_f32_e32 v33, v33
	v_cvt_i32_f32_e32 v34, v35
	s_mov_b32 s39, 0xc2ce8ed0
	v_cmp_ngt_f32_e32 vcc, s39, v32
	s_mov_b32 s39, 0x42b17218
	v_ldexp_f32 v33, v33, v34
	v_cndmask_b32_e32 v33, 0, v33, vcc
	v_mov_b32_e32 v34, 0x7f800000
	v_cmp_nlt_f32_e32 vcc, s39, v32
	v_cndmask_b32_e32 v87, v34, v33, vcc
	v_add_f32_e32 v34, 1.0, v87
	v_add_f32_e32 v32, -1.0, v34
	v_sub_f32_e32 v33, v32, v34
	v_add_f32_e32 v33, 1.0, v33
	v_sub_f32_e32 v32, v87, v32
	v_add_f32_e32 v35, v32, v33
	v_frexp_mant_f32_e32 v36, v34
	s_mov_b32 s39, 0x3f2aaaab
	v_cvt_f64_f32_e32 v[32:33], v34
	v_frexp_exp_i32_f64_e32 v32, v[32:33]
	v_cmp_gt_f32_e32 vcc, s39, v36
	v_subbrev_co_u32_e32 v101, vcc, 0, v32, vcc
	v_sub_u32_e32 v32, 0, v101
	v_ldexp_f32 v33, v34, v32
	v_add_f32_e32 v34, -1.0, v33
	v_add_f32_e32 v36, 1.0, v33
	v_ldexp_f32 v32, v35, v32
	v_add_f32_e32 v35, 1.0, v34
	v_add_f32_e32 v37, -1.0, v36
	v_sub_f32_e32 v35, v33, v35
	v_sub_f32_e32 v33, v33, v37
	v_add_f32_e32 v35, v32, v35
	v_add_f32_e32 v32, v32, v33
	;; [unrolled: 1-line block ×3, first 2 shown]
	v_rcp_f32_e32 v112, v102
	v_sub_f32_e32 v33, v36, v102
	v_add_f32_e32 v103, v32, v33
	v_add_f32_e32 v33, v34, v35
	v_mul_f32_e32 v114, v33, v112
	v_sub_f32_e32 v32, v34, v33
	v_mul_f32_e32 v34, v102, v114
	v_fma_f32 v36, v114, v102, -v34
	v_fmac_f32_e32 v36, v114, v103
	v_add_f32_e32 v113, v35, v32
	v_add_f32_e32 v32, v34, v36
	v_sub_f32_e32 v35, v33, v32
	v_pk_add_f32 v[98:99], v[32:33], v[34:35] neg_lo:[0,1] neg_hi:[0,1]
	v_mov_b32_e32 v37, v32
	v_pk_add_f32 v[32:33], v[98:99], v[36:37] neg_lo:[0,1] neg_hi:[0,1]
	v_add_f32_e32 v33, v113, v33
	v_add_f32_e32 v32, v32, v33
	;; [unrolled: 1-line block ×3, first 2 shown]
	v_mul_f32_e32 v113, v112, v33
	v_mul_f32_e32 v34, v102, v113
	v_fma_f32 v36, v113, v102, -v34
	v_fmac_f32_e32 v36, v113, v103
	v_sub_f32_e32 v35, v35, v33
	v_add_f32_e32 v102, v32, v35
	v_add_f32_e32 v32, v34, v36
	v_sub_f32_e32 v35, v33, v32
	v_pk_add_f32 v[98:99], v[32:33], v[34:35] neg_lo:[0,1] neg_hi:[0,1]
	v_mov_b32_e32 v37, v32
	v_pk_add_f32 v[32:33], v[98:99], v[36:37] neg_lo:[0,1] neg_hi:[0,1]
	v_add_f32_e32 v33, v102, v33
	v_add_f32_e32 v32, v32, v33
	;; [unrolled: 1-line block ×4, first 2 shown]
	v_sub_f32_e32 v33, v35, v114
	v_mul_f32_e32 v32, v112, v32
	v_sub_f32_e32 v33, v113, v33
	v_add_f32_e32 v32, v33, v32
	v_add_f32_e32 v36, v35, v32
	v_mul_f32_e32 v98, v36, v36
	v_mov_b32_e32 v34, 0x3ecc95a3
	v_fmac_f32_e32 v34, 0x3e9b6dac, v98
	v_mov_b32_e32 v33, 0x3f2aaada
	v_fmac_f32_e32 v33, v98, v34
	v_cvt_f32_i32_e32 v34, v101
	v_sub_f32_e32 v35, v36, v35
	v_sub_f32_e32 v32, v32, v35
	v_ldexp_f32 v99, v32, 1
	v_mul_f32_e32 v35, v36, v98
	v_mov_b32_e32 v32, 0x3f317218
	s_mov_b32 s39, 0x3f317218
	v_pk_mul_f32 v[32:33], v[34:35], v[32:33]
	v_ldexp_f32 v37, v36, 1
	v_fma_f32 v36, v34, s39, -v32
	v_fmac_f32_e32 v36, 0xb102e308, v34
	v_pk_add_f32 v[34:35], v[32:33], v[36:37]
	v_sub_f32_e32 v37, v35, v37
	v_sub_f32_e32 v37, v33, v37
	v_add_f32_e32 v99, v99, v37
	v_mov_b32_e32 v98, v32
	v_pk_add_f32 v[32:33], v[34:35], v[32:33] neg_lo:[0,1] neg_hi:[0,1]
	v_pk_add_f32 v[102:103], v[34:35], v[98:99]
	v_mov_b32_e32 v33, v103
	v_mov_b32_e32 v37, v34
	v_pk_add_f32 v[112:113], v[36:37], v[32:33] neg_lo:[0,1] neg_hi:[0,1]
	v_pk_add_f32 v[32:33], v[36:37], v[32:33]
	v_mov_b32_e32 v36, v33
	v_pk_add_f32 v[114:115], v[36:37], v[34:35] neg_lo:[0,1] neg_hi:[0,1]
	v_mov_b32_e32 v37, v114
	v_pk_add_f32 v[116:117], v[102:103], v[36:37] neg_lo:[0,1] neg_hi:[0,1]
	v_mov_b32_e32 v32, v103
	v_mov_b32_e32 v102, v35
	;; [unrolled: 1-line block ×4, first 2 shown]
	v_pk_add_f32 v[32:33], v[32:33], v[102:103] neg_lo:[0,1] neg_hi:[0,1]
	v_mov_b32_e32 v98, v99
	v_mov_b32_e32 v99, v34
	v_pk_add_f32 v[32:33], v[98:99], v[32:33] neg_lo:[0,1] neg_hi:[0,1]
	v_mov_b32_e32 v116, v112
	v_pk_add_f32 v[34:35], v[116:117], v[32:33]
	v_mov_b32_e32 v98, v35
	v_pk_add_f32 v[98:99], v[34:35], v[98:99]
	v_pk_add_f32 v[36:37], v[36:37], v[98:99]
	v_mov_b32_e32 v35, v36
	v_pk_add_f32 v[102:103], v[34:35], v[112:113] neg_lo:[0,1] neg_hi:[0,1]
	v_mov_b32_e32 v33, v98
	v_sub_f32_e32 v34, v34, v102
	v_pk_add_f32 v[32:33], v[32:33], v[102:103] neg_lo:[0,1] neg_hi:[0,1]
	v_sub_f32_e32 v34, v112, v34
	s_mov_b32 s40, 0x7f800000
	v_add_f32_e32 v32, v32, v34
	s_mov_b32 s39, 0x33800000
	v_add_f32_e32 v32, v32, v33
	v_cmp_eq_f32_e32 vcc, s40, v87
	v_cmp_lt_f32_e64 s[40:41], |v87|, s39
	v_add_f32_e32 v32, v36, v32
	s_or_b64 vcc, vcc, s[40:41]
	v_cndmask_b32_e32 v32, v32, v87, vcc
	v_add_f32_e32 v32, v30, v32
.LBB512_79:
	s_or_b64 exec, exec, s[36:37]
	v_bfe_u32 v30, v32, 16, 1
	v_add3_u32 v30, v32, v30, s38
	v_and_b32_e32 v30, 0xffff0000, v30
	v_cmp_o_f32_e32 vcc, v32, v32
	v_cndmask_b32_e32 v32, v31, v30, vcc
	v_mov_b32_e32 v30, 16
	v_lshlrev_b32_sdwa v87, v30, v18 dst_sel:DWORD dst_unused:UNUSED_PAD src0_sel:DWORD src1_sel:WORD_1
	v_max_f32_e32 v31, v32, v32
	v_max_f32_e32 v101, v87, v87
	v_min_f32_e32 v33, v31, v101
	v_cmp_u_f32_e32 vcc, v32, v32
	v_max_f32_e32 v31, v31, v101
	v_cndmask_b32_e32 v33, v33, v32, vcc
	v_cmp_u_f32_e64 s[36:37], v87, v87
	v_cndmask_b32_e32 v31, v31, v32, vcc
	v_cndmask_b32_e64 v33, v33, v87, s[36:37]
	v_cndmask_b32_e64 v31, v31, v87, s[36:37]
	s_movk_i32 s40, 0x1f8
	v_cmp_neq_f32_e32 vcc, v33, v31
	v_cmp_class_f32_e64 s[38:39], v33, s40
	s_or_b64 vcc, vcc, s[38:39]
	s_and_saveexec_b64 s[38:39], vcc
	s_cbranch_execz .LBB512_81
; %bb.80:
	v_sub_f32_e32 v32, v33, v31
	s_mov_b32 s41, 0x3fb8aa3b
	v_mul_f32_e32 v33, 0x3fb8aa3b, v32
	v_fma_f32 v34, v32, s41, -v33
	v_rndne_f32_e32 v35, v33
	v_fmac_f32_e32 v34, 0x32a5705f, v32
	v_sub_f32_e32 v33, v33, v35
	v_add_f32_e32 v33, v33, v34
	v_exp_f32_e32 v33, v33
	v_cvt_i32_f32_e32 v34, v35
	s_mov_b32 s41, 0xc2ce8ed0
	v_cmp_ngt_f32_e32 vcc, s41, v32
	s_mov_b32 s41, 0x42b17218
	v_ldexp_f32 v33, v33, v34
	v_cndmask_b32_e32 v33, 0, v33, vcc
	v_mov_b32_e32 v34, 0x7f800000
	v_cmp_nlt_f32_e32 vcc, s41, v32
	v_cndmask_b32_e32 v118, v34, v33, vcc
	v_add_f32_e32 v34, 1.0, v118
	v_add_f32_e32 v32, -1.0, v34
	v_sub_f32_e32 v33, v32, v34
	v_add_f32_e32 v33, 1.0, v33
	v_sub_f32_e32 v32, v118, v32
	v_add_f32_e32 v35, v32, v33
	v_frexp_mant_f32_e32 v36, v34
	s_mov_b32 s41, 0x3f2aaaab
	v_cvt_f64_f32_e32 v[32:33], v34
	v_frexp_exp_i32_f64_e32 v32, v[32:33]
	v_cmp_gt_f32_e32 vcc, s41, v36
	v_subbrev_co_u32_e32 v102, vcc, 0, v32, vcc
	v_sub_u32_e32 v32, 0, v102
	v_ldexp_f32 v33, v34, v32
	v_add_f32_e32 v34, -1.0, v33
	v_add_f32_e32 v36, 1.0, v33
	v_ldexp_f32 v32, v35, v32
	v_add_f32_e32 v35, 1.0, v34
	v_add_f32_e32 v37, -1.0, v36
	v_sub_f32_e32 v35, v33, v35
	v_sub_f32_e32 v33, v33, v37
	v_add_f32_e32 v35, v32, v35
	v_add_f32_e32 v32, v32, v33
	;; [unrolled: 1-line block ×3, first 2 shown]
	v_rcp_f32_e32 v113, v103
	v_sub_f32_e32 v33, v36, v103
	v_add_f32_e32 v112, v32, v33
	v_add_f32_e32 v33, v34, v35
	v_mul_f32_e32 v115, v33, v113
	v_sub_f32_e32 v32, v34, v33
	v_mul_f32_e32 v34, v103, v115
	v_fma_f32 v36, v115, v103, -v34
	v_fmac_f32_e32 v36, v115, v112
	v_add_f32_e32 v114, v35, v32
	v_add_f32_e32 v32, v34, v36
	v_sub_f32_e32 v35, v33, v32
	v_pk_add_f32 v[98:99], v[32:33], v[34:35] neg_lo:[0,1] neg_hi:[0,1]
	v_mov_b32_e32 v37, v32
	v_pk_add_f32 v[32:33], v[98:99], v[36:37] neg_lo:[0,1] neg_hi:[0,1]
	v_add_f32_e32 v33, v114, v33
	v_add_f32_e32 v32, v32, v33
	;; [unrolled: 1-line block ×3, first 2 shown]
	v_mul_f32_e32 v114, v113, v33
	v_mul_f32_e32 v34, v103, v114
	v_fma_f32 v36, v114, v103, -v34
	v_fmac_f32_e32 v36, v114, v112
	v_sub_f32_e32 v35, v35, v33
	v_add_f32_e32 v103, v32, v35
	v_add_f32_e32 v32, v34, v36
	v_sub_f32_e32 v35, v33, v32
	v_pk_add_f32 v[98:99], v[32:33], v[34:35] neg_lo:[0,1] neg_hi:[0,1]
	v_mov_b32_e32 v37, v32
	v_pk_add_f32 v[32:33], v[98:99], v[36:37] neg_lo:[0,1] neg_hi:[0,1]
	v_add_f32_e32 v33, v103, v33
	v_add_f32_e32 v32, v32, v33
	;; [unrolled: 1-line block ×4, first 2 shown]
	v_sub_f32_e32 v33, v35, v115
	v_mul_f32_e32 v32, v113, v32
	v_sub_f32_e32 v33, v114, v33
	v_add_f32_e32 v32, v33, v32
	v_add_f32_e32 v36, v35, v32
	v_mul_f32_e32 v98, v36, v36
	v_mov_b32_e32 v34, 0x3ecc95a3
	v_fmac_f32_e32 v34, 0x3e9b6dac, v98
	v_mov_b32_e32 v33, 0x3f2aaada
	v_fmac_f32_e32 v33, v98, v34
	v_cvt_f32_i32_e32 v34, v102
	v_sub_f32_e32 v35, v36, v35
	v_sub_f32_e32 v32, v32, v35
	v_ldexp_f32 v99, v32, 1
	v_mul_f32_e32 v35, v36, v98
	v_mov_b32_e32 v32, 0x3f317218
	s_mov_b32 s41, 0x3f317218
	v_pk_mul_f32 v[32:33], v[34:35], v[32:33]
	v_ldexp_f32 v37, v36, 1
	v_fma_f32 v36, v34, s41, -v32
	v_fmac_f32_e32 v36, 0xb102e308, v34
	v_pk_add_f32 v[34:35], v[32:33], v[36:37]
	v_sub_f32_e32 v37, v35, v37
	v_sub_f32_e32 v37, v33, v37
	v_add_f32_e32 v99, v99, v37
	v_mov_b32_e32 v98, v32
	v_pk_add_f32 v[32:33], v[34:35], v[32:33] neg_lo:[0,1] neg_hi:[0,1]
	v_pk_add_f32 v[102:103], v[34:35], v[98:99]
	v_mov_b32_e32 v33, v103
	v_mov_b32_e32 v37, v34
	v_pk_add_f32 v[112:113], v[36:37], v[32:33] neg_lo:[0,1] neg_hi:[0,1]
	v_pk_add_f32 v[32:33], v[36:37], v[32:33]
	v_mov_b32_e32 v36, v33
	v_pk_add_f32 v[114:115], v[36:37], v[34:35] neg_lo:[0,1] neg_hi:[0,1]
	v_mov_b32_e32 v37, v114
	v_pk_add_f32 v[116:117], v[102:103], v[36:37] neg_lo:[0,1] neg_hi:[0,1]
	v_mov_b32_e32 v32, v103
	v_mov_b32_e32 v102, v35
	;; [unrolled: 1-line block ×4, first 2 shown]
	v_pk_add_f32 v[32:33], v[32:33], v[102:103] neg_lo:[0,1] neg_hi:[0,1]
	v_mov_b32_e32 v98, v99
	v_mov_b32_e32 v99, v34
	v_pk_add_f32 v[32:33], v[98:99], v[32:33] neg_lo:[0,1] neg_hi:[0,1]
	v_mov_b32_e32 v116, v112
	v_pk_add_f32 v[34:35], v[116:117], v[32:33]
	v_mov_b32_e32 v98, v35
	v_pk_add_f32 v[98:99], v[34:35], v[98:99]
	v_pk_add_f32 v[36:37], v[36:37], v[98:99]
	v_mov_b32_e32 v35, v36
	v_pk_add_f32 v[102:103], v[34:35], v[112:113] neg_lo:[0,1] neg_hi:[0,1]
	v_mov_b32_e32 v33, v98
	v_sub_f32_e32 v34, v34, v102
	v_pk_add_f32 v[32:33], v[32:33], v[102:103] neg_lo:[0,1] neg_hi:[0,1]
	v_sub_f32_e32 v34, v112, v34
	s_mov_b32 s42, 0x7f800000
	v_add_f32_e32 v32, v32, v34
	s_mov_b32 s41, 0x33800000
	v_add_f32_e32 v32, v32, v33
	v_cmp_eq_f32_e32 vcc, s42, v118
	v_cmp_lt_f32_e64 s[42:43], |v118|, s41
	v_add_f32_e32 v32, v36, v32
	s_or_b64 vcc, vcc, s[42:43]
	v_cndmask_b32_e32 v32, v32, v118, vcc
	v_add_f32_e32 v32, v31, v32
.LBB512_81:
	s_or_b64 exec, exec, s[38:39]
	v_bfe_u32 v31, v32, 16, 1
	s_movk_i32 s42, 0x7fff
	v_add3_u32 v31, v32, v31, s42
	v_and_b32_e32 v33, 0xffff0000, v31
	v_mov_b32_e32 v31, 0x7fc00000
	v_cmp_o_f32_e32 vcc, v32, v32
	v_cndmask_b32_e32 v32, v31, v33, vcc
	v_lshlrev_b32_sdwa v98, v30, v19 dst_sel:DWORD dst_unused:UNUSED_PAD src0_sel:DWORD src1_sel:WORD_0
	v_max_f32_e32 v30, v32, v32
	v_max_f32_e32 v112, v98, v98
	v_min_f32_e32 v33, v30, v112
	v_cmp_u_f32_e32 vcc, v32, v32
	v_max_f32_e32 v30, v30, v112
	v_cndmask_b32_e32 v33, v33, v32, vcc
	v_cmp_u_f32_e64 s[38:39], v98, v98
	v_cndmask_b32_e32 v30, v30, v32, vcc
	v_cndmask_b32_e64 v33, v33, v98, s[38:39]
	v_cndmask_b32_e64 v30, v30, v98, s[38:39]
	v_cmp_neq_f32_e32 vcc, v33, v30
	v_cmp_class_f32_e64 s[40:41], v33, s40
	s_or_b64 vcc, vcc, s[40:41]
	s_and_saveexec_b64 s[40:41], vcc
	s_cbranch_execz .LBB512_83
; %bb.82:
	v_sub_f32_e32 v32, v33, v30
	s_mov_b32 s43, 0x3fb8aa3b
	v_mul_f32_e32 v33, 0x3fb8aa3b, v32
	v_fma_f32 v34, v32, s43, -v33
	v_rndne_f32_e32 v35, v33
	v_fmac_f32_e32 v34, 0x32a5705f, v32
	v_sub_f32_e32 v33, v33, v35
	v_add_f32_e32 v33, v33, v34
	v_exp_f32_e32 v33, v33
	v_cvt_i32_f32_e32 v34, v35
	s_mov_b32 s43, 0xc2ce8ed0
	v_cmp_ngt_f32_e32 vcc, s43, v32
	s_mov_b32 s43, 0x42b17218
	v_ldexp_f32 v33, v33, v34
	v_cndmask_b32_e32 v33, 0, v33, vcc
	v_mov_b32_e32 v34, 0x7f800000
	v_cmp_nlt_f32_e32 vcc, s43, v32
	v_cndmask_b32_e32 v99, v34, v33, vcc
	v_add_f32_e32 v34, 1.0, v99
	v_add_f32_e32 v32, -1.0, v34
	v_sub_f32_e32 v33, v32, v34
	v_add_f32_e32 v33, 1.0, v33
	v_sub_f32_e32 v32, v99, v32
	v_add_f32_e32 v35, v32, v33
	v_frexp_mant_f32_e32 v36, v34
	s_mov_b32 s43, 0x3f2aaaab
	v_cvt_f64_f32_e32 v[32:33], v34
	v_frexp_exp_i32_f64_e32 v32, v[32:33]
	v_cmp_gt_f32_e32 vcc, s43, v36
	v_subbrev_co_u32_e32 v113, vcc, 0, v32, vcc
	v_sub_u32_e32 v32, 0, v113
	v_ldexp_f32 v33, v34, v32
	v_add_f32_e32 v34, -1.0, v33
	v_add_f32_e32 v36, 1.0, v33
	v_ldexp_f32 v32, v35, v32
	v_add_f32_e32 v35, 1.0, v34
	v_add_f32_e32 v37, -1.0, v36
	v_sub_f32_e32 v35, v33, v35
	v_sub_f32_e32 v33, v33, v37
	v_add_f32_e32 v35, v32, v35
	v_add_f32_e32 v32, v32, v33
	;; [unrolled: 1-line block ×3, first 2 shown]
	v_rcp_f32_e32 v116, v114
	v_sub_f32_e32 v33, v36, v114
	v_add_f32_e32 v115, v32, v33
	v_add_f32_e32 v33, v34, v35
	v_mul_f32_e32 v118, v33, v116
	v_sub_f32_e32 v32, v34, v33
	v_mul_f32_e32 v34, v114, v118
	v_fma_f32 v36, v118, v114, -v34
	v_fmac_f32_e32 v36, v118, v115
	v_add_f32_e32 v117, v35, v32
	v_add_f32_e32 v32, v34, v36
	v_sub_f32_e32 v35, v33, v32
	v_pk_add_f32 v[102:103], v[32:33], v[34:35] neg_lo:[0,1] neg_hi:[0,1]
	v_mov_b32_e32 v37, v32
	v_pk_add_f32 v[32:33], v[102:103], v[36:37] neg_lo:[0,1] neg_hi:[0,1]
	v_add_f32_e32 v33, v117, v33
	v_add_f32_e32 v32, v32, v33
	;; [unrolled: 1-line block ×3, first 2 shown]
	v_mul_f32_e32 v117, v116, v33
	v_mul_f32_e32 v34, v114, v117
	v_fma_f32 v36, v117, v114, -v34
	v_fmac_f32_e32 v36, v117, v115
	v_sub_f32_e32 v35, v35, v33
	v_add_f32_e32 v114, v32, v35
	v_add_f32_e32 v32, v34, v36
	v_sub_f32_e32 v35, v33, v32
	v_pk_add_f32 v[102:103], v[32:33], v[34:35] neg_lo:[0,1] neg_hi:[0,1]
	v_mov_b32_e32 v37, v32
	v_pk_add_f32 v[32:33], v[102:103], v[36:37] neg_lo:[0,1] neg_hi:[0,1]
	v_add_f32_e32 v33, v114, v33
	v_add_f32_e32 v32, v32, v33
	;; [unrolled: 1-line block ×4, first 2 shown]
	v_sub_f32_e32 v33, v35, v118
	v_mul_f32_e32 v32, v116, v32
	v_sub_f32_e32 v33, v117, v33
	v_add_f32_e32 v32, v33, v32
	v_add_f32_e32 v36, v35, v32
	v_mul_f32_e32 v102, v36, v36
	v_mov_b32_e32 v34, 0x3ecc95a3
	v_fmac_f32_e32 v34, 0x3e9b6dac, v102
	v_mov_b32_e32 v33, 0x3f2aaada
	v_fmac_f32_e32 v33, v102, v34
	v_cvt_f32_i32_e32 v34, v113
	v_sub_f32_e32 v35, v36, v35
	v_sub_f32_e32 v32, v32, v35
	v_ldexp_f32 v103, v32, 1
	v_mul_f32_e32 v35, v36, v102
	v_mov_b32_e32 v32, 0x3f317218
	s_mov_b32 s43, 0x3f317218
	v_pk_mul_f32 v[32:33], v[34:35], v[32:33]
	v_ldexp_f32 v37, v36, 1
	v_fma_f32 v36, v34, s43, -v32
	v_fmac_f32_e32 v36, 0xb102e308, v34
	v_pk_add_f32 v[34:35], v[32:33], v[36:37]
	v_sub_f32_e32 v37, v35, v37
	v_sub_f32_e32 v37, v33, v37
	v_add_f32_e32 v103, v103, v37
	v_mov_b32_e32 v102, v32
	v_pk_add_f32 v[32:33], v[34:35], v[32:33] neg_lo:[0,1] neg_hi:[0,1]
	v_pk_add_f32 v[114:115], v[34:35], v[102:103]
	v_mov_b32_e32 v33, v115
	v_mov_b32_e32 v37, v34
	v_pk_add_f32 v[116:117], v[36:37], v[32:33] neg_lo:[0,1] neg_hi:[0,1]
	v_pk_add_f32 v[32:33], v[36:37], v[32:33]
	v_mov_b32_e32 v36, v33
	v_pk_add_f32 v[118:119], v[36:37], v[34:35] neg_lo:[0,1] neg_hi:[0,1]
	v_mov_b32_e32 v37, v118
	v_pk_add_f32 v[128:129], v[114:115], v[36:37] neg_lo:[0,1] neg_hi:[0,1]
	v_mov_b32_e32 v32, v115
	v_mov_b32_e32 v114, v35
	v_mov_b32_e32 v115, v118
	v_mov_b32_e32 v117, v33
	v_pk_add_f32 v[32:33], v[32:33], v[114:115] neg_lo:[0,1] neg_hi:[0,1]
	v_mov_b32_e32 v102, v103
	v_mov_b32_e32 v103, v34
	v_pk_add_f32 v[32:33], v[102:103], v[32:33] neg_lo:[0,1] neg_hi:[0,1]
	v_mov_b32_e32 v128, v116
	v_pk_add_f32 v[34:35], v[128:129], v[32:33]
	v_mov_b32_e32 v102, v35
	v_pk_add_f32 v[102:103], v[34:35], v[102:103]
	v_pk_add_f32 v[36:37], v[36:37], v[102:103]
	v_mov_b32_e32 v35, v36
	v_pk_add_f32 v[114:115], v[34:35], v[116:117] neg_lo:[0,1] neg_hi:[0,1]
	v_mov_b32_e32 v33, v102
	v_sub_f32_e32 v34, v34, v114
	v_pk_add_f32 v[32:33], v[32:33], v[114:115] neg_lo:[0,1] neg_hi:[0,1]
	v_sub_f32_e32 v34, v116, v34
	s_mov_b32 s44, 0x7f800000
	v_add_f32_e32 v32, v32, v34
	s_mov_b32 s43, 0x33800000
	v_add_f32_e32 v32, v32, v33
	v_cmp_eq_f32_e32 vcc, s44, v99
	v_cmp_lt_f32_e64 s[44:45], |v99|, s43
	v_add_f32_e32 v32, v36, v32
	s_or_b64 vcc, vcc, s[44:45]
	v_cndmask_b32_e32 v32, v32, v99, vcc
	v_add_f32_e32 v32, v30, v32
.LBB512_83:
	s_or_b64 exec, exec, s[40:41]
	v_bfe_u32 v30, v32, 16, 1
	v_add3_u32 v30, v32, v30, s42
	v_and_b32_e32 v30, 0xffff0000, v30
	v_cmp_o_f32_e32 vcc, v32, v32
	v_cndmask_b32_e32 v32, v31, v30, vcc
	v_mov_b32_e32 v30, 16
	v_lshlrev_b32_sdwa v99, v30, v19 dst_sel:DWORD dst_unused:UNUSED_PAD src0_sel:DWORD src1_sel:WORD_1
	v_max_f32_e32 v31, v32, v32
	v_max_f32_e32 v113, v99, v99
	v_min_f32_e32 v33, v31, v113
	v_cmp_u_f32_e32 vcc, v32, v32
	v_max_f32_e32 v31, v31, v113
	v_cndmask_b32_e32 v33, v33, v32, vcc
	v_cmp_u_f32_e64 s[40:41], v99, v99
	v_cndmask_b32_e32 v31, v31, v32, vcc
	v_cndmask_b32_e64 v33, v33, v99, s[40:41]
	v_cndmask_b32_e64 v31, v31, v99, s[40:41]
	s_movk_i32 s44, 0x1f8
	v_cmp_neq_f32_e32 vcc, v33, v31
	v_cmp_class_f32_e64 s[42:43], v33, s44
	s_or_b64 vcc, vcc, s[42:43]
	s_and_saveexec_b64 s[42:43], vcc
	s_cbranch_execz .LBB512_85
; %bb.84:
	v_sub_f32_e32 v32, v33, v31
	s_mov_b32 s45, 0x3fb8aa3b
	v_mul_f32_e32 v33, 0x3fb8aa3b, v32
	v_fma_f32 v34, v32, s45, -v33
	v_rndne_f32_e32 v35, v33
	v_fmac_f32_e32 v34, 0x32a5705f, v32
	v_sub_f32_e32 v33, v33, v35
	v_add_f32_e32 v33, v33, v34
	v_exp_f32_e32 v33, v33
	v_cvt_i32_f32_e32 v34, v35
	s_mov_b32 s45, 0xc2ce8ed0
	v_cmp_ngt_f32_e32 vcc, s45, v32
	s_mov_b32 s45, 0x42b17218
	v_ldexp_f32 v33, v33, v34
	v_cndmask_b32_e32 v33, 0, v33, vcc
	v_mov_b32_e32 v34, 0x7f800000
	v_cmp_nlt_f32_e32 vcc, s45, v32
	v_cndmask_b32_e32 v130, v34, v33, vcc
	v_add_f32_e32 v34, 1.0, v130
	v_add_f32_e32 v32, -1.0, v34
	v_sub_f32_e32 v33, v32, v34
	v_add_f32_e32 v33, 1.0, v33
	v_sub_f32_e32 v32, v130, v32
	v_add_f32_e32 v35, v32, v33
	v_frexp_mant_f32_e32 v36, v34
	s_mov_b32 s45, 0x3f2aaaab
	v_cvt_f64_f32_e32 v[32:33], v34
	v_frexp_exp_i32_f64_e32 v32, v[32:33]
	v_cmp_gt_f32_e32 vcc, s45, v36
	v_subbrev_co_u32_e32 v114, vcc, 0, v32, vcc
	v_sub_u32_e32 v32, 0, v114
	v_ldexp_f32 v33, v34, v32
	v_add_f32_e32 v34, -1.0, v33
	v_add_f32_e32 v36, 1.0, v33
	v_ldexp_f32 v32, v35, v32
	v_add_f32_e32 v35, 1.0, v34
	v_add_f32_e32 v37, -1.0, v36
	v_sub_f32_e32 v35, v33, v35
	v_sub_f32_e32 v33, v33, v37
	v_add_f32_e32 v35, v32, v35
	v_add_f32_e32 v32, v32, v33
	;; [unrolled: 1-line block ×3, first 2 shown]
	v_rcp_f32_e32 v117, v115
	v_sub_f32_e32 v33, v36, v115
	v_add_f32_e32 v116, v32, v33
	v_add_f32_e32 v33, v34, v35
	v_mul_f32_e32 v119, v33, v117
	v_sub_f32_e32 v32, v34, v33
	v_mul_f32_e32 v34, v115, v119
	v_fma_f32 v36, v119, v115, -v34
	v_fmac_f32_e32 v36, v119, v116
	v_add_f32_e32 v118, v35, v32
	v_add_f32_e32 v32, v34, v36
	v_sub_f32_e32 v35, v33, v32
	v_pk_add_f32 v[102:103], v[32:33], v[34:35] neg_lo:[0,1] neg_hi:[0,1]
	v_mov_b32_e32 v37, v32
	v_pk_add_f32 v[32:33], v[102:103], v[36:37] neg_lo:[0,1] neg_hi:[0,1]
	v_add_f32_e32 v33, v118, v33
	v_add_f32_e32 v32, v32, v33
	;; [unrolled: 1-line block ×3, first 2 shown]
	v_mul_f32_e32 v118, v117, v33
	v_mul_f32_e32 v34, v115, v118
	v_fma_f32 v36, v118, v115, -v34
	v_fmac_f32_e32 v36, v118, v116
	v_sub_f32_e32 v35, v35, v33
	v_add_f32_e32 v115, v32, v35
	v_add_f32_e32 v32, v34, v36
	v_sub_f32_e32 v35, v33, v32
	v_pk_add_f32 v[102:103], v[32:33], v[34:35] neg_lo:[0,1] neg_hi:[0,1]
	v_mov_b32_e32 v37, v32
	v_pk_add_f32 v[32:33], v[102:103], v[36:37] neg_lo:[0,1] neg_hi:[0,1]
	v_add_f32_e32 v33, v115, v33
	v_add_f32_e32 v32, v32, v33
	;; [unrolled: 1-line block ×4, first 2 shown]
	v_sub_f32_e32 v33, v35, v119
	v_mul_f32_e32 v32, v117, v32
	v_sub_f32_e32 v33, v118, v33
	v_add_f32_e32 v32, v33, v32
	v_add_f32_e32 v36, v35, v32
	v_mul_f32_e32 v102, v36, v36
	v_mov_b32_e32 v34, 0x3ecc95a3
	v_fmac_f32_e32 v34, 0x3e9b6dac, v102
	v_mov_b32_e32 v33, 0x3f2aaada
	v_fmac_f32_e32 v33, v102, v34
	v_cvt_f32_i32_e32 v34, v114
	v_sub_f32_e32 v35, v36, v35
	v_sub_f32_e32 v32, v32, v35
	v_ldexp_f32 v103, v32, 1
	v_mul_f32_e32 v35, v36, v102
	v_mov_b32_e32 v32, 0x3f317218
	s_mov_b32 s45, 0x3f317218
	v_pk_mul_f32 v[32:33], v[34:35], v[32:33]
	v_ldexp_f32 v37, v36, 1
	v_fma_f32 v36, v34, s45, -v32
	v_fmac_f32_e32 v36, 0xb102e308, v34
	v_pk_add_f32 v[34:35], v[32:33], v[36:37]
	v_sub_f32_e32 v37, v35, v37
	v_sub_f32_e32 v37, v33, v37
	v_add_f32_e32 v103, v103, v37
	v_mov_b32_e32 v102, v32
	v_pk_add_f32 v[32:33], v[34:35], v[32:33] neg_lo:[0,1] neg_hi:[0,1]
	v_pk_add_f32 v[114:115], v[34:35], v[102:103]
	v_mov_b32_e32 v33, v115
	v_mov_b32_e32 v37, v34
	v_pk_add_f32 v[116:117], v[36:37], v[32:33] neg_lo:[0,1] neg_hi:[0,1]
	v_pk_add_f32 v[32:33], v[36:37], v[32:33]
	v_mov_b32_e32 v36, v33
	v_pk_add_f32 v[118:119], v[36:37], v[34:35] neg_lo:[0,1] neg_hi:[0,1]
	v_mov_b32_e32 v37, v118
	v_pk_add_f32 v[128:129], v[114:115], v[36:37] neg_lo:[0,1] neg_hi:[0,1]
	v_mov_b32_e32 v32, v115
	v_mov_b32_e32 v114, v35
	v_mov_b32_e32 v115, v118
	v_mov_b32_e32 v117, v33
	v_pk_add_f32 v[32:33], v[32:33], v[114:115] neg_lo:[0,1] neg_hi:[0,1]
	v_mov_b32_e32 v102, v103
	v_mov_b32_e32 v103, v34
	v_pk_add_f32 v[32:33], v[102:103], v[32:33] neg_lo:[0,1] neg_hi:[0,1]
	v_mov_b32_e32 v128, v116
	v_pk_add_f32 v[34:35], v[128:129], v[32:33]
	v_mov_b32_e32 v102, v35
	v_pk_add_f32 v[102:103], v[34:35], v[102:103]
	v_pk_add_f32 v[36:37], v[36:37], v[102:103]
	v_mov_b32_e32 v35, v36
	v_pk_add_f32 v[114:115], v[34:35], v[116:117] neg_lo:[0,1] neg_hi:[0,1]
	v_mov_b32_e32 v33, v102
	v_sub_f32_e32 v34, v34, v114
	v_pk_add_f32 v[32:33], v[32:33], v[114:115] neg_lo:[0,1] neg_hi:[0,1]
	v_sub_f32_e32 v34, v116, v34
	s_mov_b32 s46, 0x7f800000
	v_add_f32_e32 v32, v32, v34
	s_mov_b32 s45, 0x33800000
	v_add_f32_e32 v32, v32, v33
	v_cmp_eq_f32_e32 vcc, s46, v130
	v_cmp_lt_f32_e64 s[46:47], |v130|, s45
	v_add_f32_e32 v32, v36, v32
	s_or_b64 vcc, vcc, s[46:47]
	v_cndmask_b32_e32 v32, v32, v130, vcc
	v_add_f32_e32 v32, v31, v32
.LBB512_85:
	s_or_b64 exec, exec, s[42:43]
	v_bfe_u32 v31, v32, 16, 1
	s_movk_i32 s46, 0x7fff
	v_add3_u32 v31, v32, v31, s46
	v_and_b32_e32 v33, 0xffff0000, v31
	v_mov_b32_e32 v31, 0x7fc00000
	v_cmp_o_f32_e32 vcc, v32, v32
	v_cndmask_b32_e32 v32, v31, v33, vcc
	v_lshlrev_b32_sdwa v102, v30, v12 dst_sel:DWORD dst_unused:UNUSED_PAD src0_sel:DWORD src1_sel:WORD_0
	v_max_f32_e32 v30, v32, v32
	v_max_f32_e32 v116, v102, v102
	v_min_f32_e32 v33, v30, v116
	v_cmp_u_f32_e32 vcc, v32, v32
	v_max_f32_e32 v30, v30, v116
	v_cndmask_b32_e32 v33, v33, v32, vcc
	v_cmp_u_f32_e64 s[42:43], v102, v102
	v_cndmask_b32_e32 v30, v30, v32, vcc
	v_cndmask_b32_e64 v33, v33, v102, s[42:43]
	v_cndmask_b32_e64 v30, v30, v102, s[42:43]
	v_cmp_neq_f32_e32 vcc, v33, v30
	v_cmp_class_f32_e64 s[44:45], v33, s44
	s_or_b64 vcc, vcc, s[44:45]
	s_and_saveexec_b64 s[44:45], vcc
	s_cbranch_execz .LBB512_87
; %bb.86:
	v_sub_f32_e32 v32, v33, v30
	s_mov_b32 s47, 0x3fb8aa3b
	v_mul_f32_e32 v33, 0x3fb8aa3b, v32
	v_fma_f32 v34, v32, s47, -v33
	v_rndne_f32_e32 v35, v33
	v_fmac_f32_e32 v34, 0x32a5705f, v32
	v_sub_f32_e32 v33, v33, v35
	v_add_f32_e32 v33, v33, v34
	v_exp_f32_e32 v33, v33
	v_cvt_i32_f32_e32 v34, v35
	s_mov_b32 s47, 0xc2ce8ed0
	v_cmp_ngt_f32_e32 vcc, s47, v32
	s_mov_b32 s47, 0x42b17218
	v_ldexp_f32 v33, v33, v34
	v_cndmask_b32_e32 v33, 0, v33, vcc
	v_mov_b32_e32 v34, 0x7f800000
	v_cmp_nlt_f32_e32 vcc, s47, v32
	v_cndmask_b32_e32 v103, v34, v33, vcc
	v_add_f32_e32 v34, 1.0, v103
	v_add_f32_e32 v32, -1.0, v34
	v_sub_f32_e32 v33, v32, v34
	v_add_f32_e32 v33, 1.0, v33
	v_sub_f32_e32 v32, v103, v32
	v_add_f32_e32 v35, v32, v33
	v_frexp_mant_f32_e32 v36, v34
	s_mov_b32 s47, 0x3f2aaaab
	v_cvt_f64_f32_e32 v[32:33], v34
	v_frexp_exp_i32_f64_e32 v32, v[32:33]
	v_cmp_gt_f32_e32 vcc, s47, v36
	v_subbrev_co_u32_e32 v117, vcc, 0, v32, vcc
	v_sub_u32_e32 v32, 0, v117
	v_ldexp_f32 v33, v34, v32
	v_add_f32_e32 v34, -1.0, v33
	v_add_f32_e32 v36, 1.0, v33
	v_ldexp_f32 v32, v35, v32
	v_add_f32_e32 v35, 1.0, v34
	v_add_f32_e32 v37, -1.0, v36
	v_sub_f32_e32 v35, v33, v35
	v_sub_f32_e32 v33, v33, v37
	v_add_f32_e32 v35, v32, v35
	v_add_f32_e32 v32, v32, v33
	;; [unrolled: 1-line block ×3, first 2 shown]
	v_rcp_f32_e32 v128, v118
	v_sub_f32_e32 v33, v36, v118
	v_add_f32_e32 v119, v32, v33
	v_add_f32_e32 v33, v34, v35
	v_mul_f32_e32 v130, v33, v128
	v_sub_f32_e32 v32, v34, v33
	v_mul_f32_e32 v34, v118, v130
	v_fma_f32 v36, v130, v118, -v34
	v_fmac_f32_e32 v36, v130, v119
	v_add_f32_e32 v129, v35, v32
	v_add_f32_e32 v32, v34, v36
	v_sub_f32_e32 v35, v33, v32
	v_pk_add_f32 v[114:115], v[32:33], v[34:35] neg_lo:[0,1] neg_hi:[0,1]
	v_mov_b32_e32 v37, v32
	v_pk_add_f32 v[32:33], v[114:115], v[36:37] neg_lo:[0,1] neg_hi:[0,1]
	v_add_f32_e32 v33, v129, v33
	v_add_f32_e32 v32, v32, v33
	;; [unrolled: 1-line block ×3, first 2 shown]
	v_mul_f32_e32 v129, v128, v33
	v_mul_f32_e32 v34, v118, v129
	v_fma_f32 v36, v129, v118, -v34
	v_fmac_f32_e32 v36, v129, v119
	v_sub_f32_e32 v35, v35, v33
	v_add_f32_e32 v118, v32, v35
	v_add_f32_e32 v32, v34, v36
	v_sub_f32_e32 v35, v33, v32
	v_pk_add_f32 v[114:115], v[32:33], v[34:35] neg_lo:[0,1] neg_hi:[0,1]
	v_mov_b32_e32 v37, v32
	v_pk_add_f32 v[32:33], v[114:115], v[36:37] neg_lo:[0,1] neg_hi:[0,1]
	v_add_f32_e32 v33, v118, v33
	v_add_f32_e32 v32, v32, v33
	;; [unrolled: 1-line block ×4, first 2 shown]
	v_sub_f32_e32 v33, v35, v130
	v_mul_f32_e32 v32, v128, v32
	v_sub_f32_e32 v33, v129, v33
	v_add_f32_e32 v32, v33, v32
	v_add_f32_e32 v36, v35, v32
	v_mul_f32_e32 v114, v36, v36
	v_mov_b32_e32 v34, 0x3ecc95a3
	v_fmac_f32_e32 v34, 0x3e9b6dac, v114
	v_mov_b32_e32 v33, 0x3f2aaada
	v_fmac_f32_e32 v33, v114, v34
	v_cvt_f32_i32_e32 v34, v117
	v_sub_f32_e32 v35, v36, v35
	v_sub_f32_e32 v32, v32, v35
	v_ldexp_f32 v115, v32, 1
	v_mul_f32_e32 v35, v36, v114
	v_mov_b32_e32 v32, 0x3f317218
	s_mov_b32 s47, 0x3f317218
	v_pk_mul_f32 v[32:33], v[34:35], v[32:33]
	v_ldexp_f32 v37, v36, 1
	v_fma_f32 v36, v34, s47, -v32
	v_fmac_f32_e32 v36, 0xb102e308, v34
	v_pk_add_f32 v[34:35], v[32:33], v[36:37]
	v_sub_f32_e32 v37, v35, v37
	v_sub_f32_e32 v37, v33, v37
	v_add_f32_e32 v115, v115, v37
	v_mov_b32_e32 v114, v32
	v_pk_add_f32 v[32:33], v[34:35], v[32:33] neg_lo:[0,1] neg_hi:[0,1]
	v_pk_add_f32 v[118:119], v[34:35], v[114:115]
	v_mov_b32_e32 v33, v119
	v_mov_b32_e32 v37, v34
	v_pk_add_f32 v[128:129], v[36:37], v[32:33] neg_lo:[0,1] neg_hi:[0,1]
	v_pk_add_f32 v[32:33], v[36:37], v[32:33]
	v_mov_b32_e32 v36, v33
	v_pk_add_f32 v[130:131], v[36:37], v[34:35] neg_lo:[0,1] neg_hi:[0,1]
	v_mov_b32_e32 v37, v130
	v_pk_add_f32 v[132:133], v[118:119], v[36:37] neg_lo:[0,1] neg_hi:[0,1]
	v_mov_b32_e32 v32, v119
	v_mov_b32_e32 v118, v35
	;; [unrolled: 1-line block ×4, first 2 shown]
	v_pk_add_f32 v[32:33], v[32:33], v[118:119] neg_lo:[0,1] neg_hi:[0,1]
	v_mov_b32_e32 v114, v115
	v_mov_b32_e32 v115, v34
	v_pk_add_f32 v[32:33], v[114:115], v[32:33] neg_lo:[0,1] neg_hi:[0,1]
	v_mov_b32_e32 v132, v128
	v_pk_add_f32 v[34:35], v[132:133], v[32:33]
	v_mov_b32_e32 v114, v35
	v_pk_add_f32 v[114:115], v[34:35], v[114:115]
	v_pk_add_f32 v[36:37], v[36:37], v[114:115]
	v_mov_b32_e32 v35, v36
	v_pk_add_f32 v[118:119], v[34:35], v[128:129] neg_lo:[0,1] neg_hi:[0,1]
	v_mov_b32_e32 v33, v114
	v_sub_f32_e32 v34, v34, v118
	v_pk_add_f32 v[32:33], v[32:33], v[118:119] neg_lo:[0,1] neg_hi:[0,1]
	v_sub_f32_e32 v34, v128, v34
	s_mov_b32 s48, 0x7f800000
	v_add_f32_e32 v32, v32, v34
	s_mov_b32 s47, 0x33800000
	v_add_f32_e32 v32, v32, v33
	v_cmp_eq_f32_e32 vcc, s48, v103
	v_cmp_lt_f32_e64 s[48:49], |v103|, s47
	v_add_f32_e32 v32, v36, v32
	s_or_b64 vcc, vcc, s[48:49]
	v_cndmask_b32_e32 v32, v32, v103, vcc
	v_add_f32_e32 v32, v30, v32
.LBB512_87:
	s_or_b64 exec, exec, s[44:45]
	v_bfe_u32 v30, v32, 16, 1
	v_add3_u32 v30, v32, v30, s46
	v_and_b32_e32 v30, 0xffff0000, v30
	v_cmp_o_f32_e32 vcc, v32, v32
	v_cndmask_b32_e32 v32, v31, v30, vcc
	v_mov_b32_e32 v30, 16
	v_lshlrev_b32_sdwa v103, v30, v12 dst_sel:DWORD dst_unused:UNUSED_PAD src0_sel:DWORD src1_sel:WORD_1
	v_max_f32_e32 v31, v32, v32
	v_max_f32_e32 v117, v103, v103
	v_min_f32_e32 v33, v31, v117
	v_cmp_u_f32_e32 vcc, v32, v32
	v_max_f32_e32 v31, v31, v117
	v_cndmask_b32_e32 v33, v33, v32, vcc
	v_cmp_u_f32_e64 s[44:45], v103, v103
	v_cndmask_b32_e32 v31, v31, v32, vcc
	v_cndmask_b32_e64 v33, v33, v103, s[44:45]
	v_cndmask_b32_e64 v31, v31, v103, s[44:45]
	s_movk_i32 s48, 0x1f8
	v_cmp_neq_f32_e32 vcc, v33, v31
	v_cmp_class_f32_e64 s[46:47], v33, s48
	s_or_b64 vcc, vcc, s[46:47]
	s_and_saveexec_b64 s[46:47], vcc
	s_cbranch_execz .LBB512_89
; %bb.88:
	v_sub_f32_e32 v32, v33, v31
	s_mov_b32 s49, 0x3fb8aa3b
	v_mul_f32_e32 v33, 0x3fb8aa3b, v32
	v_fma_f32 v34, v32, s49, -v33
	v_rndne_f32_e32 v35, v33
	v_fmac_f32_e32 v34, 0x32a5705f, v32
	v_sub_f32_e32 v33, v33, v35
	v_add_f32_e32 v33, v33, v34
	v_exp_f32_e32 v33, v33
	v_cvt_i32_f32_e32 v34, v35
	s_mov_b32 s49, 0xc2ce8ed0
	v_cmp_ngt_f32_e32 vcc, s49, v32
	s_mov_b32 s49, 0x42b17218
	v_ldexp_f32 v33, v33, v34
	v_cndmask_b32_e32 v33, 0, v33, vcc
	v_mov_b32_e32 v34, 0x7f800000
	v_cmp_nlt_f32_e32 vcc, s49, v32
	v_cndmask_b32_e32 v134, v34, v33, vcc
	v_add_f32_e32 v34, 1.0, v134
	v_add_f32_e32 v32, -1.0, v34
	v_sub_f32_e32 v33, v32, v34
	v_add_f32_e32 v33, 1.0, v33
	v_sub_f32_e32 v32, v134, v32
	v_add_f32_e32 v35, v32, v33
	v_frexp_mant_f32_e32 v36, v34
	s_mov_b32 s49, 0x3f2aaaab
	v_cvt_f64_f32_e32 v[32:33], v34
	v_frexp_exp_i32_f64_e32 v32, v[32:33]
	v_cmp_gt_f32_e32 vcc, s49, v36
	v_subbrev_co_u32_e32 v118, vcc, 0, v32, vcc
	v_sub_u32_e32 v32, 0, v118
	v_ldexp_f32 v33, v34, v32
	v_add_f32_e32 v34, -1.0, v33
	v_add_f32_e32 v36, 1.0, v33
	v_ldexp_f32 v32, v35, v32
	v_add_f32_e32 v35, 1.0, v34
	v_add_f32_e32 v37, -1.0, v36
	v_sub_f32_e32 v35, v33, v35
	v_sub_f32_e32 v33, v33, v37
	v_add_f32_e32 v35, v32, v35
	v_add_f32_e32 v32, v32, v33
	v_add_f32_e32 v119, v36, v32
	v_rcp_f32_e32 v129, v119
	v_sub_f32_e32 v33, v36, v119
	v_add_f32_e32 v128, v32, v33
	v_add_f32_e32 v33, v34, v35
	v_mul_f32_e32 v131, v33, v129
	v_sub_f32_e32 v32, v34, v33
	v_mul_f32_e32 v34, v119, v131
	v_fma_f32 v36, v131, v119, -v34
	v_fmac_f32_e32 v36, v131, v128
	v_add_f32_e32 v130, v35, v32
	v_add_f32_e32 v32, v34, v36
	v_sub_f32_e32 v35, v33, v32
	v_pk_add_f32 v[114:115], v[32:33], v[34:35] neg_lo:[0,1] neg_hi:[0,1]
	v_mov_b32_e32 v37, v32
	v_pk_add_f32 v[32:33], v[114:115], v[36:37] neg_lo:[0,1] neg_hi:[0,1]
	v_add_f32_e32 v33, v130, v33
	v_add_f32_e32 v32, v32, v33
	;; [unrolled: 1-line block ×3, first 2 shown]
	v_mul_f32_e32 v130, v129, v33
	v_mul_f32_e32 v34, v119, v130
	v_fma_f32 v36, v130, v119, -v34
	v_fmac_f32_e32 v36, v130, v128
	v_sub_f32_e32 v35, v35, v33
	v_add_f32_e32 v119, v32, v35
	v_add_f32_e32 v32, v34, v36
	v_sub_f32_e32 v35, v33, v32
	v_pk_add_f32 v[114:115], v[32:33], v[34:35] neg_lo:[0,1] neg_hi:[0,1]
	v_mov_b32_e32 v37, v32
	v_pk_add_f32 v[32:33], v[114:115], v[36:37] neg_lo:[0,1] neg_hi:[0,1]
	v_add_f32_e32 v33, v119, v33
	v_add_f32_e32 v32, v32, v33
	v_add_f32_e32 v32, v35, v32
	v_add_f32_e32 v35, v131, v130
	v_sub_f32_e32 v33, v35, v131
	v_mul_f32_e32 v32, v129, v32
	v_sub_f32_e32 v33, v130, v33
	v_add_f32_e32 v32, v33, v32
	v_add_f32_e32 v36, v35, v32
	v_mul_f32_e32 v114, v36, v36
	v_mov_b32_e32 v34, 0x3ecc95a3
	v_fmac_f32_e32 v34, 0x3e9b6dac, v114
	v_mov_b32_e32 v33, 0x3f2aaada
	v_fmac_f32_e32 v33, v114, v34
	v_cvt_f32_i32_e32 v34, v118
	v_sub_f32_e32 v35, v36, v35
	v_sub_f32_e32 v32, v32, v35
	v_ldexp_f32 v115, v32, 1
	v_mul_f32_e32 v35, v36, v114
	v_mov_b32_e32 v32, 0x3f317218
	s_mov_b32 s49, 0x3f317218
	v_pk_mul_f32 v[32:33], v[34:35], v[32:33]
	v_ldexp_f32 v37, v36, 1
	v_fma_f32 v36, v34, s49, -v32
	v_fmac_f32_e32 v36, 0xb102e308, v34
	v_pk_add_f32 v[34:35], v[32:33], v[36:37]
	v_sub_f32_e32 v37, v35, v37
	v_sub_f32_e32 v37, v33, v37
	v_add_f32_e32 v115, v115, v37
	v_mov_b32_e32 v114, v32
	v_pk_add_f32 v[32:33], v[34:35], v[32:33] neg_lo:[0,1] neg_hi:[0,1]
	v_pk_add_f32 v[118:119], v[34:35], v[114:115]
	v_mov_b32_e32 v33, v119
	v_mov_b32_e32 v37, v34
	v_pk_add_f32 v[128:129], v[36:37], v[32:33] neg_lo:[0,1] neg_hi:[0,1]
	v_pk_add_f32 v[32:33], v[36:37], v[32:33]
	v_mov_b32_e32 v36, v33
	v_pk_add_f32 v[130:131], v[36:37], v[34:35] neg_lo:[0,1] neg_hi:[0,1]
	v_mov_b32_e32 v37, v130
	v_pk_add_f32 v[132:133], v[118:119], v[36:37] neg_lo:[0,1] neg_hi:[0,1]
	v_mov_b32_e32 v32, v119
	v_mov_b32_e32 v118, v35
	;; [unrolled: 1-line block ×4, first 2 shown]
	v_pk_add_f32 v[32:33], v[32:33], v[118:119] neg_lo:[0,1] neg_hi:[0,1]
	v_mov_b32_e32 v114, v115
	v_mov_b32_e32 v115, v34
	v_pk_add_f32 v[32:33], v[114:115], v[32:33] neg_lo:[0,1] neg_hi:[0,1]
	v_mov_b32_e32 v132, v128
	v_pk_add_f32 v[34:35], v[132:133], v[32:33]
	v_mov_b32_e32 v114, v35
	v_pk_add_f32 v[114:115], v[34:35], v[114:115]
	v_pk_add_f32 v[36:37], v[36:37], v[114:115]
	v_mov_b32_e32 v35, v36
	v_pk_add_f32 v[118:119], v[34:35], v[128:129] neg_lo:[0,1] neg_hi:[0,1]
	v_mov_b32_e32 v33, v114
	v_sub_f32_e32 v34, v34, v118
	v_pk_add_f32 v[32:33], v[32:33], v[118:119] neg_lo:[0,1] neg_hi:[0,1]
	v_sub_f32_e32 v34, v128, v34
	s_mov_b32 s50, 0x7f800000
	v_add_f32_e32 v32, v32, v34
	s_mov_b32 s49, 0x33800000
	v_add_f32_e32 v32, v32, v33
	v_cmp_eq_f32_e32 vcc, s50, v134
	v_cmp_lt_f32_e64 s[50:51], |v134|, s49
	v_add_f32_e32 v32, v36, v32
	s_or_b64 vcc, vcc, s[50:51]
	v_cndmask_b32_e32 v32, v32, v134, vcc
	v_add_f32_e32 v32, v31, v32
.LBB512_89:
	s_or_b64 exec, exec, s[46:47]
	v_bfe_u32 v31, v32, 16, 1
	s_movk_i32 s50, 0x7fff
	v_add3_u32 v31, v32, v31, s50
	v_and_b32_e32 v33, 0xffff0000, v31
	v_mov_b32_e32 v31, 0x7fc00000
	v_cmp_o_f32_e32 vcc, v32, v32
	v_cndmask_b32_e32 v32, v31, v33, vcc
	v_lshlrev_b32_sdwa v114, v30, v13 dst_sel:DWORD dst_unused:UNUSED_PAD src0_sel:DWORD src1_sel:WORD_0
	v_max_f32_e32 v30, v32, v32
	v_max_f32_e32 v128, v114, v114
	v_min_f32_e32 v33, v30, v128
	v_cmp_u_f32_e32 vcc, v32, v32
	v_max_f32_e32 v30, v30, v128
	v_cndmask_b32_e32 v33, v33, v32, vcc
	v_cmp_u_f32_e64 s[46:47], v114, v114
	v_cndmask_b32_e32 v30, v30, v32, vcc
	v_cndmask_b32_e64 v33, v33, v114, s[46:47]
	v_cndmask_b32_e64 v30, v30, v114, s[46:47]
	v_cmp_neq_f32_e32 vcc, v33, v30
	v_cmp_class_f32_e64 s[48:49], v33, s48
	s_or_b64 vcc, vcc, s[48:49]
	s_and_saveexec_b64 s[48:49], vcc
	s_cbranch_execz .LBB512_91
; %bb.90:
	v_sub_f32_e32 v32, v33, v30
	s_mov_b32 s51, 0x3fb8aa3b
	v_mul_f32_e32 v33, 0x3fb8aa3b, v32
	v_fma_f32 v34, v32, s51, -v33
	v_rndne_f32_e32 v35, v33
	v_fmac_f32_e32 v34, 0x32a5705f, v32
	v_sub_f32_e32 v33, v33, v35
	v_add_f32_e32 v33, v33, v34
	v_exp_f32_e32 v33, v33
	v_cvt_i32_f32_e32 v34, v35
	s_mov_b32 s51, 0xc2ce8ed0
	v_cmp_ngt_f32_e32 vcc, s51, v32
	s_mov_b32 s51, 0x42b17218
	v_ldexp_f32 v33, v33, v34
	v_cndmask_b32_e32 v33, 0, v33, vcc
	v_mov_b32_e32 v34, 0x7f800000
	v_cmp_nlt_f32_e32 vcc, s51, v32
	v_cndmask_b32_e32 v115, v34, v33, vcc
	v_add_f32_e32 v34, 1.0, v115
	v_add_f32_e32 v32, -1.0, v34
	v_sub_f32_e32 v33, v32, v34
	v_add_f32_e32 v33, 1.0, v33
	v_sub_f32_e32 v32, v115, v32
	v_add_f32_e32 v35, v32, v33
	v_frexp_mant_f32_e32 v36, v34
	s_mov_b32 s51, 0x3f2aaaab
	v_cvt_f64_f32_e32 v[32:33], v34
	v_frexp_exp_i32_f64_e32 v32, v[32:33]
	v_cmp_gt_f32_e32 vcc, s51, v36
	v_subbrev_co_u32_e32 v129, vcc, 0, v32, vcc
	v_sub_u32_e32 v32, 0, v129
	v_ldexp_f32 v33, v34, v32
	v_add_f32_e32 v34, -1.0, v33
	v_add_f32_e32 v36, 1.0, v33
	v_ldexp_f32 v32, v35, v32
	v_add_f32_e32 v35, 1.0, v34
	v_add_f32_e32 v37, -1.0, v36
	v_sub_f32_e32 v35, v33, v35
	v_sub_f32_e32 v33, v33, v37
	v_add_f32_e32 v35, v32, v35
	v_add_f32_e32 v32, v32, v33
	;; [unrolled: 1-line block ×3, first 2 shown]
	v_rcp_f32_e32 v132, v130
	v_sub_f32_e32 v33, v36, v130
	v_add_f32_e32 v131, v32, v33
	v_add_f32_e32 v33, v34, v35
	v_mul_f32_e32 v134, v33, v132
	v_sub_f32_e32 v32, v34, v33
	v_mul_f32_e32 v34, v130, v134
	v_fma_f32 v36, v134, v130, -v34
	v_fmac_f32_e32 v36, v134, v131
	v_add_f32_e32 v133, v35, v32
	v_add_f32_e32 v32, v34, v36
	v_sub_f32_e32 v35, v33, v32
	v_pk_add_f32 v[118:119], v[32:33], v[34:35] neg_lo:[0,1] neg_hi:[0,1]
	v_mov_b32_e32 v37, v32
	v_pk_add_f32 v[32:33], v[118:119], v[36:37] neg_lo:[0,1] neg_hi:[0,1]
	v_add_f32_e32 v33, v133, v33
	v_add_f32_e32 v32, v32, v33
	;; [unrolled: 1-line block ×3, first 2 shown]
	v_mul_f32_e32 v133, v132, v33
	v_mul_f32_e32 v34, v130, v133
	v_fma_f32 v36, v133, v130, -v34
	v_fmac_f32_e32 v36, v133, v131
	v_sub_f32_e32 v35, v35, v33
	v_add_f32_e32 v130, v32, v35
	v_add_f32_e32 v32, v34, v36
	v_sub_f32_e32 v35, v33, v32
	v_pk_add_f32 v[118:119], v[32:33], v[34:35] neg_lo:[0,1] neg_hi:[0,1]
	v_mov_b32_e32 v37, v32
	v_pk_add_f32 v[32:33], v[118:119], v[36:37] neg_lo:[0,1] neg_hi:[0,1]
	v_add_f32_e32 v33, v130, v33
	v_add_f32_e32 v32, v32, v33
	;; [unrolled: 1-line block ×4, first 2 shown]
	v_sub_f32_e32 v33, v35, v134
	v_mul_f32_e32 v32, v132, v32
	v_sub_f32_e32 v33, v133, v33
	v_add_f32_e32 v32, v33, v32
	v_add_f32_e32 v36, v35, v32
	v_mul_f32_e32 v118, v36, v36
	v_mov_b32_e32 v34, 0x3ecc95a3
	v_fmac_f32_e32 v34, 0x3e9b6dac, v118
	v_mov_b32_e32 v33, 0x3f2aaada
	v_fmac_f32_e32 v33, v118, v34
	v_cvt_f32_i32_e32 v34, v129
	v_sub_f32_e32 v35, v36, v35
	v_sub_f32_e32 v32, v32, v35
	v_ldexp_f32 v119, v32, 1
	v_mul_f32_e32 v35, v36, v118
	v_mov_b32_e32 v32, 0x3f317218
	s_mov_b32 s51, 0x3f317218
	v_pk_mul_f32 v[32:33], v[34:35], v[32:33]
	v_ldexp_f32 v37, v36, 1
	v_fma_f32 v36, v34, s51, -v32
	v_fmac_f32_e32 v36, 0xb102e308, v34
	v_pk_add_f32 v[34:35], v[32:33], v[36:37]
	v_sub_f32_e32 v37, v35, v37
	v_sub_f32_e32 v37, v33, v37
	v_add_f32_e32 v119, v119, v37
	v_mov_b32_e32 v118, v32
	v_pk_add_f32 v[32:33], v[34:35], v[32:33] neg_lo:[0,1] neg_hi:[0,1]
	v_pk_add_f32 v[130:131], v[34:35], v[118:119]
	v_mov_b32_e32 v33, v131
	v_mov_b32_e32 v37, v34
	v_pk_add_f32 v[132:133], v[36:37], v[32:33] neg_lo:[0,1] neg_hi:[0,1]
	v_pk_add_f32 v[32:33], v[36:37], v[32:33]
	v_mov_b32_e32 v36, v33
	v_pk_add_f32 v[134:135], v[36:37], v[34:35] neg_lo:[0,1] neg_hi:[0,1]
	v_mov_b32_e32 v37, v134
	v_pk_add_f32 v[146:147], v[130:131], v[36:37] neg_lo:[0,1] neg_hi:[0,1]
	v_mov_b32_e32 v32, v131
	v_mov_b32_e32 v130, v35
	;; [unrolled: 1-line block ×4, first 2 shown]
	v_pk_add_f32 v[32:33], v[32:33], v[130:131] neg_lo:[0,1] neg_hi:[0,1]
	v_mov_b32_e32 v118, v119
	v_mov_b32_e32 v119, v34
	v_pk_add_f32 v[32:33], v[118:119], v[32:33] neg_lo:[0,1] neg_hi:[0,1]
	v_mov_b32_e32 v146, v132
	v_pk_add_f32 v[34:35], v[146:147], v[32:33]
	v_mov_b32_e32 v118, v35
	v_pk_add_f32 v[118:119], v[34:35], v[118:119]
	v_pk_add_f32 v[36:37], v[36:37], v[118:119]
	v_mov_b32_e32 v35, v36
	v_pk_add_f32 v[130:131], v[34:35], v[132:133] neg_lo:[0,1] neg_hi:[0,1]
	v_mov_b32_e32 v33, v118
	v_sub_f32_e32 v34, v34, v130
	v_pk_add_f32 v[32:33], v[32:33], v[130:131] neg_lo:[0,1] neg_hi:[0,1]
	v_sub_f32_e32 v34, v132, v34
	s_mov_b32 s52, 0x7f800000
	v_add_f32_e32 v32, v32, v34
	s_mov_b32 s51, 0x33800000
	v_add_f32_e32 v32, v32, v33
	v_cmp_eq_f32_e32 vcc, s52, v115
	v_cmp_lt_f32_e64 s[52:53], |v115|, s51
	v_add_f32_e32 v32, v36, v32
	s_or_b64 vcc, vcc, s[52:53]
	v_cndmask_b32_e32 v32, v32, v115, vcc
	v_add_f32_e32 v32, v30, v32
.LBB512_91:
	s_or_b64 exec, exec, s[48:49]
	v_bfe_u32 v30, v32, 16, 1
	v_add3_u32 v30, v32, v30, s50
	v_and_b32_e32 v30, 0xffff0000, v30
	v_cmp_o_f32_e32 vcc, v32, v32
	v_cndmask_b32_e32 v32, v31, v30, vcc
	v_mov_b32_e32 v30, 16
	v_lshlrev_b32_sdwa v115, v30, v13 dst_sel:DWORD dst_unused:UNUSED_PAD src0_sel:DWORD src1_sel:WORD_1
	v_max_f32_e32 v31, v32, v32
	v_max_f32_e32 v129, v115, v115
	v_min_f32_e32 v33, v31, v129
	v_cmp_u_f32_e32 vcc, v32, v32
	v_max_f32_e32 v31, v31, v129
	v_cndmask_b32_e32 v33, v33, v32, vcc
	v_cmp_u_f32_e64 s[48:49], v115, v115
	v_cndmask_b32_e32 v31, v31, v32, vcc
	v_cndmask_b32_e64 v33, v33, v115, s[48:49]
	v_cndmask_b32_e64 v31, v31, v115, s[48:49]
	s_movk_i32 s52, 0x1f8
	v_cmp_neq_f32_e32 vcc, v33, v31
	v_cmp_class_f32_e64 s[50:51], v33, s52
	s_or_b64 vcc, vcc, s[50:51]
	s_and_saveexec_b64 s[50:51], vcc
	s_cbranch_execz .LBB512_93
; %bb.92:
	v_sub_f32_e32 v32, v33, v31
	s_mov_b32 s53, 0x3fb8aa3b
	v_mul_f32_e32 v33, 0x3fb8aa3b, v32
	v_fma_f32 v34, v32, s53, -v33
	v_rndne_f32_e32 v35, v33
	v_fmac_f32_e32 v34, 0x32a5705f, v32
	v_sub_f32_e32 v33, v33, v35
	v_add_f32_e32 v33, v33, v34
	v_exp_f32_e32 v33, v33
	v_cvt_i32_f32_e32 v34, v35
	s_mov_b32 s53, 0xc2ce8ed0
	v_cmp_ngt_f32_e32 vcc, s53, v32
	s_mov_b32 s53, 0x42b17218
	v_ldexp_f32 v33, v33, v34
	v_cndmask_b32_e32 v33, 0, v33, vcc
	v_mov_b32_e32 v34, 0x7f800000
	v_cmp_nlt_f32_e32 vcc, s53, v32
	v_cndmask_b32_e32 v148, v34, v33, vcc
	v_add_f32_e32 v34, 1.0, v148
	v_add_f32_e32 v32, -1.0, v34
	v_sub_f32_e32 v33, v32, v34
	v_add_f32_e32 v33, 1.0, v33
	v_sub_f32_e32 v32, v148, v32
	v_add_f32_e32 v35, v32, v33
	v_frexp_mant_f32_e32 v36, v34
	s_mov_b32 s53, 0x3f2aaaab
	v_cvt_f64_f32_e32 v[32:33], v34
	v_frexp_exp_i32_f64_e32 v32, v[32:33]
	v_cmp_gt_f32_e32 vcc, s53, v36
	v_subbrev_co_u32_e32 v130, vcc, 0, v32, vcc
	v_sub_u32_e32 v32, 0, v130
	v_ldexp_f32 v33, v34, v32
	v_add_f32_e32 v34, -1.0, v33
	v_add_f32_e32 v36, 1.0, v33
	v_ldexp_f32 v32, v35, v32
	v_add_f32_e32 v35, 1.0, v34
	v_add_f32_e32 v37, -1.0, v36
	v_sub_f32_e32 v35, v33, v35
	v_sub_f32_e32 v33, v33, v37
	v_add_f32_e32 v35, v32, v35
	v_add_f32_e32 v32, v32, v33
	;; [unrolled: 1-line block ×3, first 2 shown]
	v_rcp_f32_e32 v133, v131
	v_sub_f32_e32 v33, v36, v131
	v_add_f32_e32 v132, v32, v33
	v_add_f32_e32 v33, v34, v35
	v_mul_f32_e32 v135, v33, v133
	v_sub_f32_e32 v32, v34, v33
	v_mul_f32_e32 v34, v131, v135
	v_fma_f32 v36, v135, v131, -v34
	v_fmac_f32_e32 v36, v135, v132
	v_add_f32_e32 v134, v35, v32
	v_add_f32_e32 v32, v34, v36
	v_sub_f32_e32 v35, v33, v32
	v_pk_add_f32 v[118:119], v[32:33], v[34:35] neg_lo:[0,1] neg_hi:[0,1]
	v_mov_b32_e32 v37, v32
	v_pk_add_f32 v[32:33], v[118:119], v[36:37] neg_lo:[0,1] neg_hi:[0,1]
	v_add_f32_e32 v33, v134, v33
	v_add_f32_e32 v32, v32, v33
	;; [unrolled: 1-line block ×3, first 2 shown]
	v_mul_f32_e32 v134, v133, v33
	v_mul_f32_e32 v34, v131, v134
	v_fma_f32 v36, v134, v131, -v34
	v_fmac_f32_e32 v36, v134, v132
	v_sub_f32_e32 v35, v35, v33
	v_add_f32_e32 v131, v32, v35
	v_add_f32_e32 v32, v34, v36
	v_sub_f32_e32 v35, v33, v32
	v_pk_add_f32 v[118:119], v[32:33], v[34:35] neg_lo:[0,1] neg_hi:[0,1]
	v_mov_b32_e32 v37, v32
	v_pk_add_f32 v[32:33], v[118:119], v[36:37] neg_lo:[0,1] neg_hi:[0,1]
	v_add_f32_e32 v33, v131, v33
	v_add_f32_e32 v32, v32, v33
	;; [unrolled: 1-line block ×4, first 2 shown]
	v_sub_f32_e32 v33, v35, v135
	v_mul_f32_e32 v32, v133, v32
	v_sub_f32_e32 v33, v134, v33
	v_add_f32_e32 v32, v33, v32
	v_add_f32_e32 v36, v35, v32
	v_mul_f32_e32 v118, v36, v36
	v_mov_b32_e32 v34, 0x3ecc95a3
	v_fmac_f32_e32 v34, 0x3e9b6dac, v118
	v_mov_b32_e32 v33, 0x3f2aaada
	v_fmac_f32_e32 v33, v118, v34
	v_cvt_f32_i32_e32 v34, v130
	v_sub_f32_e32 v35, v36, v35
	v_sub_f32_e32 v32, v32, v35
	v_ldexp_f32 v119, v32, 1
	v_mul_f32_e32 v35, v36, v118
	v_mov_b32_e32 v32, 0x3f317218
	s_mov_b32 s53, 0x3f317218
	v_pk_mul_f32 v[32:33], v[34:35], v[32:33]
	v_ldexp_f32 v37, v36, 1
	v_fma_f32 v36, v34, s53, -v32
	v_fmac_f32_e32 v36, 0xb102e308, v34
	v_pk_add_f32 v[34:35], v[32:33], v[36:37]
	v_sub_f32_e32 v37, v35, v37
	v_sub_f32_e32 v37, v33, v37
	v_add_f32_e32 v119, v119, v37
	v_mov_b32_e32 v118, v32
	v_pk_add_f32 v[32:33], v[34:35], v[32:33] neg_lo:[0,1] neg_hi:[0,1]
	v_pk_add_f32 v[130:131], v[34:35], v[118:119]
	v_mov_b32_e32 v33, v131
	v_mov_b32_e32 v37, v34
	v_pk_add_f32 v[132:133], v[36:37], v[32:33] neg_lo:[0,1] neg_hi:[0,1]
	v_pk_add_f32 v[32:33], v[36:37], v[32:33]
	v_mov_b32_e32 v36, v33
	v_pk_add_f32 v[134:135], v[36:37], v[34:35] neg_lo:[0,1] neg_hi:[0,1]
	v_mov_b32_e32 v37, v134
	v_pk_add_f32 v[146:147], v[130:131], v[36:37] neg_lo:[0,1] neg_hi:[0,1]
	v_mov_b32_e32 v32, v131
	v_mov_b32_e32 v130, v35
	;; [unrolled: 1-line block ×4, first 2 shown]
	v_pk_add_f32 v[32:33], v[32:33], v[130:131] neg_lo:[0,1] neg_hi:[0,1]
	v_mov_b32_e32 v118, v119
	v_mov_b32_e32 v119, v34
	v_pk_add_f32 v[32:33], v[118:119], v[32:33] neg_lo:[0,1] neg_hi:[0,1]
	v_mov_b32_e32 v146, v132
	v_pk_add_f32 v[34:35], v[146:147], v[32:33]
	v_mov_b32_e32 v118, v35
	v_pk_add_f32 v[118:119], v[34:35], v[118:119]
	v_pk_add_f32 v[36:37], v[36:37], v[118:119]
	v_mov_b32_e32 v35, v36
	v_pk_add_f32 v[130:131], v[34:35], v[132:133] neg_lo:[0,1] neg_hi:[0,1]
	v_mov_b32_e32 v33, v118
	v_sub_f32_e32 v34, v34, v130
	v_pk_add_f32 v[32:33], v[32:33], v[130:131] neg_lo:[0,1] neg_hi:[0,1]
	v_sub_f32_e32 v34, v132, v34
	s_mov_b32 s54, 0x7f800000
	v_add_f32_e32 v32, v32, v34
	s_mov_b32 s53, 0x33800000
	v_add_f32_e32 v32, v32, v33
	v_cmp_eq_f32_e32 vcc, s54, v148
	v_cmp_lt_f32_e64 s[54:55], |v148|, s53
	v_add_f32_e32 v32, v36, v32
	s_or_b64 vcc, vcc, s[54:55]
	v_cndmask_b32_e32 v32, v32, v148, vcc
	v_add_f32_e32 v32, v31, v32
.LBB512_93:
	s_or_b64 exec, exec, s[50:51]
	v_bfe_u32 v31, v32, 16, 1
	s_movk_i32 s54, 0x7fff
	v_add3_u32 v31, v32, v31, s54
	v_and_b32_e32 v33, 0xffff0000, v31
	v_mov_b32_e32 v31, 0x7fc00000
	v_cmp_o_f32_e32 vcc, v32, v32
	v_cndmask_b32_e32 v32, v31, v33, vcc
	v_lshlrev_b32_sdwa v118, v30, v14 dst_sel:DWORD dst_unused:UNUSED_PAD src0_sel:DWORD src1_sel:WORD_0
	v_max_f32_e32 v30, v32, v32
	v_max_f32_e32 v132, v118, v118
	v_min_f32_e32 v33, v30, v132
	v_cmp_u_f32_e32 vcc, v32, v32
	v_max_f32_e32 v30, v30, v132
	v_cndmask_b32_e32 v33, v33, v32, vcc
	v_cmp_u_f32_e64 s[50:51], v118, v118
	v_cndmask_b32_e32 v30, v30, v32, vcc
	v_cndmask_b32_e64 v33, v33, v118, s[50:51]
	v_cndmask_b32_e64 v30, v30, v118, s[50:51]
	v_cmp_neq_f32_e32 vcc, v33, v30
	v_cmp_class_f32_e64 s[52:53], v33, s52
	s_or_b64 vcc, vcc, s[52:53]
	s_and_saveexec_b64 s[52:53], vcc
	s_cbranch_execz .LBB512_95
; %bb.94:
	v_sub_f32_e32 v32, v33, v30
	s_mov_b32 s55, 0x3fb8aa3b
	v_mul_f32_e32 v33, 0x3fb8aa3b, v32
	v_fma_f32 v34, v32, s55, -v33
	v_rndne_f32_e32 v35, v33
	v_fmac_f32_e32 v34, 0x32a5705f, v32
	v_sub_f32_e32 v33, v33, v35
	v_add_f32_e32 v33, v33, v34
	v_exp_f32_e32 v33, v33
	v_cvt_i32_f32_e32 v34, v35
	s_mov_b32 s55, 0xc2ce8ed0
	v_cmp_ngt_f32_e32 vcc, s55, v32
	s_mov_b32 s55, 0x42b17218
	v_ldexp_f32 v33, v33, v34
	v_cndmask_b32_e32 v33, 0, v33, vcc
	v_mov_b32_e32 v34, 0x7f800000
	v_cmp_nlt_f32_e32 vcc, s55, v32
	v_cndmask_b32_e32 v119, v34, v33, vcc
	v_add_f32_e32 v34, 1.0, v119
	v_add_f32_e32 v32, -1.0, v34
	v_sub_f32_e32 v33, v32, v34
	v_add_f32_e32 v33, 1.0, v33
	v_sub_f32_e32 v32, v119, v32
	v_add_f32_e32 v35, v32, v33
	v_frexp_mant_f32_e32 v36, v34
	s_mov_b32 s55, 0x3f2aaaab
	v_cvt_f64_f32_e32 v[32:33], v34
	v_frexp_exp_i32_f64_e32 v32, v[32:33]
	v_cmp_gt_f32_e32 vcc, s55, v36
	v_subbrev_co_u32_e32 v133, vcc, 0, v32, vcc
	v_sub_u32_e32 v32, 0, v133
	v_ldexp_f32 v33, v34, v32
	v_add_f32_e32 v34, -1.0, v33
	v_add_f32_e32 v36, 1.0, v33
	v_ldexp_f32 v32, v35, v32
	v_add_f32_e32 v35, 1.0, v34
	v_add_f32_e32 v37, -1.0, v36
	v_sub_f32_e32 v35, v33, v35
	v_sub_f32_e32 v33, v33, v37
	v_add_f32_e32 v35, v32, v35
	v_add_f32_e32 v32, v32, v33
	;; [unrolled: 1-line block ×3, first 2 shown]
	v_rcp_f32_e32 v146, v134
	v_sub_f32_e32 v33, v36, v134
	v_add_f32_e32 v135, v32, v33
	v_add_f32_e32 v33, v34, v35
	v_mul_f32_e32 v148, v33, v146
	v_sub_f32_e32 v32, v34, v33
	v_mul_f32_e32 v34, v134, v148
	v_fma_f32 v36, v148, v134, -v34
	v_fmac_f32_e32 v36, v148, v135
	v_add_f32_e32 v147, v35, v32
	v_add_f32_e32 v32, v34, v36
	v_sub_f32_e32 v35, v33, v32
	v_pk_add_f32 v[130:131], v[32:33], v[34:35] neg_lo:[0,1] neg_hi:[0,1]
	v_mov_b32_e32 v37, v32
	v_pk_add_f32 v[32:33], v[130:131], v[36:37] neg_lo:[0,1] neg_hi:[0,1]
	v_add_f32_e32 v33, v147, v33
	v_add_f32_e32 v32, v32, v33
	;; [unrolled: 1-line block ×3, first 2 shown]
	v_mul_f32_e32 v147, v146, v33
	v_mul_f32_e32 v34, v134, v147
	v_fma_f32 v36, v147, v134, -v34
	v_fmac_f32_e32 v36, v147, v135
	v_sub_f32_e32 v35, v35, v33
	v_add_f32_e32 v134, v32, v35
	v_add_f32_e32 v32, v34, v36
	v_sub_f32_e32 v35, v33, v32
	v_pk_add_f32 v[130:131], v[32:33], v[34:35] neg_lo:[0,1] neg_hi:[0,1]
	v_mov_b32_e32 v37, v32
	v_pk_add_f32 v[32:33], v[130:131], v[36:37] neg_lo:[0,1] neg_hi:[0,1]
	v_add_f32_e32 v33, v134, v33
	v_add_f32_e32 v32, v32, v33
	;; [unrolled: 1-line block ×4, first 2 shown]
	v_sub_f32_e32 v33, v35, v148
	v_mul_f32_e32 v32, v146, v32
	v_sub_f32_e32 v33, v147, v33
	v_add_f32_e32 v32, v33, v32
	v_add_f32_e32 v36, v35, v32
	v_mul_f32_e32 v130, v36, v36
	v_mov_b32_e32 v34, 0x3ecc95a3
	v_fmac_f32_e32 v34, 0x3e9b6dac, v130
	v_mov_b32_e32 v33, 0x3f2aaada
	v_fmac_f32_e32 v33, v130, v34
	v_cvt_f32_i32_e32 v34, v133
	v_sub_f32_e32 v35, v36, v35
	v_sub_f32_e32 v32, v32, v35
	v_ldexp_f32 v131, v32, 1
	v_mul_f32_e32 v35, v36, v130
	v_mov_b32_e32 v32, 0x3f317218
	s_mov_b32 s55, 0x3f317218
	v_pk_mul_f32 v[32:33], v[34:35], v[32:33]
	v_ldexp_f32 v37, v36, 1
	v_fma_f32 v36, v34, s55, -v32
	v_fmac_f32_e32 v36, 0xb102e308, v34
	v_pk_add_f32 v[34:35], v[32:33], v[36:37]
	v_sub_f32_e32 v37, v35, v37
	v_sub_f32_e32 v37, v33, v37
	v_add_f32_e32 v131, v131, v37
	v_mov_b32_e32 v130, v32
	v_pk_add_f32 v[32:33], v[34:35], v[32:33] neg_lo:[0,1] neg_hi:[0,1]
	v_pk_add_f32 v[134:135], v[34:35], v[130:131]
	v_mov_b32_e32 v33, v135
	v_mov_b32_e32 v37, v34
	v_pk_add_f32 v[146:147], v[36:37], v[32:33] neg_lo:[0,1] neg_hi:[0,1]
	v_pk_add_f32 v[32:33], v[36:37], v[32:33]
	v_mov_b32_e32 v36, v33
	v_pk_add_f32 v[148:149], v[36:37], v[34:35] neg_lo:[0,1] neg_hi:[0,1]
	v_mov_b32_e32 v37, v148
	v_pk_add_f32 v[150:151], v[134:135], v[36:37] neg_lo:[0,1] neg_hi:[0,1]
	v_mov_b32_e32 v32, v135
	v_mov_b32_e32 v134, v35
	;; [unrolled: 1-line block ×4, first 2 shown]
	v_pk_add_f32 v[32:33], v[32:33], v[134:135] neg_lo:[0,1] neg_hi:[0,1]
	v_mov_b32_e32 v130, v131
	v_mov_b32_e32 v131, v34
	v_pk_add_f32 v[32:33], v[130:131], v[32:33] neg_lo:[0,1] neg_hi:[0,1]
	v_mov_b32_e32 v150, v146
	v_pk_add_f32 v[34:35], v[150:151], v[32:33]
	v_mov_b32_e32 v130, v35
	v_pk_add_f32 v[130:131], v[34:35], v[130:131]
	v_pk_add_f32 v[36:37], v[36:37], v[130:131]
	v_mov_b32_e32 v35, v36
	v_pk_add_f32 v[134:135], v[34:35], v[146:147] neg_lo:[0,1] neg_hi:[0,1]
	v_mov_b32_e32 v33, v130
	v_sub_f32_e32 v34, v34, v134
	v_pk_add_f32 v[32:33], v[32:33], v[134:135] neg_lo:[0,1] neg_hi:[0,1]
	v_sub_f32_e32 v34, v146, v34
	s_mov_b32 s56, 0x7f800000
	v_add_f32_e32 v32, v32, v34
	s_mov_b32 s55, 0x33800000
	v_add_f32_e32 v32, v32, v33
	v_cmp_eq_f32_e32 vcc, s56, v119
	v_cmp_lt_f32_e64 s[56:57], |v119|, s55
	v_add_f32_e32 v32, v36, v32
	s_or_b64 vcc, vcc, s[56:57]
	v_cndmask_b32_e32 v32, v32, v119, vcc
	v_add_f32_e32 v32, v30, v32
.LBB512_95:
	s_or_b64 exec, exec, s[52:53]
	v_bfe_u32 v30, v32, 16, 1
	v_add3_u32 v30, v32, v30, s54
	v_and_b32_e32 v30, 0xffff0000, v30
	v_cmp_o_f32_e32 vcc, v32, v32
	v_cndmask_b32_e32 v32, v31, v30, vcc
	v_mov_b32_e32 v30, 16
	v_lshlrev_b32_sdwa v119, v30, v14 dst_sel:DWORD dst_unused:UNUSED_PAD src0_sel:DWORD src1_sel:WORD_1
	v_max_f32_e32 v31, v32, v32
	v_max_f32_e32 v133, v119, v119
	v_min_f32_e32 v33, v31, v133
	v_cmp_u_f32_e32 vcc, v32, v32
	v_max_f32_e32 v31, v31, v133
	v_cndmask_b32_e32 v33, v33, v32, vcc
	v_cmp_u_f32_e64 s[52:53], v119, v119
	v_cndmask_b32_e32 v31, v31, v32, vcc
	v_cndmask_b32_e64 v33, v33, v119, s[52:53]
	v_cndmask_b32_e64 v31, v31, v119, s[52:53]
	s_movk_i32 s56, 0x1f8
	v_cmp_neq_f32_e32 vcc, v33, v31
	v_cmp_class_f32_e64 s[54:55], v33, s56
	s_or_b64 vcc, vcc, s[54:55]
	s_and_saveexec_b64 s[54:55], vcc
	s_cbranch_execz .LBB512_97
; %bb.96:
	v_sub_f32_e32 v32, v33, v31
	s_mov_b32 s57, 0x3fb8aa3b
	v_mul_f32_e32 v33, 0x3fb8aa3b, v32
	v_fma_f32 v34, v32, s57, -v33
	v_rndne_f32_e32 v35, v33
	v_fmac_f32_e32 v34, 0x32a5705f, v32
	v_sub_f32_e32 v33, v33, v35
	v_add_f32_e32 v33, v33, v34
	v_exp_f32_e32 v33, v33
	v_cvt_i32_f32_e32 v34, v35
	s_mov_b32 s57, 0xc2ce8ed0
	v_cmp_ngt_f32_e32 vcc, s57, v32
	s_mov_b32 s57, 0x42b17218
	v_ldexp_f32 v33, v33, v34
	v_cndmask_b32_e32 v33, 0, v33, vcc
	v_mov_b32_e32 v34, 0x7f800000
	v_cmp_nlt_f32_e32 vcc, s57, v32
	v_cndmask_b32_e32 v160, v34, v33, vcc
	v_add_f32_e32 v34, 1.0, v160
	v_add_f32_e32 v32, -1.0, v34
	v_sub_f32_e32 v33, v32, v34
	v_add_f32_e32 v33, 1.0, v33
	v_sub_f32_e32 v32, v160, v32
	v_add_f32_e32 v35, v32, v33
	v_frexp_mant_f32_e32 v36, v34
	s_mov_b32 s57, 0x3f2aaaab
	v_cvt_f64_f32_e32 v[32:33], v34
	v_frexp_exp_i32_f64_e32 v32, v[32:33]
	v_cmp_gt_f32_e32 vcc, s57, v36
	v_subbrev_co_u32_e32 v134, vcc, 0, v32, vcc
	v_sub_u32_e32 v32, 0, v134
	v_ldexp_f32 v33, v34, v32
	v_add_f32_e32 v34, -1.0, v33
	v_add_f32_e32 v36, 1.0, v33
	v_ldexp_f32 v32, v35, v32
	v_add_f32_e32 v35, 1.0, v34
	v_add_f32_e32 v37, -1.0, v36
	v_sub_f32_e32 v35, v33, v35
	v_sub_f32_e32 v33, v33, v37
	v_add_f32_e32 v35, v32, v35
	v_add_f32_e32 v32, v32, v33
	;; [unrolled: 1-line block ×3, first 2 shown]
	v_rcp_f32_e32 v147, v135
	v_sub_f32_e32 v33, v36, v135
	v_add_f32_e32 v146, v32, v33
	v_add_f32_e32 v33, v34, v35
	v_mul_f32_e32 v149, v33, v147
	v_sub_f32_e32 v32, v34, v33
	v_mul_f32_e32 v34, v135, v149
	v_fma_f32 v36, v149, v135, -v34
	v_fmac_f32_e32 v36, v149, v146
	v_add_f32_e32 v148, v35, v32
	v_add_f32_e32 v32, v34, v36
	v_sub_f32_e32 v35, v33, v32
	v_pk_add_f32 v[130:131], v[32:33], v[34:35] neg_lo:[0,1] neg_hi:[0,1]
	v_mov_b32_e32 v37, v32
	v_pk_add_f32 v[32:33], v[130:131], v[36:37] neg_lo:[0,1] neg_hi:[0,1]
	v_add_f32_e32 v33, v148, v33
	v_add_f32_e32 v32, v32, v33
	;; [unrolled: 1-line block ×3, first 2 shown]
	v_mul_f32_e32 v148, v147, v33
	v_mul_f32_e32 v34, v135, v148
	v_fma_f32 v36, v148, v135, -v34
	v_fmac_f32_e32 v36, v148, v146
	v_sub_f32_e32 v35, v35, v33
	v_add_f32_e32 v135, v32, v35
	v_add_f32_e32 v32, v34, v36
	v_sub_f32_e32 v35, v33, v32
	v_pk_add_f32 v[130:131], v[32:33], v[34:35] neg_lo:[0,1] neg_hi:[0,1]
	v_mov_b32_e32 v37, v32
	v_pk_add_f32 v[32:33], v[130:131], v[36:37] neg_lo:[0,1] neg_hi:[0,1]
	v_add_f32_e32 v33, v135, v33
	v_add_f32_e32 v32, v32, v33
	;; [unrolled: 1-line block ×4, first 2 shown]
	v_sub_f32_e32 v33, v35, v149
	v_mul_f32_e32 v32, v147, v32
	v_sub_f32_e32 v33, v148, v33
	v_add_f32_e32 v32, v33, v32
	v_add_f32_e32 v36, v35, v32
	v_mul_f32_e32 v130, v36, v36
	v_mov_b32_e32 v34, 0x3ecc95a3
	v_fmac_f32_e32 v34, 0x3e9b6dac, v130
	v_mov_b32_e32 v33, 0x3f2aaada
	v_fmac_f32_e32 v33, v130, v34
	v_cvt_f32_i32_e32 v34, v134
	v_sub_f32_e32 v35, v36, v35
	v_sub_f32_e32 v32, v32, v35
	v_ldexp_f32 v131, v32, 1
	v_mul_f32_e32 v35, v36, v130
	v_mov_b32_e32 v32, 0x3f317218
	s_mov_b32 s57, 0x3f317218
	v_pk_mul_f32 v[32:33], v[34:35], v[32:33]
	v_ldexp_f32 v37, v36, 1
	v_fma_f32 v36, v34, s57, -v32
	v_fmac_f32_e32 v36, 0xb102e308, v34
	v_pk_add_f32 v[34:35], v[32:33], v[36:37]
	v_sub_f32_e32 v37, v35, v37
	v_sub_f32_e32 v37, v33, v37
	v_add_f32_e32 v131, v131, v37
	v_mov_b32_e32 v130, v32
	v_pk_add_f32 v[32:33], v[34:35], v[32:33] neg_lo:[0,1] neg_hi:[0,1]
	v_pk_add_f32 v[134:135], v[34:35], v[130:131]
	v_mov_b32_e32 v33, v135
	v_mov_b32_e32 v37, v34
	v_pk_add_f32 v[146:147], v[36:37], v[32:33] neg_lo:[0,1] neg_hi:[0,1]
	v_pk_add_f32 v[32:33], v[36:37], v[32:33]
	v_mov_b32_e32 v36, v33
	v_pk_add_f32 v[148:149], v[36:37], v[34:35] neg_lo:[0,1] neg_hi:[0,1]
	v_mov_b32_e32 v37, v148
	v_pk_add_f32 v[150:151], v[134:135], v[36:37] neg_lo:[0,1] neg_hi:[0,1]
	v_mov_b32_e32 v32, v135
	v_mov_b32_e32 v134, v35
	;; [unrolled: 1-line block ×4, first 2 shown]
	v_pk_add_f32 v[32:33], v[32:33], v[134:135] neg_lo:[0,1] neg_hi:[0,1]
	v_mov_b32_e32 v130, v131
	v_mov_b32_e32 v131, v34
	v_pk_add_f32 v[32:33], v[130:131], v[32:33] neg_lo:[0,1] neg_hi:[0,1]
	v_mov_b32_e32 v150, v146
	v_pk_add_f32 v[34:35], v[150:151], v[32:33]
	v_mov_b32_e32 v130, v35
	v_pk_add_f32 v[130:131], v[34:35], v[130:131]
	v_pk_add_f32 v[36:37], v[36:37], v[130:131]
	v_mov_b32_e32 v35, v36
	v_pk_add_f32 v[134:135], v[34:35], v[146:147] neg_lo:[0,1] neg_hi:[0,1]
	v_mov_b32_e32 v33, v130
	v_sub_f32_e32 v34, v34, v134
	v_pk_add_f32 v[32:33], v[32:33], v[134:135] neg_lo:[0,1] neg_hi:[0,1]
	v_sub_f32_e32 v34, v146, v34
	s_mov_b32 s60, 0x7f800000
	v_add_f32_e32 v32, v32, v34
	s_mov_b32 s57, 0x33800000
	v_add_f32_e32 v32, v32, v33
	v_cmp_eq_f32_e32 vcc, s60, v160
	v_cmp_lt_f32_e64 s[60:61], |v160|, s57
	v_add_f32_e32 v32, v36, v32
	s_or_b64 vcc, vcc, s[60:61]
	v_cndmask_b32_e32 v32, v32, v160, vcc
	v_add_f32_e32 v32, v31, v32
.LBB512_97:
	s_or_b64 exec, exec, s[54:55]
	v_bfe_u32 v31, v32, 16, 1
	s_movk_i32 s60, 0x7fff
	v_add3_u32 v31, v32, v31, s60
	v_and_b32_e32 v33, 0xffff0000, v31
	v_mov_b32_e32 v31, 0x7fc00000
	v_cmp_o_f32_e32 vcc, v32, v32
	v_cndmask_b32_e32 v32, v31, v33, vcc
	v_lshlrev_b32_sdwa v130, v30, v15 dst_sel:DWORD dst_unused:UNUSED_PAD src0_sel:DWORD src1_sel:WORD_0
	v_max_f32_e32 v30, v32, v32
	v_max_f32_e32 v134, v130, v130
	v_min_f32_e32 v33, v30, v134
	v_cmp_u_f32_e32 vcc, v32, v32
	v_max_f32_e32 v30, v30, v134
	v_cndmask_b32_e32 v33, v33, v32, vcc
	v_cmp_u_f32_e64 s[54:55], v130, v130
	v_cndmask_b32_e32 v30, v30, v32, vcc
	v_cndmask_b32_e64 v33, v33, v130, s[54:55]
	v_cndmask_b32_e64 v30, v30, v130, s[54:55]
	v_cmp_neq_f32_e32 vcc, v33, v30
	v_cmp_class_f32_e64 s[56:57], v33, s56
	s_or_b64 vcc, vcc, s[56:57]
	s_and_saveexec_b64 s[56:57], vcc
	s_cbranch_execz .LBB512_99
; %bb.98:
	v_sub_f32_e32 v32, v33, v30
	s_mov_b32 s61, 0x3fb8aa3b
	v_mul_f32_e32 v33, 0x3fb8aa3b, v32
	v_fma_f32 v34, v32, s61, -v33
	v_rndne_f32_e32 v35, v33
	v_fmac_f32_e32 v34, 0x32a5705f, v32
	v_sub_f32_e32 v33, v33, v35
	v_add_f32_e32 v33, v33, v34
	v_exp_f32_e32 v33, v33
	v_cvt_i32_f32_e32 v34, v35
	s_mov_b32 s61, 0xc2ce8ed0
	v_cmp_ngt_f32_e32 vcc, s61, v32
	s_mov_b32 s61, 0x42b17218
	v_ldexp_f32 v33, v33, v34
	v_cndmask_b32_e32 v33, 0, v33, vcc
	v_mov_b32_e32 v34, 0x7f800000
	v_cmp_nlt_f32_e32 vcc, s61, v32
	v_cndmask_b32_e32 v131, v34, v33, vcc
	v_add_f32_e32 v34, 1.0, v131
	v_add_f32_e32 v32, -1.0, v34
	v_sub_f32_e32 v33, v32, v34
	v_add_f32_e32 v33, 1.0, v33
	v_sub_f32_e32 v32, v131, v32
	v_add_f32_e32 v35, v32, v33
	v_frexp_mant_f32_e32 v36, v34
	s_mov_b32 s61, 0x3f2aaaab
	v_cvt_f64_f32_e32 v[32:33], v34
	v_frexp_exp_i32_f64_e32 v32, v[32:33]
	v_cmp_gt_f32_e32 vcc, s61, v36
	v_subbrev_co_u32_e32 v135, vcc, 0, v32, vcc
	v_sub_u32_e32 v32, 0, v135
	v_ldexp_f32 v33, v34, v32
	v_add_f32_e32 v34, -1.0, v33
	v_add_f32_e32 v36, 1.0, v33
	v_ldexp_f32 v32, v35, v32
	v_add_f32_e32 v35, 1.0, v34
	v_add_f32_e32 v37, -1.0, v36
	v_sub_f32_e32 v35, v33, v35
	v_sub_f32_e32 v33, v33, v37
	v_add_f32_e32 v35, v32, v35
	v_add_f32_e32 v32, v32, v33
	;; [unrolled: 1-line block ×3, first 2 shown]
	v_rcp_f32_e32 v150, v148
	v_sub_f32_e32 v33, v36, v148
	v_add_f32_e32 v149, v32, v33
	v_add_f32_e32 v33, v34, v35
	v_mul_f32_e32 v160, v33, v150
	v_sub_f32_e32 v32, v34, v33
	v_mul_f32_e32 v34, v148, v160
	v_fma_f32 v36, v160, v148, -v34
	v_fmac_f32_e32 v36, v160, v149
	v_add_f32_e32 v151, v35, v32
	v_add_f32_e32 v32, v34, v36
	v_sub_f32_e32 v35, v33, v32
	v_pk_add_f32 v[146:147], v[32:33], v[34:35] neg_lo:[0,1] neg_hi:[0,1]
	v_mov_b32_e32 v37, v32
	v_pk_add_f32 v[32:33], v[146:147], v[36:37] neg_lo:[0,1] neg_hi:[0,1]
	v_add_f32_e32 v33, v151, v33
	v_add_f32_e32 v32, v32, v33
	;; [unrolled: 1-line block ×3, first 2 shown]
	v_mul_f32_e32 v151, v150, v33
	v_mul_f32_e32 v34, v148, v151
	v_fma_f32 v36, v151, v148, -v34
	v_fmac_f32_e32 v36, v151, v149
	v_sub_f32_e32 v35, v35, v33
	v_add_f32_e32 v148, v32, v35
	v_add_f32_e32 v32, v34, v36
	v_sub_f32_e32 v35, v33, v32
	v_pk_add_f32 v[146:147], v[32:33], v[34:35] neg_lo:[0,1] neg_hi:[0,1]
	v_mov_b32_e32 v37, v32
	v_pk_add_f32 v[32:33], v[146:147], v[36:37] neg_lo:[0,1] neg_hi:[0,1]
	v_add_f32_e32 v33, v148, v33
	v_add_f32_e32 v32, v32, v33
	;; [unrolled: 1-line block ×4, first 2 shown]
	v_sub_f32_e32 v33, v35, v160
	v_mul_f32_e32 v32, v150, v32
	v_sub_f32_e32 v33, v151, v33
	v_add_f32_e32 v32, v33, v32
	v_add_f32_e32 v36, v35, v32
	v_mul_f32_e32 v146, v36, v36
	v_mov_b32_e32 v34, 0x3ecc95a3
	v_fmac_f32_e32 v34, 0x3e9b6dac, v146
	v_mov_b32_e32 v33, 0x3f2aaada
	v_fmac_f32_e32 v33, v146, v34
	v_cvt_f32_i32_e32 v34, v135
	v_sub_f32_e32 v35, v36, v35
	v_sub_f32_e32 v32, v32, v35
	v_ldexp_f32 v135, v32, 1
	v_mul_f32_e32 v35, v36, v146
	v_mov_b32_e32 v32, 0x3f317218
	s_mov_b32 s61, 0x3f317218
	v_pk_mul_f32 v[32:33], v[34:35], v[32:33]
	v_ldexp_f32 v37, v36, 1
	v_fma_f32 v36, v34, s61, -v32
	v_fmac_f32_e32 v36, 0xb102e308, v34
	v_pk_add_f32 v[34:35], v[32:33], v[36:37]
	v_sub_f32_e32 v37, v35, v37
	v_sub_f32_e32 v37, v33, v37
	v_add_f32_e32 v147, v135, v37
	v_mov_b32_e32 v146, v32
	v_pk_add_f32 v[32:33], v[34:35], v[32:33] neg_lo:[0,1] neg_hi:[0,1]
	v_pk_add_f32 v[148:149], v[34:35], v[146:147]
	v_mov_b32_e32 v33, v149
	v_mov_b32_e32 v37, v34
	v_pk_add_f32 v[150:151], v[36:37], v[32:33] neg_lo:[0,1] neg_hi:[0,1]
	v_pk_add_f32 v[32:33], v[36:37], v[32:33]
	v_mov_b32_e32 v36, v33
	v_pk_add_f32 v[160:161], v[36:37], v[34:35] neg_lo:[0,1] neg_hi:[0,1]
	v_mov_b32_e32 v37, v160
	v_pk_add_f32 v[162:163], v[148:149], v[36:37] neg_lo:[0,1] neg_hi:[0,1]
	v_mov_b32_e32 v32, v149
	v_mov_b32_e32 v148, v35
	v_mov_b32_e32 v149, v160
	v_mov_b32_e32 v151, v33
	v_pk_add_f32 v[32:33], v[32:33], v[148:149] neg_lo:[0,1] neg_hi:[0,1]
	v_mov_b32_e32 v146, v147
	v_mov_b32_e32 v147, v34
	v_pk_add_f32 v[32:33], v[146:147], v[32:33] neg_lo:[0,1] neg_hi:[0,1]
	v_mov_b32_e32 v162, v150
	v_pk_add_f32 v[34:35], v[162:163], v[32:33]
	v_mov_b32_e32 v146, v35
	v_pk_add_f32 v[146:147], v[34:35], v[146:147]
	v_pk_add_f32 v[36:37], v[36:37], v[146:147]
	v_mov_b32_e32 v35, v36
	v_pk_add_f32 v[148:149], v[34:35], v[150:151] neg_lo:[0,1] neg_hi:[0,1]
	v_mov_b32_e32 v33, v146
	v_sub_f32_e32 v34, v34, v148
	v_pk_add_f32 v[32:33], v[32:33], v[148:149] neg_lo:[0,1] neg_hi:[0,1]
	v_sub_f32_e32 v34, v150, v34
	s_mov_b32 s62, 0x7f800000
	v_add_f32_e32 v32, v32, v34
	s_mov_b32 s61, 0x33800000
	v_add_f32_e32 v32, v32, v33
	v_cmp_eq_f32_e32 vcc, s62, v131
	v_cmp_lt_f32_e64 s[62:63], |v131|, s61
	v_add_f32_e32 v32, v36, v32
	s_or_b64 vcc, vcc, s[62:63]
	v_cndmask_b32_e32 v32, v32, v131, vcc
	v_add_f32_e32 v32, v30, v32
.LBB512_99:
	s_or_b64 exec, exec, s[56:57]
	v_bfe_u32 v30, v32, 16, 1
	v_add3_u32 v30, v32, v30, s60
	v_and_b32_e32 v30, 0xffff0000, v30
	v_cmp_o_f32_e32 vcc, v32, v32
	v_cndmask_b32_e32 v31, v31, v30, vcc
	v_mov_b32_e32 v30, 16
	v_lshlrev_b32_sdwa v131, v30, v15 dst_sel:DWORD dst_unused:UNUSED_PAD src0_sel:DWORD src1_sel:WORD_1
	v_max_f32_e32 v30, v31, v31
	v_max_f32_e32 v135, v131, v131
	v_min_f32_e32 v32, v30, v135
	v_cmp_u_f32_e32 vcc, v31, v31
	v_max_f32_e32 v30, v30, v135
	v_cndmask_b32_e32 v32, v32, v31, vcc
	v_cmp_u_f32_e64 s[56:57], v131, v131
	v_cndmask_b32_e32 v30, v30, v31, vcc
	v_cndmask_b32_e64 v32, v32, v131, s[56:57]
	v_cndmask_b32_e64 v30, v30, v131, s[56:57]
	s_movk_i32 s60, 0x1f8
	v_cmp_neq_f32_e32 vcc, v32, v30
	v_cmp_class_f32_e64 s[60:61], v32, s60
	s_or_b64 vcc, vcc, s[60:61]
	s_and_saveexec_b64 s[60:61], vcc
	s_cbranch_execz .LBB512_101
; %bb.100:
	v_sub_f32_e32 v31, v32, v30
	s_mov_b32 s62, 0x3fb8aa3b
	v_mul_f32_e32 v32, 0x3fb8aa3b, v31
	v_fma_f32 v33, v31, s62, -v32
	v_rndne_f32_e32 v34, v32
	v_fmac_f32_e32 v33, 0x32a5705f, v31
	v_sub_f32_e32 v32, v32, v34
	v_add_f32_e32 v32, v32, v33
	v_exp_f32_e32 v32, v32
	v_cvt_i32_f32_e32 v33, v34
	s_mov_b32 s62, 0xc2ce8ed0
	v_cmp_ngt_f32_e32 vcc, s62, v31
	s_mov_b32 s62, 0x42b17218
	v_ldexp_f32 v32, v32, v33
	v_cndmask_b32_e32 v32, 0, v32, vcc
	v_mov_b32_e32 v33, 0x7f800000
	v_cmp_nlt_f32_e32 vcc, s62, v31
	v_cndmask_b32_e32 v164, v33, v32, vcc
	v_add_f32_e32 v31, 1.0, v164
	v_add_f32_e32 v32, -1.0, v31
	v_sub_f32_e32 v33, v32, v31
	v_add_f32_e32 v33, 1.0, v33
	v_sub_f32_e32 v32, v164, v32
	v_add_f32_e32 v34, v32, v33
	v_frexp_mant_f32_e32 v35, v31
	s_mov_b32 s62, 0x3f2aaaab
	v_cvt_f64_f32_e32 v[32:33], v31
	v_frexp_exp_i32_f64_e32 v32, v[32:33]
	v_cmp_gt_f32_e32 vcc, s62, v35
	v_subbrev_co_u32_e32 v148, vcc, 0, v32, vcc
	v_sub_u32_e32 v32, 0, v148
	v_ldexp_f32 v31, v31, v32
	v_ldexp_f32 v32, v34, v32
	v_add_f32_e32 v34, -1.0, v31
	v_add_f32_e32 v33, 1.0, v34
	v_sub_f32_e32 v33, v31, v33
	v_add_f32_e32 v35, v32, v33
	v_add_f32_e32 v33, 1.0, v31
	v_add_f32_e32 v36, -1.0, v33
	v_sub_f32_e32 v31, v31, v36
	v_add_f32_e32 v31, v32, v31
	v_add_f32_e32 v149, v33, v31
	v_rcp_f32_e32 v150, v149
	v_sub_f32_e32 v32, v33, v149
	v_add_f32_e32 v33, v34, v35
	v_add_f32_e32 v31, v31, v32
	v_mul_f32_e32 v160, v33, v150
	v_sub_f32_e32 v32, v34, v33
	v_mul_f32_e32 v34, v149, v160
	v_fma_f32 v36, v160, v149, -v34
	v_fmac_f32_e32 v36, v160, v31
	v_add_f32_e32 v151, v35, v32
	v_add_f32_e32 v32, v34, v36
	v_sub_f32_e32 v35, v33, v32
	v_pk_add_f32 v[146:147], v[32:33], v[34:35] neg_lo:[0,1] neg_hi:[0,1]
	v_mov_b32_e32 v37, v32
	v_pk_add_f32 v[32:33], v[146:147], v[36:37] neg_lo:[0,1] neg_hi:[0,1]
	v_add_f32_e32 v33, v151, v33
	v_add_f32_e32 v32, v32, v33
	v_add_f32_e32 v33, v35, v32
	v_mul_f32_e32 v151, v150, v33
	v_mul_f32_e32 v34, v149, v151
	v_fma_f32 v36, v151, v149, -v34
	v_fmac_f32_e32 v36, v151, v31
	v_sub_f32_e32 v31, v35, v33
	v_add_f32_e32 v31, v32, v31
	v_add_f32_e32 v32, v34, v36
	v_sub_f32_e32 v35, v33, v32
	v_pk_add_f32 v[146:147], v[32:33], v[34:35] neg_lo:[0,1] neg_hi:[0,1]
	v_mov_b32_e32 v37, v32
	v_pk_add_f32 v[32:33], v[146:147], v[36:37] neg_lo:[0,1] neg_hi:[0,1]
	v_add_f32_e32 v31, v31, v33
	v_add_f32_e32 v31, v32, v31
	v_add_f32_e32 v32, v160, v151
	v_add_f32_e32 v31, v35, v31
	v_sub_f32_e32 v33, v32, v160
	v_mul_f32_e32 v31, v150, v31
	v_sub_f32_e32 v33, v151, v33
	v_add_f32_e32 v31, v33, v31
	v_add_f32_e32 v35, v32, v31
	v_mul_f32_e32 v36, v35, v35
	v_mov_b32_e32 v34, 0x3ecc95a3
	v_fmac_f32_e32 v34, 0x3e9b6dac, v36
	v_mov_b32_e32 v33, 0x3f2aaada
	v_fmac_f32_e32 v33, v36, v34
	v_cvt_f32_i32_e32 v34, v148
	v_sub_f32_e32 v32, v35, v32
	v_sub_f32_e32 v31, v31, v32
	v_ldexp_f32 v37, v35, 1
	v_mul_f32_e32 v35, v35, v36
	v_mov_b32_e32 v32, 0x3f317218
	s_mov_b32 s62, 0x3f317218
	v_pk_mul_f32 v[32:33], v[34:35], v[32:33]
	v_fma_f32 v36, v34, s62, -v32
	v_fmac_f32_e32 v36, 0xb102e308, v34
	v_pk_add_f32 v[34:35], v[32:33], v[36:37]
	v_sub_f32_e32 v37, v35, v37
	v_ldexp_f32 v31, v31, 1
	v_sub_f32_e32 v37, v33, v37
	v_add_f32_e32 v147, v31, v37
	v_mov_b32_e32 v146, v32
	v_pk_add_f32 v[32:33], v[34:35], v[32:33] neg_lo:[0,1] neg_hi:[0,1]
	v_pk_add_f32 v[148:149], v[34:35], v[146:147]
	v_mov_b32_e32 v33, v149
	v_mov_b32_e32 v37, v34
	v_pk_add_f32 v[150:151], v[36:37], v[32:33] neg_lo:[0,1] neg_hi:[0,1]
	v_pk_add_f32 v[32:33], v[36:37], v[32:33]
	v_mov_b32_e32 v36, v33
	v_pk_add_f32 v[160:161], v[36:37], v[34:35] neg_lo:[0,1] neg_hi:[0,1]
	v_mov_b32_e32 v31, v160
	v_pk_add_f32 v[162:163], v[148:149], v[30:31] neg_lo:[0,1] neg_hi:[0,1]
	v_mov_b32_e32 v32, v149
	v_mov_b32_e32 v148, v35
	;; [unrolled: 1-line block ×4, first 2 shown]
	v_pk_add_f32 v[32:33], v[32:33], v[148:149] neg_lo:[0,1] neg_hi:[0,1]
	v_mov_b32_e32 v146, v147
	v_mov_b32_e32 v147, v34
	v_pk_add_f32 v[32:33], v[146:147], v[32:33] neg_lo:[0,1] neg_hi:[0,1]
	v_mov_b32_e32 v162, v150
	v_pk_add_f32 v[34:35], v[162:163], v[32:33]
	v_mov_b32_e32 v146, v35
	v_pk_add_f32 v[146:147], v[34:35], v[146:147]
	v_pk_add_f32 v[36:37], v[36:37], v[146:147]
	v_mov_b32_e32 v35, v36
	v_pk_add_f32 v[148:149], v[34:35], v[150:151] neg_lo:[0,1] neg_hi:[0,1]
	v_mov_b32_e32 v33, v146
	v_sub_f32_e32 v31, v34, v148
	v_pk_add_f32 v[32:33], v[32:33], v[148:149] neg_lo:[0,1] neg_hi:[0,1]
	v_sub_f32_e32 v31, v150, v31
	s_mov_b32 s63, 0x7f800000
	v_add_f32_e32 v31, v32, v31
	s_mov_b32 s62, 0x33800000
	v_add_f32_e32 v31, v31, v33
	v_cmp_eq_f32_e32 vcc, s63, v164
	v_cmp_lt_f32_e64 s[62:63], |v164|, s62
	v_add_f32_e32 v31, v36, v31
	s_or_b64 vcc, vcc, s[62:63]
	v_cndmask_b32_e32 v31, v31, v164, vcc
	v_add_f32_e32 v31, v30, v31
.LBB512_101:
	s_or_b64 exec, exec, s[60:61]
	v_bfe_u32 v30, v31, 16, 1
	s_movk_i32 vcc_lo, 0x7fff
	v_add3_u32 v30, v31, v30, vcc_lo
	v_lshrrev_b32_e32 v30, 16, v30
	v_mov_b32_e32 v32, 0x7fc0
	v_cmp_o_f32_e32 vcc, v31, v31
	v_cndmask_b32_e32 v32, v32, v30, vcc
	v_mbcnt_lo_u32_b32 v30, -1, 0
	v_mbcnt_hi_u32_b32 v31, -1, v30
	v_and_b32_e32 v30, 15, v31
	v_and_b32_e32 v33, 0xffff, v32
	v_cmp_ne_u32_e32 vcc, 0, v30
	s_nop 0
	v_mov_b32_dpp v34, v33 row_shr:1 row_mask:0xf bank_mask:0xf
	s_and_saveexec_b64 s[62:63], vcc
	s_cbranch_execz .LBB512_105
; %bb.102:
	v_lshlrev_b32_e32 v34, 16, v34
	v_lshlrev_b32_e32 v32, 16, v33
	v_max_f32_e32 v35, v32, v32
	v_max_f32_e32 v36, v34, v34
	v_min_f32_e32 v33, v36, v35
	v_cmp_u_f32_e32 vcc, v34, v34
	v_max_f32_e32 v35, v36, v35
	v_cndmask_b32_e32 v33, v33, v34, vcc
	v_cmp_u_f32_e64 s[60:61], v32, v32
	v_cndmask_b32_e32 v35, v35, v34, vcc
	v_cndmask_b32_e64 v33, v33, v32, s[60:61]
	v_cndmask_b32_e64 v32, v35, v32, s[60:61]
	s_movk_i32 s60, 0x1f8
	v_cmp_neq_f32_e32 vcc, v33, v32
	v_cmp_class_f32_e64 s[60:61], v33, s60
	s_or_b64 vcc, vcc, s[60:61]
	s_and_saveexec_b64 s[60:61], vcc
	s_cbranch_execz .LBB512_104
; %bb.103:
	v_sub_f32_e32 v33, v33, v32
	s_mov_b32 s64, 0x3fb8aa3b
	v_mul_f32_e32 v34, 0x3fb8aa3b, v33
	v_fma_f32 v35, v33, s64, -v34
	v_rndne_f32_e32 v36, v34
	v_fmac_f32_e32 v35, 0x32a5705f, v33
	v_sub_f32_e32 v34, v34, v36
	v_add_f32_e32 v34, v34, v35
	v_exp_f32_e32 v34, v34
	v_cvt_i32_f32_e32 v35, v36
	s_mov_b32 s64, 0xc2ce8ed0
	v_cmp_ngt_f32_e32 vcc, s64, v33
	s_mov_b32 s64, 0x42b17218
	v_ldexp_f32 v34, v34, v35
	v_cndmask_b32_e32 v34, 0, v34, vcc
	v_mov_b32_e32 v35, 0x7f800000
	v_cmp_nlt_f32_e32 vcc, s64, v33
	v_cndmask_b32_e32 v166, v35, v34, vcc
	v_add_f32_e32 v33, 1.0, v166
	v_add_f32_e32 v34, -1.0, v33
	v_sub_f32_e32 v35, v34, v33
	v_add_f32_e32 v35, 1.0, v35
	v_sub_f32_e32 v34, v166, v34
	v_add_f32_e32 v36, v34, v35
	v_frexp_mant_f32_e32 v37, v33
	s_mov_b32 s64, 0x3f2aaaab
	v_cvt_f64_f32_e32 v[34:35], v33
	v_frexp_exp_i32_f64_e32 v34, v[34:35]
	v_cmp_gt_f32_e32 vcc, s64, v37
	v_subbrev_co_u32_e32 v150, vcc, 0, v34, vcc
	v_sub_u32_e32 v34, 0, v150
	v_ldexp_f32 v33, v33, v34
	v_ldexp_f32 v34, v36, v34
	v_add_f32_e32 v36, -1.0, v33
	v_add_f32_e32 v35, 1.0, v36
	v_sub_f32_e32 v35, v33, v35
	v_add_f32_e32 v37, v34, v35
	v_add_f32_e32 v35, 1.0, v33
	v_add_f32_e32 v146, -1.0, v35
	v_sub_f32_e32 v33, v33, v146
	v_add_f32_e32 v33, v34, v33
	v_add_f32_e32 v151, v35, v33
	v_rcp_f32_e32 v160, v151
	v_sub_f32_e32 v34, v35, v151
	v_add_f32_e32 v35, v36, v37
	v_add_f32_e32 v33, v33, v34
	v_mul_f32_e32 v162, v35, v160
	v_sub_f32_e32 v34, v36, v35
	v_mul_f32_e32 v36, v151, v162
	v_fma_f32 v146, v162, v151, -v36
	v_fmac_f32_e32 v146, v162, v33
	v_add_f32_e32 v161, v37, v34
	v_add_f32_e32 v34, v36, v146
	v_sub_f32_e32 v37, v35, v34
	v_pk_add_f32 v[148:149], v[34:35], v[36:37] neg_lo:[0,1] neg_hi:[0,1]
	v_mov_b32_e32 v147, v34
	v_pk_add_f32 v[34:35], v[148:149], v[146:147] neg_lo:[0,1] neg_hi:[0,1]
	v_add_f32_e32 v35, v161, v35
	v_add_f32_e32 v34, v34, v35
	;; [unrolled: 1-line block ×3, first 2 shown]
	v_mul_f32_e32 v161, v160, v35
	v_mul_f32_e32 v36, v151, v161
	v_fma_f32 v146, v161, v151, -v36
	v_fmac_f32_e32 v146, v161, v33
	v_sub_f32_e32 v33, v37, v35
	v_add_f32_e32 v33, v34, v33
	v_add_f32_e32 v34, v36, v146
	v_sub_f32_e32 v37, v35, v34
	v_pk_add_f32 v[148:149], v[34:35], v[36:37] neg_lo:[0,1] neg_hi:[0,1]
	v_mov_b32_e32 v147, v34
	v_pk_add_f32 v[34:35], v[148:149], v[146:147] neg_lo:[0,1] neg_hi:[0,1]
	v_add_f32_e32 v33, v33, v35
	v_add_f32_e32 v33, v34, v33
	;; [unrolled: 1-line block ×4, first 2 shown]
	v_sub_f32_e32 v35, v34, v162
	v_mul_f32_e32 v33, v160, v33
	v_sub_f32_e32 v35, v161, v35
	v_add_f32_e32 v33, v35, v33
	v_add_f32_e32 v37, v34, v33
	v_mul_f32_e32 v146, v37, v37
	v_mov_b32_e32 v36, 0x3ecc95a3
	v_fmac_f32_e32 v36, 0x3e9b6dac, v146
	v_mov_b32_e32 v35, 0x3f2aaada
	v_fmac_f32_e32 v35, v146, v36
	v_cvt_f32_i32_e32 v36, v150
	v_sub_f32_e32 v34, v37, v34
	v_sub_f32_e32 v33, v33, v34
	v_ldexp_f32 v147, v37, 1
	v_mul_f32_e32 v37, v37, v146
	v_mov_b32_e32 v34, 0x3f317218
	s_mov_b32 s64, 0x3f317218
	v_pk_mul_f32 v[34:35], v[36:37], v[34:35]
	v_fma_f32 v146, v36, s64, -v34
	v_fmac_f32_e32 v146, 0xb102e308, v36
	v_pk_add_f32 v[36:37], v[34:35], v[146:147]
	v_sub_f32_e32 v147, v37, v147
	v_ldexp_f32 v33, v33, 1
	v_sub_f32_e32 v147, v35, v147
	v_add_f32_e32 v149, v33, v147
	v_mov_b32_e32 v148, v34
	v_pk_add_f32 v[34:35], v[36:37], v[34:35] neg_lo:[0,1] neg_hi:[0,1]
	v_pk_add_f32 v[150:151], v[36:37], v[148:149]
	v_mov_b32_e32 v35, v151
	v_mov_b32_e32 v147, v36
	v_pk_add_f32 v[160:161], v[146:147], v[34:35] neg_lo:[0,1] neg_hi:[0,1]
	v_pk_add_f32 v[34:35], v[146:147], v[34:35]
	v_mov_b32_e32 v146, v35
	v_pk_add_f32 v[162:163], v[146:147], v[36:37] neg_lo:[0,1] neg_hi:[0,1]
	v_mov_b32_e32 v33, v162
	v_pk_add_f32 v[164:165], v[150:151], v[32:33] neg_lo:[0,1] neg_hi:[0,1]
	v_mov_b32_e32 v34, v151
	v_mov_b32_e32 v150, v37
	;; [unrolled: 1-line block ×4, first 2 shown]
	v_pk_add_f32 v[34:35], v[34:35], v[150:151] neg_lo:[0,1] neg_hi:[0,1]
	v_mov_b32_e32 v148, v149
	v_mov_b32_e32 v149, v36
	v_pk_add_f32 v[34:35], v[148:149], v[34:35] neg_lo:[0,1] neg_hi:[0,1]
	v_mov_b32_e32 v164, v160
	v_pk_add_f32 v[36:37], v[164:165], v[34:35]
	v_mov_b32_e32 v148, v37
	v_pk_add_f32 v[148:149], v[36:37], v[148:149]
	v_pk_add_f32 v[146:147], v[146:147], v[148:149]
	v_mov_b32_e32 v37, v146
	v_pk_add_f32 v[150:151], v[36:37], v[160:161] neg_lo:[0,1] neg_hi:[0,1]
	v_mov_b32_e32 v35, v148
	v_sub_f32_e32 v33, v36, v150
	v_pk_add_f32 v[34:35], v[34:35], v[150:151] neg_lo:[0,1] neg_hi:[0,1]
	v_sub_f32_e32 v33, v160, v33
	s_mov_b32 s65, 0x7f800000
	v_add_f32_e32 v33, v34, v33
	s_mov_b32 s64, 0x33800000
	v_add_f32_e32 v33, v33, v35
	v_cmp_eq_f32_e32 vcc, s65, v166
	v_cmp_lt_f32_e64 s[64:65], |v166|, s64
	v_add_f32_e32 v33, v146, v33
	s_or_b64 vcc, vcc, s[64:65]
	v_cndmask_b32_e32 v33, v33, v166, vcc
	v_add_f32_e32 v34, v32, v33
.LBB512_104:
	s_or_b64 exec, exec, s[60:61]
	v_bfe_u32 v32, v34, 16, 1
	s_movk_i32 vcc_lo, 0x7fff
	v_add3_u32 v32, v34, v32, vcc_lo
	v_lshrrev_b32_e32 v32, 16, v32
	v_mov_b32_e32 v33, 0x7fc0
	v_cmp_o_f32_e32 vcc, v34, v34
	v_cndmask_b32_e32 v32, v33, v32, vcc
	v_and_b32_e32 v33, 0xffff, v32
.LBB512_105:
	s_or_b64 exec, exec, s[62:63]
	s_nop 0
	v_mov_b32_dpp v34, v33 row_shr:2 row_mask:0xf bank_mask:0xf
	v_cmp_lt_u32_e32 vcc, 1, v30
	s_and_saveexec_b64 s[62:63], vcc
	s_cbranch_execz .LBB512_109
; %bb.106:
	v_lshlrev_b32_e32 v34, 16, v34
	v_lshlrev_b32_e32 v32, 16, v33
	v_max_f32_e32 v35, v32, v32
	v_max_f32_e32 v36, v34, v34
	v_min_f32_e32 v33, v36, v35
	v_cmp_u_f32_e32 vcc, v34, v34
	v_max_f32_e32 v35, v36, v35
	v_cndmask_b32_e32 v33, v33, v34, vcc
	v_cmp_u_f32_e64 s[60:61], v32, v32
	v_cndmask_b32_e32 v35, v35, v34, vcc
	v_cndmask_b32_e64 v33, v33, v32, s[60:61]
	v_cndmask_b32_e64 v32, v35, v32, s[60:61]
	s_movk_i32 s60, 0x1f8
	v_cmp_neq_f32_e32 vcc, v33, v32
	v_cmp_class_f32_e64 s[60:61], v33, s60
	s_or_b64 vcc, vcc, s[60:61]
	s_and_saveexec_b64 s[60:61], vcc
	s_cbranch_execz .LBB512_108
; %bb.107:
	v_sub_f32_e32 v33, v33, v32
	s_mov_b32 s64, 0x3fb8aa3b
	v_mul_f32_e32 v34, 0x3fb8aa3b, v33
	v_fma_f32 v35, v33, s64, -v34
	v_rndne_f32_e32 v36, v34
	v_fmac_f32_e32 v35, 0x32a5705f, v33
	v_sub_f32_e32 v34, v34, v36
	v_add_f32_e32 v34, v34, v35
	v_exp_f32_e32 v34, v34
	v_cvt_i32_f32_e32 v35, v36
	s_mov_b32 s64, 0xc2ce8ed0
	v_cmp_ngt_f32_e32 vcc, s64, v33
	s_mov_b32 s64, 0x42b17218
	v_ldexp_f32 v34, v34, v35
	v_cndmask_b32_e32 v34, 0, v34, vcc
	v_mov_b32_e32 v35, 0x7f800000
	v_cmp_nlt_f32_e32 vcc, s64, v33
	v_cndmask_b32_e32 v166, v35, v34, vcc
	v_add_f32_e32 v33, 1.0, v166
	v_add_f32_e32 v34, -1.0, v33
	v_sub_f32_e32 v35, v34, v33
	v_add_f32_e32 v35, 1.0, v35
	v_sub_f32_e32 v34, v166, v34
	v_add_f32_e32 v36, v34, v35
	v_frexp_mant_f32_e32 v37, v33
	s_mov_b32 s64, 0x3f2aaaab
	v_cvt_f64_f32_e32 v[34:35], v33
	v_frexp_exp_i32_f64_e32 v34, v[34:35]
	v_cmp_gt_f32_e32 vcc, s64, v37
	v_subbrev_co_u32_e32 v150, vcc, 0, v34, vcc
	v_sub_u32_e32 v34, 0, v150
	v_ldexp_f32 v33, v33, v34
	v_ldexp_f32 v34, v36, v34
	v_add_f32_e32 v36, -1.0, v33
	v_add_f32_e32 v35, 1.0, v36
	v_sub_f32_e32 v35, v33, v35
	v_add_f32_e32 v37, v34, v35
	v_add_f32_e32 v35, 1.0, v33
	v_add_f32_e32 v146, -1.0, v35
	v_sub_f32_e32 v33, v33, v146
	v_add_f32_e32 v33, v34, v33
	v_add_f32_e32 v151, v35, v33
	v_rcp_f32_e32 v160, v151
	v_sub_f32_e32 v34, v35, v151
	v_add_f32_e32 v35, v36, v37
	v_add_f32_e32 v33, v33, v34
	v_mul_f32_e32 v162, v35, v160
	v_sub_f32_e32 v34, v36, v35
	v_mul_f32_e32 v36, v151, v162
	v_fma_f32 v146, v162, v151, -v36
	v_fmac_f32_e32 v146, v162, v33
	v_add_f32_e32 v161, v37, v34
	v_add_f32_e32 v34, v36, v146
	v_sub_f32_e32 v37, v35, v34
	v_pk_add_f32 v[148:149], v[34:35], v[36:37] neg_lo:[0,1] neg_hi:[0,1]
	v_mov_b32_e32 v147, v34
	v_pk_add_f32 v[34:35], v[148:149], v[146:147] neg_lo:[0,1] neg_hi:[0,1]
	v_add_f32_e32 v35, v161, v35
	v_add_f32_e32 v34, v34, v35
	;; [unrolled: 1-line block ×3, first 2 shown]
	v_mul_f32_e32 v161, v160, v35
	v_mul_f32_e32 v36, v151, v161
	v_fma_f32 v146, v161, v151, -v36
	v_fmac_f32_e32 v146, v161, v33
	v_sub_f32_e32 v33, v37, v35
	v_add_f32_e32 v33, v34, v33
	v_add_f32_e32 v34, v36, v146
	v_sub_f32_e32 v37, v35, v34
	v_pk_add_f32 v[148:149], v[34:35], v[36:37] neg_lo:[0,1] neg_hi:[0,1]
	v_mov_b32_e32 v147, v34
	v_pk_add_f32 v[34:35], v[148:149], v[146:147] neg_lo:[0,1] neg_hi:[0,1]
	v_add_f32_e32 v33, v33, v35
	v_add_f32_e32 v33, v34, v33
	;; [unrolled: 1-line block ×4, first 2 shown]
	v_sub_f32_e32 v35, v34, v162
	v_mul_f32_e32 v33, v160, v33
	v_sub_f32_e32 v35, v161, v35
	v_add_f32_e32 v33, v35, v33
	v_add_f32_e32 v37, v34, v33
	v_mul_f32_e32 v146, v37, v37
	v_mov_b32_e32 v36, 0x3ecc95a3
	v_fmac_f32_e32 v36, 0x3e9b6dac, v146
	v_mov_b32_e32 v35, 0x3f2aaada
	v_fmac_f32_e32 v35, v146, v36
	v_cvt_f32_i32_e32 v36, v150
	v_sub_f32_e32 v34, v37, v34
	v_sub_f32_e32 v33, v33, v34
	v_ldexp_f32 v147, v37, 1
	v_mul_f32_e32 v37, v37, v146
	v_mov_b32_e32 v34, 0x3f317218
	s_mov_b32 s64, 0x3f317218
	v_pk_mul_f32 v[34:35], v[36:37], v[34:35]
	v_fma_f32 v146, v36, s64, -v34
	v_fmac_f32_e32 v146, 0xb102e308, v36
	v_pk_add_f32 v[36:37], v[34:35], v[146:147]
	v_sub_f32_e32 v147, v37, v147
	v_ldexp_f32 v33, v33, 1
	v_sub_f32_e32 v147, v35, v147
	v_add_f32_e32 v149, v33, v147
	v_mov_b32_e32 v148, v34
	v_pk_add_f32 v[34:35], v[36:37], v[34:35] neg_lo:[0,1] neg_hi:[0,1]
	v_pk_add_f32 v[150:151], v[36:37], v[148:149]
	v_mov_b32_e32 v35, v151
	v_mov_b32_e32 v147, v36
	v_pk_add_f32 v[160:161], v[146:147], v[34:35] neg_lo:[0,1] neg_hi:[0,1]
	v_pk_add_f32 v[34:35], v[146:147], v[34:35]
	v_mov_b32_e32 v146, v35
	v_pk_add_f32 v[162:163], v[146:147], v[36:37] neg_lo:[0,1] neg_hi:[0,1]
	v_mov_b32_e32 v33, v162
	v_pk_add_f32 v[164:165], v[150:151], v[32:33] neg_lo:[0,1] neg_hi:[0,1]
	v_mov_b32_e32 v34, v151
	v_mov_b32_e32 v150, v37
	;; [unrolled: 1-line block ×4, first 2 shown]
	v_pk_add_f32 v[34:35], v[34:35], v[150:151] neg_lo:[0,1] neg_hi:[0,1]
	v_mov_b32_e32 v148, v149
	v_mov_b32_e32 v149, v36
	v_pk_add_f32 v[34:35], v[148:149], v[34:35] neg_lo:[0,1] neg_hi:[0,1]
	v_mov_b32_e32 v164, v160
	v_pk_add_f32 v[36:37], v[164:165], v[34:35]
	v_mov_b32_e32 v148, v37
	v_pk_add_f32 v[148:149], v[36:37], v[148:149]
	v_pk_add_f32 v[146:147], v[146:147], v[148:149]
	v_mov_b32_e32 v37, v146
	v_pk_add_f32 v[150:151], v[36:37], v[160:161] neg_lo:[0,1] neg_hi:[0,1]
	v_mov_b32_e32 v35, v148
	v_sub_f32_e32 v33, v36, v150
	v_pk_add_f32 v[34:35], v[34:35], v[150:151] neg_lo:[0,1] neg_hi:[0,1]
	v_sub_f32_e32 v33, v160, v33
	s_mov_b32 s65, 0x7f800000
	v_add_f32_e32 v33, v34, v33
	s_mov_b32 s64, 0x33800000
	v_add_f32_e32 v33, v33, v35
	v_cmp_eq_f32_e32 vcc, s65, v166
	v_cmp_lt_f32_e64 s[64:65], |v166|, s64
	v_add_f32_e32 v33, v146, v33
	s_or_b64 vcc, vcc, s[64:65]
	v_cndmask_b32_e32 v33, v33, v166, vcc
	v_add_f32_e32 v34, v32, v33
.LBB512_108:
	s_or_b64 exec, exec, s[60:61]
	v_bfe_u32 v32, v34, 16, 1
	s_movk_i32 vcc_lo, 0x7fff
	v_add3_u32 v32, v34, v32, vcc_lo
	v_lshrrev_b32_e32 v32, 16, v32
	v_mov_b32_e32 v33, 0x7fc0
	v_cmp_o_f32_e32 vcc, v34, v34
	v_cndmask_b32_e32 v32, v33, v32, vcc
	v_and_b32_e32 v33, 0xffff, v32
.LBB512_109:
	s_or_b64 exec, exec, s[62:63]
	s_nop 0
	v_mov_b32_dpp v34, v33 row_shr:4 row_mask:0xf bank_mask:0xf
	v_cmp_lt_u32_e32 vcc, 3, v30
	s_and_saveexec_b64 s[62:63], vcc
	s_cbranch_execz .LBB512_113
; %bb.110:
	v_lshlrev_b32_e32 v34, 16, v34
	v_lshlrev_b32_e32 v32, 16, v33
	v_max_f32_e32 v35, v32, v32
	v_max_f32_e32 v36, v34, v34
	v_min_f32_e32 v33, v36, v35
	v_cmp_u_f32_e32 vcc, v34, v34
	v_max_f32_e32 v35, v36, v35
	v_cndmask_b32_e32 v33, v33, v34, vcc
	v_cmp_u_f32_e64 s[60:61], v32, v32
	v_cndmask_b32_e32 v35, v35, v34, vcc
	v_cndmask_b32_e64 v33, v33, v32, s[60:61]
	v_cndmask_b32_e64 v32, v35, v32, s[60:61]
	s_movk_i32 s60, 0x1f8
	v_cmp_neq_f32_e32 vcc, v33, v32
	v_cmp_class_f32_e64 s[60:61], v33, s60
	s_or_b64 vcc, vcc, s[60:61]
	s_and_saveexec_b64 s[60:61], vcc
	s_cbranch_execz .LBB512_112
; %bb.111:
	v_sub_f32_e32 v33, v33, v32
	s_mov_b32 s64, 0x3fb8aa3b
	v_mul_f32_e32 v34, 0x3fb8aa3b, v33
	v_fma_f32 v35, v33, s64, -v34
	v_rndne_f32_e32 v36, v34
	v_fmac_f32_e32 v35, 0x32a5705f, v33
	v_sub_f32_e32 v34, v34, v36
	v_add_f32_e32 v34, v34, v35
	v_exp_f32_e32 v34, v34
	v_cvt_i32_f32_e32 v35, v36
	s_mov_b32 s64, 0xc2ce8ed0
	v_cmp_ngt_f32_e32 vcc, s64, v33
	s_mov_b32 s64, 0x42b17218
	v_ldexp_f32 v34, v34, v35
	v_cndmask_b32_e32 v34, 0, v34, vcc
	v_mov_b32_e32 v35, 0x7f800000
	v_cmp_nlt_f32_e32 vcc, s64, v33
	v_cndmask_b32_e32 v166, v35, v34, vcc
	v_add_f32_e32 v33, 1.0, v166
	v_add_f32_e32 v34, -1.0, v33
	v_sub_f32_e32 v35, v34, v33
	v_add_f32_e32 v35, 1.0, v35
	v_sub_f32_e32 v34, v166, v34
	v_add_f32_e32 v36, v34, v35
	v_frexp_mant_f32_e32 v37, v33
	s_mov_b32 s64, 0x3f2aaaab
	v_cvt_f64_f32_e32 v[34:35], v33
	v_frexp_exp_i32_f64_e32 v34, v[34:35]
	v_cmp_gt_f32_e32 vcc, s64, v37
	v_subbrev_co_u32_e32 v150, vcc, 0, v34, vcc
	v_sub_u32_e32 v34, 0, v150
	v_ldexp_f32 v33, v33, v34
	v_ldexp_f32 v34, v36, v34
	v_add_f32_e32 v36, -1.0, v33
	v_add_f32_e32 v35, 1.0, v36
	v_sub_f32_e32 v35, v33, v35
	v_add_f32_e32 v37, v34, v35
	v_add_f32_e32 v35, 1.0, v33
	v_add_f32_e32 v146, -1.0, v35
	v_sub_f32_e32 v33, v33, v146
	v_add_f32_e32 v33, v34, v33
	v_add_f32_e32 v151, v35, v33
	v_rcp_f32_e32 v160, v151
	v_sub_f32_e32 v34, v35, v151
	v_add_f32_e32 v35, v36, v37
	v_add_f32_e32 v33, v33, v34
	v_mul_f32_e32 v162, v35, v160
	v_sub_f32_e32 v34, v36, v35
	v_mul_f32_e32 v36, v151, v162
	v_fma_f32 v146, v162, v151, -v36
	v_fmac_f32_e32 v146, v162, v33
	v_add_f32_e32 v161, v37, v34
	v_add_f32_e32 v34, v36, v146
	v_sub_f32_e32 v37, v35, v34
	v_pk_add_f32 v[148:149], v[34:35], v[36:37] neg_lo:[0,1] neg_hi:[0,1]
	v_mov_b32_e32 v147, v34
	v_pk_add_f32 v[34:35], v[148:149], v[146:147] neg_lo:[0,1] neg_hi:[0,1]
	v_add_f32_e32 v35, v161, v35
	v_add_f32_e32 v34, v34, v35
	;; [unrolled: 1-line block ×3, first 2 shown]
	v_mul_f32_e32 v161, v160, v35
	v_mul_f32_e32 v36, v151, v161
	v_fma_f32 v146, v161, v151, -v36
	v_fmac_f32_e32 v146, v161, v33
	v_sub_f32_e32 v33, v37, v35
	v_add_f32_e32 v33, v34, v33
	v_add_f32_e32 v34, v36, v146
	v_sub_f32_e32 v37, v35, v34
	v_pk_add_f32 v[148:149], v[34:35], v[36:37] neg_lo:[0,1] neg_hi:[0,1]
	v_mov_b32_e32 v147, v34
	v_pk_add_f32 v[34:35], v[148:149], v[146:147] neg_lo:[0,1] neg_hi:[0,1]
	v_add_f32_e32 v33, v33, v35
	v_add_f32_e32 v33, v34, v33
	;; [unrolled: 1-line block ×4, first 2 shown]
	v_sub_f32_e32 v35, v34, v162
	v_mul_f32_e32 v33, v160, v33
	v_sub_f32_e32 v35, v161, v35
	v_add_f32_e32 v33, v35, v33
	v_add_f32_e32 v37, v34, v33
	v_mul_f32_e32 v146, v37, v37
	v_mov_b32_e32 v36, 0x3ecc95a3
	v_fmac_f32_e32 v36, 0x3e9b6dac, v146
	v_mov_b32_e32 v35, 0x3f2aaada
	v_fmac_f32_e32 v35, v146, v36
	v_cvt_f32_i32_e32 v36, v150
	v_sub_f32_e32 v34, v37, v34
	v_sub_f32_e32 v33, v33, v34
	v_ldexp_f32 v147, v37, 1
	v_mul_f32_e32 v37, v37, v146
	v_mov_b32_e32 v34, 0x3f317218
	s_mov_b32 s64, 0x3f317218
	v_pk_mul_f32 v[34:35], v[36:37], v[34:35]
	v_fma_f32 v146, v36, s64, -v34
	v_fmac_f32_e32 v146, 0xb102e308, v36
	v_pk_add_f32 v[36:37], v[34:35], v[146:147]
	v_sub_f32_e32 v147, v37, v147
	v_ldexp_f32 v33, v33, 1
	v_sub_f32_e32 v147, v35, v147
	v_add_f32_e32 v149, v33, v147
	v_mov_b32_e32 v148, v34
	v_pk_add_f32 v[34:35], v[36:37], v[34:35] neg_lo:[0,1] neg_hi:[0,1]
	v_pk_add_f32 v[150:151], v[36:37], v[148:149]
	v_mov_b32_e32 v35, v151
	v_mov_b32_e32 v147, v36
	v_pk_add_f32 v[160:161], v[146:147], v[34:35] neg_lo:[0,1] neg_hi:[0,1]
	v_pk_add_f32 v[34:35], v[146:147], v[34:35]
	v_mov_b32_e32 v146, v35
	v_pk_add_f32 v[162:163], v[146:147], v[36:37] neg_lo:[0,1] neg_hi:[0,1]
	v_mov_b32_e32 v33, v162
	v_pk_add_f32 v[164:165], v[150:151], v[32:33] neg_lo:[0,1] neg_hi:[0,1]
	v_mov_b32_e32 v34, v151
	v_mov_b32_e32 v150, v37
	;; [unrolled: 1-line block ×4, first 2 shown]
	v_pk_add_f32 v[34:35], v[34:35], v[150:151] neg_lo:[0,1] neg_hi:[0,1]
	v_mov_b32_e32 v148, v149
	v_mov_b32_e32 v149, v36
	v_pk_add_f32 v[34:35], v[148:149], v[34:35] neg_lo:[0,1] neg_hi:[0,1]
	v_mov_b32_e32 v164, v160
	v_pk_add_f32 v[36:37], v[164:165], v[34:35]
	v_mov_b32_e32 v148, v37
	v_pk_add_f32 v[148:149], v[36:37], v[148:149]
	v_pk_add_f32 v[146:147], v[146:147], v[148:149]
	v_mov_b32_e32 v37, v146
	v_pk_add_f32 v[150:151], v[36:37], v[160:161] neg_lo:[0,1] neg_hi:[0,1]
	v_mov_b32_e32 v35, v148
	v_sub_f32_e32 v33, v36, v150
	v_pk_add_f32 v[34:35], v[34:35], v[150:151] neg_lo:[0,1] neg_hi:[0,1]
	v_sub_f32_e32 v33, v160, v33
	s_mov_b32 s65, 0x7f800000
	v_add_f32_e32 v33, v34, v33
	s_mov_b32 s64, 0x33800000
	v_add_f32_e32 v33, v33, v35
	v_cmp_eq_f32_e32 vcc, s65, v166
	v_cmp_lt_f32_e64 s[64:65], |v166|, s64
	v_add_f32_e32 v33, v146, v33
	s_or_b64 vcc, vcc, s[64:65]
	v_cndmask_b32_e32 v33, v33, v166, vcc
	v_add_f32_e32 v34, v32, v33
.LBB512_112:
	s_or_b64 exec, exec, s[60:61]
	v_bfe_u32 v32, v34, 16, 1
	s_movk_i32 vcc_lo, 0x7fff
	v_add3_u32 v32, v34, v32, vcc_lo
	v_lshrrev_b32_e32 v32, 16, v32
	v_mov_b32_e32 v33, 0x7fc0
	v_cmp_o_f32_e32 vcc, v34, v34
	v_cndmask_b32_e32 v32, v33, v32, vcc
	v_and_b32_e32 v33, 0xffff, v32
.LBB512_113:
	s_or_b64 exec, exec, s[62:63]
	s_nop 0
	v_mov_b32_dpp v34, v33 row_shr:8 row_mask:0xf bank_mask:0xf
	v_cmp_lt_u32_e32 vcc, 7, v30
	s_and_saveexec_b64 s[62:63], vcc
	s_cbranch_execz .LBB512_117
; %bb.114:
	v_lshlrev_b32_e32 v32, 16, v34
	v_lshlrev_b32_e32 v30, 16, v33
	v_max_f32_e32 v34, v30, v30
	v_max_f32_e32 v35, v32, v32
	v_min_f32_e32 v33, v35, v34
	v_cmp_u_f32_e32 vcc, v32, v32
	v_max_f32_e32 v34, v35, v34
	v_cndmask_b32_e32 v33, v33, v32, vcc
	v_cmp_u_f32_e64 s[60:61], v30, v30
	v_cndmask_b32_e32 v34, v34, v32, vcc
	v_cndmask_b32_e64 v33, v33, v30, s[60:61]
	v_cndmask_b32_e64 v30, v34, v30, s[60:61]
	s_movk_i32 s60, 0x1f8
	v_cmp_neq_f32_e32 vcc, v33, v30
	v_cmp_class_f32_e64 s[60:61], v33, s60
	s_or_b64 vcc, vcc, s[60:61]
	s_and_saveexec_b64 s[60:61], vcc
	s_cbranch_execz .LBB512_116
; %bb.115:
	v_sub_f32_e32 v32, v33, v30
	s_mov_b32 s64, 0x3fb8aa3b
	v_mul_f32_e32 v33, 0x3fb8aa3b, v32
	v_fma_f32 v34, v32, s64, -v33
	v_rndne_f32_e32 v35, v33
	v_fmac_f32_e32 v34, 0x32a5705f, v32
	v_sub_f32_e32 v33, v33, v35
	v_add_f32_e32 v33, v33, v34
	v_exp_f32_e32 v33, v33
	v_cvt_i32_f32_e32 v34, v35
	s_mov_b32 s64, 0xc2ce8ed0
	v_cmp_ngt_f32_e32 vcc, s64, v32
	s_mov_b32 s64, 0x42b17218
	v_ldexp_f32 v33, v33, v34
	v_cndmask_b32_e32 v33, 0, v33, vcc
	v_mov_b32_e32 v34, 0x7f800000
	v_cmp_nlt_f32_e32 vcc, s64, v32
	v_cndmask_b32_e32 v164, v34, v33, vcc
	v_add_f32_e32 v34, 1.0, v164
	v_add_f32_e32 v32, -1.0, v34
	v_sub_f32_e32 v33, v32, v34
	v_add_f32_e32 v33, 1.0, v33
	v_sub_f32_e32 v32, v164, v32
	v_add_f32_e32 v35, v32, v33
	v_frexp_mant_f32_e32 v36, v34
	s_mov_b32 s64, 0x3f2aaaab
	v_cvt_f64_f32_e32 v[32:33], v34
	v_frexp_exp_i32_f64_e32 v32, v[32:33]
	v_cmp_gt_f32_e32 vcc, s64, v36
	v_subbrev_co_u32_e32 v148, vcc, 0, v32, vcc
	v_sub_u32_e32 v32, 0, v148
	v_ldexp_f32 v33, v34, v32
	v_add_f32_e32 v34, -1.0, v33
	v_add_f32_e32 v36, 1.0, v33
	v_ldexp_f32 v32, v35, v32
	v_add_f32_e32 v35, 1.0, v34
	v_add_f32_e32 v37, -1.0, v36
	v_sub_f32_e32 v35, v33, v35
	v_sub_f32_e32 v33, v33, v37
	v_add_f32_e32 v35, v32, v35
	v_add_f32_e32 v32, v32, v33
	;; [unrolled: 1-line block ×3, first 2 shown]
	v_rcp_f32_e32 v151, v149
	v_sub_f32_e32 v33, v36, v149
	v_add_f32_e32 v150, v32, v33
	v_add_f32_e32 v33, v34, v35
	v_mul_f32_e32 v161, v33, v151
	v_sub_f32_e32 v32, v34, v33
	v_mul_f32_e32 v34, v149, v161
	v_fma_f32 v36, v161, v149, -v34
	v_fmac_f32_e32 v36, v161, v150
	v_add_f32_e32 v160, v35, v32
	v_add_f32_e32 v32, v34, v36
	v_sub_f32_e32 v35, v33, v32
	v_pk_add_f32 v[146:147], v[32:33], v[34:35] neg_lo:[0,1] neg_hi:[0,1]
	v_mov_b32_e32 v37, v32
	v_pk_add_f32 v[32:33], v[146:147], v[36:37] neg_lo:[0,1] neg_hi:[0,1]
	v_add_f32_e32 v33, v160, v33
	v_add_f32_e32 v32, v32, v33
	;; [unrolled: 1-line block ×3, first 2 shown]
	v_mul_f32_e32 v160, v151, v33
	v_mul_f32_e32 v34, v149, v160
	v_fma_f32 v36, v160, v149, -v34
	v_fmac_f32_e32 v36, v160, v150
	v_sub_f32_e32 v35, v35, v33
	v_add_f32_e32 v149, v32, v35
	v_add_f32_e32 v32, v34, v36
	v_sub_f32_e32 v35, v33, v32
	v_pk_add_f32 v[146:147], v[32:33], v[34:35] neg_lo:[0,1] neg_hi:[0,1]
	v_mov_b32_e32 v37, v32
	v_pk_add_f32 v[32:33], v[146:147], v[36:37] neg_lo:[0,1] neg_hi:[0,1]
	v_add_f32_e32 v33, v149, v33
	v_add_f32_e32 v32, v32, v33
	;; [unrolled: 1-line block ×4, first 2 shown]
	v_sub_f32_e32 v33, v35, v161
	v_mul_f32_e32 v32, v151, v32
	v_sub_f32_e32 v33, v160, v33
	v_add_f32_e32 v32, v33, v32
	v_add_f32_e32 v36, v35, v32
	v_mul_f32_e32 v146, v36, v36
	v_mov_b32_e32 v34, 0x3ecc95a3
	v_fmac_f32_e32 v34, 0x3e9b6dac, v146
	v_mov_b32_e32 v33, 0x3f2aaada
	v_fmac_f32_e32 v33, v146, v34
	v_cvt_f32_i32_e32 v34, v148
	v_sub_f32_e32 v35, v36, v35
	v_sub_f32_e32 v32, v32, v35
	v_ldexp_f32 v147, v32, 1
	v_mul_f32_e32 v35, v36, v146
	v_mov_b32_e32 v32, 0x3f317218
	s_mov_b32 s64, 0x3f317218
	v_pk_mul_f32 v[32:33], v[34:35], v[32:33]
	v_ldexp_f32 v37, v36, 1
	v_fma_f32 v36, v34, s64, -v32
	v_fmac_f32_e32 v36, 0xb102e308, v34
	v_pk_add_f32 v[34:35], v[32:33], v[36:37]
	v_sub_f32_e32 v37, v35, v37
	v_sub_f32_e32 v37, v33, v37
	v_add_f32_e32 v147, v147, v37
	v_mov_b32_e32 v146, v32
	v_pk_add_f32 v[32:33], v[34:35], v[32:33] neg_lo:[0,1] neg_hi:[0,1]
	v_pk_add_f32 v[148:149], v[34:35], v[146:147]
	v_mov_b32_e32 v33, v149
	v_mov_b32_e32 v37, v34
	v_pk_add_f32 v[150:151], v[36:37], v[32:33] neg_lo:[0,1] neg_hi:[0,1]
	v_pk_add_f32 v[32:33], v[36:37], v[32:33]
	v_mov_b32_e32 v36, v33
	v_pk_add_f32 v[160:161], v[36:37], v[34:35] neg_lo:[0,1] neg_hi:[0,1]
	v_mov_b32_e32 v37, v160
	v_pk_add_f32 v[162:163], v[148:149], v[36:37] neg_lo:[0,1] neg_hi:[0,1]
	v_mov_b32_e32 v32, v149
	v_mov_b32_e32 v148, v35
	;; [unrolled: 1-line block ×4, first 2 shown]
	v_pk_add_f32 v[32:33], v[32:33], v[148:149] neg_lo:[0,1] neg_hi:[0,1]
	v_mov_b32_e32 v146, v147
	v_mov_b32_e32 v147, v34
	v_pk_add_f32 v[32:33], v[146:147], v[32:33] neg_lo:[0,1] neg_hi:[0,1]
	v_mov_b32_e32 v162, v150
	v_pk_add_f32 v[34:35], v[162:163], v[32:33]
	v_mov_b32_e32 v146, v35
	v_pk_add_f32 v[146:147], v[34:35], v[146:147]
	v_pk_add_f32 v[36:37], v[36:37], v[146:147]
	v_mov_b32_e32 v35, v36
	v_pk_add_f32 v[148:149], v[34:35], v[150:151] neg_lo:[0,1] neg_hi:[0,1]
	v_mov_b32_e32 v33, v146
	v_sub_f32_e32 v34, v34, v148
	v_pk_add_f32 v[32:33], v[32:33], v[148:149] neg_lo:[0,1] neg_hi:[0,1]
	v_sub_f32_e32 v34, v150, v34
	s_mov_b32 s65, 0x7f800000
	v_add_f32_e32 v32, v32, v34
	s_mov_b32 s64, 0x33800000
	v_add_f32_e32 v32, v32, v33
	v_cmp_eq_f32_e32 vcc, s65, v164
	v_cmp_lt_f32_e64 s[64:65], |v164|, s64
	v_add_f32_e32 v32, v36, v32
	s_or_b64 vcc, vcc, s[64:65]
	v_cndmask_b32_e32 v32, v32, v164, vcc
	v_add_f32_e32 v32, v30, v32
.LBB512_116:
	s_or_b64 exec, exec, s[60:61]
	v_bfe_u32 v30, v32, 16, 1
	s_movk_i32 vcc_lo, 0x7fff
	v_add3_u32 v30, v32, v30, vcc_lo
	v_lshrrev_b32_e32 v30, 16, v30
	v_mov_b32_e32 v33, 0x7fc0
	v_cmp_o_f32_e32 vcc, v32, v32
	v_cndmask_b32_e32 v32, v33, v30, vcc
	v_and_b32_e32 v33, 0xffff, v32
.LBB512_117:
	s_or_b64 exec, exec, s[62:63]
	v_and_b32_e32 v34, 16, v31
	v_mov_b32_dpp v30, v33 row_bcast:15 row_mask:0xf bank_mask:0xf
	v_cmp_ne_u32_e32 vcc, 0, v34
	s_and_saveexec_b64 s[62:63], vcc
	s_cbranch_execz .LBB512_121
; %bb.118:
	v_lshlrev_b32_e32 v32, 16, v30
	v_lshlrev_b32_e32 v30, 16, v33
	v_max_f32_e32 v34, v30, v30
	v_max_f32_e32 v35, v32, v32
	v_min_f32_e32 v33, v35, v34
	v_cmp_u_f32_e32 vcc, v32, v32
	v_max_f32_e32 v34, v35, v34
	v_cndmask_b32_e32 v33, v33, v32, vcc
	v_cmp_u_f32_e64 s[60:61], v30, v30
	v_cndmask_b32_e32 v34, v34, v32, vcc
	v_cndmask_b32_e64 v33, v33, v30, s[60:61]
	v_cndmask_b32_e64 v30, v34, v30, s[60:61]
	s_movk_i32 s60, 0x1f8
	v_cmp_neq_f32_e32 vcc, v33, v30
	v_cmp_class_f32_e64 s[60:61], v33, s60
	s_or_b64 vcc, vcc, s[60:61]
	s_and_saveexec_b64 s[60:61], vcc
	s_cbranch_execz .LBB512_120
; %bb.119:
	v_sub_f32_e32 v32, v33, v30
	s_mov_b32 s64, 0x3fb8aa3b
	v_mul_f32_e32 v33, 0x3fb8aa3b, v32
	v_fma_f32 v34, v32, s64, -v33
	v_rndne_f32_e32 v35, v33
	v_fmac_f32_e32 v34, 0x32a5705f, v32
	v_sub_f32_e32 v33, v33, v35
	v_add_f32_e32 v33, v33, v34
	v_exp_f32_e32 v33, v33
	v_cvt_i32_f32_e32 v34, v35
	s_mov_b32 s64, 0xc2ce8ed0
	v_cmp_ngt_f32_e32 vcc, s64, v32
	s_mov_b32 s64, 0x42b17218
	v_ldexp_f32 v33, v33, v34
	v_cndmask_b32_e32 v33, 0, v33, vcc
	v_mov_b32_e32 v34, 0x7f800000
	v_cmp_nlt_f32_e32 vcc, s64, v32
	v_cndmask_b32_e32 v164, v34, v33, vcc
	v_add_f32_e32 v34, 1.0, v164
	v_add_f32_e32 v32, -1.0, v34
	v_sub_f32_e32 v33, v32, v34
	v_add_f32_e32 v33, 1.0, v33
	v_sub_f32_e32 v32, v164, v32
	v_add_f32_e32 v35, v32, v33
	v_frexp_mant_f32_e32 v36, v34
	s_mov_b32 s64, 0x3f2aaaab
	v_cvt_f64_f32_e32 v[32:33], v34
	v_frexp_exp_i32_f64_e32 v32, v[32:33]
	v_cmp_gt_f32_e32 vcc, s64, v36
	v_subbrev_co_u32_e32 v148, vcc, 0, v32, vcc
	v_sub_u32_e32 v32, 0, v148
	v_ldexp_f32 v33, v34, v32
	v_add_f32_e32 v34, -1.0, v33
	v_add_f32_e32 v36, 1.0, v33
	v_ldexp_f32 v32, v35, v32
	v_add_f32_e32 v35, 1.0, v34
	v_add_f32_e32 v37, -1.0, v36
	v_sub_f32_e32 v35, v33, v35
	v_sub_f32_e32 v33, v33, v37
	v_add_f32_e32 v35, v32, v35
	v_add_f32_e32 v32, v32, v33
	;; [unrolled: 1-line block ×3, first 2 shown]
	v_rcp_f32_e32 v151, v149
	v_sub_f32_e32 v33, v36, v149
	v_add_f32_e32 v150, v32, v33
	v_add_f32_e32 v33, v34, v35
	v_mul_f32_e32 v161, v33, v151
	v_sub_f32_e32 v32, v34, v33
	v_mul_f32_e32 v34, v149, v161
	v_fma_f32 v36, v161, v149, -v34
	v_fmac_f32_e32 v36, v161, v150
	v_add_f32_e32 v160, v35, v32
	v_add_f32_e32 v32, v34, v36
	v_sub_f32_e32 v35, v33, v32
	v_pk_add_f32 v[146:147], v[32:33], v[34:35] neg_lo:[0,1] neg_hi:[0,1]
	v_mov_b32_e32 v37, v32
	v_pk_add_f32 v[32:33], v[146:147], v[36:37] neg_lo:[0,1] neg_hi:[0,1]
	v_add_f32_e32 v33, v160, v33
	v_add_f32_e32 v32, v32, v33
	;; [unrolled: 1-line block ×3, first 2 shown]
	v_mul_f32_e32 v160, v151, v33
	v_mul_f32_e32 v34, v149, v160
	v_fma_f32 v36, v160, v149, -v34
	v_fmac_f32_e32 v36, v160, v150
	v_sub_f32_e32 v35, v35, v33
	v_add_f32_e32 v149, v32, v35
	v_add_f32_e32 v32, v34, v36
	v_sub_f32_e32 v35, v33, v32
	v_pk_add_f32 v[146:147], v[32:33], v[34:35] neg_lo:[0,1] neg_hi:[0,1]
	v_mov_b32_e32 v37, v32
	v_pk_add_f32 v[32:33], v[146:147], v[36:37] neg_lo:[0,1] neg_hi:[0,1]
	v_add_f32_e32 v33, v149, v33
	v_add_f32_e32 v32, v32, v33
	;; [unrolled: 1-line block ×4, first 2 shown]
	v_sub_f32_e32 v33, v35, v161
	v_mul_f32_e32 v32, v151, v32
	v_sub_f32_e32 v33, v160, v33
	v_add_f32_e32 v32, v33, v32
	v_add_f32_e32 v36, v35, v32
	v_mul_f32_e32 v146, v36, v36
	v_mov_b32_e32 v34, 0x3ecc95a3
	v_fmac_f32_e32 v34, 0x3e9b6dac, v146
	v_mov_b32_e32 v33, 0x3f2aaada
	v_fmac_f32_e32 v33, v146, v34
	v_cvt_f32_i32_e32 v34, v148
	v_sub_f32_e32 v35, v36, v35
	v_sub_f32_e32 v32, v32, v35
	v_ldexp_f32 v147, v32, 1
	v_mul_f32_e32 v35, v36, v146
	v_mov_b32_e32 v32, 0x3f317218
	s_mov_b32 s64, 0x3f317218
	v_pk_mul_f32 v[32:33], v[34:35], v[32:33]
	v_ldexp_f32 v37, v36, 1
	v_fma_f32 v36, v34, s64, -v32
	v_fmac_f32_e32 v36, 0xb102e308, v34
	v_pk_add_f32 v[34:35], v[32:33], v[36:37]
	v_sub_f32_e32 v37, v35, v37
	v_sub_f32_e32 v37, v33, v37
	v_add_f32_e32 v147, v147, v37
	v_mov_b32_e32 v146, v32
	v_pk_add_f32 v[32:33], v[34:35], v[32:33] neg_lo:[0,1] neg_hi:[0,1]
	v_pk_add_f32 v[148:149], v[34:35], v[146:147]
	v_mov_b32_e32 v33, v149
	v_mov_b32_e32 v37, v34
	v_pk_add_f32 v[150:151], v[36:37], v[32:33] neg_lo:[0,1] neg_hi:[0,1]
	v_pk_add_f32 v[32:33], v[36:37], v[32:33]
	v_mov_b32_e32 v36, v33
	v_pk_add_f32 v[160:161], v[36:37], v[34:35] neg_lo:[0,1] neg_hi:[0,1]
	v_mov_b32_e32 v37, v160
	v_pk_add_f32 v[162:163], v[148:149], v[36:37] neg_lo:[0,1] neg_hi:[0,1]
	v_mov_b32_e32 v32, v149
	v_mov_b32_e32 v148, v35
	;; [unrolled: 1-line block ×4, first 2 shown]
	v_pk_add_f32 v[32:33], v[32:33], v[148:149] neg_lo:[0,1] neg_hi:[0,1]
	v_mov_b32_e32 v146, v147
	v_mov_b32_e32 v147, v34
	v_pk_add_f32 v[32:33], v[146:147], v[32:33] neg_lo:[0,1] neg_hi:[0,1]
	v_mov_b32_e32 v162, v150
	v_pk_add_f32 v[34:35], v[162:163], v[32:33]
	v_mov_b32_e32 v146, v35
	v_pk_add_f32 v[146:147], v[34:35], v[146:147]
	v_pk_add_f32 v[36:37], v[36:37], v[146:147]
	v_mov_b32_e32 v35, v36
	v_pk_add_f32 v[148:149], v[34:35], v[150:151] neg_lo:[0,1] neg_hi:[0,1]
	v_mov_b32_e32 v33, v146
	v_sub_f32_e32 v34, v34, v148
	v_pk_add_f32 v[32:33], v[32:33], v[148:149] neg_lo:[0,1] neg_hi:[0,1]
	v_sub_f32_e32 v34, v150, v34
	s_mov_b32 s65, 0x7f800000
	v_add_f32_e32 v32, v32, v34
	s_mov_b32 s64, 0x33800000
	v_add_f32_e32 v32, v32, v33
	v_cmp_eq_f32_e32 vcc, s65, v164
	v_cmp_lt_f32_e64 s[64:65], |v164|, s64
	v_add_f32_e32 v32, v36, v32
	s_or_b64 vcc, vcc, s[64:65]
	v_cndmask_b32_e32 v32, v32, v164, vcc
	v_add_f32_e32 v32, v30, v32
.LBB512_120:
	s_or_b64 exec, exec, s[60:61]
	v_bfe_u32 v30, v32, 16, 1
	s_movk_i32 vcc_lo, 0x7fff
	v_add3_u32 v30, v32, v30, vcc_lo
	v_lshrrev_b32_e32 v30, 16, v30
	v_mov_b32_e32 v33, 0x7fc0
	v_cmp_o_f32_e32 vcc, v32, v32
	v_cndmask_b32_e32 v32, v33, v30, vcc
	v_and_b32_e32 v33, 0xffff, v32
.LBB512_121:
	s_or_b64 exec, exec, s[62:63]
	s_nop 0
	v_mov_b32_dpp v30, v33 row_bcast:31 row_mask:0xf bank_mask:0xf
	v_cmp_lt_u32_e32 vcc, 31, v31
	s_and_saveexec_b64 s[62:63], vcc
	s_cbranch_execz .LBB512_125
; %bb.122:
	v_lshlrev_b32_e32 v32, 16, v30
	v_lshlrev_b32_e32 v30, 16, v33
	v_max_f32_e32 v34, v30, v30
	v_max_f32_e32 v35, v32, v32
	v_min_f32_e32 v33, v35, v34
	v_cmp_u_f32_e32 vcc, v32, v32
	v_max_f32_e32 v34, v35, v34
	v_cndmask_b32_e32 v33, v33, v32, vcc
	v_cmp_u_f32_e64 s[60:61], v30, v30
	v_cndmask_b32_e32 v34, v34, v32, vcc
	v_cndmask_b32_e64 v33, v33, v30, s[60:61]
	v_cndmask_b32_e64 v30, v34, v30, s[60:61]
	s_movk_i32 s60, 0x1f8
	v_cmp_neq_f32_e32 vcc, v33, v30
	v_cmp_class_f32_e64 s[60:61], v33, s60
	s_or_b64 vcc, vcc, s[60:61]
	s_and_saveexec_b64 s[60:61], vcc
	s_cbranch_execz .LBB512_124
; %bb.123:
	v_sub_f32_e32 v32, v33, v30
	s_mov_b32 s64, 0x3fb8aa3b
	v_mul_f32_e32 v33, 0x3fb8aa3b, v32
	v_fma_f32 v34, v32, s64, -v33
	v_rndne_f32_e32 v35, v33
	v_fmac_f32_e32 v34, 0x32a5705f, v32
	v_sub_f32_e32 v33, v33, v35
	v_add_f32_e32 v33, v33, v34
	v_exp_f32_e32 v33, v33
	v_cvt_i32_f32_e32 v34, v35
	s_mov_b32 s64, 0xc2ce8ed0
	v_cmp_ngt_f32_e32 vcc, s64, v32
	s_mov_b32 s64, 0x42b17218
	v_ldexp_f32 v33, v33, v34
	v_cndmask_b32_e32 v33, 0, v33, vcc
	v_mov_b32_e32 v34, 0x7f800000
	v_cmp_nlt_f32_e32 vcc, s64, v32
	v_cndmask_b32_e32 v164, v34, v33, vcc
	v_add_f32_e32 v34, 1.0, v164
	v_add_f32_e32 v32, -1.0, v34
	v_sub_f32_e32 v33, v32, v34
	v_add_f32_e32 v33, 1.0, v33
	v_sub_f32_e32 v32, v164, v32
	v_add_f32_e32 v35, v32, v33
	v_frexp_mant_f32_e32 v36, v34
	s_mov_b32 s64, 0x3f2aaaab
	v_cvt_f64_f32_e32 v[32:33], v34
	v_frexp_exp_i32_f64_e32 v32, v[32:33]
	v_cmp_gt_f32_e32 vcc, s64, v36
	v_subbrev_co_u32_e32 v148, vcc, 0, v32, vcc
	v_sub_u32_e32 v32, 0, v148
	v_ldexp_f32 v33, v34, v32
	v_add_f32_e32 v34, -1.0, v33
	v_add_f32_e32 v36, 1.0, v33
	v_ldexp_f32 v32, v35, v32
	v_add_f32_e32 v35, 1.0, v34
	v_add_f32_e32 v37, -1.0, v36
	v_sub_f32_e32 v35, v33, v35
	v_sub_f32_e32 v33, v33, v37
	v_add_f32_e32 v35, v32, v35
	v_add_f32_e32 v32, v32, v33
	;; [unrolled: 1-line block ×3, first 2 shown]
	v_rcp_f32_e32 v151, v149
	v_sub_f32_e32 v33, v36, v149
	v_add_f32_e32 v150, v32, v33
	v_add_f32_e32 v33, v34, v35
	v_mul_f32_e32 v161, v33, v151
	v_sub_f32_e32 v32, v34, v33
	v_mul_f32_e32 v34, v149, v161
	v_fma_f32 v36, v161, v149, -v34
	v_fmac_f32_e32 v36, v161, v150
	v_add_f32_e32 v160, v35, v32
	v_add_f32_e32 v32, v34, v36
	v_sub_f32_e32 v35, v33, v32
	v_pk_add_f32 v[146:147], v[32:33], v[34:35] neg_lo:[0,1] neg_hi:[0,1]
	v_mov_b32_e32 v37, v32
	v_pk_add_f32 v[32:33], v[146:147], v[36:37] neg_lo:[0,1] neg_hi:[0,1]
	v_add_f32_e32 v33, v160, v33
	v_add_f32_e32 v32, v32, v33
	;; [unrolled: 1-line block ×3, first 2 shown]
	v_mul_f32_e32 v160, v151, v33
	v_mul_f32_e32 v34, v149, v160
	v_fma_f32 v36, v160, v149, -v34
	v_fmac_f32_e32 v36, v160, v150
	v_sub_f32_e32 v35, v35, v33
	v_add_f32_e32 v149, v32, v35
	v_add_f32_e32 v32, v34, v36
	v_sub_f32_e32 v35, v33, v32
	v_pk_add_f32 v[146:147], v[32:33], v[34:35] neg_lo:[0,1] neg_hi:[0,1]
	v_mov_b32_e32 v37, v32
	v_pk_add_f32 v[32:33], v[146:147], v[36:37] neg_lo:[0,1] neg_hi:[0,1]
	v_add_f32_e32 v33, v149, v33
	v_add_f32_e32 v32, v32, v33
	;; [unrolled: 1-line block ×4, first 2 shown]
	v_sub_f32_e32 v33, v35, v161
	v_mul_f32_e32 v32, v151, v32
	v_sub_f32_e32 v33, v160, v33
	v_add_f32_e32 v32, v33, v32
	v_add_f32_e32 v36, v35, v32
	v_mul_f32_e32 v146, v36, v36
	v_mov_b32_e32 v34, 0x3ecc95a3
	v_fmac_f32_e32 v34, 0x3e9b6dac, v146
	v_mov_b32_e32 v33, 0x3f2aaada
	v_fmac_f32_e32 v33, v146, v34
	v_cvt_f32_i32_e32 v34, v148
	v_sub_f32_e32 v35, v36, v35
	v_sub_f32_e32 v32, v32, v35
	v_ldexp_f32 v147, v32, 1
	v_mul_f32_e32 v35, v36, v146
	v_mov_b32_e32 v32, 0x3f317218
	s_mov_b32 s64, 0x3f317218
	v_pk_mul_f32 v[32:33], v[34:35], v[32:33]
	v_ldexp_f32 v37, v36, 1
	v_fma_f32 v36, v34, s64, -v32
	v_fmac_f32_e32 v36, 0xb102e308, v34
	v_pk_add_f32 v[34:35], v[32:33], v[36:37]
	v_sub_f32_e32 v37, v35, v37
	v_sub_f32_e32 v37, v33, v37
	v_add_f32_e32 v147, v147, v37
	v_mov_b32_e32 v146, v32
	v_pk_add_f32 v[32:33], v[34:35], v[32:33] neg_lo:[0,1] neg_hi:[0,1]
	v_pk_add_f32 v[148:149], v[34:35], v[146:147]
	v_mov_b32_e32 v33, v149
	v_mov_b32_e32 v37, v34
	v_pk_add_f32 v[150:151], v[36:37], v[32:33] neg_lo:[0,1] neg_hi:[0,1]
	v_pk_add_f32 v[32:33], v[36:37], v[32:33]
	v_mov_b32_e32 v36, v33
	v_pk_add_f32 v[160:161], v[36:37], v[34:35] neg_lo:[0,1] neg_hi:[0,1]
	v_mov_b32_e32 v37, v160
	v_pk_add_f32 v[162:163], v[148:149], v[36:37] neg_lo:[0,1] neg_hi:[0,1]
	v_mov_b32_e32 v32, v149
	v_mov_b32_e32 v148, v35
	;; [unrolled: 1-line block ×4, first 2 shown]
	v_pk_add_f32 v[32:33], v[32:33], v[148:149] neg_lo:[0,1] neg_hi:[0,1]
	v_mov_b32_e32 v146, v147
	v_mov_b32_e32 v147, v34
	v_pk_add_f32 v[32:33], v[146:147], v[32:33] neg_lo:[0,1] neg_hi:[0,1]
	v_mov_b32_e32 v162, v150
	v_pk_add_f32 v[34:35], v[162:163], v[32:33]
	v_mov_b32_e32 v146, v35
	v_pk_add_f32 v[146:147], v[34:35], v[146:147]
	v_pk_add_f32 v[36:37], v[36:37], v[146:147]
	v_mov_b32_e32 v35, v36
	v_pk_add_f32 v[148:149], v[34:35], v[150:151] neg_lo:[0,1] neg_hi:[0,1]
	v_mov_b32_e32 v33, v146
	v_sub_f32_e32 v34, v34, v148
	v_pk_add_f32 v[32:33], v[32:33], v[148:149] neg_lo:[0,1] neg_hi:[0,1]
	v_sub_f32_e32 v34, v150, v34
	s_mov_b32 s65, 0x7f800000
	v_add_f32_e32 v32, v32, v34
	s_mov_b32 s64, 0x33800000
	v_add_f32_e32 v32, v32, v33
	v_cmp_eq_f32_e32 vcc, s65, v164
	v_cmp_lt_f32_e64 s[64:65], |v164|, s64
	v_add_f32_e32 v32, v36, v32
	s_or_b64 vcc, vcc, s[64:65]
	v_cndmask_b32_e32 v32, v32, v164, vcc
	v_add_f32_e32 v32, v30, v32
.LBB512_124:
	s_or_b64 exec, exec, s[60:61]
	v_bfe_u32 v30, v32, 16, 1
	s_movk_i32 vcc_lo, 0x7fff
	v_add3_u32 v30, v32, v30, vcc_lo
	v_lshrrev_b32_e32 v30, 16, v30
	v_mov_b32_e32 v33, 0x7fc0
	v_cmp_o_f32_e32 vcc, v32, v32
	v_cndmask_b32_e32 v32, v33, v30, vcc
.LBB512_125:
	s_or_b64 exec, exec, s[62:63]
	v_cmp_eq_u32_e32 vcc, 63, v28
	s_and_saveexec_b64 s[60:61], vcc
	s_cbranch_execz .LBB512_127
; %bb.126:
	v_mov_b32_e32 v30, 0
	ds_write_b16 v30, v32
.LBB512_127:
	s_or_b64 exec, exec, s[60:61]
	v_and_b32_e32 v30, 0xffff, v32
	v_add_u32_e32 v32, -1, v31
	v_and_b32_e32 v33, 64, v31
	v_cmp_lt_i32_e32 vcc, v32, v33
	v_cndmask_b32_e32 v32, v32, v31, vcc
	v_lshlrev_b32_e32 v32, 2, v32
	ds_bpermute_b32 v146, v32, v30
	v_cmp_gt_u32_e32 vcc, 64, v28
	s_waitcnt lgkmcnt(0)
	; wave barrier
	s_waitcnt lgkmcnt(0)
	s_and_saveexec_b64 s[64:65], vcc
	s_cbranch_execz .LBB512_198
; %bb.128:
	v_mov_b32_e32 v33, 0
	ds_read_u16 v147, v33
	s_mov_b32 vcc_hi, 0
	v_cmp_eq_u32_e64 s[60:61], 0, v31
	s_and_saveexec_b64 s[62:63], s[60:61]
	s_cbranch_execz .LBB512_130
; %bb.129:
	s_add_i32 vcc_lo, s68, 64
	s_lshl_b64 vcc, vcc, 2
	v_mov_b32_e32 v30, vcc_hi
	v_add_co_u32_e32 v34, vcc, vcc_lo, v24
	v_addc_co_u32_e32 v35, vcc, v25, v30, vcc
	s_waitcnt lgkmcnt(0)
	v_or_b32_e32 v30, 0x10000, v147
	flat_store_dword v[34:35], v30
.LBB512_130:
	s_or_b64 exec, exec, s[62:63]
	v_xad_u32 v30, v31, -1, s68
	v_add_u32_e32 v32, 64, v30
	v_lshlrev_b64 v[34:35], 2, v[32:33]
	v_add_co_u32_e32 v34, vcc, v24, v34
	v_addc_co_u32_e32 v35, vcc, v25, v35, vcc
	flat_load_dword v36, v[34:35] glc
	s_waitcnt vmcnt(0) lgkmcnt(0)
	v_lshrrev_b32_e32 v148, 16, v36
	v_cmp_eq_u16_sdwa s[62:63], v148, v33 src0_sel:BYTE_0 src1_sel:DWORD
	s_and_saveexec_b64 vcc, s[62:63]
	s_cbranch_execz .LBB512_134
; %bb.131:
	s_mov_b64 s[62:63], 0
	v_mov_b32_e32 v32, 0
.LBB512_132:                            ; =>This Inner Loop Header: Depth=1
	flat_load_dword v36, v[34:35] glc
	s_waitcnt vmcnt(0) lgkmcnt(0)
	v_lshrrev_b32_e32 v148, 16, v36
	v_cmp_ne_u16_sdwa s[66:67], v148, v32 src0_sel:BYTE_0 src1_sel:DWORD
	s_or_b64 s[62:63], s[66:67], s[62:63]
	s_andn2_b64 exec, exec, s[62:63]
	s_cbranch_execnz .LBB512_132
; %bb.133:
	s_or_b64 exec, exec, s[62:63]
.LBB512_134:
	s_or_b64 exec, exec, vcc
	v_mov_b32_e32 v32, 2
	v_cmp_eq_u16_sdwa vcc, v148, v32 src0_sel:BYTE_0 src1_sel:DWORD
	v_lshlrev_b64 v[32:33], v31, -1
	v_and_b32_e32 v149, 63, v31
	v_and_b32_e32 v34, vcc_hi, v33
	v_and_b32_e32 v151, vcc_lo, v32
	v_cmp_ne_u32_e32 vcc, 63, v149
	v_addc_co_u32_e32 v37, vcc, 0, v31, vcc
	v_and_b32_e32 v35, 0xffff, v36
	v_lshlrev_b32_e32 v150, 2, v37
	v_or_b32_e32 v34, 0x80000000, v34
	ds_bpermute_b32 v37, v150, v35
	v_ffbl_b32_e32 v34, v34
	v_add_u32_e32 v34, 32, v34
	v_ffbl_b32_e32 v151, v151
	v_min_u32_e32 v34, v151, v34
	v_cmp_lt_u32_e32 vcc, v149, v34
	s_and_saveexec_b64 s[66:67], vcc
	s_cbranch_execz .LBB512_138
; %bb.135:
	s_waitcnt lgkmcnt(0)
	v_lshlrev_b32_e32 v36, 16, v37
	v_lshlrev_b32_e32 v35, 16, v35
	v_max_f32_e32 v151, v35, v35
	v_max_f32_e32 v160, v36, v36
	v_min_f32_e32 v37, v160, v151
	v_cmp_u_f32_e32 vcc, v36, v36
	v_max_f32_e32 v151, v160, v151
	v_cndmask_b32_e32 v37, v37, v36, vcc
	v_cmp_u_f32_e64 s[62:63], v35, v35
	v_cndmask_b32_e32 v151, v151, v36, vcc
	v_cndmask_b32_e64 v37, v37, v35, s[62:63]
	v_cndmask_b32_e64 v35, v151, v35, s[62:63]
	s_movk_i32 s62, 0x1f8
	v_cmp_neq_f32_e32 vcc, v37, v35
	v_cmp_class_f32_e64 s[62:63], v37, s62
	s_or_b64 vcc, vcc, s[62:63]
	s_and_saveexec_b64 s[62:63], vcc
	s_cbranch_execz .LBB512_137
; %bb.136:
	v_sub_f32_e32 v36, v37, v35
	s_mov_b32 s69, 0x3fb8aa3b
	v_mul_f32_e32 v37, 0x3fb8aa3b, v36
	v_fma_f32 v151, v36, s69, -v37
	v_rndne_f32_e32 v160, v37
	v_fmac_f32_e32 v151, 0x32a5705f, v36
	v_sub_f32_e32 v37, v37, v160
	v_add_f32_e32 v37, v37, v151
	v_exp_f32_e32 v37, v37
	v_cvt_i32_f32_e32 v151, v160
	s_mov_b32 s69, 0xc2ce8ed0
	v_cmp_ngt_f32_e32 vcc, s69, v36
	s_mov_b32 s69, 0x42b17218
	v_ldexp_f32 v37, v37, v151
	v_cndmask_b32_e32 v37, 0, v37, vcc
	v_mov_b32_e32 v151, 0x7f800000
	v_cmp_nlt_f32_e32 vcc, s69, v36
	v_cndmask_b32_e32 v182, v151, v37, vcc
	v_add_f32_e32 v151, 1.0, v182
	v_add_f32_e32 v36, -1.0, v151
	v_sub_f32_e32 v37, v36, v151
	v_add_f32_e32 v37, 1.0, v37
	v_sub_f32_e32 v36, v182, v36
	v_add_f32_e32 v160, v36, v37
	v_frexp_mant_f32_e32 v161, v151
	s_mov_b32 s69, 0x3f2aaaab
	v_cvt_f64_f32_e32 v[36:37], v151
	v_frexp_exp_i32_f64_e32 v36, v[36:37]
	v_cmp_gt_f32_e32 vcc, s69, v161
	v_subbrev_co_u32_e32 v166, vcc, 0, v36, vcc
	v_sub_u32_e32 v36, 0, v166
	v_ldexp_f32 v37, v151, v36
	v_add_f32_e32 v151, -1.0, v37
	v_add_f32_e32 v161, 1.0, v37
	v_ldexp_f32 v36, v160, v36
	v_add_f32_e32 v160, 1.0, v151
	v_add_f32_e32 v162, -1.0, v161
	v_sub_f32_e32 v160, v37, v160
	v_sub_f32_e32 v37, v37, v162
	v_add_f32_e32 v160, v36, v160
	v_add_f32_e32 v36, v36, v37
	v_add_f32_e32 v167, v161, v36
	v_rcp_f32_e32 v177, v167
	v_sub_f32_e32 v37, v161, v167
	v_add_f32_e32 v176, v36, v37
	v_add_f32_e32 v37, v151, v160
	v_sub_f32_e32 v36, v151, v37
	v_mul_f32_e32 v178, v37, v177
	v_add_f32_e32 v151, v160, v36
	v_mul_f32_e32 v160, v167, v178
	v_fma_f32 v162, v178, v167, -v160
	v_fmac_f32_e32 v162, v178, v176
	v_add_f32_e32 v36, v160, v162
	v_sub_f32_e32 v161, v37, v36
	v_pk_add_f32 v[164:165], v[36:37], v[160:161] neg_lo:[0,1] neg_hi:[0,1]
	v_mov_b32_e32 v163, v36
	v_pk_add_f32 v[36:37], v[164:165], v[162:163] neg_lo:[0,1] neg_hi:[0,1]
	v_add_f32_e32 v37, v151, v37
	v_add_f32_e32 v36, v36, v37
	;; [unrolled: 1-line block ×3, first 2 shown]
	v_mul_f32_e32 v151, v177, v37
	v_mul_f32_e32 v160, v167, v151
	v_fma_f32 v162, v151, v167, -v160
	v_fmac_f32_e32 v162, v151, v176
	v_sub_f32_e32 v161, v161, v37
	v_add_f32_e32 v167, v36, v161
	v_add_f32_e32 v36, v160, v162
	v_sub_f32_e32 v161, v37, v36
	v_pk_add_f32 v[164:165], v[36:37], v[160:161] neg_lo:[0,1] neg_hi:[0,1]
	v_mov_b32_e32 v163, v36
	v_pk_add_f32 v[36:37], v[164:165], v[162:163] neg_lo:[0,1] neg_hi:[0,1]
	v_add_f32_e32 v37, v167, v37
	v_add_f32_e32 v36, v36, v37
	;; [unrolled: 1-line block ×4, first 2 shown]
	v_sub_f32_e32 v37, v161, v178
	v_mul_f32_e32 v36, v177, v36
	v_sub_f32_e32 v37, v151, v37
	v_add_f32_e32 v36, v37, v36
	v_add_f32_e32 v151, v161, v36
	v_mul_f32_e32 v162, v151, v151
	v_mov_b32_e32 v160, 0x3ecc95a3
	v_fmac_f32_e32 v160, 0x3e9b6dac, v162
	v_mov_b32_e32 v37, 0x3f2aaada
	v_fmac_f32_e32 v37, v162, v160
	v_cvt_f32_i32_e32 v160, v166
	v_sub_f32_e32 v161, v151, v161
	v_sub_f32_e32 v36, v36, v161
	v_ldexp_f32 v164, v36, 1
	v_mul_f32_e32 v161, v151, v162
	v_mov_b32_e32 v36, 0x3f317218
	s_mov_b32 s69, 0x3f317218
	v_pk_mul_f32 v[36:37], v[160:161], v[36:37]
	v_fma_f32 v162, v160, s69, -v36
	v_ldexp_f32 v163, v151, 1
	v_fmac_f32_e32 v162, 0xb102e308, v160
	v_pk_add_f32 v[160:161], v[36:37], v[162:163]
	v_sub_f32_e32 v151, v161, v163
	v_sub_f32_e32 v151, v37, v151
	v_add_f32_e32 v165, v164, v151
	v_mov_b32_e32 v164, v36
	v_pk_add_f32 v[36:37], v[160:161], v[36:37] neg_lo:[0,1] neg_hi:[0,1]
	v_pk_add_f32 v[166:167], v[160:161], v[164:165]
	v_mov_b32_e32 v37, v167
	v_mov_b32_e32 v163, v160
	v_pk_add_f32 v[176:177], v[162:163], v[36:37] neg_lo:[0,1] neg_hi:[0,1]
	v_pk_add_f32 v[36:37], v[162:163], v[36:37]
	v_mov_b32_e32 v162, v37
	v_pk_add_f32 v[178:179], v[162:163], v[160:161] neg_lo:[0,1] neg_hi:[0,1]
	v_mov_b32_e32 v151, v178
	v_pk_add_f32 v[180:181], v[166:167], v[150:151] neg_lo:[0,1] neg_hi:[0,1]
	v_mov_b32_e32 v36, v167
	v_mov_b32_e32 v166, v161
	;; [unrolled: 1-line block ×4, first 2 shown]
	v_pk_add_f32 v[36:37], v[36:37], v[166:167] neg_lo:[0,1] neg_hi:[0,1]
	v_mov_b32_e32 v164, v165
	v_mov_b32_e32 v165, v160
	v_pk_add_f32 v[36:37], v[164:165], v[36:37] neg_lo:[0,1] neg_hi:[0,1]
	v_mov_b32_e32 v180, v176
	v_pk_add_f32 v[160:161], v[180:181], v[36:37]
	v_mov_b32_e32 v164, v161
	v_pk_add_f32 v[164:165], v[160:161], v[164:165]
	v_pk_add_f32 v[162:163], v[162:163], v[164:165]
	v_mov_b32_e32 v161, v162
	v_pk_add_f32 v[166:167], v[160:161], v[176:177] neg_lo:[0,1] neg_hi:[0,1]
	v_mov_b32_e32 v37, v164
	v_sub_f32_e32 v151, v160, v166
	v_pk_add_f32 v[36:37], v[36:37], v[166:167] neg_lo:[0,1] neg_hi:[0,1]
	v_sub_f32_e32 v151, v176, v151
	s_mov_b32 s70, 0x7f800000
	v_add_f32_e32 v36, v36, v151
	s_mov_b32 s69, 0x33800000
	v_add_f32_e32 v36, v36, v37
	v_cmp_eq_f32_e32 vcc, s70, v182
	v_cmp_lt_f32_e64 s[70:71], |v182|, s69
	v_add_f32_e32 v36, v162, v36
	s_or_b64 vcc, vcc, s[70:71]
	v_cndmask_b32_e32 v36, v36, v182, vcc
	v_add_f32_e32 v36, v35, v36
.LBB512_137:
	s_or_b64 exec, exec, s[62:63]
	v_bfe_u32 v35, v36, 16, 1
	s_movk_i32 vcc_lo, 0x7fff
	v_add3_u32 v35, v36, v35, vcc_lo
	v_lshrrev_b32_e32 v35, 16, v35
	v_mov_b32_e32 v37, 0x7fc0
	v_cmp_o_f32_e32 vcc, v36, v36
	v_cndmask_b32_e32 v36, v37, v35, vcc
	v_and_b32_e32 v35, 0xffff, v36
.LBB512_138:
	s_or_b64 exec, exec, s[66:67]
	v_cmp_gt_u32_e32 vcc, 62, v149
	s_waitcnt lgkmcnt(0)
	v_cndmask_b32_e64 v37, 0, 1, vcc
	v_lshlrev_b32_e32 v37, 1, v37
	v_add_lshl_u32 v151, v37, v31, 2
	ds_bpermute_b32 v37, v151, v35
	v_add_u32_e32 v160, 2, v149
	v_cmp_le_u32_e32 vcc, v160, v34
	s_and_saveexec_b64 s[66:67], vcc
	s_cbranch_execz .LBB512_142
; %bb.139:
	s_waitcnt lgkmcnt(0)
	v_lshlrev_b32_e32 v36, 16, v37
	v_lshlrev_b32_e32 v35, 16, v35
	v_max_f32_e32 v161, v35, v35
	v_max_f32_e32 v162, v36, v36
	v_min_f32_e32 v37, v162, v161
	v_cmp_u_f32_e32 vcc, v36, v36
	v_max_f32_e32 v161, v162, v161
	v_cndmask_b32_e32 v37, v37, v36, vcc
	v_cmp_u_f32_e64 s[62:63], v35, v35
	v_cndmask_b32_e32 v161, v161, v36, vcc
	v_cndmask_b32_e64 v37, v37, v35, s[62:63]
	v_cndmask_b32_e64 v35, v161, v35, s[62:63]
	s_movk_i32 s62, 0x1f8
	v_cmp_neq_f32_e32 vcc, v37, v35
	v_cmp_class_f32_e64 s[62:63], v37, s62
	s_or_b64 vcc, vcc, s[62:63]
	s_and_saveexec_b64 s[62:63], vcc
	s_cbranch_execz .LBB512_141
; %bb.140:
	v_sub_f32_e32 v36, v37, v35
	s_mov_b32 s69, 0x3fb8aa3b
	v_mul_f32_e32 v37, 0x3fb8aa3b, v36
	v_fma_f32 v161, v36, s69, -v37
	v_rndne_f32_e32 v162, v37
	v_fmac_f32_e32 v161, 0x32a5705f, v36
	v_sub_f32_e32 v37, v37, v162
	v_add_f32_e32 v37, v37, v161
	v_exp_f32_e32 v37, v37
	v_cvt_i32_f32_e32 v161, v162
	s_mov_b32 s69, 0xc2ce8ed0
	v_cmp_ngt_f32_e32 vcc, s69, v36
	s_mov_b32 s69, 0x42b17218
	v_ldexp_f32 v37, v37, v161
	v_cndmask_b32_e32 v37, 0, v37, vcc
	v_mov_b32_e32 v161, 0x7f800000
	v_cmp_nlt_f32_e32 vcc, s69, v36
	v_cndmask_b32_e32 v192, v161, v37, vcc
	v_add_f32_e32 v161, 1.0, v192
	v_add_f32_e32 v36, -1.0, v161
	v_sub_f32_e32 v37, v36, v161
	v_add_f32_e32 v37, 1.0, v37
	v_sub_f32_e32 v36, v192, v36
	v_add_f32_e32 v162, v36, v37
	v_frexp_mant_f32_e32 v163, v161
	s_mov_b32 s69, 0x3f2aaaab
	v_cvt_f64_f32_e32 v[36:37], v161
	v_frexp_exp_i32_f64_e32 v36, v[36:37]
	v_cmp_gt_f32_e32 vcc, s69, v163
	v_subbrev_co_u32_e32 v176, vcc, 0, v36, vcc
	v_sub_u32_e32 v36, 0, v176
	v_ldexp_f32 v37, v161, v36
	v_add_f32_e32 v161, -1.0, v37
	v_add_f32_e32 v163, 1.0, v37
	v_ldexp_f32 v36, v162, v36
	v_add_f32_e32 v162, 1.0, v161
	v_add_f32_e32 v164, -1.0, v163
	v_sub_f32_e32 v162, v37, v162
	v_sub_f32_e32 v37, v37, v164
	v_add_f32_e32 v162, v36, v162
	v_add_f32_e32 v36, v36, v37
	;; [unrolled: 1-line block ×3, first 2 shown]
	v_rcp_f32_e32 v179, v177
	v_sub_f32_e32 v37, v163, v177
	v_add_f32_e32 v178, v36, v37
	v_add_f32_e32 v37, v161, v162
	v_sub_f32_e32 v36, v161, v37
	v_mul_f32_e32 v180, v37, v179
	v_add_f32_e32 v161, v162, v36
	v_mul_f32_e32 v162, v177, v180
	v_fma_f32 v164, v180, v177, -v162
	v_fmac_f32_e32 v164, v180, v178
	v_add_f32_e32 v36, v162, v164
	v_sub_f32_e32 v163, v37, v36
	v_pk_add_f32 v[166:167], v[36:37], v[162:163] neg_lo:[0,1] neg_hi:[0,1]
	v_mov_b32_e32 v165, v36
	v_pk_add_f32 v[36:37], v[166:167], v[164:165] neg_lo:[0,1] neg_hi:[0,1]
	v_add_f32_e32 v37, v161, v37
	v_add_f32_e32 v36, v36, v37
	;; [unrolled: 1-line block ×3, first 2 shown]
	v_mul_f32_e32 v161, v179, v37
	v_mul_f32_e32 v162, v177, v161
	v_fma_f32 v164, v161, v177, -v162
	v_fmac_f32_e32 v164, v161, v178
	v_sub_f32_e32 v163, v163, v37
	v_add_f32_e32 v177, v36, v163
	v_add_f32_e32 v36, v162, v164
	v_sub_f32_e32 v163, v37, v36
	v_pk_add_f32 v[166:167], v[36:37], v[162:163] neg_lo:[0,1] neg_hi:[0,1]
	v_mov_b32_e32 v165, v36
	v_pk_add_f32 v[36:37], v[166:167], v[164:165] neg_lo:[0,1] neg_hi:[0,1]
	v_add_f32_e32 v37, v177, v37
	v_add_f32_e32 v36, v36, v37
	;; [unrolled: 1-line block ×4, first 2 shown]
	v_sub_f32_e32 v37, v163, v180
	v_mul_f32_e32 v36, v179, v36
	v_sub_f32_e32 v37, v161, v37
	v_add_f32_e32 v36, v37, v36
	v_add_f32_e32 v161, v163, v36
	v_mul_f32_e32 v164, v161, v161
	v_mov_b32_e32 v162, 0x3ecc95a3
	v_fmac_f32_e32 v162, 0x3e9b6dac, v164
	v_mov_b32_e32 v37, 0x3f2aaada
	v_fmac_f32_e32 v37, v164, v162
	v_cvt_f32_i32_e32 v162, v176
	v_sub_f32_e32 v163, v161, v163
	v_sub_f32_e32 v36, v36, v163
	v_ldexp_f32 v166, v36, 1
	v_mul_f32_e32 v163, v161, v164
	v_mov_b32_e32 v36, 0x3f317218
	s_mov_b32 s69, 0x3f317218
	v_pk_mul_f32 v[36:37], v[162:163], v[36:37]
	v_fma_f32 v164, v162, s69, -v36
	v_ldexp_f32 v165, v161, 1
	v_fmac_f32_e32 v164, 0xb102e308, v162
	v_pk_add_f32 v[162:163], v[36:37], v[164:165]
	v_sub_f32_e32 v161, v163, v165
	v_sub_f32_e32 v161, v37, v161
	v_add_f32_e32 v167, v166, v161
	v_mov_b32_e32 v166, v36
	v_pk_add_f32 v[36:37], v[162:163], v[36:37] neg_lo:[0,1] neg_hi:[0,1]
	v_pk_add_f32 v[176:177], v[162:163], v[166:167]
	v_mov_b32_e32 v37, v177
	v_mov_b32_e32 v165, v162
	v_pk_add_f32 v[178:179], v[164:165], v[36:37] neg_lo:[0,1] neg_hi:[0,1]
	v_pk_add_f32 v[36:37], v[164:165], v[36:37]
	v_mov_b32_e32 v164, v37
	v_pk_add_f32 v[180:181], v[164:165], v[162:163] neg_lo:[0,1] neg_hi:[0,1]
	v_mov_b32_e32 v161, v180
	v_pk_add_f32 v[182:183], v[176:177], v[160:161] neg_lo:[0,1] neg_hi:[0,1]
	v_mov_b32_e32 v36, v177
	v_mov_b32_e32 v176, v163
	;; [unrolled: 1-line block ×4, first 2 shown]
	v_pk_add_f32 v[36:37], v[36:37], v[176:177] neg_lo:[0,1] neg_hi:[0,1]
	v_mov_b32_e32 v166, v167
	v_mov_b32_e32 v167, v162
	v_pk_add_f32 v[36:37], v[166:167], v[36:37] neg_lo:[0,1] neg_hi:[0,1]
	v_mov_b32_e32 v182, v178
	v_pk_add_f32 v[162:163], v[182:183], v[36:37]
	v_mov_b32_e32 v166, v163
	v_pk_add_f32 v[166:167], v[162:163], v[166:167]
	v_pk_add_f32 v[164:165], v[164:165], v[166:167]
	v_mov_b32_e32 v163, v164
	v_pk_add_f32 v[176:177], v[162:163], v[178:179] neg_lo:[0,1] neg_hi:[0,1]
	v_mov_b32_e32 v37, v166
	v_sub_f32_e32 v161, v162, v176
	v_pk_add_f32 v[36:37], v[36:37], v[176:177] neg_lo:[0,1] neg_hi:[0,1]
	v_sub_f32_e32 v161, v178, v161
	s_mov_b32 s70, 0x7f800000
	v_add_f32_e32 v36, v36, v161
	s_mov_b32 s69, 0x33800000
	v_add_f32_e32 v36, v36, v37
	v_cmp_eq_f32_e32 vcc, s70, v192
	v_cmp_lt_f32_e64 s[70:71], |v192|, s69
	v_add_f32_e32 v36, v164, v36
	s_or_b64 vcc, vcc, s[70:71]
	v_cndmask_b32_e32 v36, v36, v192, vcc
	v_add_f32_e32 v36, v35, v36
.LBB512_141:
	s_or_b64 exec, exec, s[62:63]
	v_bfe_u32 v35, v36, 16, 1
	s_movk_i32 vcc_lo, 0x7fff
	v_add3_u32 v35, v36, v35, vcc_lo
	v_lshrrev_b32_e32 v35, 16, v35
	v_mov_b32_e32 v37, 0x7fc0
	v_cmp_o_f32_e32 vcc, v36, v36
	v_cndmask_b32_e32 v36, v37, v35, vcc
	v_and_b32_e32 v35, 0xffff, v36
.LBB512_142:
	s_or_b64 exec, exec, s[66:67]
	v_cmp_gt_u32_e32 vcc, 60, v149
	s_waitcnt lgkmcnt(0)
	v_cndmask_b32_e64 v37, 0, 1, vcc
	v_lshlrev_b32_e32 v37, 2, v37
	v_add_lshl_u32 v161, v37, v31, 2
	ds_bpermute_b32 v37, v161, v35
	v_add_u32_e32 v162, 4, v149
	v_cmp_le_u32_e32 vcc, v162, v34
	s_and_saveexec_b64 s[66:67], vcc
	s_cbranch_execz .LBB512_146
; %bb.143:
	s_waitcnt lgkmcnt(0)
	v_lshlrev_b32_e32 v36, 16, v37
	v_lshlrev_b32_e32 v35, 16, v35
	v_max_f32_e32 v163, v35, v35
	v_max_f32_e32 v164, v36, v36
	v_min_f32_e32 v37, v164, v163
	v_cmp_u_f32_e32 vcc, v36, v36
	v_max_f32_e32 v163, v164, v163
	v_cndmask_b32_e32 v37, v37, v36, vcc
	v_cmp_u_f32_e64 s[62:63], v35, v35
	v_cndmask_b32_e32 v163, v163, v36, vcc
	v_cndmask_b32_e64 v37, v37, v35, s[62:63]
	v_cndmask_b32_e64 v35, v163, v35, s[62:63]
	s_movk_i32 s62, 0x1f8
	v_cmp_neq_f32_e32 vcc, v37, v35
	v_cmp_class_f32_e64 s[62:63], v37, s62
	s_or_b64 vcc, vcc, s[62:63]
	s_and_saveexec_b64 s[62:63], vcc
	s_cbranch_execz .LBB512_145
; %bb.144:
	v_sub_f32_e32 v36, v37, v35
	s_mov_b32 s69, 0x3fb8aa3b
	v_mul_f32_e32 v37, 0x3fb8aa3b, v36
	v_fma_f32 v163, v36, s69, -v37
	v_rndne_f32_e32 v164, v37
	v_fmac_f32_e32 v163, 0x32a5705f, v36
	v_sub_f32_e32 v37, v37, v164
	v_add_f32_e32 v37, v37, v163
	v_exp_f32_e32 v37, v37
	v_cvt_i32_f32_e32 v163, v164
	s_mov_b32 s69, 0xc2ce8ed0
	v_cmp_ngt_f32_e32 vcc, s69, v36
	s_mov_b32 s69, 0x42b17218
	v_ldexp_f32 v37, v37, v163
	v_cndmask_b32_e32 v37, 0, v37, vcc
	v_mov_b32_e32 v163, 0x7f800000
	v_cmp_nlt_f32_e32 vcc, s69, v36
	v_cndmask_b32_e32 v194, v163, v37, vcc
	v_add_f32_e32 v163, 1.0, v194
	v_add_f32_e32 v36, -1.0, v163
	v_sub_f32_e32 v37, v36, v163
	v_add_f32_e32 v37, 1.0, v37
	v_sub_f32_e32 v36, v194, v36
	v_add_f32_e32 v164, v36, v37
	v_frexp_mant_f32_e32 v165, v163
	s_mov_b32 s69, 0x3f2aaaab
	v_cvt_f64_f32_e32 v[36:37], v163
	v_frexp_exp_i32_f64_e32 v36, v[36:37]
	v_cmp_gt_f32_e32 vcc, s69, v165
	v_subbrev_co_u32_e32 v178, vcc, 0, v36, vcc
	v_sub_u32_e32 v36, 0, v178
	v_ldexp_f32 v37, v163, v36
	v_add_f32_e32 v163, -1.0, v37
	v_add_f32_e32 v165, 1.0, v37
	v_ldexp_f32 v36, v164, v36
	v_add_f32_e32 v164, 1.0, v163
	v_add_f32_e32 v166, -1.0, v165
	v_sub_f32_e32 v164, v37, v164
	v_sub_f32_e32 v37, v37, v166
	v_add_f32_e32 v164, v36, v164
	v_add_f32_e32 v36, v36, v37
	;; [unrolled: 1-line block ×3, first 2 shown]
	v_rcp_f32_e32 v181, v179
	v_sub_f32_e32 v37, v165, v179
	v_add_f32_e32 v180, v36, v37
	v_add_f32_e32 v37, v163, v164
	v_sub_f32_e32 v36, v163, v37
	v_mul_f32_e32 v182, v37, v181
	v_add_f32_e32 v163, v164, v36
	v_mul_f32_e32 v164, v179, v182
	v_fma_f32 v166, v182, v179, -v164
	v_fmac_f32_e32 v166, v182, v180
	v_add_f32_e32 v36, v164, v166
	v_sub_f32_e32 v165, v37, v36
	v_pk_add_f32 v[176:177], v[36:37], v[164:165] neg_lo:[0,1] neg_hi:[0,1]
	v_mov_b32_e32 v167, v36
	v_pk_add_f32 v[36:37], v[176:177], v[166:167] neg_lo:[0,1] neg_hi:[0,1]
	v_add_f32_e32 v37, v163, v37
	v_add_f32_e32 v36, v36, v37
	;; [unrolled: 1-line block ×3, first 2 shown]
	v_mul_f32_e32 v163, v181, v37
	v_mul_f32_e32 v164, v179, v163
	v_fma_f32 v166, v163, v179, -v164
	v_fmac_f32_e32 v166, v163, v180
	v_sub_f32_e32 v165, v165, v37
	v_add_f32_e32 v179, v36, v165
	v_add_f32_e32 v36, v164, v166
	v_sub_f32_e32 v165, v37, v36
	v_pk_add_f32 v[176:177], v[36:37], v[164:165] neg_lo:[0,1] neg_hi:[0,1]
	v_mov_b32_e32 v167, v36
	v_pk_add_f32 v[36:37], v[176:177], v[166:167] neg_lo:[0,1] neg_hi:[0,1]
	v_add_f32_e32 v37, v179, v37
	v_add_f32_e32 v36, v36, v37
	;; [unrolled: 1-line block ×4, first 2 shown]
	v_sub_f32_e32 v37, v165, v182
	v_mul_f32_e32 v36, v181, v36
	v_sub_f32_e32 v37, v163, v37
	v_add_f32_e32 v36, v37, v36
	v_add_f32_e32 v163, v165, v36
	v_mul_f32_e32 v166, v163, v163
	v_mov_b32_e32 v164, 0x3ecc95a3
	v_fmac_f32_e32 v164, 0x3e9b6dac, v166
	v_mov_b32_e32 v37, 0x3f2aaada
	v_fmac_f32_e32 v37, v166, v164
	v_cvt_f32_i32_e32 v164, v178
	v_sub_f32_e32 v165, v163, v165
	v_sub_f32_e32 v36, v36, v165
	v_ldexp_f32 v176, v36, 1
	v_mul_f32_e32 v165, v163, v166
	v_mov_b32_e32 v36, 0x3f317218
	s_mov_b32 s69, 0x3f317218
	v_pk_mul_f32 v[36:37], v[164:165], v[36:37]
	v_fma_f32 v166, v164, s69, -v36
	v_ldexp_f32 v167, v163, 1
	v_fmac_f32_e32 v166, 0xb102e308, v164
	v_pk_add_f32 v[164:165], v[36:37], v[166:167]
	v_sub_f32_e32 v163, v165, v167
	v_sub_f32_e32 v163, v37, v163
	v_add_f32_e32 v177, v176, v163
	v_mov_b32_e32 v176, v36
	v_pk_add_f32 v[36:37], v[164:165], v[36:37] neg_lo:[0,1] neg_hi:[0,1]
	v_pk_add_f32 v[178:179], v[164:165], v[176:177]
	v_mov_b32_e32 v37, v179
	v_mov_b32_e32 v167, v164
	v_pk_add_f32 v[180:181], v[166:167], v[36:37] neg_lo:[0,1] neg_hi:[0,1]
	v_pk_add_f32 v[36:37], v[166:167], v[36:37]
	v_mov_b32_e32 v166, v37
	v_pk_add_f32 v[182:183], v[166:167], v[164:165] neg_lo:[0,1] neg_hi:[0,1]
	v_mov_b32_e32 v163, v182
	v_pk_add_f32 v[192:193], v[178:179], v[162:163] neg_lo:[0,1] neg_hi:[0,1]
	v_mov_b32_e32 v36, v179
	v_mov_b32_e32 v178, v165
	;; [unrolled: 1-line block ×4, first 2 shown]
	v_pk_add_f32 v[36:37], v[36:37], v[178:179] neg_lo:[0,1] neg_hi:[0,1]
	v_mov_b32_e32 v176, v177
	v_mov_b32_e32 v177, v164
	v_pk_add_f32 v[36:37], v[176:177], v[36:37] neg_lo:[0,1] neg_hi:[0,1]
	v_mov_b32_e32 v192, v180
	v_pk_add_f32 v[164:165], v[192:193], v[36:37]
	v_mov_b32_e32 v176, v165
	v_pk_add_f32 v[176:177], v[164:165], v[176:177]
	v_pk_add_f32 v[166:167], v[166:167], v[176:177]
	v_mov_b32_e32 v165, v166
	v_pk_add_f32 v[178:179], v[164:165], v[180:181] neg_lo:[0,1] neg_hi:[0,1]
	v_mov_b32_e32 v37, v176
	v_sub_f32_e32 v163, v164, v178
	v_pk_add_f32 v[36:37], v[36:37], v[178:179] neg_lo:[0,1] neg_hi:[0,1]
	v_sub_f32_e32 v163, v180, v163
	s_mov_b32 s70, 0x7f800000
	v_add_f32_e32 v36, v36, v163
	s_mov_b32 s69, 0x33800000
	v_add_f32_e32 v36, v36, v37
	v_cmp_eq_f32_e32 vcc, s70, v194
	v_cmp_lt_f32_e64 s[70:71], |v194|, s69
	v_add_f32_e32 v36, v166, v36
	s_or_b64 vcc, vcc, s[70:71]
	v_cndmask_b32_e32 v36, v36, v194, vcc
	v_add_f32_e32 v36, v35, v36
.LBB512_145:
	s_or_b64 exec, exec, s[62:63]
	v_bfe_u32 v35, v36, 16, 1
	s_movk_i32 vcc_lo, 0x7fff
	v_add3_u32 v35, v36, v35, vcc_lo
	v_lshrrev_b32_e32 v35, 16, v35
	v_mov_b32_e32 v37, 0x7fc0
	v_cmp_o_f32_e32 vcc, v36, v36
	v_cndmask_b32_e32 v36, v37, v35, vcc
	v_and_b32_e32 v35, 0xffff, v36
.LBB512_146:
	s_or_b64 exec, exec, s[66:67]
	v_cmp_gt_u32_e32 vcc, 56, v149
	s_waitcnt lgkmcnt(0)
	v_cndmask_b32_e64 v37, 0, 1, vcc
	v_lshlrev_b32_e32 v37, 3, v37
	v_add_lshl_u32 v163, v37, v31, 2
	ds_bpermute_b32 v37, v163, v35
	v_add_u32_e32 v164, 8, v149
	v_cmp_le_u32_e32 vcc, v164, v34
	s_and_saveexec_b64 s[66:67], vcc
	s_cbranch_execz .LBB512_150
; %bb.147:
	s_waitcnt lgkmcnt(0)
	v_lshlrev_b32_e32 v36, 16, v37
	v_lshlrev_b32_e32 v35, 16, v35
	v_max_f32_e32 v165, v35, v35
	v_max_f32_e32 v166, v36, v36
	v_min_f32_e32 v37, v166, v165
	v_cmp_u_f32_e32 vcc, v36, v36
	v_max_f32_e32 v165, v166, v165
	v_cndmask_b32_e32 v37, v37, v36, vcc
	v_cmp_u_f32_e64 s[62:63], v35, v35
	v_cndmask_b32_e32 v165, v165, v36, vcc
	v_cndmask_b32_e64 v37, v37, v35, s[62:63]
	v_cndmask_b32_e64 v35, v165, v35, s[62:63]
	s_movk_i32 s62, 0x1f8
	v_cmp_neq_f32_e32 vcc, v37, v35
	v_cmp_class_f32_e64 s[62:63], v37, s62
	s_or_b64 vcc, vcc, s[62:63]
	s_and_saveexec_b64 s[62:63], vcc
	s_cbranch_execz .LBB512_149
; %bb.148:
	v_sub_f32_e32 v36, v37, v35
	s_mov_b32 s69, 0x3fb8aa3b
	v_mul_f32_e32 v37, 0x3fb8aa3b, v36
	v_fma_f32 v165, v36, s69, -v37
	v_rndne_f32_e32 v166, v37
	v_fmac_f32_e32 v165, 0x32a5705f, v36
	v_sub_f32_e32 v37, v37, v166
	v_add_f32_e32 v37, v37, v165
	v_exp_f32_e32 v37, v37
	v_cvt_i32_f32_e32 v165, v166
	s_mov_b32 s69, 0xc2ce8ed0
	v_cmp_ngt_f32_e32 vcc, s69, v36
	s_mov_b32 s69, 0x42b17218
	v_ldexp_f32 v37, v37, v165
	v_cndmask_b32_e32 v37, 0, v37, vcc
	v_mov_b32_e32 v165, 0x7f800000
	v_cmp_nlt_f32_e32 vcc, s69, v36
	v_cndmask_b32_e32 v196, v165, v37, vcc
	v_add_f32_e32 v165, 1.0, v196
	v_add_f32_e32 v36, -1.0, v165
	v_sub_f32_e32 v37, v36, v165
	v_add_f32_e32 v37, 1.0, v37
	v_sub_f32_e32 v36, v196, v36
	v_add_f32_e32 v166, v36, v37
	v_frexp_mant_f32_e32 v167, v165
	s_mov_b32 s69, 0x3f2aaaab
	v_cvt_f64_f32_e32 v[36:37], v165
	v_frexp_exp_i32_f64_e32 v36, v[36:37]
	v_cmp_gt_f32_e32 vcc, s69, v167
	v_subbrev_co_u32_e32 v180, vcc, 0, v36, vcc
	v_sub_u32_e32 v36, 0, v180
	v_ldexp_f32 v37, v165, v36
	v_add_f32_e32 v165, -1.0, v37
	v_add_f32_e32 v167, 1.0, v37
	v_ldexp_f32 v36, v166, v36
	v_add_f32_e32 v166, 1.0, v165
	v_add_f32_e32 v176, -1.0, v167
	v_sub_f32_e32 v166, v37, v166
	v_sub_f32_e32 v37, v37, v176
	v_add_f32_e32 v166, v36, v166
	v_add_f32_e32 v36, v36, v37
	v_add_f32_e32 v181, v167, v36
	v_rcp_f32_e32 v183, v181
	v_sub_f32_e32 v37, v167, v181
	v_add_f32_e32 v182, v36, v37
	v_add_f32_e32 v37, v165, v166
	v_sub_f32_e32 v36, v165, v37
	v_mul_f32_e32 v192, v37, v183
	v_add_f32_e32 v165, v166, v36
	v_mul_f32_e32 v166, v181, v192
	v_fma_f32 v176, v192, v181, -v166
	v_fmac_f32_e32 v176, v192, v182
	v_add_f32_e32 v36, v166, v176
	v_sub_f32_e32 v167, v37, v36
	v_pk_add_f32 v[178:179], v[36:37], v[166:167] neg_lo:[0,1] neg_hi:[0,1]
	v_mov_b32_e32 v177, v36
	v_pk_add_f32 v[36:37], v[178:179], v[176:177] neg_lo:[0,1] neg_hi:[0,1]
	v_add_f32_e32 v37, v165, v37
	v_add_f32_e32 v36, v36, v37
	;; [unrolled: 1-line block ×3, first 2 shown]
	v_mul_f32_e32 v165, v183, v37
	v_mul_f32_e32 v166, v181, v165
	v_fma_f32 v176, v165, v181, -v166
	v_fmac_f32_e32 v176, v165, v182
	v_sub_f32_e32 v167, v167, v37
	v_add_f32_e32 v181, v36, v167
	v_add_f32_e32 v36, v166, v176
	v_sub_f32_e32 v167, v37, v36
	v_pk_add_f32 v[178:179], v[36:37], v[166:167] neg_lo:[0,1] neg_hi:[0,1]
	v_mov_b32_e32 v177, v36
	v_pk_add_f32 v[36:37], v[178:179], v[176:177] neg_lo:[0,1] neg_hi:[0,1]
	v_add_f32_e32 v37, v181, v37
	v_add_f32_e32 v36, v36, v37
	;; [unrolled: 1-line block ×4, first 2 shown]
	v_sub_f32_e32 v37, v167, v192
	v_mul_f32_e32 v36, v183, v36
	v_sub_f32_e32 v37, v165, v37
	v_add_f32_e32 v36, v37, v36
	v_add_f32_e32 v165, v167, v36
	v_mul_f32_e32 v176, v165, v165
	v_mov_b32_e32 v166, 0x3ecc95a3
	v_fmac_f32_e32 v166, 0x3e9b6dac, v176
	v_mov_b32_e32 v37, 0x3f2aaada
	v_fmac_f32_e32 v37, v176, v166
	v_cvt_f32_i32_e32 v166, v180
	v_sub_f32_e32 v167, v165, v167
	v_sub_f32_e32 v36, v36, v167
	v_ldexp_f32 v178, v36, 1
	v_mul_f32_e32 v167, v165, v176
	v_mov_b32_e32 v36, 0x3f317218
	s_mov_b32 s69, 0x3f317218
	v_pk_mul_f32 v[36:37], v[166:167], v[36:37]
	v_fma_f32 v176, v166, s69, -v36
	v_ldexp_f32 v177, v165, 1
	v_fmac_f32_e32 v176, 0xb102e308, v166
	v_pk_add_f32 v[166:167], v[36:37], v[176:177]
	v_sub_f32_e32 v165, v167, v177
	v_sub_f32_e32 v165, v37, v165
	v_add_f32_e32 v179, v178, v165
	v_mov_b32_e32 v178, v36
	v_pk_add_f32 v[36:37], v[166:167], v[36:37] neg_lo:[0,1] neg_hi:[0,1]
	v_pk_add_f32 v[180:181], v[166:167], v[178:179]
	v_mov_b32_e32 v37, v181
	v_mov_b32_e32 v177, v166
	v_pk_add_f32 v[182:183], v[176:177], v[36:37] neg_lo:[0,1] neg_hi:[0,1]
	v_pk_add_f32 v[36:37], v[176:177], v[36:37]
	v_mov_b32_e32 v176, v37
	v_pk_add_f32 v[192:193], v[176:177], v[166:167] neg_lo:[0,1] neg_hi:[0,1]
	v_mov_b32_e32 v165, v192
	v_pk_add_f32 v[194:195], v[180:181], v[164:165] neg_lo:[0,1] neg_hi:[0,1]
	v_mov_b32_e32 v36, v181
	v_mov_b32_e32 v180, v167
	;; [unrolled: 1-line block ×4, first 2 shown]
	v_pk_add_f32 v[36:37], v[36:37], v[180:181] neg_lo:[0,1] neg_hi:[0,1]
	v_mov_b32_e32 v178, v179
	v_mov_b32_e32 v179, v166
	v_pk_add_f32 v[36:37], v[178:179], v[36:37] neg_lo:[0,1] neg_hi:[0,1]
	v_mov_b32_e32 v194, v182
	v_pk_add_f32 v[166:167], v[194:195], v[36:37]
	v_mov_b32_e32 v178, v167
	v_pk_add_f32 v[178:179], v[166:167], v[178:179]
	v_pk_add_f32 v[176:177], v[176:177], v[178:179]
	v_mov_b32_e32 v167, v176
	v_pk_add_f32 v[180:181], v[166:167], v[182:183] neg_lo:[0,1] neg_hi:[0,1]
	v_mov_b32_e32 v37, v178
	v_sub_f32_e32 v165, v166, v180
	v_pk_add_f32 v[36:37], v[36:37], v[180:181] neg_lo:[0,1] neg_hi:[0,1]
	v_sub_f32_e32 v165, v182, v165
	s_mov_b32 s70, 0x7f800000
	v_add_f32_e32 v36, v36, v165
	s_mov_b32 s69, 0x33800000
	v_add_f32_e32 v36, v36, v37
	v_cmp_eq_f32_e32 vcc, s70, v196
	v_cmp_lt_f32_e64 s[70:71], |v196|, s69
	v_add_f32_e32 v36, v176, v36
	s_or_b64 vcc, vcc, s[70:71]
	v_cndmask_b32_e32 v36, v36, v196, vcc
	v_add_f32_e32 v36, v35, v36
.LBB512_149:
	s_or_b64 exec, exec, s[62:63]
	v_bfe_u32 v35, v36, 16, 1
	s_movk_i32 vcc_lo, 0x7fff
	v_add3_u32 v35, v36, v35, vcc_lo
	v_lshrrev_b32_e32 v35, 16, v35
	v_mov_b32_e32 v37, 0x7fc0
	v_cmp_o_f32_e32 vcc, v36, v36
	v_cndmask_b32_e32 v36, v37, v35, vcc
	v_and_b32_e32 v35, 0xffff, v36
.LBB512_150:
	s_or_b64 exec, exec, s[66:67]
	v_cmp_gt_u32_e32 vcc, 48, v149
	s_waitcnt lgkmcnt(0)
	v_cndmask_b32_e64 v37, 0, 1, vcc
	v_lshlrev_b32_e32 v37, 4, v37
	v_add_lshl_u32 v165, v37, v31, 2
	ds_bpermute_b32 v37, v165, v35
	v_add_u32_e32 v166, 16, v149
	v_cmp_le_u32_e32 vcc, v166, v34
	s_and_saveexec_b64 s[66:67], vcc
	s_cbranch_execz .LBB512_154
; %bb.151:
	s_waitcnt lgkmcnt(0)
	v_lshlrev_b32_e32 v36, 16, v37
	v_lshlrev_b32_e32 v35, 16, v35
	v_max_f32_e32 v167, v35, v35
	v_max_f32_e32 v176, v36, v36
	v_min_f32_e32 v37, v176, v167
	v_cmp_u_f32_e32 vcc, v36, v36
	v_max_f32_e32 v167, v176, v167
	v_cndmask_b32_e32 v37, v37, v36, vcc
	v_cmp_u_f32_e64 s[62:63], v35, v35
	v_cndmask_b32_e32 v167, v167, v36, vcc
	v_cndmask_b32_e64 v37, v37, v35, s[62:63]
	v_cndmask_b32_e64 v35, v167, v35, s[62:63]
	s_movk_i32 s62, 0x1f8
	v_cmp_neq_f32_e32 vcc, v37, v35
	v_cmp_class_f32_e64 s[62:63], v37, s62
	s_or_b64 vcc, vcc, s[62:63]
	s_and_saveexec_b64 s[62:63], vcc
	s_cbranch_execz .LBB512_153
; %bb.152:
	v_sub_f32_e32 v36, v37, v35
	s_mov_b32 s69, 0x3fb8aa3b
	v_mul_f32_e32 v37, 0x3fb8aa3b, v36
	v_fma_f32 v167, v36, s69, -v37
	v_rndne_f32_e32 v176, v37
	v_fmac_f32_e32 v167, 0x32a5705f, v36
	v_sub_f32_e32 v37, v37, v176
	v_add_f32_e32 v37, v37, v167
	v_exp_f32_e32 v37, v37
	v_cvt_i32_f32_e32 v167, v176
	s_mov_b32 s69, 0xc2ce8ed0
	v_cmp_ngt_f32_e32 vcc, s69, v36
	s_mov_b32 s69, 0x42b17218
	v_ldexp_f32 v37, v37, v167
	v_cndmask_b32_e32 v37, 0, v37, vcc
	v_mov_b32_e32 v167, 0x7f800000
	v_cmp_nlt_f32_e32 vcc, s69, v36
	v_cndmask_b32_e32 v198, v167, v37, vcc
	v_add_f32_e32 v167, 1.0, v198
	v_add_f32_e32 v36, -1.0, v167
	v_sub_f32_e32 v37, v36, v167
	v_add_f32_e32 v37, 1.0, v37
	v_sub_f32_e32 v36, v198, v36
	v_add_f32_e32 v176, v36, v37
	v_frexp_mant_f32_e32 v177, v167
	s_mov_b32 s69, 0x3f2aaaab
	v_cvt_f64_f32_e32 v[36:37], v167
	v_frexp_exp_i32_f64_e32 v36, v[36:37]
	v_cmp_gt_f32_e32 vcc, s69, v177
	v_subbrev_co_u32_e32 v182, vcc, 0, v36, vcc
	v_sub_u32_e32 v36, 0, v182
	v_ldexp_f32 v37, v167, v36
	v_add_f32_e32 v167, -1.0, v37
	v_add_f32_e32 v177, 1.0, v37
	v_ldexp_f32 v36, v176, v36
	v_add_f32_e32 v176, 1.0, v167
	v_add_f32_e32 v178, -1.0, v177
	v_sub_f32_e32 v176, v37, v176
	v_sub_f32_e32 v37, v37, v178
	v_add_f32_e32 v176, v36, v176
	v_add_f32_e32 v36, v36, v37
	;; [unrolled: 1-line block ×3, first 2 shown]
	v_rcp_f32_e32 v193, v183
	v_sub_f32_e32 v37, v177, v183
	v_add_f32_e32 v192, v36, v37
	v_add_f32_e32 v37, v167, v176
	v_sub_f32_e32 v36, v167, v37
	v_mul_f32_e32 v194, v37, v193
	v_add_f32_e32 v167, v176, v36
	v_mul_f32_e32 v176, v183, v194
	v_fma_f32 v178, v194, v183, -v176
	v_fmac_f32_e32 v178, v194, v192
	v_add_f32_e32 v36, v176, v178
	v_sub_f32_e32 v177, v37, v36
	v_pk_add_f32 v[180:181], v[36:37], v[176:177] neg_lo:[0,1] neg_hi:[0,1]
	v_mov_b32_e32 v179, v36
	v_pk_add_f32 v[36:37], v[180:181], v[178:179] neg_lo:[0,1] neg_hi:[0,1]
	v_add_f32_e32 v37, v167, v37
	v_add_f32_e32 v36, v36, v37
	;; [unrolled: 1-line block ×3, first 2 shown]
	v_mul_f32_e32 v167, v193, v37
	v_mul_f32_e32 v176, v183, v167
	v_fma_f32 v178, v167, v183, -v176
	v_fmac_f32_e32 v178, v167, v192
	v_sub_f32_e32 v177, v177, v37
	v_add_f32_e32 v183, v36, v177
	v_add_f32_e32 v36, v176, v178
	v_sub_f32_e32 v177, v37, v36
	v_pk_add_f32 v[180:181], v[36:37], v[176:177] neg_lo:[0,1] neg_hi:[0,1]
	v_mov_b32_e32 v179, v36
	v_pk_add_f32 v[36:37], v[180:181], v[178:179] neg_lo:[0,1] neg_hi:[0,1]
	v_add_f32_e32 v37, v183, v37
	v_add_f32_e32 v36, v36, v37
	;; [unrolled: 1-line block ×4, first 2 shown]
	v_sub_f32_e32 v37, v177, v194
	v_mul_f32_e32 v36, v193, v36
	v_sub_f32_e32 v37, v167, v37
	v_add_f32_e32 v36, v37, v36
	v_add_f32_e32 v167, v177, v36
	v_mul_f32_e32 v178, v167, v167
	v_mov_b32_e32 v176, 0x3ecc95a3
	v_fmac_f32_e32 v176, 0x3e9b6dac, v178
	v_mov_b32_e32 v37, 0x3f2aaada
	v_fmac_f32_e32 v37, v178, v176
	v_cvt_f32_i32_e32 v176, v182
	v_sub_f32_e32 v177, v167, v177
	v_sub_f32_e32 v36, v36, v177
	v_ldexp_f32 v180, v36, 1
	v_mul_f32_e32 v177, v167, v178
	v_mov_b32_e32 v36, 0x3f317218
	s_mov_b32 s69, 0x3f317218
	v_pk_mul_f32 v[36:37], v[176:177], v[36:37]
	v_fma_f32 v178, v176, s69, -v36
	v_ldexp_f32 v179, v167, 1
	v_fmac_f32_e32 v178, 0xb102e308, v176
	v_pk_add_f32 v[176:177], v[36:37], v[178:179]
	v_sub_f32_e32 v167, v177, v179
	v_sub_f32_e32 v167, v37, v167
	v_add_f32_e32 v181, v180, v167
	v_mov_b32_e32 v180, v36
	v_pk_add_f32 v[36:37], v[176:177], v[36:37] neg_lo:[0,1] neg_hi:[0,1]
	v_pk_add_f32 v[182:183], v[176:177], v[180:181]
	v_mov_b32_e32 v37, v183
	v_mov_b32_e32 v179, v176
	v_pk_add_f32 v[192:193], v[178:179], v[36:37] neg_lo:[0,1] neg_hi:[0,1]
	v_pk_add_f32 v[36:37], v[178:179], v[36:37]
	v_mov_b32_e32 v178, v37
	v_pk_add_f32 v[194:195], v[178:179], v[176:177] neg_lo:[0,1] neg_hi:[0,1]
	v_mov_b32_e32 v167, v194
	v_pk_add_f32 v[196:197], v[182:183], v[166:167] neg_lo:[0,1] neg_hi:[0,1]
	v_mov_b32_e32 v36, v183
	v_mov_b32_e32 v182, v177
	;; [unrolled: 1-line block ×4, first 2 shown]
	v_pk_add_f32 v[36:37], v[36:37], v[182:183] neg_lo:[0,1] neg_hi:[0,1]
	v_mov_b32_e32 v180, v181
	v_mov_b32_e32 v181, v176
	v_pk_add_f32 v[36:37], v[180:181], v[36:37] neg_lo:[0,1] neg_hi:[0,1]
	v_mov_b32_e32 v196, v192
	v_pk_add_f32 v[176:177], v[196:197], v[36:37]
	v_mov_b32_e32 v180, v177
	v_pk_add_f32 v[180:181], v[176:177], v[180:181]
	v_pk_add_f32 v[178:179], v[178:179], v[180:181]
	v_mov_b32_e32 v177, v178
	v_pk_add_f32 v[182:183], v[176:177], v[192:193] neg_lo:[0,1] neg_hi:[0,1]
	v_mov_b32_e32 v37, v180
	v_sub_f32_e32 v167, v176, v182
	v_pk_add_f32 v[36:37], v[36:37], v[182:183] neg_lo:[0,1] neg_hi:[0,1]
	v_sub_f32_e32 v167, v192, v167
	s_mov_b32 s70, 0x7f800000
	v_add_f32_e32 v36, v36, v167
	s_mov_b32 s69, 0x33800000
	v_add_f32_e32 v36, v36, v37
	v_cmp_eq_f32_e32 vcc, s70, v198
	v_cmp_lt_f32_e64 s[70:71], |v198|, s69
	v_add_f32_e32 v36, v178, v36
	s_or_b64 vcc, vcc, s[70:71]
	v_cndmask_b32_e32 v36, v36, v198, vcc
	v_add_f32_e32 v36, v35, v36
.LBB512_153:
	s_or_b64 exec, exec, s[62:63]
	v_bfe_u32 v35, v36, 16, 1
	s_movk_i32 vcc_lo, 0x7fff
	v_add3_u32 v35, v36, v35, vcc_lo
	v_lshrrev_b32_e32 v35, 16, v35
	v_mov_b32_e32 v37, 0x7fc0
	v_cmp_o_f32_e32 vcc, v36, v36
	v_cndmask_b32_e32 v36, v37, v35, vcc
	v_and_b32_e32 v35, 0xffff, v36
.LBB512_154:
	s_or_b64 exec, exec, s[66:67]
	v_cmp_gt_u32_e32 vcc, 32, v149
	s_waitcnt lgkmcnt(0)
	v_cndmask_b32_e64 v37, 0, 1, vcc
	v_lshlrev_b32_e32 v37, 5, v37
	v_add_lshl_u32 v167, v37, v31, 2
	ds_bpermute_b32 v31, v167, v35
	v_add_u32_e32 v176, 32, v149
	v_cmp_le_u32_e32 vcc, v176, v34
	s_and_saveexec_b64 s[66:67], vcc
	s_cbranch_execz .LBB512_158
; %bb.155:
	s_waitcnt lgkmcnt(0)
	v_lshlrev_b32_e32 v34, 16, v31
	v_lshlrev_b32_e32 v31, 16, v35
	v_max_f32_e32 v36, v31, v31
	v_max_f32_e32 v37, v34, v34
	v_min_f32_e32 v35, v37, v36
	v_cmp_u_f32_e32 vcc, v34, v34
	v_max_f32_e32 v36, v37, v36
	v_cndmask_b32_e32 v35, v35, v34, vcc
	v_cmp_u_f32_e64 s[62:63], v31, v31
	v_cndmask_b32_e32 v36, v36, v34, vcc
	v_cndmask_b32_e64 v35, v35, v31, s[62:63]
	v_cndmask_b32_e64 v31, v36, v31, s[62:63]
	s_movk_i32 s62, 0x1f8
	v_cmp_neq_f32_e32 vcc, v35, v31
	v_cmp_class_f32_e64 s[62:63], v35, s62
	s_or_b64 vcc, vcc, s[62:63]
	s_and_saveexec_b64 s[62:63], vcc
	s_cbranch_execz .LBB512_157
; %bb.156:
	v_sub_f32_e32 v34, v35, v31
	s_mov_b32 s69, 0x3fb8aa3b
	v_mul_f32_e32 v35, 0x3fb8aa3b, v34
	v_fma_f32 v36, v34, s69, -v35
	v_rndne_f32_e32 v37, v35
	v_fmac_f32_e32 v36, 0x32a5705f, v34
	v_sub_f32_e32 v35, v35, v37
	v_add_f32_e32 v35, v35, v36
	v_exp_f32_e32 v35, v35
	v_cvt_i32_f32_e32 v36, v37
	s_mov_b32 s69, 0xc2ce8ed0
	v_cmp_ngt_f32_e32 vcc, s69, v34
	s_mov_b32 s69, 0x42b17218
	v_ldexp_f32 v35, v35, v36
	v_cndmask_b32_e32 v35, 0, v35, vcc
	v_mov_b32_e32 v36, 0x7f800000
	v_cmp_nlt_f32_e32 vcc, s69, v34
	v_cndmask_b32_e32 v198, v36, v35, vcc
	v_add_f32_e32 v36, 1.0, v198
	v_add_f32_e32 v34, -1.0, v36
	v_sub_f32_e32 v35, v34, v36
	v_add_f32_e32 v35, 1.0, v35
	v_sub_f32_e32 v34, v198, v34
	v_add_f32_e32 v37, v34, v35
	v_frexp_mant_f32_e32 v177, v36
	s_mov_b32 s69, 0x3f2aaaab
	v_cvt_f64_f32_e32 v[34:35], v36
	v_frexp_exp_i32_f64_e32 v34, v[34:35]
	v_cmp_gt_f32_e32 vcc, s69, v177
	v_subbrev_co_u32_e32 v177, vcc, 0, v34, vcc
	v_sub_u32_e32 v34, 0, v177
	v_ldexp_f32 v35, v36, v34
	v_add_f32_e32 v36, -1.0, v35
	v_add_f32_e32 v178, 1.0, v35
	v_ldexp_f32 v34, v37, v34
	v_add_f32_e32 v37, 1.0, v36
	v_add_f32_e32 v179, -1.0, v178
	v_sub_f32_e32 v37, v35, v37
	v_sub_f32_e32 v35, v35, v179
	v_add_f32_e32 v37, v34, v37
	v_add_f32_e32 v34, v34, v35
	;; [unrolled: 1-line block ×3, first 2 shown]
	v_rcp_f32_e32 v192, v182
	v_sub_f32_e32 v35, v178, v182
	v_add_f32_e32 v183, v34, v35
	v_add_f32_e32 v35, v36, v37
	v_mul_f32_e32 v194, v35, v192
	v_sub_f32_e32 v34, v36, v35
	v_mul_f32_e32 v36, v182, v194
	v_fma_f32 v178, v194, v182, -v36
	v_fmac_f32_e32 v178, v194, v183
	v_add_f32_e32 v193, v37, v34
	v_add_f32_e32 v34, v36, v178
	v_sub_f32_e32 v37, v35, v34
	v_pk_add_f32 v[180:181], v[34:35], v[36:37] neg_lo:[0,1] neg_hi:[0,1]
	v_mov_b32_e32 v179, v34
	v_pk_add_f32 v[34:35], v[180:181], v[178:179] neg_lo:[0,1] neg_hi:[0,1]
	v_add_f32_e32 v35, v193, v35
	v_add_f32_e32 v34, v34, v35
	v_add_f32_e32 v35, v37, v34
	v_mul_f32_e32 v193, v192, v35
	v_mul_f32_e32 v36, v182, v193
	v_fma_f32 v178, v193, v182, -v36
	v_fmac_f32_e32 v178, v193, v183
	v_sub_f32_e32 v37, v37, v35
	v_add_f32_e32 v182, v34, v37
	v_add_f32_e32 v34, v36, v178
	v_sub_f32_e32 v37, v35, v34
	v_pk_add_f32 v[180:181], v[34:35], v[36:37] neg_lo:[0,1] neg_hi:[0,1]
	v_mov_b32_e32 v179, v34
	v_pk_add_f32 v[34:35], v[180:181], v[178:179] neg_lo:[0,1] neg_hi:[0,1]
	v_add_f32_e32 v35, v182, v35
	v_add_f32_e32 v34, v34, v35
	;; [unrolled: 1-line block ×4, first 2 shown]
	v_sub_f32_e32 v35, v37, v194
	v_mul_f32_e32 v34, v192, v34
	v_sub_f32_e32 v35, v193, v35
	v_add_f32_e32 v34, v35, v34
	v_add_f32_e32 v178, v37, v34
	v_mul_f32_e32 v180, v178, v178
	v_mov_b32_e32 v36, 0x3ecc95a3
	v_fmac_f32_e32 v36, 0x3e9b6dac, v180
	v_mov_b32_e32 v35, 0x3f2aaada
	v_fmac_f32_e32 v35, v180, v36
	v_cvt_f32_i32_e32 v36, v177
	v_sub_f32_e32 v37, v178, v37
	v_sub_f32_e32 v34, v34, v37
	v_ldexp_f32 v177, v34, 1
	v_mul_f32_e32 v37, v178, v180
	v_mov_b32_e32 v34, 0x3f317218
	s_mov_b32 s69, 0x3f317218
	v_pk_mul_f32 v[34:35], v[36:37], v[34:35]
	v_ldexp_f32 v179, v178, 1
	v_fma_f32 v178, v36, s69, -v34
	v_fmac_f32_e32 v178, 0xb102e308, v36
	v_pk_add_f32 v[36:37], v[34:35], v[178:179]
	v_sub_f32_e32 v179, v37, v179
	v_sub_f32_e32 v179, v35, v179
	v_add_f32_e32 v181, v177, v179
	v_mov_b32_e32 v180, v34
	v_pk_add_f32 v[34:35], v[36:37], v[34:35] neg_lo:[0,1] neg_hi:[0,1]
	v_pk_add_f32 v[182:183], v[36:37], v[180:181]
	v_mov_b32_e32 v35, v183
	v_mov_b32_e32 v179, v36
	v_pk_add_f32 v[192:193], v[178:179], v[34:35] neg_lo:[0,1] neg_hi:[0,1]
	v_pk_add_f32 v[34:35], v[178:179], v[34:35]
	v_mov_b32_e32 v178, v35
	v_pk_add_f32 v[194:195], v[178:179], v[36:37] neg_lo:[0,1] neg_hi:[0,1]
	v_mov_b32_e32 v177, v194
	v_pk_add_f32 v[196:197], v[182:183], v[176:177] neg_lo:[0,1] neg_hi:[0,1]
	v_mov_b32_e32 v34, v183
	v_mov_b32_e32 v182, v37
	;; [unrolled: 1-line block ×4, first 2 shown]
	v_pk_add_f32 v[34:35], v[34:35], v[182:183] neg_lo:[0,1] neg_hi:[0,1]
	v_mov_b32_e32 v180, v181
	v_mov_b32_e32 v181, v36
	v_pk_add_f32 v[34:35], v[180:181], v[34:35] neg_lo:[0,1] neg_hi:[0,1]
	v_mov_b32_e32 v196, v192
	v_pk_add_f32 v[36:37], v[196:197], v[34:35]
	v_mov_b32_e32 v180, v37
	v_pk_add_f32 v[180:181], v[36:37], v[180:181]
	v_pk_add_f32 v[178:179], v[178:179], v[180:181]
	v_mov_b32_e32 v37, v178
	v_pk_add_f32 v[182:183], v[36:37], v[192:193] neg_lo:[0,1] neg_hi:[0,1]
	v_mov_b32_e32 v35, v180
	v_sub_f32_e32 v36, v36, v182
	v_pk_add_f32 v[34:35], v[34:35], v[182:183] neg_lo:[0,1] neg_hi:[0,1]
	v_sub_f32_e32 v36, v192, v36
	s_mov_b32 s70, 0x7f800000
	v_add_f32_e32 v34, v34, v36
	s_mov_b32 s69, 0x33800000
	v_add_f32_e32 v34, v34, v35
	v_cmp_eq_f32_e32 vcc, s70, v198
	v_cmp_lt_f32_e64 s[70:71], |v198|, s69
	v_add_f32_e32 v34, v178, v34
	s_or_b64 vcc, vcc, s[70:71]
	v_cndmask_b32_e32 v34, v34, v198, vcc
	v_add_f32_e32 v34, v31, v34
.LBB512_157:
	s_or_b64 exec, exec, s[62:63]
	v_bfe_u32 v31, v34, 16, 1
	s_movk_i32 vcc_lo, 0x7fff
	v_add3_u32 v31, v34, v31, vcc_lo
	v_lshrrev_b32_e32 v31, 16, v31
	v_mov_b32_e32 v35, 0x7fc0
	v_cmp_o_f32_e32 vcc, v34, v34
	v_cndmask_b32_e32 v36, v35, v31, vcc
.LBB512_158:
	s_or_b64 exec, exec, s[66:67]
	s_waitcnt lgkmcnt(0)
	v_mov_b32_e32 v31, 0
	s_movk_i32 s69, 0x1f8
	s_mov_b32 s70, 0x3fb8aa3b
	s_mov_b32 s71, 0xc2ce8ed0
	;; [unrolled: 1-line block ×5, first 2 shown]
	v_mov_b32_e32 v178, 0x3f2aaada
	s_mov_b32 s75, 0x3f317218
	s_mov_b32 s76, 0x33800000
	s_movk_i32 s77, 0x7fff
	v_mov_b32_e32 v179, 2
	v_mov_b32_e32 v180, 0x7f800000
	;; [unrolled: 1-line block ×4, first 2 shown]
	s_branch .LBB512_160
.LBB512_159:                            ;   in Loop: Header=BB512_160 Depth=1
                                        ; implicit-def: $vgpr36
                                        ; implicit-def: $vgpr148
	s_cbranch_execnz .LBB512_192
.LBB512_160:                            ; =>This Loop Header: Depth=1
                                        ;     Child Loop BB512_163 Depth 2
	v_cmp_ne_u16_sdwa vcc, v148, v179 src0_sel:BYTE_0 src1_sel:DWORD
	v_cndmask_b32_e64 v35, 0, 1, vcc
	;;#ASMSTART
	;;#ASMEND
	v_cmp_ne_u32_e32 vcc, 0, v35
	s_cmp_lg_u64 vcc, exec
	v_mov_b32_e32 v177, v36
	s_cbranch_scc1 .LBB512_159
; %bb.161:                              ;   in Loop: Header=BB512_160 Depth=1
	v_lshlrev_b64 v[36:37], 2, v[30:31]
	v_add_co_u32_e32 v36, vcc, v24, v36
	v_addc_co_u32_e32 v37, vcc, v25, v37, vcc
	flat_load_dword v35, v[36:37] glc
	s_waitcnt vmcnt(0) lgkmcnt(0)
	v_lshrrev_b32_e32 v148, 16, v35
	v_cmp_eq_u16_sdwa s[62:63], v148, v31 src0_sel:BYTE_0 src1_sel:DWORD
	s_and_saveexec_b64 vcc, s[62:63]
	s_cbranch_execz .LBB512_165
; %bb.162:                              ;   in Loop: Header=BB512_160 Depth=1
	s_mov_b64 s[62:63], 0
.LBB512_163:                            ;   Parent Loop BB512_160 Depth=1
                                        ; =>  This Inner Loop Header: Depth=2
	flat_load_dword v35, v[36:37] glc
	s_waitcnt vmcnt(0) lgkmcnt(0)
	v_lshrrev_b32_e32 v148, 16, v35
	v_cmp_ne_u16_sdwa s[66:67], v148, v31 src0_sel:BYTE_0 src1_sel:DWORD
	s_or_b64 s[62:63], s[66:67], s[62:63]
	s_andn2_b64 exec, exec, s[62:63]
	s_cbranch_execnz .LBB512_163
; %bb.164:                              ;   in Loop: Header=BB512_160 Depth=1
	s_or_b64 exec, exec, s[62:63]
.LBB512_165:                            ;   in Loop: Header=BB512_160 Depth=1
	s_or_b64 exec, exec, vcc
	v_cmp_eq_u16_sdwa vcc, v148, v179 src0_sel:BYTE_0 src1_sel:DWORD
	v_and_b32_e32 v36, vcc_hi, v33
	v_and_b32_e32 v37, 0xffff, v35
	v_or_b32_e32 v36, 0x80000000, v36
	ds_bpermute_b32 v182, v150, v37
	v_and_b32_e32 v183, vcc_lo, v32
	v_ffbl_b32_e32 v36, v36
	v_add_u32_e32 v36, 32, v36
	v_ffbl_b32_e32 v183, v183
	v_min_u32_e32 v36, v183, v36
	v_cmp_lt_u32_e32 vcc, v149, v36
	s_and_saveexec_b64 s[66:67], vcc
	s_cbranch_execz .LBB512_169
; %bb.166:                              ;   in Loop: Header=BB512_160 Depth=1
	s_waitcnt lgkmcnt(0)
	v_lshlrev_b32_e32 v35, 16, v182
	v_lshlrev_b32_e32 v37, 16, v37
	v_max_f32_e32 v183, v37, v37
	v_max_f32_e32 v192, v35, v35
	v_min_f32_e32 v182, v192, v183
	v_cmp_u_f32_e32 vcc, v35, v35
	v_max_f32_e32 v183, v192, v183
	v_cndmask_b32_e32 v182, v182, v35, vcc
	v_cmp_u_f32_e64 s[62:63], v37, v37
	v_cndmask_b32_e32 v183, v183, v35, vcc
	v_cndmask_b32_e64 v182, v182, v37, s[62:63]
	v_cndmask_b32_e64 v37, v183, v37, s[62:63]
	v_cmp_neq_f32_e32 vcc, v182, v37
	v_cmp_class_f32_e64 s[62:63], v182, s69
	s_or_b64 vcc, vcc, s[62:63]
	s_and_saveexec_b64 s[62:63], vcc
	s_cbranch_execz .LBB512_168
; %bb.167:                              ;   in Loop: Header=BB512_160 Depth=1
	v_sub_f32_e32 v35, v182, v37
	v_mul_f32_e32 v182, 0x3fb8aa3b, v35
	v_fma_f32 v183, v35, s70, -v182
	v_rndne_f32_e32 v192, v182
	v_fmac_f32_e32 v183, 0x32a5705f, v35
	v_sub_f32_e32 v182, v182, v192
	v_add_f32_e32 v182, v182, v183
	v_cvt_i32_f32_e32 v183, v192
	v_exp_f32_e32 v182, v182
	v_cmp_ngt_f32_e32 vcc, s71, v35
	v_ldexp_f32 v182, v182, v183
	v_cndmask_b32_e32 v182, 0, v182, vcc
	v_cmp_nlt_f32_e32 vcc, s72, v35
	v_cndmask_b32_e32 v214, v180, v182, vcc
	v_add_f32_e32 v35, 1.0, v214
	v_add_f32_e32 v182, -1.0, v35
	v_sub_f32_e32 v183, v182, v35
	v_add_f32_e32 v183, 1.0, v183
	v_sub_f32_e32 v182, v214, v182
	v_add_f32_e32 v192, v182, v183
	v_frexp_mant_f32_e32 v193, v35
	v_cvt_f64_f32_e32 v[182:183], v35
	v_frexp_exp_i32_f64_e32 v182, v[182:183]
	v_cmp_gt_f32_e32 vcc, s74, v193
	v_subbrev_co_u32_e32 v198, vcc, 0, v182, vcc
	v_sub_u32_e32 v182, 0, v198
	v_ldexp_f32 v35, v35, v182
	v_ldexp_f32 v182, v192, v182
	v_add_f32_e32 v192, -1.0, v35
	v_add_f32_e32 v183, 1.0, v192
	v_sub_f32_e32 v183, v35, v183
	v_add_f32_e32 v193, v182, v183
	v_add_f32_e32 v183, 1.0, v35
	v_add_f32_e32 v194, -1.0, v183
	v_sub_f32_e32 v35, v35, v194
	v_add_f32_e32 v35, v182, v35
	v_add_f32_e32 v199, v183, v35
	v_rcp_f32_e32 v208, v199
	v_sub_f32_e32 v182, v183, v199
	v_add_f32_e32 v183, v192, v193
	v_add_f32_e32 v35, v35, v182
	v_mul_f32_e32 v210, v183, v208
	v_sub_f32_e32 v182, v192, v183
	v_mul_f32_e32 v192, v199, v210
	v_fma_f32 v194, v210, v199, -v192
	v_fmac_f32_e32 v194, v210, v35
	v_add_f32_e32 v209, v193, v182
	v_add_f32_e32 v182, v192, v194
	v_sub_f32_e32 v193, v183, v182
	v_pk_add_f32 v[196:197], v[182:183], v[192:193] neg_lo:[0,1] neg_hi:[0,1]
	v_mov_b32_e32 v195, v182
	v_pk_add_f32 v[182:183], v[196:197], v[194:195] neg_lo:[0,1] neg_hi:[0,1]
	v_add_f32_e32 v183, v209, v183
	v_add_f32_e32 v182, v182, v183
	;; [unrolled: 1-line block ×3, first 2 shown]
	v_mul_f32_e32 v209, v208, v183
	v_mul_f32_e32 v192, v199, v209
	v_fma_f32 v194, v209, v199, -v192
	v_fmac_f32_e32 v194, v209, v35
	v_sub_f32_e32 v35, v193, v183
	v_add_f32_e32 v35, v182, v35
	v_add_f32_e32 v182, v192, v194
	v_sub_f32_e32 v193, v183, v182
	v_pk_add_f32 v[196:197], v[182:183], v[192:193] neg_lo:[0,1] neg_hi:[0,1]
	v_mov_b32_e32 v195, v182
	v_pk_add_f32 v[182:183], v[196:197], v[194:195] neg_lo:[0,1] neg_hi:[0,1]
	v_add_f32_e32 v35, v35, v183
	v_add_f32_e32 v35, v182, v35
	;; [unrolled: 1-line block ×4, first 2 shown]
	v_sub_f32_e32 v182, v183, v210
	v_mul_f32_e32 v35, v208, v35
	v_sub_f32_e32 v182, v209, v182
	v_add_f32_e32 v192, v182, v35
	v_add_f32_e32 v194, v183, v192
	v_cvt_f32_i32_e32 v182, v198
	v_mul_f32_e32 v195, v194, v194
	v_mov_b32_e32 v35, 0x3ecc95a3
	v_sub_f32_e32 v183, v194, v183
	v_fmac_f32_e32 v35, 0x3e9b6dac, v195
	v_sub_f32_e32 v183, v192, v183
	v_fma_f32 v35, v195, v35, v178
	v_ldexp_f32 v196, v183, 1
	v_mul_f32_e32 v183, v194, v195
	v_ldexp_f32 v193, v194, 1
	v_pk_mul_f32 v[194:195], v[182:183], v[34:35]
	v_fma_f32 v192, v182, s75, -v194
	v_fmac_f32_e32 v192, 0xb102e308, v182
	v_pk_add_f32 v[182:183], v[194:195], v[192:193]
	v_sub_f32_e32 v35, v183, v193
	v_sub_f32_e32 v35, v195, v35
	v_add_f32_e32 v197, v196, v35
	v_mov_b32_e32 v196, v194
	v_pk_add_f32 v[194:195], v[182:183], v[194:195] neg_lo:[0,1] neg_hi:[0,1]
	v_pk_add_f32 v[198:199], v[182:183], v[196:197]
	v_mov_b32_e32 v195, v199
	v_mov_b32_e32 v193, v182
	v_pk_add_f32 v[208:209], v[192:193], v[194:195] neg_lo:[0,1] neg_hi:[0,1]
	v_pk_add_f32 v[192:193], v[192:193], v[194:195]
	v_mov_b32_e32 v194, v193
	v_pk_add_f32 v[210:211], v[194:195], v[182:183] neg_lo:[0,1] neg_hi:[0,1]
	v_mov_b32_e32 v35, v210
	v_pk_add_f32 v[212:213], v[198:199], v[34:35] neg_lo:[0,1] neg_hi:[0,1]
	v_mov_b32_e32 v192, v199
	v_mov_b32_e32 v198, v183
	;; [unrolled: 1-line block ×4, first 2 shown]
	v_pk_add_f32 v[192:193], v[192:193], v[198:199] neg_lo:[0,1] neg_hi:[0,1]
	v_mov_b32_e32 v196, v197
	v_mov_b32_e32 v197, v182
	v_pk_add_f32 v[182:183], v[196:197], v[192:193] neg_lo:[0,1] neg_hi:[0,1]
	v_mov_b32_e32 v212, v208
	v_pk_add_f32 v[192:193], v[212:213], v[182:183]
	v_mov_b32_e32 v196, v193
	v_pk_add_f32 v[196:197], v[192:193], v[196:197]
	v_pk_add_f32 v[194:195], v[194:195], v[196:197]
	v_mov_b32_e32 v193, v194
	v_pk_add_f32 v[198:199], v[192:193], v[208:209] neg_lo:[0,1] neg_hi:[0,1]
	v_mov_b32_e32 v183, v196
	v_sub_f32_e32 v35, v192, v198
	v_pk_add_f32 v[182:183], v[182:183], v[198:199] neg_lo:[0,1] neg_hi:[0,1]
	v_sub_f32_e32 v35, v208, v35
	v_add_f32_e32 v35, v182, v35
	v_add_f32_e32 v35, v35, v183
	v_cmp_eq_f32_e32 vcc, s73, v214
	v_cmp_lt_f32_e64 s[78:79], |v214|, s76
	v_add_f32_e32 v35, v194, v35
	s_or_b64 vcc, vcc, s[78:79]
	v_cndmask_b32_e32 v35, v35, v214, vcc
	v_add_f32_e32 v35, v37, v35
.LBB512_168:                            ;   in Loop: Header=BB512_160 Depth=1
	s_or_b64 exec, exec, s[62:63]
	v_bfe_u32 v37, v35, 16, 1
	v_add3_u32 v37, v35, v37, s77
	v_lshrrev_b32_e32 v37, 16, v37
	v_cmp_o_f32_e32 vcc, v35, v35
	v_cndmask_b32_e32 v35, v181, v37, vcc
	v_and_b32_e32 v37, 0xffff, v35
.LBB512_169:                            ;   in Loop: Header=BB512_160 Depth=1
	s_or_b64 exec, exec, s[66:67]
	s_waitcnt lgkmcnt(0)
	ds_bpermute_b32 v182, v151, v37
	v_cmp_le_u32_e32 vcc, v160, v36
	s_and_saveexec_b64 s[66:67], vcc
	s_cbranch_execz .LBB512_173
; %bb.170:                              ;   in Loop: Header=BB512_160 Depth=1
	s_waitcnt lgkmcnt(0)
	v_lshlrev_b32_e32 v35, 16, v182
	v_lshlrev_b32_e32 v37, 16, v37
	v_max_f32_e32 v183, v37, v37
	v_max_f32_e32 v192, v35, v35
	v_min_f32_e32 v182, v192, v183
	v_cmp_u_f32_e32 vcc, v35, v35
	v_max_f32_e32 v183, v192, v183
	v_cndmask_b32_e32 v182, v182, v35, vcc
	v_cmp_u_f32_e64 s[62:63], v37, v37
	v_cndmask_b32_e32 v183, v183, v35, vcc
	v_cndmask_b32_e64 v182, v182, v37, s[62:63]
	v_cndmask_b32_e64 v37, v183, v37, s[62:63]
	v_cmp_neq_f32_e32 vcc, v182, v37
	v_cmp_class_f32_e64 s[62:63], v182, s69
	s_or_b64 vcc, vcc, s[62:63]
	s_and_saveexec_b64 s[62:63], vcc
	s_cbranch_execz .LBB512_172
; %bb.171:                              ;   in Loop: Header=BB512_160 Depth=1
	v_sub_f32_e32 v35, v182, v37
	v_mul_f32_e32 v182, 0x3fb8aa3b, v35
	v_fma_f32 v183, v35, s70, -v182
	v_rndne_f32_e32 v192, v182
	v_fmac_f32_e32 v183, 0x32a5705f, v35
	v_sub_f32_e32 v182, v182, v192
	v_add_f32_e32 v182, v182, v183
	v_cvt_i32_f32_e32 v183, v192
	v_exp_f32_e32 v182, v182
	v_cmp_ngt_f32_e32 vcc, s71, v35
	v_ldexp_f32 v182, v182, v183
	v_cndmask_b32_e32 v182, 0, v182, vcc
	v_cmp_nlt_f32_e32 vcc, s72, v35
	v_cndmask_b32_e32 v214, v180, v182, vcc
	v_add_f32_e32 v35, 1.0, v214
	v_add_f32_e32 v182, -1.0, v35
	v_sub_f32_e32 v183, v182, v35
	v_add_f32_e32 v183, 1.0, v183
	v_sub_f32_e32 v182, v214, v182
	v_add_f32_e32 v192, v182, v183
	v_frexp_mant_f32_e32 v193, v35
	v_cvt_f64_f32_e32 v[182:183], v35
	v_frexp_exp_i32_f64_e32 v182, v[182:183]
	v_cmp_gt_f32_e32 vcc, s74, v193
	v_subbrev_co_u32_e32 v198, vcc, 0, v182, vcc
	v_sub_u32_e32 v182, 0, v198
	v_ldexp_f32 v35, v35, v182
	v_ldexp_f32 v182, v192, v182
	v_add_f32_e32 v192, -1.0, v35
	v_add_f32_e32 v183, 1.0, v192
	v_sub_f32_e32 v183, v35, v183
	v_add_f32_e32 v193, v182, v183
	v_add_f32_e32 v183, 1.0, v35
	v_add_f32_e32 v194, -1.0, v183
	v_sub_f32_e32 v35, v35, v194
	v_add_f32_e32 v35, v182, v35
	v_add_f32_e32 v199, v183, v35
	v_rcp_f32_e32 v208, v199
	v_sub_f32_e32 v182, v183, v199
	v_add_f32_e32 v183, v192, v193
	v_add_f32_e32 v35, v35, v182
	v_mul_f32_e32 v210, v183, v208
	v_sub_f32_e32 v182, v192, v183
	v_mul_f32_e32 v192, v199, v210
	v_fma_f32 v194, v210, v199, -v192
	v_fmac_f32_e32 v194, v210, v35
	v_add_f32_e32 v209, v193, v182
	v_add_f32_e32 v182, v192, v194
	v_sub_f32_e32 v193, v183, v182
	v_pk_add_f32 v[196:197], v[182:183], v[192:193] neg_lo:[0,1] neg_hi:[0,1]
	v_mov_b32_e32 v195, v182
	v_pk_add_f32 v[182:183], v[196:197], v[194:195] neg_lo:[0,1] neg_hi:[0,1]
	v_add_f32_e32 v183, v209, v183
	v_add_f32_e32 v182, v182, v183
	v_add_f32_e32 v183, v193, v182
	v_mul_f32_e32 v209, v208, v183
	v_mul_f32_e32 v192, v199, v209
	v_fma_f32 v194, v209, v199, -v192
	v_fmac_f32_e32 v194, v209, v35
	v_sub_f32_e32 v35, v193, v183
	v_add_f32_e32 v35, v182, v35
	v_add_f32_e32 v182, v192, v194
	v_sub_f32_e32 v193, v183, v182
	v_pk_add_f32 v[196:197], v[182:183], v[192:193] neg_lo:[0,1] neg_hi:[0,1]
	v_mov_b32_e32 v195, v182
	v_pk_add_f32 v[182:183], v[196:197], v[194:195] neg_lo:[0,1] neg_hi:[0,1]
	v_add_f32_e32 v35, v35, v183
	v_add_f32_e32 v35, v182, v35
	;; [unrolled: 1-line block ×4, first 2 shown]
	v_sub_f32_e32 v182, v183, v210
	v_mul_f32_e32 v35, v208, v35
	v_sub_f32_e32 v182, v209, v182
	v_add_f32_e32 v192, v182, v35
	v_add_f32_e32 v194, v183, v192
	v_cvt_f32_i32_e32 v182, v198
	v_mul_f32_e32 v195, v194, v194
	v_mov_b32_e32 v35, 0x3ecc95a3
	v_sub_f32_e32 v183, v194, v183
	v_fmac_f32_e32 v35, 0x3e9b6dac, v195
	v_sub_f32_e32 v183, v192, v183
	v_fma_f32 v35, v195, v35, v178
	v_ldexp_f32 v196, v183, 1
	v_mul_f32_e32 v183, v194, v195
	v_ldexp_f32 v193, v194, 1
	v_pk_mul_f32 v[194:195], v[182:183], v[34:35]
	v_fma_f32 v192, v182, s75, -v194
	v_fmac_f32_e32 v192, 0xb102e308, v182
	v_pk_add_f32 v[182:183], v[194:195], v[192:193]
	v_sub_f32_e32 v35, v183, v193
	v_sub_f32_e32 v35, v195, v35
	v_add_f32_e32 v197, v196, v35
	v_mov_b32_e32 v196, v194
	v_pk_add_f32 v[194:195], v[182:183], v[194:195] neg_lo:[0,1] neg_hi:[0,1]
	v_pk_add_f32 v[198:199], v[182:183], v[196:197]
	v_mov_b32_e32 v195, v199
	v_mov_b32_e32 v193, v182
	v_pk_add_f32 v[208:209], v[192:193], v[194:195] neg_lo:[0,1] neg_hi:[0,1]
	v_pk_add_f32 v[192:193], v[192:193], v[194:195]
	v_mov_b32_e32 v194, v193
	v_pk_add_f32 v[210:211], v[194:195], v[182:183] neg_lo:[0,1] neg_hi:[0,1]
	v_mov_b32_e32 v35, v210
	v_pk_add_f32 v[212:213], v[198:199], v[34:35] neg_lo:[0,1] neg_hi:[0,1]
	v_mov_b32_e32 v192, v199
	v_mov_b32_e32 v198, v183
	;; [unrolled: 1-line block ×4, first 2 shown]
	v_pk_add_f32 v[192:193], v[192:193], v[198:199] neg_lo:[0,1] neg_hi:[0,1]
	v_mov_b32_e32 v196, v197
	v_mov_b32_e32 v197, v182
	v_pk_add_f32 v[182:183], v[196:197], v[192:193] neg_lo:[0,1] neg_hi:[0,1]
	v_mov_b32_e32 v212, v208
	v_pk_add_f32 v[192:193], v[212:213], v[182:183]
	v_mov_b32_e32 v196, v193
	v_pk_add_f32 v[196:197], v[192:193], v[196:197]
	v_pk_add_f32 v[194:195], v[194:195], v[196:197]
	v_mov_b32_e32 v193, v194
	v_pk_add_f32 v[198:199], v[192:193], v[208:209] neg_lo:[0,1] neg_hi:[0,1]
	v_mov_b32_e32 v183, v196
	v_sub_f32_e32 v35, v192, v198
	v_pk_add_f32 v[182:183], v[182:183], v[198:199] neg_lo:[0,1] neg_hi:[0,1]
	v_sub_f32_e32 v35, v208, v35
	v_add_f32_e32 v35, v182, v35
	v_add_f32_e32 v35, v35, v183
	v_cmp_eq_f32_e32 vcc, s73, v214
	v_cmp_lt_f32_e64 s[78:79], |v214|, s76
	v_add_f32_e32 v35, v194, v35
	s_or_b64 vcc, vcc, s[78:79]
	v_cndmask_b32_e32 v35, v35, v214, vcc
	v_add_f32_e32 v35, v37, v35
.LBB512_172:                            ;   in Loop: Header=BB512_160 Depth=1
	s_or_b64 exec, exec, s[62:63]
	v_bfe_u32 v37, v35, 16, 1
	v_add3_u32 v37, v35, v37, s77
	v_lshrrev_b32_e32 v37, 16, v37
	v_cmp_o_f32_e32 vcc, v35, v35
	v_cndmask_b32_e32 v35, v181, v37, vcc
	v_and_b32_e32 v37, 0xffff, v35
.LBB512_173:                            ;   in Loop: Header=BB512_160 Depth=1
	s_or_b64 exec, exec, s[66:67]
	s_waitcnt lgkmcnt(0)
	ds_bpermute_b32 v182, v161, v37
	v_cmp_le_u32_e32 vcc, v162, v36
	s_and_saveexec_b64 s[66:67], vcc
	s_cbranch_execz .LBB512_177
; %bb.174:                              ;   in Loop: Header=BB512_160 Depth=1
	s_waitcnt lgkmcnt(0)
	v_lshlrev_b32_e32 v35, 16, v182
	v_lshlrev_b32_e32 v37, 16, v37
	v_max_f32_e32 v183, v37, v37
	v_max_f32_e32 v192, v35, v35
	v_min_f32_e32 v182, v192, v183
	v_cmp_u_f32_e32 vcc, v35, v35
	v_max_f32_e32 v183, v192, v183
	v_cndmask_b32_e32 v182, v182, v35, vcc
	v_cmp_u_f32_e64 s[62:63], v37, v37
	v_cndmask_b32_e32 v183, v183, v35, vcc
	v_cndmask_b32_e64 v182, v182, v37, s[62:63]
	v_cndmask_b32_e64 v37, v183, v37, s[62:63]
	v_cmp_neq_f32_e32 vcc, v182, v37
	v_cmp_class_f32_e64 s[62:63], v182, s69
	s_or_b64 vcc, vcc, s[62:63]
	s_and_saveexec_b64 s[62:63], vcc
	s_cbranch_execz .LBB512_176
; %bb.175:                              ;   in Loop: Header=BB512_160 Depth=1
	v_sub_f32_e32 v35, v182, v37
	v_mul_f32_e32 v182, 0x3fb8aa3b, v35
	v_fma_f32 v183, v35, s70, -v182
	v_rndne_f32_e32 v192, v182
	v_fmac_f32_e32 v183, 0x32a5705f, v35
	v_sub_f32_e32 v182, v182, v192
	v_add_f32_e32 v182, v182, v183
	v_cvt_i32_f32_e32 v183, v192
	v_exp_f32_e32 v182, v182
	v_cmp_ngt_f32_e32 vcc, s71, v35
	v_ldexp_f32 v182, v182, v183
	v_cndmask_b32_e32 v182, 0, v182, vcc
	v_cmp_nlt_f32_e32 vcc, s72, v35
	v_cndmask_b32_e32 v214, v180, v182, vcc
	v_add_f32_e32 v35, 1.0, v214
	v_add_f32_e32 v182, -1.0, v35
	v_sub_f32_e32 v183, v182, v35
	v_add_f32_e32 v183, 1.0, v183
	v_sub_f32_e32 v182, v214, v182
	v_add_f32_e32 v192, v182, v183
	v_frexp_mant_f32_e32 v193, v35
	v_cvt_f64_f32_e32 v[182:183], v35
	v_frexp_exp_i32_f64_e32 v182, v[182:183]
	v_cmp_gt_f32_e32 vcc, s74, v193
	v_subbrev_co_u32_e32 v198, vcc, 0, v182, vcc
	v_sub_u32_e32 v182, 0, v198
	v_ldexp_f32 v35, v35, v182
	v_ldexp_f32 v182, v192, v182
	v_add_f32_e32 v192, -1.0, v35
	v_add_f32_e32 v183, 1.0, v192
	v_sub_f32_e32 v183, v35, v183
	v_add_f32_e32 v193, v182, v183
	v_add_f32_e32 v183, 1.0, v35
	v_add_f32_e32 v194, -1.0, v183
	v_sub_f32_e32 v35, v35, v194
	v_add_f32_e32 v35, v182, v35
	v_add_f32_e32 v199, v183, v35
	v_rcp_f32_e32 v208, v199
	v_sub_f32_e32 v182, v183, v199
	v_add_f32_e32 v183, v192, v193
	v_add_f32_e32 v35, v35, v182
	v_mul_f32_e32 v210, v183, v208
	v_sub_f32_e32 v182, v192, v183
	v_mul_f32_e32 v192, v199, v210
	v_fma_f32 v194, v210, v199, -v192
	v_fmac_f32_e32 v194, v210, v35
	v_add_f32_e32 v209, v193, v182
	v_add_f32_e32 v182, v192, v194
	v_sub_f32_e32 v193, v183, v182
	v_pk_add_f32 v[196:197], v[182:183], v[192:193] neg_lo:[0,1] neg_hi:[0,1]
	v_mov_b32_e32 v195, v182
	v_pk_add_f32 v[182:183], v[196:197], v[194:195] neg_lo:[0,1] neg_hi:[0,1]
	v_add_f32_e32 v183, v209, v183
	v_add_f32_e32 v182, v182, v183
	;; [unrolled: 1-line block ×3, first 2 shown]
	v_mul_f32_e32 v209, v208, v183
	v_mul_f32_e32 v192, v199, v209
	v_fma_f32 v194, v209, v199, -v192
	v_fmac_f32_e32 v194, v209, v35
	v_sub_f32_e32 v35, v193, v183
	v_add_f32_e32 v35, v182, v35
	v_add_f32_e32 v182, v192, v194
	v_sub_f32_e32 v193, v183, v182
	v_pk_add_f32 v[196:197], v[182:183], v[192:193] neg_lo:[0,1] neg_hi:[0,1]
	v_mov_b32_e32 v195, v182
	v_pk_add_f32 v[182:183], v[196:197], v[194:195] neg_lo:[0,1] neg_hi:[0,1]
	v_add_f32_e32 v35, v35, v183
	v_add_f32_e32 v35, v182, v35
	v_add_f32_e32 v183, v210, v209
	v_add_f32_e32 v35, v193, v35
	v_sub_f32_e32 v182, v183, v210
	v_mul_f32_e32 v35, v208, v35
	v_sub_f32_e32 v182, v209, v182
	v_add_f32_e32 v192, v182, v35
	v_add_f32_e32 v194, v183, v192
	v_cvt_f32_i32_e32 v182, v198
	v_mul_f32_e32 v195, v194, v194
	v_mov_b32_e32 v35, 0x3ecc95a3
	v_sub_f32_e32 v183, v194, v183
	v_fmac_f32_e32 v35, 0x3e9b6dac, v195
	v_sub_f32_e32 v183, v192, v183
	v_fma_f32 v35, v195, v35, v178
	v_ldexp_f32 v196, v183, 1
	v_mul_f32_e32 v183, v194, v195
	v_ldexp_f32 v193, v194, 1
	v_pk_mul_f32 v[194:195], v[182:183], v[34:35]
	v_fma_f32 v192, v182, s75, -v194
	v_fmac_f32_e32 v192, 0xb102e308, v182
	v_pk_add_f32 v[182:183], v[194:195], v[192:193]
	v_sub_f32_e32 v35, v183, v193
	v_sub_f32_e32 v35, v195, v35
	v_add_f32_e32 v197, v196, v35
	v_mov_b32_e32 v196, v194
	v_pk_add_f32 v[194:195], v[182:183], v[194:195] neg_lo:[0,1] neg_hi:[0,1]
	v_pk_add_f32 v[198:199], v[182:183], v[196:197]
	v_mov_b32_e32 v195, v199
	v_mov_b32_e32 v193, v182
	v_pk_add_f32 v[208:209], v[192:193], v[194:195] neg_lo:[0,1] neg_hi:[0,1]
	v_pk_add_f32 v[192:193], v[192:193], v[194:195]
	v_mov_b32_e32 v194, v193
	v_pk_add_f32 v[210:211], v[194:195], v[182:183] neg_lo:[0,1] neg_hi:[0,1]
	v_mov_b32_e32 v35, v210
	v_pk_add_f32 v[212:213], v[198:199], v[34:35] neg_lo:[0,1] neg_hi:[0,1]
	v_mov_b32_e32 v192, v199
	v_mov_b32_e32 v198, v183
	;; [unrolled: 1-line block ×4, first 2 shown]
	v_pk_add_f32 v[192:193], v[192:193], v[198:199] neg_lo:[0,1] neg_hi:[0,1]
	v_mov_b32_e32 v196, v197
	v_mov_b32_e32 v197, v182
	v_pk_add_f32 v[182:183], v[196:197], v[192:193] neg_lo:[0,1] neg_hi:[0,1]
	v_mov_b32_e32 v212, v208
	v_pk_add_f32 v[192:193], v[212:213], v[182:183]
	v_mov_b32_e32 v196, v193
	v_pk_add_f32 v[196:197], v[192:193], v[196:197]
	v_pk_add_f32 v[194:195], v[194:195], v[196:197]
	v_mov_b32_e32 v193, v194
	v_pk_add_f32 v[198:199], v[192:193], v[208:209] neg_lo:[0,1] neg_hi:[0,1]
	v_mov_b32_e32 v183, v196
	v_sub_f32_e32 v35, v192, v198
	v_pk_add_f32 v[182:183], v[182:183], v[198:199] neg_lo:[0,1] neg_hi:[0,1]
	v_sub_f32_e32 v35, v208, v35
	v_add_f32_e32 v35, v182, v35
	v_add_f32_e32 v35, v35, v183
	v_cmp_eq_f32_e32 vcc, s73, v214
	v_cmp_lt_f32_e64 s[78:79], |v214|, s76
	v_add_f32_e32 v35, v194, v35
	s_or_b64 vcc, vcc, s[78:79]
	v_cndmask_b32_e32 v35, v35, v214, vcc
	v_add_f32_e32 v35, v37, v35
.LBB512_176:                            ;   in Loop: Header=BB512_160 Depth=1
	s_or_b64 exec, exec, s[62:63]
	v_bfe_u32 v37, v35, 16, 1
	v_add3_u32 v37, v35, v37, s77
	v_lshrrev_b32_e32 v37, 16, v37
	v_cmp_o_f32_e32 vcc, v35, v35
	v_cndmask_b32_e32 v35, v181, v37, vcc
	v_and_b32_e32 v37, 0xffff, v35
.LBB512_177:                            ;   in Loop: Header=BB512_160 Depth=1
	s_or_b64 exec, exec, s[66:67]
	s_waitcnt lgkmcnt(0)
	ds_bpermute_b32 v182, v163, v37
	v_cmp_le_u32_e32 vcc, v164, v36
	s_and_saveexec_b64 s[66:67], vcc
	s_cbranch_execz .LBB512_181
; %bb.178:                              ;   in Loop: Header=BB512_160 Depth=1
	s_waitcnt lgkmcnt(0)
	v_lshlrev_b32_e32 v35, 16, v182
	v_lshlrev_b32_e32 v37, 16, v37
	v_max_f32_e32 v183, v37, v37
	v_max_f32_e32 v192, v35, v35
	v_min_f32_e32 v182, v192, v183
	v_cmp_u_f32_e32 vcc, v35, v35
	v_max_f32_e32 v183, v192, v183
	v_cndmask_b32_e32 v182, v182, v35, vcc
	v_cmp_u_f32_e64 s[62:63], v37, v37
	v_cndmask_b32_e32 v183, v183, v35, vcc
	v_cndmask_b32_e64 v182, v182, v37, s[62:63]
	v_cndmask_b32_e64 v37, v183, v37, s[62:63]
	v_cmp_neq_f32_e32 vcc, v182, v37
	v_cmp_class_f32_e64 s[62:63], v182, s69
	s_or_b64 vcc, vcc, s[62:63]
	s_and_saveexec_b64 s[62:63], vcc
	s_cbranch_execz .LBB512_180
; %bb.179:                              ;   in Loop: Header=BB512_160 Depth=1
	v_sub_f32_e32 v35, v182, v37
	v_mul_f32_e32 v182, 0x3fb8aa3b, v35
	v_fma_f32 v183, v35, s70, -v182
	v_rndne_f32_e32 v192, v182
	v_fmac_f32_e32 v183, 0x32a5705f, v35
	v_sub_f32_e32 v182, v182, v192
	v_add_f32_e32 v182, v182, v183
	v_cvt_i32_f32_e32 v183, v192
	v_exp_f32_e32 v182, v182
	v_cmp_ngt_f32_e32 vcc, s71, v35
	v_ldexp_f32 v182, v182, v183
	v_cndmask_b32_e32 v182, 0, v182, vcc
	v_cmp_nlt_f32_e32 vcc, s72, v35
	v_cndmask_b32_e32 v214, v180, v182, vcc
	v_add_f32_e32 v35, 1.0, v214
	v_add_f32_e32 v182, -1.0, v35
	v_sub_f32_e32 v183, v182, v35
	v_add_f32_e32 v183, 1.0, v183
	v_sub_f32_e32 v182, v214, v182
	v_add_f32_e32 v192, v182, v183
	v_frexp_mant_f32_e32 v193, v35
	v_cvt_f64_f32_e32 v[182:183], v35
	v_frexp_exp_i32_f64_e32 v182, v[182:183]
	v_cmp_gt_f32_e32 vcc, s74, v193
	v_subbrev_co_u32_e32 v198, vcc, 0, v182, vcc
	v_sub_u32_e32 v182, 0, v198
	v_ldexp_f32 v35, v35, v182
	v_ldexp_f32 v182, v192, v182
	v_add_f32_e32 v192, -1.0, v35
	v_add_f32_e32 v183, 1.0, v192
	v_sub_f32_e32 v183, v35, v183
	v_add_f32_e32 v193, v182, v183
	v_add_f32_e32 v183, 1.0, v35
	v_add_f32_e32 v194, -1.0, v183
	v_sub_f32_e32 v35, v35, v194
	v_add_f32_e32 v35, v182, v35
	v_add_f32_e32 v199, v183, v35
	v_rcp_f32_e32 v208, v199
	v_sub_f32_e32 v182, v183, v199
	v_add_f32_e32 v183, v192, v193
	v_add_f32_e32 v35, v35, v182
	v_mul_f32_e32 v210, v183, v208
	v_sub_f32_e32 v182, v192, v183
	v_mul_f32_e32 v192, v199, v210
	v_fma_f32 v194, v210, v199, -v192
	v_fmac_f32_e32 v194, v210, v35
	v_add_f32_e32 v209, v193, v182
	v_add_f32_e32 v182, v192, v194
	v_sub_f32_e32 v193, v183, v182
	v_pk_add_f32 v[196:197], v[182:183], v[192:193] neg_lo:[0,1] neg_hi:[0,1]
	v_mov_b32_e32 v195, v182
	v_pk_add_f32 v[182:183], v[196:197], v[194:195] neg_lo:[0,1] neg_hi:[0,1]
	v_add_f32_e32 v183, v209, v183
	v_add_f32_e32 v182, v182, v183
	;; [unrolled: 1-line block ×3, first 2 shown]
	v_mul_f32_e32 v209, v208, v183
	v_mul_f32_e32 v192, v199, v209
	v_fma_f32 v194, v209, v199, -v192
	v_fmac_f32_e32 v194, v209, v35
	v_sub_f32_e32 v35, v193, v183
	v_add_f32_e32 v35, v182, v35
	v_add_f32_e32 v182, v192, v194
	v_sub_f32_e32 v193, v183, v182
	v_pk_add_f32 v[196:197], v[182:183], v[192:193] neg_lo:[0,1] neg_hi:[0,1]
	v_mov_b32_e32 v195, v182
	v_pk_add_f32 v[182:183], v[196:197], v[194:195] neg_lo:[0,1] neg_hi:[0,1]
	v_add_f32_e32 v35, v35, v183
	v_add_f32_e32 v35, v182, v35
	;; [unrolled: 1-line block ×4, first 2 shown]
	v_sub_f32_e32 v182, v183, v210
	v_mul_f32_e32 v35, v208, v35
	v_sub_f32_e32 v182, v209, v182
	v_add_f32_e32 v192, v182, v35
	v_add_f32_e32 v194, v183, v192
	v_cvt_f32_i32_e32 v182, v198
	v_mul_f32_e32 v195, v194, v194
	v_mov_b32_e32 v35, 0x3ecc95a3
	v_sub_f32_e32 v183, v194, v183
	v_fmac_f32_e32 v35, 0x3e9b6dac, v195
	v_sub_f32_e32 v183, v192, v183
	v_fma_f32 v35, v195, v35, v178
	v_ldexp_f32 v196, v183, 1
	v_mul_f32_e32 v183, v194, v195
	v_ldexp_f32 v193, v194, 1
	v_pk_mul_f32 v[194:195], v[182:183], v[34:35]
	v_fma_f32 v192, v182, s75, -v194
	v_fmac_f32_e32 v192, 0xb102e308, v182
	v_pk_add_f32 v[182:183], v[194:195], v[192:193]
	v_sub_f32_e32 v35, v183, v193
	v_sub_f32_e32 v35, v195, v35
	v_add_f32_e32 v197, v196, v35
	v_mov_b32_e32 v196, v194
	v_pk_add_f32 v[194:195], v[182:183], v[194:195] neg_lo:[0,1] neg_hi:[0,1]
	v_pk_add_f32 v[198:199], v[182:183], v[196:197]
	v_mov_b32_e32 v195, v199
	v_mov_b32_e32 v193, v182
	v_pk_add_f32 v[208:209], v[192:193], v[194:195] neg_lo:[0,1] neg_hi:[0,1]
	v_pk_add_f32 v[192:193], v[192:193], v[194:195]
	v_mov_b32_e32 v194, v193
	v_pk_add_f32 v[210:211], v[194:195], v[182:183] neg_lo:[0,1] neg_hi:[0,1]
	v_mov_b32_e32 v35, v210
	v_pk_add_f32 v[212:213], v[198:199], v[34:35] neg_lo:[0,1] neg_hi:[0,1]
	v_mov_b32_e32 v192, v199
	v_mov_b32_e32 v198, v183
	;; [unrolled: 1-line block ×4, first 2 shown]
	v_pk_add_f32 v[192:193], v[192:193], v[198:199] neg_lo:[0,1] neg_hi:[0,1]
	v_mov_b32_e32 v196, v197
	v_mov_b32_e32 v197, v182
	v_pk_add_f32 v[182:183], v[196:197], v[192:193] neg_lo:[0,1] neg_hi:[0,1]
	v_mov_b32_e32 v212, v208
	v_pk_add_f32 v[192:193], v[212:213], v[182:183]
	v_mov_b32_e32 v196, v193
	v_pk_add_f32 v[196:197], v[192:193], v[196:197]
	v_pk_add_f32 v[194:195], v[194:195], v[196:197]
	v_mov_b32_e32 v193, v194
	v_pk_add_f32 v[198:199], v[192:193], v[208:209] neg_lo:[0,1] neg_hi:[0,1]
	v_mov_b32_e32 v183, v196
	v_sub_f32_e32 v35, v192, v198
	v_pk_add_f32 v[182:183], v[182:183], v[198:199] neg_lo:[0,1] neg_hi:[0,1]
	v_sub_f32_e32 v35, v208, v35
	v_add_f32_e32 v35, v182, v35
	v_add_f32_e32 v35, v35, v183
	v_cmp_eq_f32_e32 vcc, s73, v214
	v_cmp_lt_f32_e64 s[78:79], |v214|, s76
	v_add_f32_e32 v35, v194, v35
	s_or_b64 vcc, vcc, s[78:79]
	v_cndmask_b32_e32 v35, v35, v214, vcc
	v_add_f32_e32 v35, v37, v35
.LBB512_180:                            ;   in Loop: Header=BB512_160 Depth=1
	s_or_b64 exec, exec, s[62:63]
	v_bfe_u32 v37, v35, 16, 1
	v_add3_u32 v37, v35, v37, s77
	v_lshrrev_b32_e32 v37, 16, v37
	v_cmp_o_f32_e32 vcc, v35, v35
	v_cndmask_b32_e32 v35, v181, v37, vcc
	v_and_b32_e32 v37, 0xffff, v35
.LBB512_181:                            ;   in Loop: Header=BB512_160 Depth=1
	s_or_b64 exec, exec, s[66:67]
	s_waitcnt lgkmcnt(0)
	ds_bpermute_b32 v182, v165, v37
	v_cmp_le_u32_e32 vcc, v166, v36
	s_and_saveexec_b64 s[66:67], vcc
	s_cbranch_execz .LBB512_185
; %bb.182:                              ;   in Loop: Header=BB512_160 Depth=1
	s_waitcnt lgkmcnt(0)
	v_lshlrev_b32_e32 v35, 16, v182
	v_lshlrev_b32_e32 v37, 16, v37
	v_max_f32_e32 v183, v37, v37
	v_max_f32_e32 v192, v35, v35
	v_min_f32_e32 v182, v192, v183
	v_cmp_u_f32_e32 vcc, v35, v35
	v_max_f32_e32 v183, v192, v183
	v_cndmask_b32_e32 v182, v182, v35, vcc
	v_cmp_u_f32_e64 s[62:63], v37, v37
	v_cndmask_b32_e32 v183, v183, v35, vcc
	v_cndmask_b32_e64 v182, v182, v37, s[62:63]
	v_cndmask_b32_e64 v37, v183, v37, s[62:63]
	v_cmp_neq_f32_e32 vcc, v182, v37
	v_cmp_class_f32_e64 s[62:63], v182, s69
	s_or_b64 vcc, vcc, s[62:63]
	s_and_saveexec_b64 s[62:63], vcc
	s_cbranch_execz .LBB512_184
; %bb.183:                              ;   in Loop: Header=BB512_160 Depth=1
	v_sub_f32_e32 v35, v182, v37
	v_mul_f32_e32 v182, 0x3fb8aa3b, v35
	v_fma_f32 v183, v35, s70, -v182
	v_rndne_f32_e32 v192, v182
	v_fmac_f32_e32 v183, 0x32a5705f, v35
	v_sub_f32_e32 v182, v182, v192
	v_add_f32_e32 v182, v182, v183
	v_cvt_i32_f32_e32 v183, v192
	v_exp_f32_e32 v182, v182
	v_cmp_ngt_f32_e32 vcc, s71, v35
	v_ldexp_f32 v182, v182, v183
	v_cndmask_b32_e32 v182, 0, v182, vcc
	v_cmp_nlt_f32_e32 vcc, s72, v35
	v_cndmask_b32_e32 v214, v180, v182, vcc
	v_add_f32_e32 v35, 1.0, v214
	v_add_f32_e32 v182, -1.0, v35
	v_sub_f32_e32 v183, v182, v35
	v_add_f32_e32 v183, 1.0, v183
	v_sub_f32_e32 v182, v214, v182
	v_add_f32_e32 v192, v182, v183
	v_frexp_mant_f32_e32 v193, v35
	v_cvt_f64_f32_e32 v[182:183], v35
	v_frexp_exp_i32_f64_e32 v182, v[182:183]
	v_cmp_gt_f32_e32 vcc, s74, v193
	v_subbrev_co_u32_e32 v198, vcc, 0, v182, vcc
	v_sub_u32_e32 v182, 0, v198
	v_ldexp_f32 v35, v35, v182
	v_ldexp_f32 v182, v192, v182
	v_add_f32_e32 v192, -1.0, v35
	v_add_f32_e32 v183, 1.0, v192
	v_sub_f32_e32 v183, v35, v183
	v_add_f32_e32 v193, v182, v183
	v_add_f32_e32 v183, 1.0, v35
	v_add_f32_e32 v194, -1.0, v183
	v_sub_f32_e32 v35, v35, v194
	v_add_f32_e32 v35, v182, v35
	v_add_f32_e32 v199, v183, v35
	v_rcp_f32_e32 v208, v199
	v_sub_f32_e32 v182, v183, v199
	v_add_f32_e32 v183, v192, v193
	v_add_f32_e32 v35, v35, v182
	v_mul_f32_e32 v210, v183, v208
	v_sub_f32_e32 v182, v192, v183
	v_mul_f32_e32 v192, v199, v210
	v_fma_f32 v194, v210, v199, -v192
	v_fmac_f32_e32 v194, v210, v35
	v_add_f32_e32 v209, v193, v182
	v_add_f32_e32 v182, v192, v194
	v_sub_f32_e32 v193, v183, v182
	v_pk_add_f32 v[196:197], v[182:183], v[192:193] neg_lo:[0,1] neg_hi:[0,1]
	v_mov_b32_e32 v195, v182
	v_pk_add_f32 v[182:183], v[196:197], v[194:195] neg_lo:[0,1] neg_hi:[0,1]
	v_add_f32_e32 v183, v209, v183
	v_add_f32_e32 v182, v182, v183
	;; [unrolled: 1-line block ×3, first 2 shown]
	v_mul_f32_e32 v209, v208, v183
	v_mul_f32_e32 v192, v199, v209
	v_fma_f32 v194, v209, v199, -v192
	v_fmac_f32_e32 v194, v209, v35
	v_sub_f32_e32 v35, v193, v183
	v_add_f32_e32 v35, v182, v35
	v_add_f32_e32 v182, v192, v194
	v_sub_f32_e32 v193, v183, v182
	v_pk_add_f32 v[196:197], v[182:183], v[192:193] neg_lo:[0,1] neg_hi:[0,1]
	v_mov_b32_e32 v195, v182
	v_pk_add_f32 v[182:183], v[196:197], v[194:195] neg_lo:[0,1] neg_hi:[0,1]
	v_add_f32_e32 v35, v35, v183
	v_add_f32_e32 v35, v182, v35
	;; [unrolled: 1-line block ×4, first 2 shown]
	v_sub_f32_e32 v182, v183, v210
	v_mul_f32_e32 v35, v208, v35
	v_sub_f32_e32 v182, v209, v182
	v_add_f32_e32 v192, v182, v35
	v_add_f32_e32 v194, v183, v192
	v_cvt_f32_i32_e32 v182, v198
	v_mul_f32_e32 v195, v194, v194
	v_mov_b32_e32 v35, 0x3ecc95a3
	v_sub_f32_e32 v183, v194, v183
	v_fmac_f32_e32 v35, 0x3e9b6dac, v195
	v_sub_f32_e32 v183, v192, v183
	v_fma_f32 v35, v195, v35, v178
	v_ldexp_f32 v196, v183, 1
	v_mul_f32_e32 v183, v194, v195
	v_ldexp_f32 v193, v194, 1
	v_pk_mul_f32 v[194:195], v[182:183], v[34:35]
	v_fma_f32 v192, v182, s75, -v194
	v_fmac_f32_e32 v192, 0xb102e308, v182
	v_pk_add_f32 v[182:183], v[194:195], v[192:193]
	v_sub_f32_e32 v35, v183, v193
	v_sub_f32_e32 v35, v195, v35
	v_add_f32_e32 v197, v196, v35
	v_mov_b32_e32 v196, v194
	v_pk_add_f32 v[194:195], v[182:183], v[194:195] neg_lo:[0,1] neg_hi:[0,1]
	v_pk_add_f32 v[198:199], v[182:183], v[196:197]
	v_mov_b32_e32 v195, v199
	v_mov_b32_e32 v193, v182
	v_pk_add_f32 v[208:209], v[192:193], v[194:195] neg_lo:[0,1] neg_hi:[0,1]
	v_pk_add_f32 v[192:193], v[192:193], v[194:195]
	v_mov_b32_e32 v194, v193
	v_pk_add_f32 v[210:211], v[194:195], v[182:183] neg_lo:[0,1] neg_hi:[0,1]
	v_mov_b32_e32 v35, v210
	v_pk_add_f32 v[212:213], v[198:199], v[34:35] neg_lo:[0,1] neg_hi:[0,1]
	v_mov_b32_e32 v192, v199
	v_mov_b32_e32 v198, v183
	;; [unrolled: 1-line block ×4, first 2 shown]
	v_pk_add_f32 v[192:193], v[192:193], v[198:199] neg_lo:[0,1] neg_hi:[0,1]
	v_mov_b32_e32 v196, v197
	v_mov_b32_e32 v197, v182
	v_pk_add_f32 v[182:183], v[196:197], v[192:193] neg_lo:[0,1] neg_hi:[0,1]
	v_mov_b32_e32 v212, v208
	v_pk_add_f32 v[192:193], v[212:213], v[182:183]
	v_mov_b32_e32 v196, v193
	v_pk_add_f32 v[196:197], v[192:193], v[196:197]
	v_pk_add_f32 v[194:195], v[194:195], v[196:197]
	v_mov_b32_e32 v193, v194
	v_pk_add_f32 v[198:199], v[192:193], v[208:209] neg_lo:[0,1] neg_hi:[0,1]
	v_mov_b32_e32 v183, v196
	v_sub_f32_e32 v35, v192, v198
	v_pk_add_f32 v[182:183], v[182:183], v[198:199] neg_lo:[0,1] neg_hi:[0,1]
	v_sub_f32_e32 v35, v208, v35
	v_add_f32_e32 v35, v182, v35
	v_add_f32_e32 v35, v35, v183
	v_cmp_eq_f32_e32 vcc, s73, v214
	v_cmp_lt_f32_e64 s[78:79], |v214|, s76
	v_add_f32_e32 v35, v194, v35
	s_or_b64 vcc, vcc, s[78:79]
	v_cndmask_b32_e32 v35, v35, v214, vcc
	v_add_f32_e32 v35, v37, v35
.LBB512_184:                            ;   in Loop: Header=BB512_160 Depth=1
	s_or_b64 exec, exec, s[62:63]
	v_bfe_u32 v37, v35, 16, 1
	v_add3_u32 v37, v35, v37, s77
	v_lshrrev_b32_e32 v37, 16, v37
	v_cmp_o_f32_e32 vcc, v35, v35
	v_cndmask_b32_e32 v35, v181, v37, vcc
	v_and_b32_e32 v37, 0xffff, v35
.LBB512_185:                            ;   in Loop: Header=BB512_160 Depth=1
	s_or_b64 exec, exec, s[66:67]
	s_waitcnt lgkmcnt(0)
	ds_bpermute_b32 v182, v167, v37
	v_cmp_le_u32_e32 vcc, v176, v36
	s_and_saveexec_b64 s[66:67], vcc
	s_cbranch_execz .LBB512_189
; %bb.186:                              ;   in Loop: Header=BB512_160 Depth=1
	s_waitcnt lgkmcnt(0)
	v_lshlrev_b32_e32 v35, 16, v182
	v_lshlrev_b32_e32 v36, 16, v37
	v_max_f32_e32 v182, v36, v36
	v_max_f32_e32 v183, v35, v35
	v_min_f32_e32 v37, v183, v182
	v_cmp_u_f32_e32 vcc, v35, v35
	v_max_f32_e32 v182, v183, v182
	v_cndmask_b32_e32 v37, v37, v35, vcc
	v_cmp_u_f32_e64 s[62:63], v36, v36
	v_cndmask_b32_e32 v182, v182, v35, vcc
	v_cndmask_b32_e64 v37, v37, v36, s[62:63]
	v_cndmask_b32_e64 v36, v182, v36, s[62:63]
	v_cmp_neq_f32_e32 vcc, v37, v36
	v_cmp_class_f32_e64 s[62:63], v37, s69
	s_or_b64 vcc, vcc, s[62:63]
	s_and_saveexec_b64 s[62:63], vcc
	s_cbranch_execz .LBB512_188
; %bb.187:                              ;   in Loop: Header=BB512_160 Depth=1
	v_sub_f32_e32 v35, v37, v36
	v_mul_f32_e32 v37, 0x3fb8aa3b, v35
	v_fma_f32 v182, v35, s70, -v37
	v_rndne_f32_e32 v183, v37
	v_fmac_f32_e32 v182, 0x32a5705f, v35
	v_sub_f32_e32 v37, v37, v183
	v_add_f32_e32 v37, v37, v182
	v_cvt_i32_f32_e32 v182, v183
	v_exp_f32_e32 v37, v37
	v_cmp_ngt_f32_e32 vcc, s71, v35
	v_ldexp_f32 v37, v37, v182
	v_cndmask_b32_e32 v37, 0, v37, vcc
	v_cmp_nlt_f32_e32 vcc, s72, v35
	v_cndmask_b32_e32 v37, v180, v37, vcc
	v_add_f32_e32 v35, 1.0, v37
	v_add_f32_e32 v182, -1.0, v35
	v_sub_f32_e32 v183, v182, v35
	v_add_f32_e32 v183, 1.0, v183
	v_sub_f32_e32 v182, v37, v182
	v_add_f32_e32 v192, v182, v183
	v_frexp_mant_f32_e32 v193, v35
	v_cvt_f64_f32_e32 v[182:183], v35
	v_frexp_exp_i32_f64_e32 v182, v[182:183]
	v_cmp_gt_f32_e32 vcc, s74, v193
	v_subbrev_co_u32_e32 v198, vcc, 0, v182, vcc
	v_sub_u32_e32 v182, 0, v198
	v_ldexp_f32 v35, v35, v182
	v_ldexp_f32 v182, v192, v182
	v_add_f32_e32 v192, -1.0, v35
	v_add_f32_e32 v183, 1.0, v192
	v_sub_f32_e32 v183, v35, v183
	v_add_f32_e32 v193, v182, v183
	v_add_f32_e32 v183, 1.0, v35
	v_add_f32_e32 v194, -1.0, v183
	v_sub_f32_e32 v35, v35, v194
	v_add_f32_e32 v35, v182, v35
	v_add_f32_e32 v199, v183, v35
	v_rcp_f32_e32 v208, v199
	v_sub_f32_e32 v182, v183, v199
	v_add_f32_e32 v183, v192, v193
	v_add_f32_e32 v35, v35, v182
	v_mul_f32_e32 v210, v183, v208
	v_sub_f32_e32 v182, v192, v183
	v_mul_f32_e32 v192, v199, v210
	v_fma_f32 v194, v210, v199, -v192
	v_fmac_f32_e32 v194, v210, v35
	v_add_f32_e32 v209, v193, v182
	v_add_f32_e32 v182, v192, v194
	v_sub_f32_e32 v193, v183, v182
	v_pk_add_f32 v[196:197], v[182:183], v[192:193] neg_lo:[0,1] neg_hi:[0,1]
	v_mov_b32_e32 v195, v182
	v_pk_add_f32 v[182:183], v[196:197], v[194:195] neg_lo:[0,1] neg_hi:[0,1]
	v_add_f32_e32 v183, v209, v183
	v_add_f32_e32 v182, v182, v183
	;; [unrolled: 1-line block ×3, first 2 shown]
	v_mul_f32_e32 v209, v208, v183
	v_mul_f32_e32 v192, v199, v209
	v_fma_f32 v194, v209, v199, -v192
	v_fmac_f32_e32 v194, v209, v35
	v_sub_f32_e32 v35, v193, v183
	v_add_f32_e32 v35, v182, v35
	v_add_f32_e32 v182, v192, v194
	v_sub_f32_e32 v193, v183, v182
	v_pk_add_f32 v[196:197], v[182:183], v[192:193] neg_lo:[0,1] neg_hi:[0,1]
	v_mov_b32_e32 v195, v182
	v_pk_add_f32 v[182:183], v[196:197], v[194:195] neg_lo:[0,1] neg_hi:[0,1]
	v_add_f32_e32 v35, v35, v183
	v_add_f32_e32 v35, v182, v35
	;; [unrolled: 1-line block ×4, first 2 shown]
	v_sub_f32_e32 v182, v183, v210
	v_mul_f32_e32 v35, v208, v35
	v_sub_f32_e32 v182, v209, v182
	v_add_f32_e32 v192, v182, v35
	v_add_f32_e32 v194, v183, v192
	v_cvt_f32_i32_e32 v182, v198
	v_mul_f32_e32 v195, v194, v194
	v_mov_b32_e32 v35, 0x3ecc95a3
	v_sub_f32_e32 v183, v194, v183
	v_fmac_f32_e32 v35, 0x3e9b6dac, v195
	v_sub_f32_e32 v183, v192, v183
	v_fma_f32 v35, v195, v35, v178
	v_ldexp_f32 v196, v183, 1
	v_mul_f32_e32 v183, v194, v195
	v_ldexp_f32 v193, v194, 1
	v_pk_mul_f32 v[194:195], v[182:183], v[34:35]
	v_fma_f32 v192, v182, s75, -v194
	v_fmac_f32_e32 v192, 0xb102e308, v182
	v_pk_add_f32 v[182:183], v[194:195], v[192:193]
	v_sub_f32_e32 v35, v183, v193
	v_sub_f32_e32 v35, v195, v35
	v_add_f32_e32 v197, v196, v35
	v_mov_b32_e32 v196, v194
	v_pk_add_f32 v[194:195], v[182:183], v[194:195] neg_lo:[0,1] neg_hi:[0,1]
	v_pk_add_f32 v[198:199], v[182:183], v[196:197]
	v_mov_b32_e32 v195, v199
	v_mov_b32_e32 v193, v182
	v_pk_add_f32 v[208:209], v[192:193], v[194:195] neg_lo:[0,1] neg_hi:[0,1]
	v_pk_add_f32 v[192:193], v[192:193], v[194:195]
	v_mov_b32_e32 v194, v193
	v_pk_add_f32 v[210:211], v[194:195], v[182:183] neg_lo:[0,1] neg_hi:[0,1]
	v_mov_b32_e32 v35, v210
	v_pk_add_f32 v[212:213], v[198:199], v[34:35] neg_lo:[0,1] neg_hi:[0,1]
	v_mov_b32_e32 v192, v199
	v_mov_b32_e32 v198, v183
	;; [unrolled: 1-line block ×4, first 2 shown]
	v_pk_add_f32 v[192:193], v[192:193], v[198:199] neg_lo:[0,1] neg_hi:[0,1]
	v_mov_b32_e32 v196, v197
	v_mov_b32_e32 v197, v182
	v_pk_add_f32 v[182:183], v[196:197], v[192:193] neg_lo:[0,1] neg_hi:[0,1]
	v_mov_b32_e32 v212, v208
	v_pk_add_f32 v[192:193], v[212:213], v[182:183]
	v_mov_b32_e32 v196, v193
	v_pk_add_f32 v[196:197], v[192:193], v[196:197]
	v_pk_add_f32 v[194:195], v[194:195], v[196:197]
	v_mov_b32_e32 v193, v194
	v_pk_add_f32 v[198:199], v[192:193], v[208:209] neg_lo:[0,1] neg_hi:[0,1]
	v_mov_b32_e32 v183, v196
	v_sub_f32_e32 v35, v192, v198
	v_pk_add_f32 v[182:183], v[182:183], v[198:199] neg_lo:[0,1] neg_hi:[0,1]
	v_sub_f32_e32 v35, v208, v35
	v_add_f32_e32 v35, v182, v35
	v_add_f32_e32 v35, v35, v183
	v_cmp_eq_f32_e32 vcc, s73, v37
	v_cmp_lt_f32_e64 s[78:79], |v37|, s76
	v_add_f32_e32 v35, v194, v35
	s_or_b64 vcc, vcc, s[78:79]
	v_cndmask_b32_e32 v35, v35, v37, vcc
	v_add_f32_e32 v35, v36, v35
.LBB512_188:                            ;   in Loop: Header=BB512_160 Depth=1
	s_or_b64 exec, exec, s[62:63]
	v_bfe_u32 v36, v35, 16, 1
	v_add3_u32 v36, v35, v36, s77
	v_lshrrev_b32_e32 v36, 16, v36
	v_cmp_o_f32_e32 vcc, v35, v35
	v_cndmask_b32_e32 v35, v181, v36, vcc
.LBB512_189:                            ;   in Loop: Header=BB512_160 Depth=1
	s_or_b64 exec, exec, s[66:67]
	v_lshlrev_b32_e32 v35, 16, v35
	v_lshlrev_b32_e32 v36, 16, v177
	s_waitcnt lgkmcnt(0)
	v_max_f32_e32 v182, v36, v36
	v_max_f32_e32 v183, v35, v35
	v_min_f32_e32 v37, v183, v182
	v_cmp_u_f32_e32 vcc, v35, v35
	v_max_f32_e32 v182, v183, v182
	v_cndmask_b32_e32 v37, v37, v35, vcc
	v_cmp_u_f32_e64 s[62:63], v36, v36
	v_cndmask_b32_e32 v182, v182, v35, vcc
	v_cndmask_b32_e64 v37, v37, v36, s[62:63]
	v_cndmask_b32_e64 v36, v182, v36, s[62:63]
	v_cmp_neq_f32_e32 vcc, v37, v36
	v_cmp_class_f32_e64 s[62:63], v37, s69
	s_or_b64 vcc, vcc, s[62:63]
	s_and_saveexec_b64 s[62:63], vcc
	s_cbranch_execz .LBB512_191
; %bb.190:                              ;   in Loop: Header=BB512_160 Depth=1
	v_sub_f32_e32 v35, v37, v36
	v_mul_f32_e32 v37, 0x3fb8aa3b, v35
	v_fma_f32 v182, v35, s70, -v37
	v_rndne_f32_e32 v183, v37
	v_fmac_f32_e32 v182, 0x32a5705f, v35
	v_sub_f32_e32 v37, v37, v183
	v_add_f32_e32 v37, v37, v182
	v_cvt_i32_f32_e32 v182, v183
	v_exp_f32_e32 v37, v37
	v_cmp_ngt_f32_e32 vcc, s71, v35
	v_ldexp_f32 v37, v37, v182
	v_cndmask_b32_e32 v37, 0, v37, vcc
	v_cmp_nlt_f32_e32 vcc, s72, v35
	v_cndmask_b32_e32 v37, v180, v37, vcc
	v_add_f32_e32 v35, 1.0, v37
	v_add_f32_e32 v182, -1.0, v35
	v_sub_f32_e32 v183, v182, v35
	v_add_f32_e32 v183, 1.0, v183
	v_sub_f32_e32 v182, v37, v182
	v_add_f32_e32 v192, v182, v183
	v_frexp_mant_f32_e32 v193, v35
	v_cvt_f64_f32_e32 v[182:183], v35
	v_frexp_exp_i32_f64_e32 v182, v[182:183]
	v_cmp_gt_f32_e32 vcc, s74, v193
	v_subbrev_co_u32_e32 v198, vcc, 0, v182, vcc
	v_sub_u32_e32 v182, 0, v198
	v_ldexp_f32 v35, v35, v182
	v_ldexp_f32 v182, v192, v182
	v_add_f32_e32 v192, -1.0, v35
	v_add_f32_e32 v183, 1.0, v192
	v_sub_f32_e32 v183, v35, v183
	v_add_f32_e32 v193, v182, v183
	v_add_f32_e32 v183, 1.0, v35
	v_add_f32_e32 v194, -1.0, v183
	v_sub_f32_e32 v35, v35, v194
	v_add_f32_e32 v35, v182, v35
	v_add_f32_e32 v199, v183, v35
	v_rcp_f32_e32 v208, v199
	v_sub_f32_e32 v182, v183, v199
	v_add_f32_e32 v183, v192, v193
	v_add_f32_e32 v35, v35, v182
	v_mul_f32_e32 v210, v183, v208
	v_sub_f32_e32 v182, v192, v183
	v_mul_f32_e32 v192, v199, v210
	v_fma_f32 v194, v210, v199, -v192
	v_fmac_f32_e32 v194, v210, v35
	v_add_f32_e32 v209, v193, v182
	v_add_f32_e32 v182, v192, v194
	v_sub_f32_e32 v193, v183, v182
	v_pk_add_f32 v[196:197], v[182:183], v[192:193] neg_lo:[0,1] neg_hi:[0,1]
	v_mov_b32_e32 v195, v182
	v_pk_add_f32 v[182:183], v[196:197], v[194:195] neg_lo:[0,1] neg_hi:[0,1]
	v_add_f32_e32 v183, v209, v183
	v_add_f32_e32 v182, v182, v183
	;; [unrolled: 1-line block ×3, first 2 shown]
	v_mul_f32_e32 v209, v208, v183
	v_mul_f32_e32 v192, v199, v209
	v_fma_f32 v194, v209, v199, -v192
	v_fmac_f32_e32 v194, v209, v35
	v_sub_f32_e32 v35, v193, v183
	v_add_f32_e32 v35, v182, v35
	v_add_f32_e32 v182, v192, v194
	v_sub_f32_e32 v193, v183, v182
	v_pk_add_f32 v[196:197], v[182:183], v[192:193] neg_lo:[0,1] neg_hi:[0,1]
	v_mov_b32_e32 v195, v182
	v_pk_add_f32 v[182:183], v[196:197], v[194:195] neg_lo:[0,1] neg_hi:[0,1]
	v_add_f32_e32 v35, v35, v183
	v_add_f32_e32 v35, v182, v35
	v_add_f32_e32 v183, v210, v209
	v_add_f32_e32 v35, v193, v35
	v_sub_f32_e32 v182, v183, v210
	v_mul_f32_e32 v35, v208, v35
	v_sub_f32_e32 v182, v209, v182
	v_add_f32_e32 v192, v182, v35
	v_add_f32_e32 v194, v183, v192
	v_cvt_f32_i32_e32 v182, v198
	v_mul_f32_e32 v195, v194, v194
	v_mov_b32_e32 v35, 0x3ecc95a3
	v_sub_f32_e32 v183, v194, v183
	v_fmac_f32_e32 v35, 0x3e9b6dac, v195
	v_sub_f32_e32 v183, v192, v183
	v_fma_f32 v35, v195, v35, v178
	v_ldexp_f32 v196, v183, 1
	v_mul_f32_e32 v183, v194, v195
	v_ldexp_f32 v193, v194, 1
	v_pk_mul_f32 v[194:195], v[182:183], v[34:35]
	v_fma_f32 v192, v182, s75, -v194
	v_fmac_f32_e32 v192, 0xb102e308, v182
	v_pk_add_f32 v[182:183], v[194:195], v[192:193]
	v_sub_f32_e32 v35, v183, v193
	v_sub_f32_e32 v35, v195, v35
	v_add_f32_e32 v197, v196, v35
	v_mov_b32_e32 v196, v194
	v_pk_add_f32 v[194:195], v[182:183], v[194:195] neg_lo:[0,1] neg_hi:[0,1]
	v_pk_add_f32 v[198:199], v[182:183], v[196:197]
	v_mov_b32_e32 v195, v199
	v_mov_b32_e32 v193, v182
	v_pk_add_f32 v[208:209], v[192:193], v[194:195] neg_lo:[0,1] neg_hi:[0,1]
	v_pk_add_f32 v[192:193], v[192:193], v[194:195]
	v_mov_b32_e32 v194, v193
	v_pk_add_f32 v[210:211], v[194:195], v[182:183] neg_lo:[0,1] neg_hi:[0,1]
	v_mov_b32_e32 v35, v210
	v_pk_add_f32 v[212:213], v[198:199], v[34:35] neg_lo:[0,1] neg_hi:[0,1]
	v_mov_b32_e32 v192, v199
	v_mov_b32_e32 v198, v183
	;; [unrolled: 1-line block ×4, first 2 shown]
	v_pk_add_f32 v[192:193], v[192:193], v[198:199] neg_lo:[0,1] neg_hi:[0,1]
	v_mov_b32_e32 v196, v197
	v_mov_b32_e32 v197, v182
	v_pk_add_f32 v[182:183], v[196:197], v[192:193] neg_lo:[0,1] neg_hi:[0,1]
	v_mov_b32_e32 v212, v208
	v_pk_add_f32 v[192:193], v[212:213], v[182:183]
	v_mov_b32_e32 v196, v193
	v_pk_add_f32 v[196:197], v[192:193], v[196:197]
	v_pk_add_f32 v[194:195], v[194:195], v[196:197]
	v_mov_b32_e32 v193, v194
	v_pk_add_f32 v[198:199], v[192:193], v[208:209] neg_lo:[0,1] neg_hi:[0,1]
	v_mov_b32_e32 v183, v196
	v_sub_f32_e32 v35, v192, v198
	v_pk_add_f32 v[182:183], v[182:183], v[198:199] neg_lo:[0,1] neg_hi:[0,1]
	v_sub_f32_e32 v35, v208, v35
	v_add_f32_e32 v35, v182, v35
	v_add_f32_e32 v35, v35, v183
	v_cmp_eq_f32_e32 vcc, s73, v37
	v_cmp_lt_f32_e64 s[66:67], |v37|, s76
	v_add_f32_e32 v35, v194, v35
	s_or_b64 vcc, vcc, s[66:67]
	v_cndmask_b32_e32 v35, v35, v37, vcc
	v_add_f32_e32 v35, v36, v35
.LBB512_191:                            ;   in Loop: Header=BB512_160 Depth=1
	s_or_b64 exec, exec, s[62:63]
	v_bfe_u32 v36, v35, 16, 1
	v_add3_u32 v36, v35, v36, s77
	v_lshrrev_b32_e32 v36, 16, v36
	v_cmp_o_f32_e32 vcc, v35, v35
	v_subrev_u32_e32 v30, 64, v30
	v_cndmask_b32_e32 v36, v181, v36, vcc
	s_branch .LBB512_160
.LBB512_192:
	s_and_saveexec_b64 s[62:63], s[60:61]
	s_cbranch_execz .LBB512_196
; %bb.193:
	v_lshlrev_b32_e32 v31, 16, v177
	v_lshlrev_b32_e32 v30, 16, v147
	v_max_f32_e32 v33, v30, v30
	v_max_f32_e32 v34, v31, v31
	v_min_f32_e32 v32, v34, v33
	v_cmp_u_f32_e32 vcc, v31, v31
	v_max_f32_e32 v33, v34, v33
	v_cndmask_b32_e32 v32, v32, v31, vcc
	v_cmp_u_f32_e64 s[60:61], v30, v30
	v_cndmask_b32_e32 v33, v33, v31, vcc
	v_cndmask_b32_e64 v32, v32, v30, s[60:61]
	v_cndmask_b32_e64 v30, v33, v30, s[60:61]
	s_movk_i32 s60, 0x1f8
	v_cmp_neq_f32_e32 vcc, v32, v30
	v_cmp_class_f32_e64 s[60:61], v32, s60
	s_or_b64 vcc, vcc, s[60:61]
	s_and_saveexec_b64 s[60:61], vcc
	s_cbranch_execz .LBB512_195
; %bb.194:
	v_sub_f32_e32 v31, v32, v30
	s_mov_b32 s66, 0x3fb8aa3b
	v_mul_f32_e32 v32, 0x3fb8aa3b, v31
	v_fma_f32 v33, v31, s66, -v32
	v_rndne_f32_e32 v34, v32
	v_fmac_f32_e32 v33, 0x32a5705f, v31
	v_sub_f32_e32 v32, v32, v34
	v_add_f32_e32 v32, v32, v33
	v_exp_f32_e32 v32, v32
	v_cvt_i32_f32_e32 v33, v34
	s_mov_b32 s66, 0xc2ce8ed0
	v_cmp_ngt_f32_e32 vcc, s66, v31
	s_mov_b32 s66, 0x42b17218
	v_ldexp_f32 v32, v32, v33
	v_cndmask_b32_e32 v32, 0, v32, vcc
	v_mov_b32_e32 v33, 0x7f800000
	v_cmp_nlt_f32_e32 vcc, s66, v31
	v_cndmask_b32_e32 v147, v33, v32, vcc
	v_add_f32_e32 v31, 1.0, v147
	v_add_f32_e32 v32, -1.0, v31
	v_sub_f32_e32 v33, v32, v31
	v_add_f32_e32 v33, 1.0, v33
	v_sub_f32_e32 v32, v147, v32
	v_add_f32_e32 v34, v32, v33
	v_frexp_mant_f32_e32 v35, v31
	s_mov_b32 s66, 0x3f2aaaab
	v_cvt_f64_f32_e32 v[32:33], v31
	v_frexp_exp_i32_f64_e32 v32, v[32:33]
	v_cmp_gt_f32_e32 vcc, s66, v35
	v_subbrev_co_u32_e32 v150, vcc, 0, v32, vcc
	v_sub_u32_e32 v32, 0, v150
	v_ldexp_f32 v31, v31, v32
	v_ldexp_f32 v32, v34, v32
	v_add_f32_e32 v34, -1.0, v31
	v_add_f32_e32 v33, 1.0, v34
	v_sub_f32_e32 v33, v31, v33
	v_add_f32_e32 v35, v32, v33
	v_add_f32_e32 v33, 1.0, v31
	v_add_f32_e32 v36, -1.0, v33
	v_sub_f32_e32 v31, v31, v36
	v_add_f32_e32 v31, v32, v31
	v_add_f32_e32 v151, v33, v31
	v_rcp_f32_e32 v160, v151
	v_sub_f32_e32 v32, v33, v151
	v_add_f32_e32 v33, v34, v35
	v_add_f32_e32 v31, v31, v32
	v_mul_f32_e32 v162, v33, v160
	v_sub_f32_e32 v32, v34, v33
	v_mul_f32_e32 v34, v151, v162
	v_fma_f32 v36, v162, v151, -v34
	v_fmac_f32_e32 v36, v162, v31
	v_add_f32_e32 v161, v35, v32
	v_add_f32_e32 v32, v34, v36
	v_sub_f32_e32 v35, v33, v32
	v_pk_add_f32 v[148:149], v[32:33], v[34:35] neg_lo:[0,1] neg_hi:[0,1]
	v_mov_b32_e32 v37, v32
	v_pk_add_f32 v[32:33], v[148:149], v[36:37] neg_lo:[0,1] neg_hi:[0,1]
	v_add_f32_e32 v33, v161, v33
	v_add_f32_e32 v32, v32, v33
	;; [unrolled: 1-line block ×3, first 2 shown]
	v_mul_f32_e32 v161, v160, v33
	v_mul_f32_e32 v34, v151, v161
	v_fma_f32 v36, v161, v151, -v34
	v_fmac_f32_e32 v36, v161, v31
	v_sub_f32_e32 v31, v35, v33
	v_add_f32_e32 v31, v32, v31
	v_add_f32_e32 v32, v34, v36
	v_sub_f32_e32 v35, v33, v32
	v_pk_add_f32 v[148:149], v[32:33], v[34:35] neg_lo:[0,1] neg_hi:[0,1]
	v_mov_b32_e32 v37, v32
	v_pk_add_f32 v[32:33], v[148:149], v[36:37] neg_lo:[0,1] neg_hi:[0,1]
	v_add_f32_e32 v31, v31, v33
	v_add_f32_e32 v31, v32, v31
	;; [unrolled: 1-line block ×4, first 2 shown]
	v_sub_f32_e32 v33, v32, v162
	v_mul_f32_e32 v31, v160, v31
	v_sub_f32_e32 v33, v161, v33
	v_add_f32_e32 v31, v33, v31
	v_add_f32_e32 v35, v32, v31
	v_mul_f32_e32 v36, v35, v35
	v_mov_b32_e32 v34, 0x3ecc95a3
	v_fmac_f32_e32 v34, 0x3e9b6dac, v36
	v_mov_b32_e32 v33, 0x3f2aaada
	v_fmac_f32_e32 v33, v36, v34
	v_cvt_f32_i32_e32 v34, v150
	v_sub_f32_e32 v32, v35, v32
	v_sub_f32_e32 v31, v31, v32
	v_ldexp_f32 v37, v35, 1
	v_mul_f32_e32 v35, v35, v36
	v_mov_b32_e32 v32, 0x3f317218
	s_mov_b32 s66, 0x3f317218
	v_pk_mul_f32 v[32:33], v[34:35], v[32:33]
	v_fma_f32 v36, v34, s66, -v32
	v_fmac_f32_e32 v36, 0xb102e308, v34
	v_pk_add_f32 v[34:35], v[32:33], v[36:37]
	v_sub_f32_e32 v37, v35, v37
	v_ldexp_f32 v31, v31, 1
	v_sub_f32_e32 v37, v33, v37
	v_add_f32_e32 v149, v31, v37
	v_mov_b32_e32 v148, v32
	v_pk_add_f32 v[32:33], v[34:35], v[32:33] neg_lo:[0,1] neg_hi:[0,1]
	v_pk_add_f32 v[150:151], v[34:35], v[148:149]
	v_mov_b32_e32 v33, v151
	v_mov_b32_e32 v37, v34
	v_pk_add_f32 v[160:161], v[36:37], v[32:33] neg_lo:[0,1] neg_hi:[0,1]
	v_pk_add_f32 v[32:33], v[36:37], v[32:33]
	v_mov_b32_e32 v36, v33
	v_pk_add_f32 v[162:163], v[36:37], v[34:35] neg_lo:[0,1] neg_hi:[0,1]
	v_mov_b32_e32 v31, v162
	v_pk_add_f32 v[164:165], v[150:151], v[30:31] neg_lo:[0,1] neg_hi:[0,1]
	v_mov_b32_e32 v32, v151
	v_mov_b32_e32 v150, v35
	;; [unrolled: 1-line block ×4, first 2 shown]
	v_pk_add_f32 v[32:33], v[32:33], v[150:151] neg_lo:[0,1] neg_hi:[0,1]
	v_mov_b32_e32 v148, v149
	v_mov_b32_e32 v149, v34
	v_pk_add_f32 v[32:33], v[148:149], v[32:33] neg_lo:[0,1] neg_hi:[0,1]
	v_mov_b32_e32 v164, v160
	v_pk_add_f32 v[34:35], v[164:165], v[32:33]
	v_mov_b32_e32 v148, v35
	v_pk_add_f32 v[148:149], v[34:35], v[148:149]
	v_pk_add_f32 v[36:37], v[36:37], v[148:149]
	v_mov_b32_e32 v35, v36
	v_pk_add_f32 v[150:151], v[34:35], v[160:161] neg_lo:[0,1] neg_hi:[0,1]
	v_mov_b32_e32 v33, v148
	v_sub_f32_e32 v31, v34, v150
	v_pk_add_f32 v[32:33], v[32:33], v[150:151] neg_lo:[0,1] neg_hi:[0,1]
	v_sub_f32_e32 v31, v160, v31
	s_mov_b32 s67, 0x7f800000
	v_add_f32_e32 v31, v32, v31
	s_mov_b32 s66, 0x33800000
	v_add_f32_e32 v31, v31, v33
	v_cmp_eq_f32_e32 vcc, s67, v147
	v_cmp_lt_f32_e64 s[66:67], |v147|, s66
	v_add_f32_e32 v31, v36, v31
	s_or_b64 vcc, vcc, s[66:67]
	v_cndmask_b32_e32 v31, v31, v147, vcc
	v_add_f32_e32 v31, v30, v31
.LBB512_195:
	s_or_b64 exec, exec, s[60:61]
	v_bfe_u32 v30, v31, 16, 1
	s_movk_i32 vcc_lo, 0x7fff
	v_add3_u32 v30, v31, v30, vcc_lo
	s_add_i32 vcc_lo, s68, 64
	s_mov_b32 vcc_hi, 0
	s_lshl_b64 vcc, vcc, 2
	v_mov_b32_e32 v33, vcc_hi
	v_add_co_u32_e32 v32, vcc, vcc_lo, v24
	v_addc_co_u32_e32 v33, vcc, v25, v33, vcc
	s_mov_b32 vcc_lo, 0x20000
	v_or_b32_sdwa v30, v30, vcc_lo dst_sel:DWORD dst_unused:UNUSED_PAD src0_sel:WORD_1 src1_sel:DWORD
	v_mov_b32_e32 v34, 0x27fc0
	v_cmp_o_f32_e32 vcc, v31, v31
	v_cndmask_b32_e32 v30, v34, v30, vcc
	flat_store_dword v[32:33], v30
.LBB512_196:
	s_or_b64 exec, exec, s[62:63]
	s_and_b64 exec, exec, s[8:9]
	s_cbranch_execz .LBB512_198
; %bb.197:
	v_mov_b32_e32 v30, 0
	ds_write_b16 v30, v177
.LBB512_198:
	s_or_b64 exec, exec, s[64:65]
	v_mov_b32_e32 v30, 0
	s_waitcnt lgkmcnt(0)
	; wave barrier
	s_waitcnt lgkmcnt(0)
	ds_read_u16 v30, v30
	s_and_saveexec_b64 s[60:61], s[6:7]
	s_cbranch_execz .LBB512_202
; %bb.199:
	v_lshlrev_b32_e32 v32, 16, v146
	v_max_f32_e32 v31, v32, v32
	v_min_f32_e32 v33, v31, v145
	v_cmp_u_f32_e32 vcc, v32, v32
	v_max_f32_e32 v31, v31, v145
	v_cndmask_b32_e32 v33, v33, v32, vcc
	v_cndmask_b32_e32 v31, v31, v32, vcc
	v_cndmask_b32_e64 v33, v33, v144, s[58:59]
	v_cndmask_b32_e64 v31, v31, v144, s[58:59]
	s_movk_i32 s58, 0x1f8
	v_cmp_neq_f32_e32 vcc, v33, v31
	v_cmp_class_f32_e64 s[58:59], v33, s58
	s_or_b64 vcc, vcc, s[58:59]
	s_and_saveexec_b64 s[58:59], vcc
	s_cbranch_execz .LBB512_201
; %bb.200:
	v_sub_f32_e32 v32, v33, v31
	s_mov_b32 s62, 0x3fb8aa3b
	v_mul_f32_e32 v33, 0x3fb8aa3b, v32
	v_fma_f32 v34, v32, s62, -v33
	v_rndne_f32_e32 v35, v33
	v_fmac_f32_e32 v34, 0x32a5705f, v32
	v_sub_f32_e32 v33, v33, v35
	v_add_f32_e32 v33, v33, v34
	v_exp_f32_e32 v33, v33
	v_cvt_i32_f32_e32 v34, v35
	s_mov_b32 s62, 0xc2ce8ed0
	v_cmp_ngt_f32_e32 vcc, s62, v32
	s_mov_b32 s62, 0x42b17218
	v_ldexp_f32 v33, v33, v34
	v_cndmask_b32_e32 v33, 0, v33, vcc
	v_mov_b32_e32 v34, 0x7f800000
	v_cmp_nlt_f32_e32 vcc, s62, v32
	v_cndmask_b32_e32 v162, v34, v33, vcc
	v_add_f32_e32 v34, 1.0, v162
	v_add_f32_e32 v32, -1.0, v34
	v_sub_f32_e32 v33, v32, v34
	v_add_f32_e32 v33, 1.0, v33
	v_sub_f32_e32 v32, v162, v32
	v_add_f32_e32 v35, v32, v33
	v_frexp_mant_f32_e32 v36, v34
	s_mov_b32 s62, 0x3f2aaaab
	v_cvt_f64_f32_e32 v[32:33], v34
	v_frexp_exp_i32_f64_e32 v32, v[32:33]
	v_cmp_gt_f32_e32 vcc, s62, v36
	v_subbrev_co_u32_e32 v146, vcc, 0, v32, vcc
	v_sub_u32_e32 v32, 0, v146
	v_ldexp_f32 v33, v34, v32
	v_add_f32_e32 v34, -1.0, v33
	v_add_f32_e32 v36, 1.0, v33
	v_ldexp_f32 v32, v35, v32
	v_add_f32_e32 v35, 1.0, v34
	v_add_f32_e32 v37, -1.0, v36
	v_sub_f32_e32 v35, v33, v35
	v_sub_f32_e32 v33, v33, v37
	v_add_f32_e32 v35, v32, v35
	v_add_f32_e32 v32, v32, v33
	;; [unrolled: 1-line block ×3, first 2 shown]
	v_rcp_f32_e32 v149, v147
	v_sub_f32_e32 v33, v36, v147
	v_add_f32_e32 v148, v32, v33
	v_add_f32_e32 v33, v34, v35
	v_mul_f32_e32 v151, v33, v149
	v_sub_f32_e32 v32, v34, v33
	v_mul_f32_e32 v34, v147, v151
	v_fma_f32 v36, v151, v147, -v34
	v_fmac_f32_e32 v36, v151, v148
	v_add_f32_e32 v150, v35, v32
	v_add_f32_e32 v32, v34, v36
	v_sub_f32_e32 v35, v33, v32
	v_pk_add_f32 v[144:145], v[32:33], v[34:35] neg_lo:[0,1] neg_hi:[0,1]
	v_mov_b32_e32 v37, v32
	v_pk_add_f32 v[32:33], v[144:145], v[36:37] neg_lo:[0,1] neg_hi:[0,1]
	v_add_f32_e32 v33, v150, v33
	v_add_f32_e32 v32, v32, v33
	;; [unrolled: 1-line block ×3, first 2 shown]
	v_mul_f32_e32 v150, v149, v33
	v_mul_f32_e32 v34, v147, v150
	v_fma_f32 v36, v150, v147, -v34
	v_fmac_f32_e32 v36, v150, v148
	v_sub_f32_e32 v35, v35, v33
	v_add_f32_e32 v147, v32, v35
	v_add_f32_e32 v32, v34, v36
	v_sub_f32_e32 v35, v33, v32
	v_pk_add_f32 v[144:145], v[32:33], v[34:35] neg_lo:[0,1] neg_hi:[0,1]
	v_mov_b32_e32 v37, v32
	v_pk_add_f32 v[32:33], v[144:145], v[36:37] neg_lo:[0,1] neg_hi:[0,1]
	v_add_f32_e32 v33, v147, v33
	v_add_f32_e32 v32, v32, v33
	;; [unrolled: 1-line block ×4, first 2 shown]
	v_sub_f32_e32 v33, v35, v151
	v_mul_f32_e32 v32, v149, v32
	v_sub_f32_e32 v33, v150, v33
	v_add_f32_e32 v32, v33, v32
	v_add_f32_e32 v36, v35, v32
	v_mul_f32_e32 v144, v36, v36
	v_mov_b32_e32 v34, 0x3ecc95a3
	v_fmac_f32_e32 v34, 0x3e9b6dac, v144
	v_mov_b32_e32 v33, 0x3f2aaada
	v_fmac_f32_e32 v33, v144, v34
	v_cvt_f32_i32_e32 v34, v146
	v_sub_f32_e32 v35, v36, v35
	v_sub_f32_e32 v32, v32, v35
	v_ldexp_f32 v145, v32, 1
	v_mul_f32_e32 v35, v36, v144
	v_mov_b32_e32 v32, 0x3f317218
	s_mov_b32 s62, 0x3f317218
	v_pk_mul_f32 v[32:33], v[34:35], v[32:33]
	v_ldexp_f32 v37, v36, 1
	v_fma_f32 v36, v34, s62, -v32
	v_fmac_f32_e32 v36, 0xb102e308, v34
	v_pk_add_f32 v[34:35], v[32:33], v[36:37]
	v_sub_f32_e32 v37, v35, v37
	v_sub_f32_e32 v37, v33, v37
	v_add_f32_e32 v145, v145, v37
	v_mov_b32_e32 v144, v32
	v_pk_add_f32 v[32:33], v[34:35], v[32:33] neg_lo:[0,1] neg_hi:[0,1]
	v_pk_add_f32 v[146:147], v[34:35], v[144:145]
	v_mov_b32_e32 v33, v147
	v_mov_b32_e32 v37, v34
	v_pk_add_f32 v[148:149], v[36:37], v[32:33] neg_lo:[0,1] neg_hi:[0,1]
	v_pk_add_f32 v[32:33], v[36:37], v[32:33]
	v_mov_b32_e32 v36, v33
	v_pk_add_f32 v[150:151], v[36:37], v[34:35] neg_lo:[0,1] neg_hi:[0,1]
	v_mov_b32_e32 v37, v150
	v_pk_add_f32 v[160:161], v[146:147], v[36:37] neg_lo:[0,1] neg_hi:[0,1]
	v_mov_b32_e32 v32, v147
	v_mov_b32_e32 v146, v35
	;; [unrolled: 1-line block ×4, first 2 shown]
	v_pk_add_f32 v[32:33], v[32:33], v[146:147] neg_lo:[0,1] neg_hi:[0,1]
	v_mov_b32_e32 v144, v145
	v_mov_b32_e32 v145, v34
	v_pk_add_f32 v[32:33], v[144:145], v[32:33] neg_lo:[0,1] neg_hi:[0,1]
	v_mov_b32_e32 v160, v148
	v_pk_add_f32 v[34:35], v[160:161], v[32:33]
	v_mov_b32_e32 v144, v35
	v_pk_add_f32 v[144:145], v[34:35], v[144:145]
	v_pk_add_f32 v[36:37], v[36:37], v[144:145]
	v_mov_b32_e32 v35, v36
	v_pk_add_f32 v[146:147], v[34:35], v[148:149] neg_lo:[0,1] neg_hi:[0,1]
	v_mov_b32_e32 v33, v144
	v_sub_f32_e32 v34, v34, v146
	v_pk_add_f32 v[32:33], v[32:33], v[146:147] neg_lo:[0,1] neg_hi:[0,1]
	v_sub_f32_e32 v34, v148, v34
	s_mov_b32 s63, 0x7f800000
	v_add_f32_e32 v32, v32, v34
	s_mov_b32 s62, 0x33800000
	v_add_f32_e32 v32, v32, v33
	v_cmp_eq_f32_e32 vcc, s63, v162
	v_cmp_lt_f32_e64 s[62:63], |v162|, s62
	v_add_f32_e32 v32, v36, v32
	s_or_b64 vcc, vcc, s[62:63]
	v_cndmask_b32_e32 v32, v32, v162, vcc
	v_add_f32_e32 v32, v31, v32
.LBB512_201:
	s_or_b64 exec, exec, s[58:59]
	v_bfe_u32 v31, v32, 16, 1
	s_movk_i32 vcc_lo, 0x7fff
	v_add3_u32 v31, v32, v31, vcc_lo
	v_and_b32_e32 v31, 0xffff0000, v31
	v_mov_b32_e32 v33, 0x7fc00000
	v_cmp_o_f32_e32 vcc, v32, v32
	v_cndmask_b32_e32 v144, v33, v31, vcc
.LBB512_202:
	s_or_b64 exec, exec, s[60:61]
	s_waitcnt lgkmcnt(0)
	v_lshlrev_b32_e32 v32, 16, v30
	v_max_f32_e32 v30, v144, v144
	v_max_f32_e32 v33, v32, v32
	v_min_f32_e32 v31, v33, v30
	v_cmp_u_f32_e32 vcc, v32, v32
	v_max_f32_e32 v30, v33, v30
	v_cndmask_b32_e32 v31, v31, v32, vcc
	v_cmp_u_f32_e64 s[58:59], v144, v144
	v_cndmask_b32_e32 v30, v30, v32, vcc
	v_cndmask_b32_e64 v31, v31, v144, s[58:59]
	v_cndmask_b32_e64 v30, v30, v144, s[58:59]
	s_movk_i32 s60, 0x1f8
	v_cmp_neq_f32_e32 vcc, v31, v30
	v_cmp_class_f32_e64 s[58:59], v31, s60
	s_or_b64 vcc, vcc, s[58:59]
	s_and_saveexec_b64 s[58:59], vcc
	s_cbranch_execz .LBB512_204
; %bb.203:
	v_sub_f32_e32 v31, v31, v30
	s_mov_b32 s61, 0x3fb8aa3b
	v_mul_f32_e32 v32, 0x3fb8aa3b, v31
	v_fma_f32 v33, v31, s61, -v32
	v_rndne_f32_e32 v34, v32
	v_fmac_f32_e32 v33, 0x32a5705f, v31
	v_sub_f32_e32 v32, v32, v34
	v_add_f32_e32 v32, v32, v33
	v_exp_f32_e32 v32, v32
	v_cvt_i32_f32_e32 v33, v34
	s_mov_b32 s61, 0xc2ce8ed0
	v_cmp_ngt_f32_e32 vcc, s61, v31
	s_mov_b32 s61, 0x42b17218
	v_ldexp_f32 v32, v32, v33
	v_cndmask_b32_e32 v32, 0, v32, vcc
	v_mov_b32_e32 v33, 0x7f800000
	v_cmp_nlt_f32_e32 vcc, s61, v31
	v_cndmask_b32_e32 v162, v33, v32, vcc
	v_add_f32_e32 v31, 1.0, v162
	v_add_f32_e32 v32, -1.0, v31
	v_sub_f32_e32 v33, v32, v31
	v_add_f32_e32 v33, 1.0, v33
	v_sub_f32_e32 v32, v162, v32
	v_add_f32_e32 v34, v32, v33
	v_frexp_mant_f32_e32 v35, v31
	s_mov_b32 s61, 0x3f2aaaab
	v_cvt_f64_f32_e32 v[32:33], v31
	v_frexp_exp_i32_f64_e32 v32, v[32:33]
	v_cmp_gt_f32_e32 vcc, s61, v35
	v_subbrev_co_u32_e32 v146, vcc, 0, v32, vcc
	v_sub_u32_e32 v32, 0, v146
	v_ldexp_f32 v31, v31, v32
	v_ldexp_f32 v32, v34, v32
	v_add_f32_e32 v34, -1.0, v31
	v_add_f32_e32 v33, 1.0, v34
	v_sub_f32_e32 v33, v31, v33
	v_add_f32_e32 v35, v32, v33
	v_add_f32_e32 v33, 1.0, v31
	v_add_f32_e32 v36, -1.0, v33
	v_sub_f32_e32 v31, v31, v36
	v_add_f32_e32 v31, v32, v31
	v_add_f32_e32 v147, v33, v31
	v_rcp_f32_e32 v148, v147
	v_sub_f32_e32 v32, v33, v147
	v_add_f32_e32 v33, v34, v35
	v_add_f32_e32 v31, v31, v32
	v_mul_f32_e32 v150, v33, v148
	v_sub_f32_e32 v32, v34, v33
	v_mul_f32_e32 v34, v147, v150
	v_fma_f32 v36, v150, v147, -v34
	v_fmac_f32_e32 v36, v150, v31
	v_add_f32_e32 v149, v35, v32
	v_add_f32_e32 v32, v34, v36
	v_sub_f32_e32 v35, v33, v32
	v_pk_add_f32 v[144:145], v[32:33], v[34:35] neg_lo:[0,1] neg_hi:[0,1]
	v_mov_b32_e32 v37, v32
	v_pk_add_f32 v[32:33], v[144:145], v[36:37] neg_lo:[0,1] neg_hi:[0,1]
	v_add_f32_e32 v33, v149, v33
	v_add_f32_e32 v32, v32, v33
	v_add_f32_e32 v33, v35, v32
	v_mul_f32_e32 v149, v148, v33
	v_mul_f32_e32 v34, v147, v149
	v_fma_f32 v36, v149, v147, -v34
	v_fmac_f32_e32 v36, v149, v31
	v_sub_f32_e32 v31, v35, v33
	v_add_f32_e32 v31, v32, v31
	v_add_f32_e32 v32, v34, v36
	v_sub_f32_e32 v35, v33, v32
	v_pk_add_f32 v[144:145], v[32:33], v[34:35] neg_lo:[0,1] neg_hi:[0,1]
	v_mov_b32_e32 v37, v32
	v_pk_add_f32 v[32:33], v[144:145], v[36:37] neg_lo:[0,1] neg_hi:[0,1]
	v_add_f32_e32 v31, v31, v33
	v_add_f32_e32 v31, v32, v31
	;; [unrolled: 1-line block ×4, first 2 shown]
	v_sub_f32_e32 v33, v32, v150
	v_mul_f32_e32 v31, v148, v31
	v_sub_f32_e32 v33, v149, v33
	v_add_f32_e32 v31, v33, v31
	v_add_f32_e32 v35, v32, v31
	v_mul_f32_e32 v36, v35, v35
	v_mov_b32_e32 v34, 0x3ecc95a3
	v_fmac_f32_e32 v34, 0x3e9b6dac, v36
	v_mov_b32_e32 v33, 0x3f2aaada
	v_fmac_f32_e32 v33, v36, v34
	v_cvt_f32_i32_e32 v34, v146
	v_sub_f32_e32 v32, v35, v32
	v_sub_f32_e32 v31, v31, v32
	v_ldexp_f32 v37, v35, 1
	v_mul_f32_e32 v35, v35, v36
	v_mov_b32_e32 v32, 0x3f317218
	s_mov_b32 s61, 0x3f317218
	v_pk_mul_f32 v[32:33], v[34:35], v[32:33]
	v_fma_f32 v36, v34, s61, -v32
	v_fmac_f32_e32 v36, 0xb102e308, v34
	v_pk_add_f32 v[34:35], v[32:33], v[36:37]
	v_sub_f32_e32 v37, v35, v37
	v_ldexp_f32 v31, v31, 1
	v_sub_f32_e32 v37, v33, v37
	v_add_f32_e32 v145, v31, v37
	v_mov_b32_e32 v144, v32
	v_pk_add_f32 v[32:33], v[34:35], v[32:33] neg_lo:[0,1] neg_hi:[0,1]
	v_pk_add_f32 v[146:147], v[34:35], v[144:145]
	v_mov_b32_e32 v33, v147
	v_mov_b32_e32 v37, v34
	v_pk_add_f32 v[148:149], v[36:37], v[32:33] neg_lo:[0,1] neg_hi:[0,1]
	v_pk_add_f32 v[32:33], v[36:37], v[32:33]
	v_mov_b32_e32 v36, v33
	v_pk_add_f32 v[150:151], v[36:37], v[34:35] neg_lo:[0,1] neg_hi:[0,1]
	v_mov_b32_e32 v31, v150
	v_pk_add_f32 v[160:161], v[146:147], v[30:31] neg_lo:[0,1] neg_hi:[0,1]
	v_mov_b32_e32 v32, v147
	v_mov_b32_e32 v146, v35
	;; [unrolled: 1-line block ×4, first 2 shown]
	v_pk_add_f32 v[32:33], v[32:33], v[146:147] neg_lo:[0,1] neg_hi:[0,1]
	v_mov_b32_e32 v144, v145
	v_mov_b32_e32 v145, v34
	v_pk_add_f32 v[32:33], v[144:145], v[32:33] neg_lo:[0,1] neg_hi:[0,1]
	v_mov_b32_e32 v160, v148
	v_pk_add_f32 v[34:35], v[160:161], v[32:33]
	v_mov_b32_e32 v144, v35
	v_pk_add_f32 v[144:145], v[34:35], v[144:145]
	v_pk_add_f32 v[36:37], v[36:37], v[144:145]
	v_mov_b32_e32 v35, v36
	v_pk_add_f32 v[146:147], v[34:35], v[148:149] neg_lo:[0,1] neg_hi:[0,1]
	v_mov_b32_e32 v33, v144
	v_sub_f32_e32 v31, v34, v146
	v_pk_add_f32 v[32:33], v[32:33], v[146:147] neg_lo:[0,1] neg_hi:[0,1]
	v_sub_f32_e32 v31, v148, v31
	s_mov_b32 s62, 0x7f800000
	v_add_f32_e32 v31, v32, v31
	s_mov_b32 s61, 0x33800000
	v_add_f32_e32 v31, v31, v33
	v_cmp_eq_f32_e32 vcc, s62, v162
	v_cmp_lt_f32_e64 s[62:63], |v162|, s61
	v_add_f32_e32 v31, v36, v31
	s_or_b64 vcc, vcc, s[62:63]
	v_cndmask_b32_e32 v31, v31, v162, vcc
	v_add_f32_e32 v32, v30, v31
.LBB512_204:
	s_or_b64 exec, exec, s[58:59]
	v_bfe_u32 v30, v32, 16, 1
	s_movk_i32 s58, 0x7fff
	v_add3_u32 v30, v32, v30, s58
	v_lshrrev_b32_e32 v30, 16, v30
	v_mov_b32_e32 v31, 0x7fc0
	v_cmp_o_f32_e32 vcc, v32, v32
	v_cndmask_b32_e32 v30, v31, v30, vcc
	v_lshlrev_b32_e32 v33, 16, v30
	v_max_f32_e32 v32, v33, v33
	v_min_f32_e32 v34, v32, v51
	v_cmp_u_f32_e32 vcc, v33, v33
	v_max_f32_e32 v32, v32, v51
	v_cndmask_b32_e32 v34, v34, v33, vcc
	v_cndmask_b32_e32 v32, v32, v33, vcc
	v_cndmask_b32_e64 v34, v34, v50, s[10:11]
	v_cndmask_b32_e64 v32, v32, v50, s[10:11]
	v_cmp_neq_f32_e32 vcc, v34, v32
	v_cmp_class_f32_e64 s[10:11], v34, s60
	s_or_b64 vcc, vcc, s[10:11]
	s_and_saveexec_b64 s[10:11], vcc
	s_cbranch_execz .LBB512_206
; %bb.205:
	v_sub_f32_e32 v33, v34, v32
	s_mov_b32 s59, 0x3fb8aa3b
	v_mul_f32_e32 v34, 0x3fb8aa3b, v33
	v_fma_f32 v35, v33, s59, -v34
	v_rndne_f32_e32 v36, v34
	v_fmac_f32_e32 v35, 0x32a5705f, v33
	v_sub_f32_e32 v34, v34, v36
	v_add_f32_e32 v34, v34, v35
	v_exp_f32_e32 v34, v34
	v_cvt_i32_f32_e32 v35, v36
	s_mov_b32 s59, 0xc2ce8ed0
	v_cmp_ngt_f32_e32 vcc, s59, v33
	s_mov_b32 s59, 0x42b17218
	v_ldexp_f32 v34, v34, v35
	v_cndmask_b32_e32 v34, 0, v34, vcc
	v_mov_b32_e32 v35, 0x7f800000
	v_cmp_nlt_f32_e32 vcc, s59, v33
	v_cndmask_b32_e32 v162, v35, v34, vcc
	v_add_f32_e32 v33, 1.0, v162
	v_add_f32_e32 v34, -1.0, v33
	v_sub_f32_e32 v35, v34, v33
	v_add_f32_e32 v35, 1.0, v35
	v_sub_f32_e32 v34, v162, v34
	v_add_f32_e32 v36, v34, v35
	v_frexp_mant_f32_e32 v37, v33
	s_mov_b32 s59, 0x3f2aaaab
	v_cvt_f64_f32_e32 v[34:35], v33
	v_frexp_exp_i32_f64_e32 v34, v[34:35]
	v_cmp_gt_f32_e32 vcc, s59, v37
	v_subbrev_co_u32_e32 v146, vcc, 0, v34, vcc
	v_sub_u32_e32 v34, 0, v146
	v_ldexp_f32 v33, v33, v34
	v_ldexp_f32 v34, v36, v34
	v_add_f32_e32 v36, -1.0, v33
	v_add_f32_e32 v35, 1.0, v36
	v_sub_f32_e32 v35, v33, v35
	v_add_f32_e32 v37, v34, v35
	v_add_f32_e32 v35, 1.0, v33
	v_add_f32_e32 v50, -1.0, v35
	v_sub_f32_e32 v33, v33, v50
	v_add_f32_e32 v33, v34, v33
	v_add_f32_e32 v147, v35, v33
	v_rcp_f32_e32 v148, v147
	v_sub_f32_e32 v34, v35, v147
	v_add_f32_e32 v35, v36, v37
	v_add_f32_e32 v33, v33, v34
	v_mul_f32_e32 v150, v35, v148
	v_sub_f32_e32 v34, v36, v35
	v_mul_f32_e32 v36, v147, v150
	v_fma_f32 v50, v150, v147, -v36
	v_fmac_f32_e32 v50, v150, v33
	v_add_f32_e32 v149, v37, v34
	v_add_f32_e32 v34, v36, v50
	v_sub_f32_e32 v37, v35, v34
	v_pk_add_f32 v[144:145], v[34:35], v[36:37] neg_lo:[0,1] neg_hi:[0,1]
	v_mov_b32_e32 v51, v34
	v_pk_add_f32 v[34:35], v[144:145], v[50:51] neg_lo:[0,1] neg_hi:[0,1]
	v_add_f32_e32 v35, v149, v35
	v_add_f32_e32 v34, v34, v35
	;; [unrolled: 1-line block ×3, first 2 shown]
	v_mul_f32_e32 v149, v148, v35
	v_mul_f32_e32 v36, v147, v149
	v_fma_f32 v50, v149, v147, -v36
	v_fmac_f32_e32 v50, v149, v33
	v_sub_f32_e32 v33, v37, v35
	v_add_f32_e32 v33, v34, v33
	v_add_f32_e32 v34, v36, v50
	v_sub_f32_e32 v37, v35, v34
	v_pk_add_f32 v[144:145], v[34:35], v[36:37] neg_lo:[0,1] neg_hi:[0,1]
	v_mov_b32_e32 v51, v34
	v_pk_add_f32 v[34:35], v[144:145], v[50:51] neg_lo:[0,1] neg_hi:[0,1]
	v_add_f32_e32 v33, v33, v35
	v_add_f32_e32 v33, v34, v33
	;; [unrolled: 1-line block ×4, first 2 shown]
	v_sub_f32_e32 v35, v34, v150
	v_mul_f32_e32 v33, v148, v33
	v_sub_f32_e32 v35, v149, v35
	v_add_f32_e32 v33, v35, v33
	v_add_f32_e32 v37, v34, v33
	v_mul_f32_e32 v50, v37, v37
	v_mov_b32_e32 v36, 0x3ecc95a3
	v_fmac_f32_e32 v36, 0x3e9b6dac, v50
	v_mov_b32_e32 v35, 0x3f2aaada
	v_fmac_f32_e32 v35, v50, v36
	v_cvt_f32_i32_e32 v36, v146
	v_sub_f32_e32 v34, v37, v34
	v_sub_f32_e32 v33, v33, v34
	v_ldexp_f32 v51, v37, 1
	v_mul_f32_e32 v37, v37, v50
	v_mov_b32_e32 v34, 0x3f317218
	s_mov_b32 s59, 0x3f317218
	v_pk_mul_f32 v[34:35], v[36:37], v[34:35]
	v_fma_f32 v50, v36, s59, -v34
	v_fmac_f32_e32 v50, 0xb102e308, v36
	v_pk_add_f32 v[36:37], v[34:35], v[50:51]
	v_sub_f32_e32 v51, v37, v51
	v_ldexp_f32 v33, v33, 1
	v_sub_f32_e32 v51, v35, v51
	v_add_f32_e32 v145, v33, v51
	v_mov_b32_e32 v144, v34
	v_pk_add_f32 v[34:35], v[36:37], v[34:35] neg_lo:[0,1] neg_hi:[0,1]
	v_pk_add_f32 v[146:147], v[36:37], v[144:145]
	v_mov_b32_e32 v35, v147
	v_mov_b32_e32 v51, v36
	v_pk_add_f32 v[148:149], v[50:51], v[34:35] neg_lo:[0,1] neg_hi:[0,1]
	v_pk_add_f32 v[34:35], v[50:51], v[34:35]
	v_mov_b32_e32 v50, v35
	v_pk_add_f32 v[150:151], v[50:51], v[36:37] neg_lo:[0,1] neg_hi:[0,1]
	v_mov_b32_e32 v33, v150
	v_pk_add_f32 v[160:161], v[146:147], v[32:33] neg_lo:[0,1] neg_hi:[0,1]
	v_mov_b32_e32 v34, v147
	v_mov_b32_e32 v146, v37
	;; [unrolled: 1-line block ×4, first 2 shown]
	v_pk_add_f32 v[34:35], v[34:35], v[146:147] neg_lo:[0,1] neg_hi:[0,1]
	v_mov_b32_e32 v144, v145
	v_mov_b32_e32 v145, v36
	v_pk_add_f32 v[34:35], v[144:145], v[34:35] neg_lo:[0,1] neg_hi:[0,1]
	v_mov_b32_e32 v160, v148
	v_pk_add_f32 v[36:37], v[160:161], v[34:35]
	v_mov_b32_e32 v144, v37
	v_pk_add_f32 v[144:145], v[36:37], v[144:145]
	v_pk_add_f32 v[50:51], v[50:51], v[144:145]
	v_mov_b32_e32 v37, v50
	v_pk_add_f32 v[146:147], v[36:37], v[148:149] neg_lo:[0,1] neg_hi:[0,1]
	v_mov_b32_e32 v35, v144
	v_sub_f32_e32 v33, v36, v146
	v_pk_add_f32 v[34:35], v[34:35], v[146:147] neg_lo:[0,1] neg_hi:[0,1]
	v_sub_f32_e32 v33, v148, v33
	s_mov_b32 s60, 0x7f800000
	v_add_f32_e32 v33, v34, v33
	s_mov_b32 s59, 0x33800000
	v_add_f32_e32 v33, v33, v35
	v_cmp_eq_f32_e32 vcc, s60, v162
	v_cmp_lt_f32_e64 s[60:61], |v162|, s59
	v_add_f32_e32 v33, v50, v33
	s_or_b64 vcc, vcc, s[60:61]
	v_cndmask_b32_e32 v33, v33, v162, vcc
	v_add_f32_e32 v33, v32, v33
.LBB512_206:
	s_or_b64 exec, exec, s[10:11]
	v_bfe_u32 v32, v33, 16, 1
	v_add3_u32 v32, v33, v32, s58
	v_lshrrev_b32_e32 v32, 16, v32
	v_cmp_o_f32_e32 vcc, v33, v33
	v_cndmask_b32_e32 v31, v31, v32, vcc
	v_lshlrev_b32_e32 v34, 16, v31
	v_max_f32_e32 v32, v34, v34
	v_min_f32_e32 v33, v32, v64
	v_cmp_u_f32_e32 vcc, v34, v34
	v_max_f32_e32 v32, v32, v64
	v_cndmask_b32_e32 v33, v33, v34, vcc
	v_cndmask_b32_e32 v32, v32, v34, vcc
	v_cndmask_b32_e64 v33, v33, v52, s[12:13]
	v_cndmask_b32_e64 v32, v32, v52, s[12:13]
	s_movk_i32 s12, 0x1f8
	v_cmp_neq_f32_e32 vcc, v33, v32
	v_cmp_class_f32_e64 s[10:11], v33, s12
	s_or_b64 vcc, vcc, s[10:11]
	s_and_saveexec_b64 s[10:11], vcc
	s_cbranch_execz .LBB512_208
; %bb.207:
	v_sub_f32_e32 v33, v33, v32
	s_mov_b32 s13, 0x3fb8aa3b
	v_mul_f32_e32 v34, 0x3fb8aa3b, v33
	v_fma_f32 v35, v33, s13, -v34
	v_rndne_f32_e32 v36, v34
	v_fmac_f32_e32 v35, 0x32a5705f, v33
	v_sub_f32_e32 v34, v34, v36
	v_add_f32_e32 v34, v34, v35
	v_exp_f32_e32 v34, v34
	v_cvt_i32_f32_e32 v35, v36
	s_mov_b32 s13, 0xc2ce8ed0
	v_cmp_ngt_f32_e32 vcc, s13, v33
	s_mov_b32 s13, 0x42b17218
	v_ldexp_f32 v34, v34, v35
	v_cndmask_b32_e32 v34, 0, v34, vcc
	v_mov_b32_e32 v35, 0x7f800000
	v_cmp_nlt_f32_e32 vcc, s13, v33
	v_cndmask_b32_e32 v64, v35, v34, vcc
	v_add_f32_e32 v33, 1.0, v64
	v_add_f32_e32 v34, -1.0, v33
	v_sub_f32_e32 v35, v34, v33
	v_add_f32_e32 v35, 1.0, v35
	v_sub_f32_e32 v34, v64, v34
	v_add_f32_e32 v36, v34, v35
	v_frexp_mant_f32_e32 v37, v33
	s_mov_b32 s13, 0x3f2aaaab
	v_cvt_f64_f32_e32 v[34:35], v33
	v_frexp_exp_i32_f64_e32 v34, v[34:35]
	v_cmp_gt_f32_e32 vcc, s13, v37
	v_subbrev_co_u32_e32 v52, vcc, 0, v34, vcc
	v_sub_u32_e32 v34, 0, v52
	v_ldexp_f32 v33, v33, v34
	v_ldexp_f32 v34, v36, v34
	v_add_f32_e32 v36, -1.0, v33
	v_add_f32_e32 v35, 1.0, v36
	v_sub_f32_e32 v35, v33, v35
	v_add_f32_e32 v37, v34, v35
	v_add_f32_e32 v35, 1.0, v33
	v_add_f32_e32 v50, -1.0, v35
	v_sub_f32_e32 v33, v33, v50
	v_add_f32_e32 v33, v34, v33
	v_add_f32_e32 v146, v35, v33
	v_rcp_f32_e32 v147, v146
	v_sub_f32_e32 v34, v35, v146
	v_add_f32_e32 v35, v36, v37
	v_add_f32_e32 v33, v33, v34
	v_mul_f32_e32 v149, v35, v147
	v_sub_f32_e32 v34, v36, v35
	v_mul_f32_e32 v36, v146, v149
	v_fma_f32 v50, v149, v146, -v36
	v_fmac_f32_e32 v50, v149, v33
	v_add_f32_e32 v148, v37, v34
	v_add_f32_e32 v34, v36, v50
	v_sub_f32_e32 v37, v35, v34
	v_pk_add_f32 v[144:145], v[34:35], v[36:37] neg_lo:[0,1] neg_hi:[0,1]
	v_mov_b32_e32 v51, v34
	v_pk_add_f32 v[34:35], v[144:145], v[50:51] neg_lo:[0,1] neg_hi:[0,1]
	v_add_f32_e32 v35, v148, v35
	v_add_f32_e32 v34, v34, v35
	;; [unrolled: 1-line block ×3, first 2 shown]
	v_mul_f32_e32 v148, v147, v35
	v_mul_f32_e32 v36, v146, v148
	v_fma_f32 v50, v148, v146, -v36
	v_fmac_f32_e32 v50, v148, v33
	v_sub_f32_e32 v33, v37, v35
	v_add_f32_e32 v33, v34, v33
	v_add_f32_e32 v34, v36, v50
	v_sub_f32_e32 v37, v35, v34
	v_pk_add_f32 v[144:145], v[34:35], v[36:37] neg_lo:[0,1] neg_hi:[0,1]
	v_mov_b32_e32 v51, v34
	v_pk_add_f32 v[34:35], v[144:145], v[50:51] neg_lo:[0,1] neg_hi:[0,1]
	v_add_f32_e32 v33, v33, v35
	v_add_f32_e32 v33, v34, v33
	v_add_f32_e32 v34, v149, v148
	v_add_f32_e32 v33, v37, v33
	v_sub_f32_e32 v35, v34, v149
	v_mul_f32_e32 v33, v147, v33
	v_sub_f32_e32 v35, v148, v35
	v_add_f32_e32 v33, v35, v33
	v_add_f32_e32 v37, v34, v33
	v_mul_f32_e32 v50, v37, v37
	v_mov_b32_e32 v36, 0x3ecc95a3
	v_fmac_f32_e32 v36, 0x3e9b6dac, v50
	v_mov_b32_e32 v35, 0x3f2aaada
	v_fmac_f32_e32 v35, v50, v36
	v_cvt_f32_i32_e32 v36, v52
	v_sub_f32_e32 v34, v37, v34
	v_sub_f32_e32 v33, v33, v34
	v_ldexp_f32 v51, v37, 1
	v_mul_f32_e32 v37, v37, v50
	v_mov_b32_e32 v34, 0x3f317218
	s_mov_b32 s13, 0x3f317218
	v_pk_mul_f32 v[34:35], v[36:37], v[34:35]
	v_fma_f32 v50, v36, s13, -v34
	v_fmac_f32_e32 v50, 0xb102e308, v36
	v_pk_add_f32 v[36:37], v[34:35], v[50:51]
	v_sub_f32_e32 v51, v37, v51
	v_ldexp_f32 v33, v33, 1
	v_sub_f32_e32 v51, v35, v51
	v_add_f32_e32 v145, v33, v51
	v_mov_b32_e32 v144, v34
	v_pk_add_f32 v[34:35], v[36:37], v[34:35] neg_lo:[0,1] neg_hi:[0,1]
	v_pk_add_f32 v[146:147], v[36:37], v[144:145]
	v_mov_b32_e32 v35, v147
	v_mov_b32_e32 v51, v36
	v_pk_add_f32 v[148:149], v[50:51], v[34:35] neg_lo:[0,1] neg_hi:[0,1]
	v_pk_add_f32 v[34:35], v[50:51], v[34:35]
	v_mov_b32_e32 v50, v35
	v_pk_add_f32 v[150:151], v[50:51], v[36:37] neg_lo:[0,1] neg_hi:[0,1]
	v_mov_b32_e32 v33, v150
	v_pk_add_f32 v[160:161], v[146:147], v[32:33] neg_lo:[0,1] neg_hi:[0,1]
	v_mov_b32_e32 v34, v147
	v_mov_b32_e32 v146, v37
	;; [unrolled: 1-line block ×4, first 2 shown]
	v_pk_add_f32 v[34:35], v[34:35], v[146:147] neg_lo:[0,1] neg_hi:[0,1]
	v_mov_b32_e32 v144, v145
	v_mov_b32_e32 v145, v36
	v_pk_add_f32 v[34:35], v[144:145], v[34:35] neg_lo:[0,1] neg_hi:[0,1]
	v_mov_b32_e32 v160, v148
	v_pk_add_f32 v[36:37], v[160:161], v[34:35]
	v_mov_b32_e32 v52, v37
	v_pk_add_f32 v[144:145], v[36:37], v[52:53]
	v_pk_add_f32 v[50:51], v[50:51], v[144:145]
	v_mov_b32_e32 v37, v50
	v_pk_add_f32 v[146:147], v[36:37], v[148:149] neg_lo:[0,1] neg_hi:[0,1]
	v_mov_b32_e32 v35, v144
	v_sub_f32_e32 v33, v36, v146
	v_pk_add_f32 v[34:35], v[34:35], v[146:147] neg_lo:[0,1] neg_hi:[0,1]
	v_sub_f32_e32 v33, v148, v33
	s_mov_b32 s58, 0x7f800000
	v_add_f32_e32 v33, v34, v33
	s_mov_b32 s13, 0x33800000
	v_add_f32_e32 v33, v33, v35
	v_cmp_eq_f32_e32 vcc, s58, v64
	v_cmp_lt_f32_e64 s[58:59], |v64|, s13
	v_add_f32_e32 v33, v50, v33
	s_or_b64 vcc, vcc, s[58:59]
	v_cndmask_b32_e32 v33, v33, v64, vcc
	v_add_f32_e32 v34, v32, v33
.LBB512_208:
	s_or_b64 exec, exec, s[10:11]
	v_bfe_u32 v32, v34, 16, 1
	s_movk_i32 s13, 0x7fff
	v_add3_u32 v32, v34, v32, s13
	v_lshrrev_b32_e32 v32, 16, v32
	v_mov_b32_e32 v33, 0x7fc0
	v_cmp_o_f32_e32 vcc, v34, v34
	v_cndmask_b32_e32 v32, v33, v32, vcc
	v_lshlrev_b32_e32 v35, 16, v32
	v_max_f32_e32 v34, v35, v35
	v_min_f32_e32 v36, v34, v65
	v_cmp_u_f32_e32 vcc, v35, v35
	v_max_f32_e32 v34, v34, v65
	v_cndmask_b32_e32 v36, v36, v35, vcc
	v_cndmask_b32_e32 v34, v34, v35, vcc
	v_cndmask_b32_e64 v36, v36, v53, s[14:15]
	v_cndmask_b32_e64 v34, v34, v53, s[14:15]
	v_cmp_neq_f32_e32 vcc, v36, v34
	v_cmp_class_f32_e64 s[10:11], v36, s12
	s_or_b64 s[14:15], vcc, s[10:11]
	s_and_saveexec_b64 s[10:11], s[14:15]
	s_cbranch_execz .LBB512_210
; %bb.209:
	v_sub_f32_e32 v35, v36, v34
	s_mov_b32 s12, 0x3fb8aa3b
	v_mul_f32_e32 v36, 0x3fb8aa3b, v35
	v_fma_f32 v37, v35, s12, -v36
	v_rndne_f32_e32 v50, v36
	v_fmac_f32_e32 v37, 0x32a5705f, v35
	v_sub_f32_e32 v36, v36, v50
	v_add_f32_e32 v36, v36, v37
	v_exp_f32_e32 v36, v36
	v_cvt_i32_f32_e32 v37, v50
	s_mov_b32 s12, 0xc2ce8ed0
	v_cmp_ngt_f32_e32 vcc, s12, v35
	s_mov_b32 s12, 0x42b17218
	v_ldexp_f32 v36, v36, v37
	v_cndmask_b32_e32 v36, 0, v36, vcc
	v_mov_b32_e32 v37, 0x7f800000
	v_cmp_nlt_f32_e32 vcc, s12, v35
	v_cndmask_b32_e32 v160, v37, v36, vcc
	v_add_f32_e32 v35, 1.0, v160
	v_add_f32_e32 v36, -1.0, v35
	v_sub_f32_e32 v37, v36, v35
	v_add_f32_e32 v37, 1.0, v37
	v_sub_f32_e32 v36, v160, v36
	v_add_f32_e32 v50, v36, v37
	v_frexp_mant_f32_e32 v51, v35
	s_mov_b32 s12, 0x3f2aaaab
	v_cvt_f64_f32_e32 v[36:37], v35
	v_frexp_exp_i32_f64_e32 v36, v[36:37]
	v_cmp_gt_f32_e32 vcc, s12, v51
	v_subbrev_co_u32_e32 v144, vcc, 0, v36, vcc
	v_sub_u32_e32 v36, 0, v144
	v_ldexp_f32 v35, v35, v36
	v_ldexp_f32 v36, v50, v36
	v_add_f32_e32 v50, -1.0, v35
	v_add_f32_e32 v37, 1.0, v50
	v_sub_f32_e32 v37, v35, v37
	v_add_f32_e32 v51, v36, v37
	v_add_f32_e32 v37, 1.0, v35
	v_add_f32_e32 v52, -1.0, v37
	v_sub_f32_e32 v35, v35, v52
	v_add_f32_e32 v35, v36, v35
	v_add_f32_e32 v145, v37, v35
	v_rcp_f32_e32 v146, v145
	v_sub_f32_e32 v36, v37, v145
	v_add_f32_e32 v37, v50, v51
	v_add_f32_e32 v35, v35, v36
	v_mul_f32_e32 v148, v37, v146
	v_sub_f32_e32 v36, v50, v37
	v_mul_f32_e32 v50, v145, v148
	v_fma_f32 v52, v148, v145, -v50
	v_fmac_f32_e32 v52, v148, v35
	v_add_f32_e32 v147, v51, v36
	v_add_f32_e32 v36, v50, v52
	v_sub_f32_e32 v51, v37, v36
	v_pk_add_f32 v[64:65], v[36:37], v[50:51] neg_lo:[0,1] neg_hi:[0,1]
	v_mov_b32_e32 v53, v36
	v_pk_add_f32 v[36:37], v[64:65], v[52:53] neg_lo:[0,1] neg_hi:[0,1]
	v_add_f32_e32 v37, v147, v37
	v_add_f32_e32 v36, v36, v37
	;; [unrolled: 1-line block ×3, first 2 shown]
	v_mul_f32_e32 v147, v146, v37
	v_mul_f32_e32 v50, v145, v147
	v_fma_f32 v52, v147, v145, -v50
	v_fmac_f32_e32 v52, v147, v35
	v_sub_f32_e32 v35, v51, v37
	v_add_f32_e32 v35, v36, v35
	v_add_f32_e32 v36, v50, v52
	v_sub_f32_e32 v51, v37, v36
	v_pk_add_f32 v[64:65], v[36:37], v[50:51] neg_lo:[0,1] neg_hi:[0,1]
	v_mov_b32_e32 v53, v36
	v_pk_add_f32 v[36:37], v[64:65], v[52:53] neg_lo:[0,1] neg_hi:[0,1]
	v_add_f32_e32 v35, v35, v37
	v_add_f32_e32 v35, v36, v35
	;; [unrolled: 1-line block ×4, first 2 shown]
	v_sub_f32_e32 v37, v36, v148
	v_mul_f32_e32 v35, v146, v35
	v_sub_f32_e32 v37, v147, v37
	v_add_f32_e32 v35, v37, v35
	v_add_f32_e32 v51, v36, v35
	v_mul_f32_e32 v52, v51, v51
	v_mov_b32_e32 v50, 0x3ecc95a3
	v_fmac_f32_e32 v50, 0x3e9b6dac, v52
	v_mov_b32_e32 v37, 0x3f2aaada
	v_fmac_f32_e32 v37, v52, v50
	v_cvt_f32_i32_e32 v50, v144
	v_sub_f32_e32 v36, v51, v36
	v_sub_f32_e32 v35, v35, v36
	v_ldexp_f32 v53, v51, 1
	v_mul_f32_e32 v51, v51, v52
	v_mov_b32_e32 v36, 0x3f317218
	s_mov_b32 s12, 0x3f317218
	v_pk_mul_f32 v[36:37], v[50:51], v[36:37]
	v_fma_f32 v52, v50, s12, -v36
	v_fmac_f32_e32 v52, 0xb102e308, v50
	v_pk_add_f32 v[50:51], v[36:37], v[52:53]
	v_sub_f32_e32 v53, v51, v53
	v_ldexp_f32 v35, v35, 1
	v_sub_f32_e32 v53, v37, v53
	v_add_f32_e32 v65, v35, v53
	v_mov_b32_e32 v64, v36
	v_pk_add_f32 v[36:37], v[50:51], v[36:37] neg_lo:[0,1] neg_hi:[0,1]
	v_pk_add_f32 v[144:145], v[50:51], v[64:65]
	v_mov_b32_e32 v37, v145
	v_mov_b32_e32 v53, v50
	v_pk_add_f32 v[146:147], v[52:53], v[36:37] neg_lo:[0,1] neg_hi:[0,1]
	v_pk_add_f32 v[36:37], v[52:53], v[36:37]
	v_mov_b32_e32 v52, v37
	v_pk_add_f32 v[148:149], v[52:53], v[50:51] neg_lo:[0,1] neg_hi:[0,1]
	v_mov_b32_e32 v35, v148
	v_pk_add_f32 v[150:151], v[144:145], v[34:35] neg_lo:[0,1] neg_hi:[0,1]
	v_mov_b32_e32 v36, v145
	v_mov_b32_e32 v144, v51
	;; [unrolled: 1-line block ×4, first 2 shown]
	v_pk_add_f32 v[36:37], v[36:37], v[144:145] neg_lo:[0,1] neg_hi:[0,1]
	v_mov_b32_e32 v64, v65
	v_mov_b32_e32 v65, v50
	v_pk_add_f32 v[36:37], v[64:65], v[36:37] neg_lo:[0,1] neg_hi:[0,1]
	v_mov_b32_e32 v150, v146
	v_pk_add_f32 v[50:51], v[150:151], v[36:37]
	v_mov_b32_e32 v64, v51
	v_pk_add_f32 v[64:65], v[50:51], v[64:65]
	v_pk_add_f32 v[52:53], v[52:53], v[64:65]
	v_mov_b32_e32 v51, v52
	v_pk_add_f32 v[144:145], v[50:51], v[146:147] neg_lo:[0,1] neg_hi:[0,1]
	v_mov_b32_e32 v37, v64
	v_sub_f32_e32 v35, v50, v144
	v_pk_add_f32 v[36:37], v[36:37], v[144:145] neg_lo:[0,1] neg_hi:[0,1]
	v_sub_f32_e32 v35, v146, v35
	s_mov_b32 s14, 0x7f800000
	v_add_f32_e32 v35, v36, v35
	s_mov_b32 s12, 0x33800000
	v_add_f32_e32 v35, v35, v37
	v_cmp_eq_f32_e32 vcc, s14, v160
	v_cmp_lt_f32_e64 s[14:15], |v160|, s12
	v_add_f32_e32 v35, v52, v35
	s_or_b64 vcc, vcc, s[14:15]
	v_cndmask_b32_e32 v35, v35, v160, vcc
	v_add_f32_e32 v35, v34, v35
.LBB512_210:
	s_or_b64 exec, exec, s[10:11]
	v_bfe_u32 v34, v35, 16, 1
	v_add3_u32 v34, v35, v34, s13
	v_lshrrev_b32_e32 v34, 16, v34
	v_cmp_o_f32_e32 vcc, v35, v35
	v_cndmask_b32_e32 v33, v33, v34, vcc
	v_lshlrev_b32_e32 v36, 16, v33
	v_max_f32_e32 v34, v36, v36
	v_min_f32_e32 v35, v34, v68
	v_cmp_u_f32_e32 vcc, v36, v36
	v_max_f32_e32 v34, v34, v68
	v_cndmask_b32_e32 v35, v35, v36, vcc
	v_cndmask_b32_e32 v34, v34, v36, vcc
	v_cndmask_b32_e64 v35, v35, v54, s[16:17]
	v_cndmask_b32_e64 v34, v34, v54, s[16:17]
	s_movk_i32 s12, 0x1f8
	v_cmp_neq_f32_e32 vcc, v35, v34
	v_cmp_class_f32_e64 s[10:11], v35, s12
	s_or_b64 s[14:15], vcc, s[10:11]
	s_and_saveexec_b64 s[10:11], s[14:15]
	s_cbranch_execz .LBB512_212
; %bb.211:
	v_sub_f32_e32 v35, v35, v34
	s_mov_b32 s13, 0x3fb8aa3b
	v_mul_f32_e32 v36, 0x3fb8aa3b, v35
	v_fma_f32 v37, v35, s13, -v36
	v_rndne_f32_e32 v50, v36
	v_fmac_f32_e32 v37, 0x32a5705f, v35
	v_sub_f32_e32 v36, v36, v50
	v_add_f32_e32 v36, v36, v37
	v_exp_f32_e32 v36, v36
	v_cvt_i32_f32_e32 v37, v50
	s_mov_b32 s13, 0xc2ce8ed0
	v_cmp_ngt_f32_e32 vcc, s13, v35
	s_mov_b32 s13, 0x42b17218
	v_ldexp_f32 v36, v36, v37
	v_cndmask_b32_e32 v36, 0, v36, vcc
	v_mov_b32_e32 v37, 0x7f800000
	v_cmp_nlt_f32_e32 vcc, s13, v35
	v_cndmask_b32_e32 v68, v37, v36, vcc
	v_add_f32_e32 v35, 1.0, v68
	v_add_f32_e32 v36, -1.0, v35
	v_sub_f32_e32 v37, v36, v35
	v_add_f32_e32 v37, 1.0, v37
	v_sub_f32_e32 v36, v68, v36
	v_add_f32_e32 v50, v36, v37
	v_frexp_mant_f32_e32 v51, v35
	s_mov_b32 s13, 0x3f2aaaab
	v_cvt_f64_f32_e32 v[36:37], v35
	v_frexp_exp_i32_f64_e32 v36, v[36:37]
	v_cmp_gt_f32_e32 vcc, s13, v51
	v_subbrev_co_u32_e32 v54, vcc, 0, v36, vcc
	v_sub_u32_e32 v36, 0, v54
	v_ldexp_f32 v35, v35, v36
	v_ldexp_f32 v36, v50, v36
	v_add_f32_e32 v50, -1.0, v35
	v_add_f32_e32 v37, 1.0, v50
	v_sub_f32_e32 v37, v35, v37
	v_add_f32_e32 v51, v36, v37
	v_add_f32_e32 v37, 1.0, v35
	v_add_f32_e32 v52, -1.0, v37
	v_sub_f32_e32 v35, v35, v52
	v_add_f32_e32 v35, v36, v35
	v_add_f32_e32 v144, v37, v35
	v_rcp_f32_e32 v145, v144
	v_sub_f32_e32 v36, v37, v144
	v_add_f32_e32 v37, v50, v51
	v_add_f32_e32 v35, v35, v36
	v_mul_f32_e32 v147, v37, v145
	v_sub_f32_e32 v36, v50, v37
	v_mul_f32_e32 v50, v144, v147
	v_fma_f32 v52, v147, v144, -v50
	v_fmac_f32_e32 v52, v147, v35
	v_add_f32_e32 v146, v51, v36
	v_add_f32_e32 v36, v50, v52
	v_sub_f32_e32 v51, v37, v36
	v_pk_add_f32 v[64:65], v[36:37], v[50:51] neg_lo:[0,1] neg_hi:[0,1]
	v_mov_b32_e32 v53, v36
	v_pk_add_f32 v[36:37], v[64:65], v[52:53] neg_lo:[0,1] neg_hi:[0,1]
	v_add_f32_e32 v37, v146, v37
	v_add_f32_e32 v36, v36, v37
	;; [unrolled: 1-line block ×3, first 2 shown]
	v_mul_f32_e32 v146, v145, v37
	v_mul_f32_e32 v50, v144, v146
	v_fma_f32 v52, v146, v144, -v50
	v_fmac_f32_e32 v52, v146, v35
	v_sub_f32_e32 v35, v51, v37
	v_add_f32_e32 v35, v36, v35
	v_add_f32_e32 v36, v50, v52
	v_sub_f32_e32 v51, v37, v36
	v_pk_add_f32 v[64:65], v[36:37], v[50:51] neg_lo:[0,1] neg_hi:[0,1]
	v_mov_b32_e32 v53, v36
	v_pk_add_f32 v[36:37], v[64:65], v[52:53] neg_lo:[0,1] neg_hi:[0,1]
	v_add_f32_e32 v35, v35, v37
	v_add_f32_e32 v35, v36, v35
	v_add_f32_e32 v36, v147, v146
	v_add_f32_e32 v35, v51, v35
	v_sub_f32_e32 v37, v36, v147
	v_mul_f32_e32 v35, v145, v35
	v_sub_f32_e32 v37, v146, v37
	v_add_f32_e32 v35, v37, v35
	v_add_f32_e32 v51, v36, v35
	v_mul_f32_e32 v52, v51, v51
	v_mov_b32_e32 v50, 0x3ecc95a3
	v_fmac_f32_e32 v50, 0x3e9b6dac, v52
	v_mov_b32_e32 v37, 0x3f2aaada
	v_fmac_f32_e32 v37, v52, v50
	v_cvt_f32_i32_e32 v50, v54
	v_sub_f32_e32 v36, v51, v36
	v_sub_f32_e32 v35, v35, v36
	v_ldexp_f32 v53, v51, 1
	v_mul_f32_e32 v51, v51, v52
	v_mov_b32_e32 v36, 0x3f317218
	s_mov_b32 s13, 0x3f317218
	v_pk_mul_f32 v[36:37], v[50:51], v[36:37]
	v_fma_f32 v52, v50, s13, -v36
	v_fmac_f32_e32 v52, 0xb102e308, v50
	v_pk_add_f32 v[50:51], v[36:37], v[52:53]
	v_sub_f32_e32 v53, v51, v53
	v_ldexp_f32 v35, v35, 1
	v_sub_f32_e32 v53, v37, v53
	v_add_f32_e32 v65, v35, v53
	v_mov_b32_e32 v64, v36
	v_pk_add_f32 v[36:37], v[50:51], v[36:37] neg_lo:[0,1] neg_hi:[0,1]
	v_pk_add_f32 v[144:145], v[50:51], v[64:65]
	v_mov_b32_e32 v37, v145
	v_mov_b32_e32 v53, v50
	v_pk_add_f32 v[146:147], v[52:53], v[36:37] neg_lo:[0,1] neg_hi:[0,1]
	v_pk_add_f32 v[36:37], v[52:53], v[36:37]
	v_mov_b32_e32 v52, v37
	v_pk_add_f32 v[148:149], v[52:53], v[50:51] neg_lo:[0,1] neg_hi:[0,1]
	v_mov_b32_e32 v35, v148
	v_pk_add_f32 v[150:151], v[144:145], v[34:35] neg_lo:[0,1] neg_hi:[0,1]
	v_mov_b32_e32 v36, v145
	v_mov_b32_e32 v144, v51
	;; [unrolled: 1-line block ×4, first 2 shown]
	v_pk_add_f32 v[36:37], v[36:37], v[144:145] neg_lo:[0,1] neg_hi:[0,1]
	v_mov_b32_e32 v64, v65
	v_mov_b32_e32 v65, v50
	v_pk_add_f32 v[36:37], v[64:65], v[36:37] neg_lo:[0,1] neg_hi:[0,1]
	v_mov_b32_e32 v150, v146
	v_pk_add_f32 v[50:51], v[150:151], v[36:37]
	v_mov_b32_e32 v54, v51
	v_pk_add_f32 v[64:65], v[50:51], v[54:55]
	v_pk_add_f32 v[52:53], v[52:53], v[64:65]
	v_mov_b32_e32 v51, v52
	v_pk_add_f32 v[144:145], v[50:51], v[146:147] neg_lo:[0,1] neg_hi:[0,1]
	v_mov_b32_e32 v37, v64
	v_sub_f32_e32 v35, v50, v144
	v_pk_add_f32 v[36:37], v[36:37], v[144:145] neg_lo:[0,1] neg_hi:[0,1]
	v_sub_f32_e32 v35, v146, v35
	s_mov_b32 s14, 0x7f800000
	v_add_f32_e32 v35, v36, v35
	s_mov_b32 s13, 0x33800000
	v_add_f32_e32 v35, v35, v37
	v_cmp_eq_f32_e32 vcc, s14, v68
	v_cmp_lt_f32_e64 s[14:15], |v68|, s13
	v_add_f32_e32 v35, v52, v35
	s_or_b64 vcc, vcc, s[14:15]
	v_cndmask_b32_e32 v35, v35, v68, vcc
	v_add_f32_e32 v36, v34, v35
.LBB512_212:
	s_or_b64 exec, exec, s[10:11]
	v_bfe_u32 v34, v36, 16, 1
	s_movk_i32 s13, 0x7fff
	v_add3_u32 v34, v36, v34, s13
	v_lshrrev_b32_e32 v34, 16, v34
	v_mov_b32_e32 v35, 0x7fc0
	v_cmp_o_f32_e32 vcc, v36, v36
	v_cndmask_b32_e32 v34, v35, v34, vcc
	v_lshlrev_b32_e32 v37, 16, v34
	v_max_f32_e32 v36, v37, v37
	v_min_f32_e32 v50, v36, v69
	v_cmp_u_f32_e32 vcc, v37, v37
	v_max_f32_e32 v36, v36, v69
	v_cndmask_b32_e32 v50, v50, v37, vcc
	v_cndmask_b32_e32 v36, v36, v37, vcc
	v_cndmask_b32_e64 v50, v50, v55, s[18:19]
	v_cndmask_b32_e64 v36, v36, v55, s[18:19]
	v_cmp_neq_f32_e32 vcc, v50, v36
	v_cmp_class_f32_e64 s[10:11], v50, s12
	s_or_b64 s[14:15], vcc, s[10:11]
	s_and_saveexec_b64 s[10:11], s[14:15]
	s_cbranch_execz .LBB512_214
; %bb.213:
	v_sub_f32_e32 v37, v50, v36
	s_mov_b32 s12, 0x3fb8aa3b
	v_mul_f32_e32 v50, 0x3fb8aa3b, v37
	v_fma_f32 v51, v37, s12, -v50
	v_rndne_f32_e32 v52, v50
	v_fmac_f32_e32 v51, 0x32a5705f, v37
	v_sub_f32_e32 v50, v50, v52
	v_add_f32_e32 v50, v50, v51
	v_exp_f32_e32 v50, v50
	v_cvt_i32_f32_e32 v51, v52
	s_mov_b32 s12, 0xc2ce8ed0
	v_cmp_ngt_f32_e32 vcc, s12, v37
	s_mov_b32 s12, 0x42b17218
	v_ldexp_f32 v50, v50, v51
	v_cndmask_b32_e32 v50, 0, v50, vcc
	v_mov_b32_e32 v51, 0x7f800000
	v_cmp_nlt_f32_e32 vcc, s12, v37
	v_cndmask_b32_e32 v150, v51, v50, vcc
	v_add_f32_e32 v37, 1.0, v150
	v_add_f32_e32 v50, -1.0, v37
	v_sub_f32_e32 v51, v50, v37
	v_add_f32_e32 v51, 1.0, v51
	v_sub_f32_e32 v50, v150, v50
	v_add_f32_e32 v52, v50, v51
	v_frexp_mant_f32_e32 v53, v37
	s_mov_b32 s12, 0x3f2aaaab
	v_cvt_f64_f32_e32 v[50:51], v37
	v_frexp_exp_i32_f64_e32 v50, v[50:51]
	v_cmp_gt_f32_e32 vcc, s12, v53
	v_subbrev_co_u32_e32 v68, vcc, 0, v50, vcc
	v_sub_u32_e32 v50, 0, v68
	v_ldexp_f32 v37, v37, v50
	v_ldexp_f32 v50, v52, v50
	v_add_f32_e32 v52, -1.0, v37
	v_add_f32_e32 v51, 1.0, v52
	v_sub_f32_e32 v51, v37, v51
	v_add_f32_e32 v53, v50, v51
	v_add_f32_e32 v51, 1.0, v37
	v_add_f32_e32 v54, -1.0, v51
	v_sub_f32_e32 v37, v37, v54
	v_add_f32_e32 v37, v50, v37
	v_add_f32_e32 v69, v51, v37
	v_rcp_f32_e32 v144, v69
	v_sub_f32_e32 v50, v51, v69
	v_add_f32_e32 v51, v52, v53
	v_add_f32_e32 v37, v37, v50
	v_mul_f32_e32 v146, v51, v144
	v_sub_f32_e32 v50, v52, v51
	v_mul_f32_e32 v52, v69, v146
	v_fma_f32 v54, v146, v69, -v52
	v_fmac_f32_e32 v54, v146, v37
	v_add_f32_e32 v145, v53, v50
	v_add_f32_e32 v50, v52, v54
	v_sub_f32_e32 v53, v51, v50
	v_pk_add_f32 v[64:65], v[50:51], v[52:53] neg_lo:[0,1] neg_hi:[0,1]
	v_mov_b32_e32 v55, v50
	v_pk_add_f32 v[50:51], v[64:65], v[54:55] neg_lo:[0,1] neg_hi:[0,1]
	v_add_f32_e32 v51, v145, v51
	v_add_f32_e32 v50, v50, v51
	;; [unrolled: 1-line block ×3, first 2 shown]
	v_mul_f32_e32 v145, v144, v51
	v_mul_f32_e32 v52, v69, v145
	v_fma_f32 v54, v145, v69, -v52
	v_fmac_f32_e32 v54, v145, v37
	v_sub_f32_e32 v37, v53, v51
	v_add_f32_e32 v37, v50, v37
	v_add_f32_e32 v50, v52, v54
	v_sub_f32_e32 v53, v51, v50
	v_pk_add_f32 v[64:65], v[50:51], v[52:53] neg_lo:[0,1] neg_hi:[0,1]
	v_mov_b32_e32 v55, v50
	v_pk_add_f32 v[50:51], v[64:65], v[54:55] neg_lo:[0,1] neg_hi:[0,1]
	v_add_f32_e32 v37, v37, v51
	v_add_f32_e32 v37, v50, v37
	;; [unrolled: 1-line block ×4, first 2 shown]
	v_sub_f32_e32 v51, v50, v146
	v_mul_f32_e32 v37, v144, v37
	v_sub_f32_e32 v51, v145, v51
	v_add_f32_e32 v37, v51, v37
	v_add_f32_e32 v53, v50, v37
	v_mul_f32_e32 v54, v53, v53
	v_mov_b32_e32 v52, 0x3ecc95a3
	v_fmac_f32_e32 v52, 0x3e9b6dac, v54
	v_mov_b32_e32 v51, 0x3f2aaada
	v_fmac_f32_e32 v51, v54, v52
	v_cvt_f32_i32_e32 v52, v68
	v_sub_f32_e32 v50, v53, v50
	v_sub_f32_e32 v37, v37, v50
	v_ldexp_f32 v55, v53, 1
	v_mul_f32_e32 v53, v53, v54
	v_mov_b32_e32 v50, 0x3f317218
	s_mov_b32 s12, 0x3f317218
	v_pk_mul_f32 v[50:51], v[52:53], v[50:51]
	v_fma_f32 v54, v52, s12, -v50
	v_fmac_f32_e32 v54, 0xb102e308, v52
	v_pk_add_f32 v[52:53], v[50:51], v[54:55]
	v_sub_f32_e32 v55, v53, v55
	v_ldexp_f32 v37, v37, 1
	v_sub_f32_e32 v55, v51, v55
	v_add_f32_e32 v65, v37, v55
	v_mov_b32_e32 v64, v50
	v_pk_add_f32 v[50:51], v[52:53], v[50:51] neg_lo:[0,1] neg_hi:[0,1]
	v_pk_add_f32 v[68:69], v[52:53], v[64:65]
	v_mov_b32_e32 v51, v69
	v_mov_b32_e32 v55, v52
	v_pk_add_f32 v[144:145], v[54:55], v[50:51] neg_lo:[0,1] neg_hi:[0,1]
	v_pk_add_f32 v[50:51], v[54:55], v[50:51]
	v_mov_b32_e32 v54, v51
	v_pk_add_f32 v[146:147], v[54:55], v[52:53] neg_lo:[0,1] neg_hi:[0,1]
	v_mov_b32_e32 v37, v146
	v_pk_add_f32 v[148:149], v[68:69], v[36:37] neg_lo:[0,1] neg_hi:[0,1]
	v_mov_b32_e32 v50, v69
	v_mov_b32_e32 v68, v53
	;; [unrolled: 1-line block ×4, first 2 shown]
	v_pk_add_f32 v[50:51], v[50:51], v[68:69] neg_lo:[0,1] neg_hi:[0,1]
	v_mov_b32_e32 v64, v65
	v_mov_b32_e32 v65, v52
	v_pk_add_f32 v[50:51], v[64:65], v[50:51] neg_lo:[0,1] neg_hi:[0,1]
	v_mov_b32_e32 v148, v144
	v_pk_add_f32 v[52:53], v[148:149], v[50:51]
	v_mov_b32_e32 v64, v53
	v_pk_add_f32 v[64:65], v[52:53], v[64:65]
	v_pk_add_f32 v[54:55], v[54:55], v[64:65]
	v_mov_b32_e32 v53, v54
	v_pk_add_f32 v[68:69], v[52:53], v[144:145] neg_lo:[0,1] neg_hi:[0,1]
	v_mov_b32_e32 v51, v64
	v_sub_f32_e32 v37, v52, v68
	v_pk_add_f32 v[50:51], v[50:51], v[68:69] neg_lo:[0,1] neg_hi:[0,1]
	v_sub_f32_e32 v37, v144, v37
	s_mov_b32 s14, 0x7f800000
	v_add_f32_e32 v37, v50, v37
	s_mov_b32 s12, 0x33800000
	v_add_f32_e32 v37, v37, v51
	v_cmp_eq_f32_e32 vcc, s14, v150
	v_cmp_lt_f32_e64 s[14:15], |v150|, s12
	v_add_f32_e32 v37, v54, v37
	s_or_b64 vcc, vcc, s[14:15]
	v_cndmask_b32_e32 v37, v37, v150, vcc
	v_add_f32_e32 v37, v36, v37
.LBB512_214:
	s_or_b64 exec, exec, s[10:11]
	v_bfe_u32 v36, v37, 16, 1
	v_add3_u32 v36, v37, v36, s13
	v_lshrrev_b32_e32 v36, 16, v36
	v_cmp_o_f32_e32 vcc, v37, v37
	v_cndmask_b32_e32 v35, v35, v36, vcc
	v_lshlrev_b32_e32 v50, 16, v35
	v_max_f32_e32 v36, v50, v50
	v_min_f32_e32 v37, v36, v80
	v_cmp_u_f32_e32 vcc, v50, v50
	v_max_f32_e32 v36, v36, v80
	v_cndmask_b32_e32 v37, v37, v50, vcc
	v_cndmask_b32_e32 v36, v36, v50, vcc
	v_cndmask_b32_e64 v37, v37, v66, s[20:21]
	v_cndmask_b32_e64 v36, v36, v66, s[20:21]
	s_movk_i32 s12, 0x1f8
	v_cmp_neq_f32_e32 vcc, v37, v36
	v_cmp_class_f32_e64 s[10:11], v37, s12
	s_or_b64 s[14:15], vcc, s[10:11]
	s_and_saveexec_b64 s[10:11], s[14:15]
	s_cbranch_execz .LBB512_216
; %bb.215:
	v_sub_f32_e32 v37, v37, v36
	s_mov_b32 s13, 0x3fb8aa3b
	v_mul_f32_e32 v50, 0x3fb8aa3b, v37
	v_fma_f32 v51, v37, s13, -v50
	v_rndne_f32_e32 v52, v50
	v_fmac_f32_e32 v51, 0x32a5705f, v37
	v_sub_f32_e32 v50, v50, v52
	v_add_f32_e32 v50, v50, v51
	v_exp_f32_e32 v50, v50
	v_cvt_i32_f32_e32 v51, v52
	s_mov_b32 s13, 0xc2ce8ed0
	v_cmp_ngt_f32_e32 vcc, s13, v37
	s_mov_b32 s13, 0x42b17218
	v_ldexp_f32 v50, v50, v51
	v_cndmask_b32_e32 v50, 0, v50, vcc
	v_mov_b32_e32 v51, 0x7f800000
	v_cmp_nlt_f32_e32 vcc, s13, v37
	v_cndmask_b32_e32 v66, v51, v50, vcc
	v_add_f32_e32 v37, 1.0, v66
	v_add_f32_e32 v50, -1.0, v37
	v_sub_f32_e32 v51, v50, v37
	v_add_f32_e32 v51, 1.0, v51
	v_sub_f32_e32 v50, v66, v50
	v_add_f32_e32 v52, v50, v51
	v_frexp_mant_f32_e32 v53, v37
	s_mov_b32 s13, 0x3f2aaaab
	v_cvt_f64_f32_e32 v[50:51], v37
	v_frexp_exp_i32_f64_e32 v50, v[50:51]
	v_cmp_gt_f32_e32 vcc, s13, v53
	v_subbrev_co_u32_e32 v68, vcc, 0, v50, vcc
	v_sub_u32_e32 v50, 0, v68
	v_ldexp_f32 v37, v37, v50
	v_ldexp_f32 v50, v52, v50
	v_add_f32_e32 v52, -1.0, v37
	v_add_f32_e32 v51, 1.0, v52
	v_sub_f32_e32 v51, v37, v51
	v_add_f32_e32 v53, v50, v51
	v_add_f32_e32 v51, 1.0, v37
	v_add_f32_e32 v54, -1.0, v51
	v_sub_f32_e32 v37, v37, v54
	v_add_f32_e32 v37, v50, v37
	v_add_f32_e32 v69, v51, v37
	v_rcp_f32_e32 v80, v69
	v_sub_f32_e32 v50, v51, v69
	v_add_f32_e32 v51, v52, v53
	v_add_f32_e32 v37, v37, v50
	v_mul_f32_e32 v145, v51, v80
	v_sub_f32_e32 v50, v52, v51
	v_mul_f32_e32 v52, v69, v145
	v_fma_f32 v54, v145, v69, -v52
	v_fmac_f32_e32 v54, v145, v37
	v_add_f32_e32 v144, v53, v50
	v_add_f32_e32 v50, v52, v54
	v_sub_f32_e32 v53, v51, v50
	v_pk_add_f32 v[64:65], v[50:51], v[52:53] neg_lo:[0,1] neg_hi:[0,1]
	v_mov_b32_e32 v55, v50
	v_pk_add_f32 v[50:51], v[64:65], v[54:55] neg_lo:[0,1] neg_hi:[0,1]
	v_add_f32_e32 v51, v144, v51
	v_add_f32_e32 v50, v50, v51
	;; [unrolled: 1-line block ×3, first 2 shown]
	v_mul_f32_e32 v144, v80, v51
	v_mul_f32_e32 v52, v69, v144
	v_fma_f32 v54, v144, v69, -v52
	v_fmac_f32_e32 v54, v144, v37
	v_sub_f32_e32 v37, v53, v51
	v_add_f32_e32 v37, v50, v37
	v_add_f32_e32 v50, v52, v54
	v_sub_f32_e32 v53, v51, v50
	v_pk_add_f32 v[64:65], v[50:51], v[52:53] neg_lo:[0,1] neg_hi:[0,1]
	v_mov_b32_e32 v55, v50
	v_pk_add_f32 v[50:51], v[64:65], v[54:55] neg_lo:[0,1] neg_hi:[0,1]
	v_add_f32_e32 v37, v37, v51
	v_add_f32_e32 v37, v50, v37
	;; [unrolled: 1-line block ×4, first 2 shown]
	v_sub_f32_e32 v51, v50, v145
	v_mul_f32_e32 v37, v80, v37
	v_sub_f32_e32 v51, v144, v51
	v_add_f32_e32 v37, v51, v37
	v_add_f32_e32 v53, v50, v37
	v_mul_f32_e32 v54, v53, v53
	v_mov_b32_e32 v52, 0x3ecc95a3
	v_fmac_f32_e32 v52, 0x3e9b6dac, v54
	v_mov_b32_e32 v51, 0x3f2aaada
	v_fmac_f32_e32 v51, v54, v52
	v_cvt_f32_i32_e32 v52, v68
	v_sub_f32_e32 v50, v53, v50
	v_sub_f32_e32 v37, v37, v50
	v_ldexp_f32 v55, v53, 1
	v_mul_f32_e32 v53, v53, v54
	v_mov_b32_e32 v50, 0x3f317218
	s_mov_b32 s13, 0x3f317218
	v_pk_mul_f32 v[50:51], v[52:53], v[50:51]
	v_fma_f32 v54, v52, s13, -v50
	v_fmac_f32_e32 v54, 0xb102e308, v52
	v_pk_add_f32 v[52:53], v[50:51], v[54:55]
	v_sub_f32_e32 v55, v53, v55
	v_ldexp_f32 v37, v37, 1
	v_sub_f32_e32 v55, v51, v55
	v_add_f32_e32 v65, v37, v55
	v_mov_b32_e32 v64, v50
	v_pk_add_f32 v[50:51], v[52:53], v[50:51] neg_lo:[0,1] neg_hi:[0,1]
	v_pk_add_f32 v[68:69], v[52:53], v[64:65]
	v_mov_b32_e32 v51, v69
	v_mov_b32_e32 v55, v52
	v_pk_add_f32 v[144:145], v[54:55], v[50:51] neg_lo:[0,1] neg_hi:[0,1]
	v_pk_add_f32 v[50:51], v[54:55], v[50:51]
	v_mov_b32_e32 v54, v51
	v_pk_add_f32 v[146:147], v[54:55], v[52:53] neg_lo:[0,1] neg_hi:[0,1]
	v_mov_b32_e32 v37, v146
	v_pk_add_f32 v[148:149], v[68:69], v[36:37] neg_lo:[0,1] neg_hi:[0,1]
	v_mov_b32_e32 v50, v69
	v_mov_b32_e32 v68, v53
	;; [unrolled: 1-line block ×4, first 2 shown]
	v_pk_add_f32 v[50:51], v[50:51], v[68:69] neg_lo:[0,1] neg_hi:[0,1]
	v_mov_b32_e32 v64, v65
	v_mov_b32_e32 v65, v52
	v_pk_add_f32 v[50:51], v[64:65], v[50:51] neg_lo:[0,1] neg_hi:[0,1]
	v_mov_b32_e32 v148, v144
	v_pk_add_f32 v[52:53], v[148:149], v[50:51]
	v_mov_b32_e32 v64, v53
	v_pk_add_f32 v[64:65], v[52:53], v[64:65]
	v_pk_add_f32 v[54:55], v[54:55], v[64:65]
	v_mov_b32_e32 v53, v54
	v_pk_add_f32 v[68:69], v[52:53], v[144:145] neg_lo:[0,1] neg_hi:[0,1]
	v_mov_b32_e32 v51, v64
	v_sub_f32_e32 v37, v52, v68
	v_pk_add_f32 v[50:51], v[50:51], v[68:69] neg_lo:[0,1] neg_hi:[0,1]
	v_sub_f32_e32 v37, v144, v37
	s_mov_b32 s14, 0x7f800000
	v_add_f32_e32 v37, v50, v37
	s_mov_b32 s13, 0x33800000
	v_add_f32_e32 v37, v37, v51
	v_cmp_eq_f32_e32 vcc, s14, v66
	v_cmp_lt_f32_e64 s[14:15], |v66|, s13
	v_add_f32_e32 v37, v54, v37
	s_or_b64 vcc, vcc, s[14:15]
	v_cndmask_b32_e32 v37, v37, v66, vcc
	v_add_f32_e32 v50, v36, v37
.LBB512_216:
	s_or_b64 exec, exec, s[10:11]
	v_bfe_u32 v36, v50, 16, 1
	s_movk_i32 s13, 0x7fff
	v_add3_u32 v36, v50, v36, s13
	v_lshrrev_b32_e32 v36, 16, v36
	v_mov_b32_e32 v37, 0x7fc0
	v_cmp_o_f32_e32 vcc, v50, v50
	v_cndmask_b32_e32 v36, v37, v36, vcc
	v_lshlrev_b32_e32 v51, 16, v36
	v_max_f32_e32 v50, v51, v51
	v_min_f32_e32 v52, v50, v81
	v_cmp_u_f32_e32 vcc, v51, v51
	v_max_f32_e32 v50, v50, v81
	v_cndmask_b32_e32 v52, v52, v51, vcc
	v_cndmask_b32_e32 v50, v50, v51, vcc
	v_cndmask_b32_e64 v52, v52, v67, s[22:23]
	v_cndmask_b32_e64 v50, v50, v67, s[22:23]
	v_cmp_neq_f32_e32 vcc, v52, v50
	v_cmp_class_f32_e64 s[10:11], v52, s12
	s_or_b64 s[14:15], vcc, s[10:11]
	s_and_saveexec_b64 s[10:11], s[14:15]
	s_cbranch_execz .LBB512_218
; %bb.217:
	v_sub_f32_e32 v51, v52, v50
	s_mov_b32 s12, 0x3fb8aa3b
	v_mul_f32_e32 v52, 0x3fb8aa3b, v51
	v_fma_f32 v53, v51, s12, -v52
	v_rndne_f32_e32 v54, v52
	v_fmac_f32_e32 v53, 0x32a5705f, v51
	v_sub_f32_e32 v52, v52, v54
	v_add_f32_e32 v52, v52, v53
	v_exp_f32_e32 v52, v52
	v_cvt_i32_f32_e32 v53, v54
	s_mov_b32 s12, 0xc2ce8ed0
	v_cmp_ngt_f32_e32 vcc, s12, v51
	s_mov_b32 s12, 0x42b17218
	v_ldexp_f32 v52, v52, v53
	v_cndmask_b32_e32 v52, 0, v52, vcc
	v_mov_b32_e32 v53, 0x7f800000
	v_cmp_nlt_f32_e32 vcc, s12, v51
	v_cndmask_b32_e32 v148, v53, v52, vcc
	v_add_f32_e32 v51, 1.0, v148
	v_add_f32_e32 v52, -1.0, v51
	v_sub_f32_e32 v53, v52, v51
	v_add_f32_e32 v53, 1.0, v53
	v_sub_f32_e32 v52, v148, v52
	v_add_f32_e32 v54, v52, v53
	v_frexp_mant_f32_e32 v55, v51
	s_mov_b32 s12, 0x3f2aaaab
	v_cvt_f64_f32_e32 v[52:53], v51
	v_frexp_exp_i32_f64_e32 v52, v[52:53]
	v_cmp_gt_f32_e32 vcc, s12, v55
	v_subbrev_co_u32_e32 v68, vcc, 0, v52, vcc
	v_sub_u32_e32 v52, 0, v68
	v_ldexp_f32 v51, v51, v52
	v_ldexp_f32 v52, v54, v52
	v_add_f32_e32 v54, -1.0, v51
	v_add_f32_e32 v53, 1.0, v54
	v_sub_f32_e32 v53, v51, v53
	v_add_f32_e32 v55, v52, v53
	v_add_f32_e32 v53, 1.0, v51
	v_add_f32_e32 v64, -1.0, v53
	v_sub_f32_e32 v51, v51, v64
	v_add_f32_e32 v51, v52, v51
	v_add_f32_e32 v69, v53, v51
	v_rcp_f32_e32 v80, v69
	v_sub_f32_e32 v52, v53, v69
	v_add_f32_e32 v53, v54, v55
	v_add_f32_e32 v51, v51, v52
	v_mul_f32_e32 v144, v53, v80
	v_sub_f32_e32 v52, v54, v53
	v_mul_f32_e32 v54, v69, v144
	v_fma_f32 v64, v144, v69, -v54
	v_fmac_f32_e32 v64, v144, v51
	v_add_f32_e32 v81, v55, v52
	v_add_f32_e32 v52, v54, v64
	v_sub_f32_e32 v55, v53, v52
	v_pk_add_f32 v[66:67], v[52:53], v[54:55] neg_lo:[0,1] neg_hi:[0,1]
	v_mov_b32_e32 v65, v52
	v_pk_add_f32 v[52:53], v[66:67], v[64:65] neg_lo:[0,1] neg_hi:[0,1]
	v_add_f32_e32 v53, v81, v53
	v_add_f32_e32 v52, v52, v53
	;; [unrolled: 1-line block ×3, first 2 shown]
	v_mul_f32_e32 v81, v80, v53
	v_mul_f32_e32 v54, v69, v81
	v_fma_f32 v64, v81, v69, -v54
	v_fmac_f32_e32 v64, v81, v51
	v_sub_f32_e32 v51, v55, v53
	v_add_f32_e32 v51, v52, v51
	v_add_f32_e32 v52, v54, v64
	v_sub_f32_e32 v55, v53, v52
	v_pk_add_f32 v[66:67], v[52:53], v[54:55] neg_lo:[0,1] neg_hi:[0,1]
	v_mov_b32_e32 v65, v52
	v_pk_add_f32 v[52:53], v[66:67], v[64:65] neg_lo:[0,1] neg_hi:[0,1]
	v_add_f32_e32 v51, v51, v53
	v_add_f32_e32 v51, v52, v51
	;; [unrolled: 1-line block ×4, first 2 shown]
	v_sub_f32_e32 v53, v52, v144
	v_mul_f32_e32 v51, v80, v51
	v_sub_f32_e32 v53, v81, v53
	v_add_f32_e32 v51, v53, v51
	v_add_f32_e32 v55, v52, v51
	v_mul_f32_e32 v64, v55, v55
	v_mov_b32_e32 v54, 0x3ecc95a3
	v_fmac_f32_e32 v54, 0x3e9b6dac, v64
	v_mov_b32_e32 v53, 0x3f2aaada
	v_fmac_f32_e32 v53, v64, v54
	v_cvt_f32_i32_e32 v54, v68
	v_sub_f32_e32 v52, v55, v52
	v_sub_f32_e32 v51, v51, v52
	v_ldexp_f32 v65, v55, 1
	v_mul_f32_e32 v55, v55, v64
	v_mov_b32_e32 v52, 0x3f317218
	s_mov_b32 s12, 0x3f317218
	v_pk_mul_f32 v[52:53], v[54:55], v[52:53]
	v_fma_f32 v64, v54, s12, -v52
	v_fmac_f32_e32 v64, 0xb102e308, v54
	v_pk_add_f32 v[54:55], v[52:53], v[64:65]
	v_sub_f32_e32 v65, v55, v65
	v_ldexp_f32 v51, v51, 1
	v_sub_f32_e32 v65, v53, v65
	v_add_f32_e32 v67, v51, v65
	v_mov_b32_e32 v66, v52
	v_pk_add_f32 v[52:53], v[54:55], v[52:53] neg_lo:[0,1] neg_hi:[0,1]
	v_pk_add_f32 v[68:69], v[54:55], v[66:67]
	v_mov_b32_e32 v53, v69
	v_mov_b32_e32 v65, v54
	v_pk_add_f32 v[80:81], v[64:65], v[52:53] neg_lo:[0,1] neg_hi:[0,1]
	v_pk_add_f32 v[52:53], v[64:65], v[52:53]
	v_mov_b32_e32 v64, v53
	v_pk_add_f32 v[144:145], v[64:65], v[54:55] neg_lo:[0,1] neg_hi:[0,1]
	v_mov_b32_e32 v51, v144
	v_pk_add_f32 v[146:147], v[68:69], v[50:51] neg_lo:[0,1] neg_hi:[0,1]
	v_mov_b32_e32 v52, v69
	v_mov_b32_e32 v68, v55
	;; [unrolled: 1-line block ×4, first 2 shown]
	v_pk_add_f32 v[52:53], v[52:53], v[68:69] neg_lo:[0,1] neg_hi:[0,1]
	v_mov_b32_e32 v66, v67
	v_mov_b32_e32 v67, v54
	v_pk_add_f32 v[52:53], v[66:67], v[52:53] neg_lo:[0,1] neg_hi:[0,1]
	v_mov_b32_e32 v146, v80
	v_pk_add_f32 v[54:55], v[146:147], v[52:53]
	v_mov_b32_e32 v66, v55
	v_pk_add_f32 v[66:67], v[54:55], v[66:67]
	v_pk_add_f32 v[64:65], v[64:65], v[66:67]
	v_mov_b32_e32 v55, v64
	v_pk_add_f32 v[68:69], v[54:55], v[80:81] neg_lo:[0,1] neg_hi:[0,1]
	v_mov_b32_e32 v53, v66
	v_sub_f32_e32 v51, v54, v68
	v_pk_add_f32 v[52:53], v[52:53], v[68:69] neg_lo:[0,1] neg_hi:[0,1]
	v_sub_f32_e32 v51, v80, v51
	s_mov_b32 s14, 0x7f800000
	v_add_f32_e32 v51, v52, v51
	s_mov_b32 s12, 0x33800000
	v_add_f32_e32 v51, v51, v53
	v_cmp_eq_f32_e32 vcc, s14, v148
	v_cmp_lt_f32_e64 s[14:15], |v148|, s12
	v_add_f32_e32 v51, v64, v51
	s_or_b64 vcc, vcc, s[14:15]
	v_cndmask_b32_e32 v51, v51, v148, vcc
	v_add_f32_e32 v51, v50, v51
.LBB512_218:
	s_or_b64 exec, exec, s[10:11]
	v_bfe_u32 v50, v51, 16, 1
	v_add3_u32 v50, v51, v50, s13
	v_lshrrev_b32_e32 v50, 16, v50
	v_cmp_o_f32_e32 vcc, v51, v51
	v_cndmask_b32_e32 v37, v37, v50, vcc
	v_lshlrev_b32_e32 v52, 16, v37
	v_max_f32_e32 v50, v52, v52
	v_min_f32_e32 v51, v50, v84
	v_cmp_u_f32_e32 vcc, v52, v52
	v_max_f32_e32 v50, v50, v84
	v_cndmask_b32_e32 v51, v51, v52, vcc
	v_cndmask_b32_e32 v50, v50, v52, vcc
	v_cndmask_b32_e64 v51, v51, v70, s[24:25]
	v_cndmask_b32_e64 v50, v50, v70, s[24:25]
	s_movk_i32 s12, 0x1f8
	v_cmp_neq_f32_e32 vcc, v51, v50
	v_cmp_class_f32_e64 s[10:11], v51, s12
	s_or_b64 s[14:15], vcc, s[10:11]
	s_and_saveexec_b64 s[10:11], s[14:15]
	s_cbranch_execz .LBB512_220
; %bb.219:
	v_sub_f32_e32 v51, v51, v50
	s_mov_b32 s13, 0x3fb8aa3b
	v_mul_f32_e32 v52, 0x3fb8aa3b, v51
	v_fma_f32 v53, v51, s13, -v52
	v_rndne_f32_e32 v54, v52
	v_fmac_f32_e32 v53, 0x32a5705f, v51
	v_sub_f32_e32 v52, v52, v54
	v_add_f32_e32 v52, v52, v53
	v_exp_f32_e32 v52, v52
	v_cvt_i32_f32_e32 v53, v54
	s_mov_b32 s13, 0xc2ce8ed0
	v_cmp_ngt_f32_e32 vcc, s13, v51
	s_mov_b32 s13, 0x42b17218
	v_ldexp_f32 v52, v52, v53
	v_cndmask_b32_e32 v52, 0, v52, vcc
	v_mov_b32_e32 v53, 0x7f800000
	v_cmp_nlt_f32_e32 vcc, s13, v51
	v_cndmask_b32_e32 v70, v53, v52, vcc
	v_add_f32_e32 v51, 1.0, v70
	v_add_f32_e32 v52, -1.0, v51
	v_sub_f32_e32 v53, v52, v51
	v_add_f32_e32 v53, 1.0, v53
	v_sub_f32_e32 v52, v70, v52
	v_add_f32_e32 v54, v52, v53
	v_frexp_mant_f32_e32 v55, v51
	s_mov_b32 s13, 0x3f2aaaab
	v_cvt_f64_f32_e32 v[52:53], v51
	v_frexp_exp_i32_f64_e32 v52, v[52:53]
	v_cmp_gt_f32_e32 vcc, s13, v55
	v_subbrev_co_u32_e32 v68, vcc, 0, v52, vcc
	v_sub_u32_e32 v52, 0, v68
	v_ldexp_f32 v51, v51, v52
	v_ldexp_f32 v52, v54, v52
	v_add_f32_e32 v54, -1.0, v51
	v_add_f32_e32 v53, 1.0, v54
	v_sub_f32_e32 v53, v51, v53
	v_add_f32_e32 v55, v52, v53
	v_add_f32_e32 v53, 1.0, v51
	v_add_f32_e32 v64, -1.0, v53
	v_sub_f32_e32 v51, v51, v64
	v_add_f32_e32 v51, v52, v51
	v_add_f32_e32 v69, v53, v51
	v_rcp_f32_e32 v80, v69
	v_sub_f32_e32 v52, v53, v69
	v_add_f32_e32 v53, v54, v55
	v_add_f32_e32 v51, v51, v52
	v_mul_f32_e32 v84, v53, v80
	v_sub_f32_e32 v52, v54, v53
	v_mul_f32_e32 v54, v69, v84
	v_fma_f32 v64, v84, v69, -v54
	v_fmac_f32_e32 v64, v84, v51
	v_add_f32_e32 v81, v55, v52
	v_add_f32_e32 v52, v54, v64
	v_sub_f32_e32 v55, v53, v52
	v_pk_add_f32 v[66:67], v[52:53], v[54:55] neg_lo:[0,1] neg_hi:[0,1]
	v_mov_b32_e32 v65, v52
	v_pk_add_f32 v[52:53], v[66:67], v[64:65] neg_lo:[0,1] neg_hi:[0,1]
	v_add_f32_e32 v53, v81, v53
	v_add_f32_e32 v52, v52, v53
	;; [unrolled: 1-line block ×3, first 2 shown]
	v_mul_f32_e32 v81, v80, v53
	v_mul_f32_e32 v54, v69, v81
	v_fma_f32 v64, v81, v69, -v54
	v_fmac_f32_e32 v64, v81, v51
	v_sub_f32_e32 v51, v55, v53
	v_add_f32_e32 v51, v52, v51
	v_add_f32_e32 v52, v54, v64
	v_sub_f32_e32 v55, v53, v52
	v_pk_add_f32 v[66:67], v[52:53], v[54:55] neg_lo:[0,1] neg_hi:[0,1]
	v_mov_b32_e32 v65, v52
	v_pk_add_f32 v[52:53], v[66:67], v[64:65] neg_lo:[0,1] neg_hi:[0,1]
	v_add_f32_e32 v51, v51, v53
	v_add_f32_e32 v51, v52, v51
	;; [unrolled: 1-line block ×4, first 2 shown]
	v_sub_f32_e32 v53, v52, v84
	v_mul_f32_e32 v51, v80, v51
	v_sub_f32_e32 v53, v81, v53
	v_add_f32_e32 v51, v53, v51
	v_add_f32_e32 v55, v52, v51
	v_mul_f32_e32 v64, v55, v55
	v_mov_b32_e32 v54, 0x3ecc95a3
	v_fmac_f32_e32 v54, 0x3e9b6dac, v64
	v_mov_b32_e32 v53, 0x3f2aaada
	v_fmac_f32_e32 v53, v64, v54
	v_cvt_f32_i32_e32 v54, v68
	v_sub_f32_e32 v52, v55, v52
	v_sub_f32_e32 v51, v51, v52
	v_ldexp_f32 v65, v55, 1
	v_mul_f32_e32 v55, v55, v64
	v_mov_b32_e32 v52, 0x3f317218
	s_mov_b32 s13, 0x3f317218
	v_pk_mul_f32 v[52:53], v[54:55], v[52:53]
	v_fma_f32 v64, v54, s13, -v52
	v_fmac_f32_e32 v64, 0xb102e308, v54
	v_pk_add_f32 v[54:55], v[52:53], v[64:65]
	v_sub_f32_e32 v65, v55, v65
	v_ldexp_f32 v51, v51, 1
	v_sub_f32_e32 v65, v53, v65
	v_add_f32_e32 v67, v51, v65
	v_mov_b32_e32 v66, v52
	v_pk_add_f32 v[52:53], v[54:55], v[52:53] neg_lo:[0,1] neg_hi:[0,1]
	v_pk_add_f32 v[68:69], v[54:55], v[66:67]
	v_mov_b32_e32 v53, v69
	v_mov_b32_e32 v65, v54
	v_pk_add_f32 v[80:81], v[64:65], v[52:53] neg_lo:[0,1] neg_hi:[0,1]
	v_pk_add_f32 v[52:53], v[64:65], v[52:53]
	v_mov_b32_e32 v64, v53
	v_pk_add_f32 v[144:145], v[64:65], v[54:55] neg_lo:[0,1] neg_hi:[0,1]
	v_mov_b32_e32 v51, v144
	v_pk_add_f32 v[146:147], v[68:69], v[50:51] neg_lo:[0,1] neg_hi:[0,1]
	v_mov_b32_e32 v52, v69
	v_mov_b32_e32 v68, v55
	;; [unrolled: 1-line block ×4, first 2 shown]
	v_pk_add_f32 v[52:53], v[52:53], v[68:69] neg_lo:[0,1] neg_hi:[0,1]
	v_mov_b32_e32 v66, v67
	v_mov_b32_e32 v67, v54
	v_pk_add_f32 v[52:53], v[66:67], v[52:53] neg_lo:[0,1] neg_hi:[0,1]
	v_mov_b32_e32 v146, v80
	v_pk_add_f32 v[54:55], v[146:147], v[52:53]
	v_mov_b32_e32 v66, v55
	v_pk_add_f32 v[66:67], v[54:55], v[66:67]
	v_pk_add_f32 v[64:65], v[64:65], v[66:67]
	v_mov_b32_e32 v55, v64
	v_pk_add_f32 v[68:69], v[54:55], v[80:81] neg_lo:[0,1] neg_hi:[0,1]
	v_mov_b32_e32 v53, v66
	v_sub_f32_e32 v51, v54, v68
	v_pk_add_f32 v[52:53], v[52:53], v[68:69] neg_lo:[0,1] neg_hi:[0,1]
	v_sub_f32_e32 v51, v80, v51
	s_mov_b32 s14, 0x7f800000
	v_add_f32_e32 v51, v52, v51
	s_mov_b32 s13, 0x33800000
	v_add_f32_e32 v51, v51, v53
	v_cmp_eq_f32_e32 vcc, s14, v70
	v_cmp_lt_f32_e64 s[14:15], |v70|, s13
	v_add_f32_e32 v51, v64, v51
	s_or_b64 vcc, vcc, s[14:15]
	v_cndmask_b32_e32 v51, v51, v70, vcc
	v_add_f32_e32 v52, v50, v51
.LBB512_220:
	s_or_b64 exec, exec, s[10:11]
	v_bfe_u32 v50, v52, 16, 1
	s_movk_i32 s13, 0x7fff
	v_add3_u32 v50, v52, v50, s13
	v_lshrrev_b32_e32 v50, 16, v50
	v_mov_b32_e32 v51, 0x7fc0
	v_cmp_o_f32_e32 vcc, v52, v52
	v_cndmask_b32_e32 v50, v51, v50, vcc
	v_lshlrev_b32_e32 v53, 16, v50
	v_max_f32_e32 v52, v53, v53
	v_min_f32_e32 v54, v52, v85
	v_cmp_u_f32_e32 vcc, v53, v53
	v_max_f32_e32 v52, v52, v85
	v_cndmask_b32_e32 v54, v54, v53, vcc
	v_cndmask_b32_e32 v52, v52, v53, vcc
	v_cndmask_b32_e64 v54, v54, v71, s[26:27]
	v_cndmask_b32_e64 v52, v52, v71, s[26:27]
	v_cmp_neq_f32_e32 vcc, v54, v52
	v_cmp_class_f32_e64 s[10:11], v54, s12
	s_or_b64 s[14:15], vcc, s[10:11]
	s_and_saveexec_b64 s[10:11], s[14:15]
	s_cbranch_execz .LBB512_222
; %bb.221:
	v_sub_f32_e32 v53, v54, v52
	s_mov_b32 s12, 0x3fb8aa3b
	v_mul_f32_e32 v54, 0x3fb8aa3b, v53
	v_fma_f32 v55, v53, s12, -v54
	v_rndne_f32_e32 v64, v54
	v_fmac_f32_e32 v55, 0x32a5705f, v53
	v_sub_f32_e32 v54, v54, v64
	v_add_f32_e32 v54, v54, v55
	v_exp_f32_e32 v54, v54
	v_cvt_i32_f32_e32 v55, v64
	s_mov_b32 s12, 0xc2ce8ed0
	v_cmp_ngt_f32_e32 vcc, s12, v53
	s_mov_b32 s12, 0x42b17218
	v_ldexp_f32 v54, v54, v55
	v_cndmask_b32_e32 v54, 0, v54, vcc
	v_mov_b32_e32 v55, 0x7f800000
	v_cmp_nlt_f32_e32 vcc, s12, v53
	v_cndmask_b32_e32 v146, v55, v54, vcc
	v_add_f32_e32 v53, 1.0, v146
	v_add_f32_e32 v54, -1.0, v53
	v_sub_f32_e32 v55, v54, v53
	v_add_f32_e32 v55, 1.0, v55
	v_sub_f32_e32 v54, v146, v54
	v_add_f32_e32 v64, v54, v55
	v_frexp_mant_f32_e32 v65, v53
	s_mov_b32 s12, 0x3f2aaaab
	v_cvt_f64_f32_e32 v[54:55], v53
	v_frexp_exp_i32_f64_e32 v54, v[54:55]
	v_cmp_gt_f32_e32 vcc, s12, v65
	v_subbrev_co_u32_e32 v70, vcc, 0, v54, vcc
	v_sub_u32_e32 v54, 0, v70
	v_ldexp_f32 v53, v53, v54
	v_ldexp_f32 v54, v64, v54
	v_add_f32_e32 v64, -1.0, v53
	v_add_f32_e32 v55, 1.0, v64
	v_sub_f32_e32 v55, v53, v55
	v_add_f32_e32 v65, v54, v55
	v_add_f32_e32 v55, 1.0, v53
	v_add_f32_e32 v66, -1.0, v55
	v_sub_f32_e32 v53, v53, v66
	v_add_f32_e32 v53, v54, v53
	v_add_f32_e32 v71, v55, v53
	v_rcp_f32_e32 v80, v71
	v_sub_f32_e32 v54, v55, v71
	v_add_f32_e32 v55, v64, v65
	v_add_f32_e32 v53, v53, v54
	v_mul_f32_e32 v84, v55, v80
	v_sub_f32_e32 v54, v64, v55
	v_mul_f32_e32 v64, v71, v84
	v_fma_f32 v66, v84, v71, -v64
	v_fmac_f32_e32 v66, v84, v53
	v_add_f32_e32 v81, v65, v54
	v_add_f32_e32 v54, v64, v66
	v_sub_f32_e32 v65, v55, v54
	v_pk_add_f32 v[68:69], v[54:55], v[64:65] neg_lo:[0,1] neg_hi:[0,1]
	v_mov_b32_e32 v67, v54
	v_pk_add_f32 v[54:55], v[68:69], v[66:67] neg_lo:[0,1] neg_hi:[0,1]
	v_add_f32_e32 v55, v81, v55
	v_add_f32_e32 v54, v54, v55
	v_add_f32_e32 v55, v65, v54
	v_mul_f32_e32 v81, v80, v55
	v_mul_f32_e32 v64, v71, v81
	v_fma_f32 v66, v81, v71, -v64
	v_fmac_f32_e32 v66, v81, v53
	v_sub_f32_e32 v53, v65, v55
	v_add_f32_e32 v53, v54, v53
	v_add_f32_e32 v54, v64, v66
	v_sub_f32_e32 v65, v55, v54
	v_pk_add_f32 v[68:69], v[54:55], v[64:65] neg_lo:[0,1] neg_hi:[0,1]
	v_mov_b32_e32 v67, v54
	v_pk_add_f32 v[54:55], v[68:69], v[66:67] neg_lo:[0,1] neg_hi:[0,1]
	v_add_f32_e32 v53, v53, v55
	v_add_f32_e32 v53, v54, v53
	;; [unrolled: 1-line block ×4, first 2 shown]
	v_sub_f32_e32 v55, v54, v84
	v_mul_f32_e32 v53, v80, v53
	v_sub_f32_e32 v55, v81, v55
	v_add_f32_e32 v53, v55, v53
	v_add_f32_e32 v65, v54, v53
	v_mul_f32_e32 v66, v65, v65
	v_mov_b32_e32 v64, 0x3ecc95a3
	v_fmac_f32_e32 v64, 0x3e9b6dac, v66
	v_mov_b32_e32 v55, 0x3f2aaada
	v_fmac_f32_e32 v55, v66, v64
	v_cvt_f32_i32_e32 v64, v70
	v_sub_f32_e32 v54, v65, v54
	v_sub_f32_e32 v53, v53, v54
	v_ldexp_f32 v67, v65, 1
	v_mul_f32_e32 v65, v65, v66
	v_mov_b32_e32 v54, 0x3f317218
	s_mov_b32 s12, 0x3f317218
	v_pk_mul_f32 v[54:55], v[64:65], v[54:55]
	v_fma_f32 v66, v64, s12, -v54
	v_fmac_f32_e32 v66, 0xb102e308, v64
	v_pk_add_f32 v[64:65], v[54:55], v[66:67]
	v_sub_f32_e32 v67, v65, v67
	v_ldexp_f32 v53, v53, 1
	v_sub_f32_e32 v67, v55, v67
	v_add_f32_e32 v69, v53, v67
	v_mov_b32_e32 v68, v54
	v_pk_add_f32 v[54:55], v[64:65], v[54:55] neg_lo:[0,1] neg_hi:[0,1]
	v_pk_add_f32 v[70:71], v[64:65], v[68:69]
	v_mov_b32_e32 v55, v71
	v_mov_b32_e32 v67, v64
	v_pk_add_f32 v[80:81], v[66:67], v[54:55] neg_lo:[0,1] neg_hi:[0,1]
	v_pk_add_f32 v[54:55], v[66:67], v[54:55]
	v_mov_b32_e32 v66, v55
	v_pk_add_f32 v[84:85], v[66:67], v[64:65] neg_lo:[0,1] neg_hi:[0,1]
	v_mov_b32_e32 v53, v84
	v_pk_add_f32 v[144:145], v[70:71], v[52:53] neg_lo:[0,1] neg_hi:[0,1]
	v_mov_b32_e32 v54, v71
	v_mov_b32_e32 v70, v65
	;; [unrolled: 1-line block ×4, first 2 shown]
	v_pk_add_f32 v[54:55], v[54:55], v[70:71] neg_lo:[0,1] neg_hi:[0,1]
	v_mov_b32_e32 v68, v69
	v_mov_b32_e32 v69, v64
	v_pk_add_f32 v[54:55], v[68:69], v[54:55] neg_lo:[0,1] neg_hi:[0,1]
	v_mov_b32_e32 v144, v80
	v_pk_add_f32 v[64:65], v[144:145], v[54:55]
	v_mov_b32_e32 v68, v65
	v_pk_add_f32 v[68:69], v[64:65], v[68:69]
	v_pk_add_f32 v[66:67], v[66:67], v[68:69]
	v_mov_b32_e32 v65, v66
	v_pk_add_f32 v[70:71], v[64:65], v[80:81] neg_lo:[0,1] neg_hi:[0,1]
	v_mov_b32_e32 v55, v68
	v_sub_f32_e32 v53, v64, v70
	v_pk_add_f32 v[54:55], v[54:55], v[70:71] neg_lo:[0,1] neg_hi:[0,1]
	v_sub_f32_e32 v53, v80, v53
	s_mov_b32 s14, 0x7f800000
	v_add_f32_e32 v53, v54, v53
	s_mov_b32 s12, 0x33800000
	v_add_f32_e32 v53, v53, v55
	v_cmp_eq_f32_e32 vcc, s14, v146
	v_cmp_lt_f32_e64 s[14:15], |v146|, s12
	v_add_f32_e32 v53, v66, v53
	s_or_b64 vcc, vcc, s[14:15]
	v_cndmask_b32_e32 v53, v53, v146, vcc
	v_add_f32_e32 v53, v52, v53
.LBB512_222:
	s_or_b64 exec, exec, s[10:11]
	v_bfe_u32 v52, v53, 16, 1
	v_add3_u32 v52, v53, v52, s13
	v_lshrrev_b32_e32 v52, 16, v52
	v_cmp_o_f32_e32 vcc, v53, v53
	v_cndmask_b32_e32 v52, v51, v52, vcc
	v_lshlrev_b32_e32 v54, 16, v52
	v_max_f32_e32 v51, v54, v54
	v_min_f32_e32 v53, v51, v96
	v_cmp_u_f32_e32 vcc, v54, v54
	v_max_f32_e32 v51, v51, v96
	v_cndmask_b32_e32 v53, v53, v54, vcc
	v_cndmask_b32_e32 v51, v51, v54, vcc
	v_cndmask_b32_e64 v53, v53, v82, s[28:29]
	v_cndmask_b32_e64 v51, v51, v82, s[28:29]
	s_movk_i32 s12, 0x1f8
	v_cmp_neq_f32_e32 vcc, v53, v51
	v_cmp_class_f32_e64 s[10:11], v53, s12
	s_or_b64 s[14:15], vcc, s[10:11]
	s_and_saveexec_b64 s[10:11], s[14:15]
	s_cbranch_execz .LBB512_224
; %bb.223:
	v_sub_f32_e32 v53, v53, v51
	s_mov_b32 s13, 0x3fb8aa3b
	v_mul_f32_e32 v54, 0x3fb8aa3b, v53
	v_fma_f32 v55, v53, s13, -v54
	v_rndne_f32_e32 v64, v54
	v_fmac_f32_e32 v55, 0x32a5705f, v53
	v_sub_f32_e32 v54, v54, v64
	v_add_f32_e32 v54, v54, v55
	v_exp_f32_e32 v54, v54
	v_cvt_i32_f32_e32 v55, v64
	s_mov_b32 s13, 0xc2ce8ed0
	v_cmp_ngt_f32_e32 vcc, s13, v53
	s_mov_b32 s13, 0x42b17218
	v_ldexp_f32 v54, v54, v55
	v_cndmask_b32_e32 v54, 0, v54, vcc
	v_mov_b32_e32 v55, 0x7f800000
	v_cmp_nlt_f32_e32 vcc, s13, v53
	v_cndmask_b32_e32 v82, v55, v54, vcc
	v_add_f32_e32 v53, 1.0, v82
	v_add_f32_e32 v54, -1.0, v53
	v_sub_f32_e32 v55, v54, v53
	v_add_f32_e32 v55, 1.0, v55
	v_sub_f32_e32 v54, v82, v54
	v_add_f32_e32 v64, v54, v55
	v_frexp_mant_f32_e32 v65, v53
	s_mov_b32 s13, 0x3f2aaaab
	v_cvt_f64_f32_e32 v[54:55], v53
	v_frexp_exp_i32_f64_e32 v54, v[54:55]
	v_cmp_gt_f32_e32 vcc, s13, v65
	v_subbrev_co_u32_e32 v70, vcc, 0, v54, vcc
	v_sub_u32_e32 v54, 0, v70
	v_ldexp_f32 v53, v53, v54
	v_ldexp_f32 v54, v64, v54
	v_add_f32_e32 v64, -1.0, v53
	v_add_f32_e32 v55, 1.0, v64
	v_sub_f32_e32 v55, v53, v55
	v_add_f32_e32 v65, v54, v55
	v_add_f32_e32 v55, 1.0, v53
	v_add_f32_e32 v66, -1.0, v55
	v_sub_f32_e32 v53, v53, v66
	v_add_f32_e32 v53, v54, v53
	v_add_f32_e32 v71, v55, v53
	v_rcp_f32_e32 v80, v71
	v_sub_f32_e32 v54, v55, v71
	v_add_f32_e32 v55, v64, v65
	v_add_f32_e32 v53, v53, v54
	v_mul_f32_e32 v84, v55, v80
	v_sub_f32_e32 v54, v64, v55
	v_mul_f32_e32 v64, v71, v84
	v_fma_f32 v66, v84, v71, -v64
	v_fmac_f32_e32 v66, v84, v53
	v_add_f32_e32 v81, v65, v54
	v_add_f32_e32 v54, v64, v66
	v_sub_f32_e32 v65, v55, v54
	v_pk_add_f32 v[68:69], v[54:55], v[64:65] neg_lo:[0,1] neg_hi:[0,1]
	v_mov_b32_e32 v67, v54
	v_pk_add_f32 v[54:55], v[68:69], v[66:67] neg_lo:[0,1] neg_hi:[0,1]
	v_add_f32_e32 v55, v81, v55
	v_add_f32_e32 v54, v54, v55
	;; [unrolled: 1-line block ×3, first 2 shown]
	v_mul_f32_e32 v81, v80, v55
	v_mul_f32_e32 v64, v71, v81
	v_fma_f32 v66, v81, v71, -v64
	v_fmac_f32_e32 v66, v81, v53
	v_sub_f32_e32 v53, v65, v55
	v_add_f32_e32 v53, v54, v53
	v_add_f32_e32 v54, v64, v66
	v_sub_f32_e32 v65, v55, v54
	v_pk_add_f32 v[68:69], v[54:55], v[64:65] neg_lo:[0,1] neg_hi:[0,1]
	v_mov_b32_e32 v67, v54
	v_pk_add_f32 v[54:55], v[68:69], v[66:67] neg_lo:[0,1] neg_hi:[0,1]
	v_add_f32_e32 v53, v53, v55
	v_add_f32_e32 v53, v54, v53
	;; [unrolled: 1-line block ×4, first 2 shown]
	v_sub_f32_e32 v55, v54, v84
	v_mul_f32_e32 v53, v80, v53
	v_sub_f32_e32 v55, v81, v55
	v_add_f32_e32 v53, v55, v53
	v_add_f32_e32 v65, v54, v53
	v_mul_f32_e32 v66, v65, v65
	v_mov_b32_e32 v64, 0x3ecc95a3
	v_fmac_f32_e32 v64, 0x3e9b6dac, v66
	v_mov_b32_e32 v55, 0x3f2aaada
	v_fmac_f32_e32 v55, v66, v64
	v_cvt_f32_i32_e32 v64, v70
	v_sub_f32_e32 v54, v65, v54
	v_sub_f32_e32 v53, v53, v54
	v_ldexp_f32 v67, v65, 1
	v_mul_f32_e32 v65, v65, v66
	v_mov_b32_e32 v54, 0x3f317218
	s_mov_b32 s13, 0x3f317218
	v_pk_mul_f32 v[54:55], v[64:65], v[54:55]
	v_fma_f32 v66, v64, s13, -v54
	v_fmac_f32_e32 v66, 0xb102e308, v64
	v_pk_add_f32 v[64:65], v[54:55], v[66:67]
	v_sub_f32_e32 v67, v65, v67
	v_ldexp_f32 v53, v53, 1
	v_sub_f32_e32 v67, v55, v67
	v_add_f32_e32 v69, v53, v67
	v_mov_b32_e32 v68, v54
	v_pk_add_f32 v[54:55], v[64:65], v[54:55] neg_lo:[0,1] neg_hi:[0,1]
	v_pk_add_f32 v[70:71], v[64:65], v[68:69]
	v_mov_b32_e32 v55, v71
	v_mov_b32_e32 v67, v64
	v_pk_add_f32 v[80:81], v[66:67], v[54:55] neg_lo:[0,1] neg_hi:[0,1]
	v_pk_add_f32 v[54:55], v[66:67], v[54:55]
	v_mov_b32_e32 v66, v55
	v_pk_add_f32 v[84:85], v[66:67], v[64:65] neg_lo:[0,1] neg_hi:[0,1]
	v_mov_b32_e32 v53, v84
	v_pk_add_f32 v[144:145], v[70:71], v[52:53] neg_lo:[0,1] neg_hi:[0,1]
	v_mov_b32_e32 v54, v71
	v_mov_b32_e32 v70, v65
	;; [unrolled: 1-line block ×4, first 2 shown]
	v_pk_add_f32 v[54:55], v[54:55], v[70:71] neg_lo:[0,1] neg_hi:[0,1]
	v_mov_b32_e32 v68, v69
	v_mov_b32_e32 v69, v64
	v_pk_add_f32 v[54:55], v[68:69], v[54:55] neg_lo:[0,1] neg_hi:[0,1]
	v_mov_b32_e32 v144, v80
	v_pk_add_f32 v[64:65], v[144:145], v[54:55]
	v_mov_b32_e32 v68, v65
	v_pk_add_f32 v[68:69], v[64:65], v[68:69]
	v_pk_add_f32 v[66:67], v[66:67], v[68:69]
	v_mov_b32_e32 v65, v66
	v_pk_add_f32 v[70:71], v[64:65], v[80:81] neg_lo:[0,1] neg_hi:[0,1]
	v_mov_b32_e32 v55, v68
	v_sub_f32_e32 v53, v64, v70
	v_pk_add_f32 v[54:55], v[54:55], v[70:71] neg_lo:[0,1] neg_hi:[0,1]
	v_sub_f32_e32 v53, v80, v53
	s_mov_b32 s14, 0x7f800000
	v_add_f32_e32 v53, v54, v53
	s_mov_b32 s13, 0x33800000
	v_add_f32_e32 v53, v53, v55
	v_cmp_eq_f32_e32 vcc, s14, v82
	v_cmp_lt_f32_e64 s[14:15], |v82|, s13
	v_add_f32_e32 v53, v66, v53
	s_or_b64 vcc, vcc, s[14:15]
	v_cndmask_b32_e32 v53, v53, v82, vcc
	v_add_f32_e32 v54, v51, v53
.LBB512_224:
	s_or_b64 exec, exec, s[10:11]
	v_bfe_u32 v51, v54, 16, 1
	s_movk_i32 s13, 0x7fff
	v_add3_u32 v51, v54, v51, s13
	v_lshrrev_b32_e32 v51, 16, v51
	v_mov_b32_e32 v53, 0x7fc0
	v_cmp_o_f32_e32 vcc, v54, v54
	v_cndmask_b32_e32 v51, v53, v51, vcc
	v_lshlrev_b32_e32 v55, 16, v51
	v_max_f32_e32 v54, v55, v55
	v_min_f32_e32 v64, v54, v97
	v_cmp_u_f32_e32 vcc, v55, v55
	v_max_f32_e32 v54, v54, v97
	v_cndmask_b32_e32 v64, v64, v55, vcc
	v_cndmask_b32_e32 v54, v54, v55, vcc
	v_cndmask_b32_e64 v64, v64, v83, s[30:31]
	v_cndmask_b32_e64 v54, v54, v83, s[30:31]
	v_cmp_neq_f32_e32 vcc, v64, v54
	v_cmp_class_f32_e64 s[10:11], v64, s12
	s_or_b64 s[14:15], vcc, s[10:11]
	s_and_saveexec_b64 s[10:11], s[14:15]
	s_cbranch_execz .LBB512_226
; %bb.225:
	v_sub_f32_e32 v55, v64, v54
	s_mov_b32 s12, 0x3fb8aa3b
	v_mul_f32_e32 v64, 0x3fb8aa3b, v55
	v_fma_f32 v65, v55, s12, -v64
	v_rndne_f32_e32 v66, v64
	v_fmac_f32_e32 v65, 0x32a5705f, v55
	v_sub_f32_e32 v64, v64, v66
	v_add_f32_e32 v64, v64, v65
	v_exp_f32_e32 v64, v64
	v_cvt_i32_f32_e32 v65, v66
	s_mov_b32 s12, 0xc2ce8ed0
	v_cmp_ngt_f32_e32 vcc, s12, v55
	s_mov_b32 s12, 0x42b17218
	v_ldexp_f32 v64, v64, v65
	v_cndmask_b32_e32 v64, 0, v64, vcc
	v_mov_b32_e32 v65, 0x7f800000
	v_cmp_nlt_f32_e32 vcc, s12, v55
	v_cndmask_b32_e32 v144, v65, v64, vcc
	v_add_f32_e32 v55, 1.0, v144
	v_add_f32_e32 v64, -1.0, v55
	v_sub_f32_e32 v65, v64, v55
	v_add_f32_e32 v65, 1.0, v65
	v_sub_f32_e32 v64, v144, v64
	v_add_f32_e32 v66, v64, v65
	v_frexp_mant_f32_e32 v67, v55
	s_mov_b32 s12, 0x3f2aaaab
	v_cvt_f64_f32_e32 v[64:65], v55
	v_frexp_exp_i32_f64_e32 v64, v[64:65]
	v_cmp_gt_f32_e32 vcc, s12, v67
	v_subbrev_co_u32_e32 v80, vcc, 0, v64, vcc
	v_sub_u32_e32 v64, 0, v80
	v_ldexp_f32 v55, v55, v64
	v_ldexp_f32 v64, v66, v64
	v_add_f32_e32 v66, -1.0, v55
	v_add_f32_e32 v65, 1.0, v66
	v_sub_f32_e32 v65, v55, v65
	v_add_f32_e32 v67, v64, v65
	v_add_f32_e32 v65, 1.0, v55
	v_add_f32_e32 v68, -1.0, v65
	v_sub_f32_e32 v55, v55, v68
	v_add_f32_e32 v55, v64, v55
	v_add_f32_e32 v81, v65, v55
	v_rcp_f32_e32 v82, v81
	v_sub_f32_e32 v64, v65, v81
	v_add_f32_e32 v65, v66, v67
	v_add_f32_e32 v55, v55, v64
	v_mul_f32_e32 v84, v65, v82
	v_sub_f32_e32 v64, v66, v65
	v_mul_f32_e32 v66, v81, v84
	v_fma_f32 v68, v84, v81, -v66
	v_fmac_f32_e32 v68, v84, v55
	v_add_f32_e32 v83, v67, v64
	v_add_f32_e32 v64, v66, v68
	v_sub_f32_e32 v67, v65, v64
	v_pk_add_f32 v[70:71], v[64:65], v[66:67] neg_lo:[0,1] neg_hi:[0,1]
	v_mov_b32_e32 v69, v64
	v_pk_add_f32 v[64:65], v[70:71], v[68:69] neg_lo:[0,1] neg_hi:[0,1]
	v_add_f32_e32 v65, v83, v65
	v_add_f32_e32 v64, v64, v65
	;; [unrolled: 1-line block ×3, first 2 shown]
	v_mul_f32_e32 v83, v82, v65
	v_mul_f32_e32 v66, v81, v83
	v_fma_f32 v68, v83, v81, -v66
	v_fmac_f32_e32 v68, v83, v55
	v_sub_f32_e32 v55, v67, v65
	v_add_f32_e32 v55, v64, v55
	v_add_f32_e32 v64, v66, v68
	v_sub_f32_e32 v67, v65, v64
	v_pk_add_f32 v[70:71], v[64:65], v[66:67] neg_lo:[0,1] neg_hi:[0,1]
	v_mov_b32_e32 v69, v64
	v_pk_add_f32 v[64:65], v[70:71], v[68:69] neg_lo:[0,1] neg_hi:[0,1]
	v_add_f32_e32 v55, v55, v65
	v_add_f32_e32 v55, v64, v55
	;; [unrolled: 1-line block ×4, first 2 shown]
	v_sub_f32_e32 v65, v64, v84
	v_mul_f32_e32 v55, v82, v55
	v_sub_f32_e32 v65, v83, v65
	v_add_f32_e32 v55, v65, v55
	v_add_f32_e32 v67, v64, v55
	v_mul_f32_e32 v68, v67, v67
	v_mov_b32_e32 v66, 0x3ecc95a3
	v_fmac_f32_e32 v66, 0x3e9b6dac, v68
	v_mov_b32_e32 v65, 0x3f2aaada
	v_fmac_f32_e32 v65, v68, v66
	v_cvt_f32_i32_e32 v66, v80
	v_sub_f32_e32 v64, v67, v64
	v_sub_f32_e32 v55, v55, v64
	v_ldexp_f32 v69, v67, 1
	v_mul_f32_e32 v67, v67, v68
	v_mov_b32_e32 v64, 0x3f317218
	s_mov_b32 s12, 0x3f317218
	v_pk_mul_f32 v[64:65], v[66:67], v[64:65]
	v_fma_f32 v68, v66, s12, -v64
	v_fmac_f32_e32 v68, 0xb102e308, v66
	v_pk_add_f32 v[66:67], v[64:65], v[68:69]
	v_sub_f32_e32 v69, v67, v69
	v_ldexp_f32 v55, v55, 1
	v_sub_f32_e32 v69, v65, v69
	v_add_f32_e32 v71, v55, v69
	v_mov_b32_e32 v70, v64
	v_pk_add_f32 v[64:65], v[66:67], v[64:65] neg_lo:[0,1] neg_hi:[0,1]
	v_pk_add_f32 v[80:81], v[66:67], v[70:71]
	v_mov_b32_e32 v65, v81
	v_mov_b32_e32 v69, v66
	v_pk_add_f32 v[82:83], v[68:69], v[64:65] neg_lo:[0,1] neg_hi:[0,1]
	v_pk_add_f32 v[64:65], v[68:69], v[64:65]
	v_mov_b32_e32 v68, v65
	v_pk_add_f32 v[84:85], v[68:69], v[66:67] neg_lo:[0,1] neg_hi:[0,1]
	v_mov_b32_e32 v55, v84
	v_pk_add_f32 v[96:97], v[80:81], v[54:55] neg_lo:[0,1] neg_hi:[0,1]
	v_mov_b32_e32 v64, v81
	v_mov_b32_e32 v80, v67
	;; [unrolled: 1-line block ×4, first 2 shown]
	v_pk_add_f32 v[64:65], v[64:65], v[80:81] neg_lo:[0,1] neg_hi:[0,1]
	v_mov_b32_e32 v70, v71
	v_mov_b32_e32 v71, v66
	v_pk_add_f32 v[64:65], v[70:71], v[64:65] neg_lo:[0,1] neg_hi:[0,1]
	v_mov_b32_e32 v96, v82
	v_pk_add_f32 v[66:67], v[96:97], v[64:65]
	v_mov_b32_e32 v70, v67
	v_pk_add_f32 v[70:71], v[66:67], v[70:71]
	v_pk_add_f32 v[68:69], v[68:69], v[70:71]
	v_mov_b32_e32 v67, v68
	v_pk_add_f32 v[80:81], v[66:67], v[82:83] neg_lo:[0,1] neg_hi:[0,1]
	v_mov_b32_e32 v65, v70
	v_sub_f32_e32 v55, v66, v80
	v_pk_add_f32 v[64:65], v[64:65], v[80:81] neg_lo:[0,1] neg_hi:[0,1]
	v_sub_f32_e32 v55, v82, v55
	s_mov_b32 s14, 0x7f800000
	v_add_f32_e32 v55, v64, v55
	s_mov_b32 s12, 0x33800000
	v_add_f32_e32 v55, v55, v65
	v_cmp_eq_f32_e32 vcc, s14, v144
	v_cmp_lt_f32_e64 s[14:15], |v144|, s12
	v_add_f32_e32 v55, v68, v55
	s_or_b64 vcc, vcc, s[14:15]
	v_cndmask_b32_e32 v55, v55, v144, vcc
	v_add_f32_e32 v55, v54, v55
.LBB512_226:
	s_or_b64 exec, exec, s[10:11]
	v_bfe_u32 v54, v55, 16, 1
	v_add3_u32 v54, v55, v54, s13
	v_lshrrev_b32_e32 v54, 16, v54
	v_cmp_o_f32_e32 vcc, v55, v55
	v_cndmask_b32_e32 v53, v53, v54, vcc
	v_lshlrev_b32_e32 v64, 16, v53
	v_max_f32_e32 v54, v64, v64
	v_min_f32_e32 v55, v54, v100
	v_cmp_u_f32_e32 vcc, v64, v64
	v_max_f32_e32 v54, v54, v100
	v_cndmask_b32_e32 v55, v55, v64, vcc
	v_cndmask_b32_e32 v54, v54, v64, vcc
	v_cndmask_b32_e64 v55, v55, v86, s[34:35]
	v_cndmask_b32_e64 v54, v54, v86, s[34:35]
	s_movk_i32 s12, 0x1f8
	v_cmp_neq_f32_e32 vcc, v55, v54
	v_cmp_class_f32_e64 s[10:11], v55, s12
	s_or_b64 s[14:15], vcc, s[10:11]
	s_and_saveexec_b64 s[10:11], s[14:15]
	s_cbranch_execz .LBB512_228
; %bb.227:
	v_sub_f32_e32 v55, v55, v54
	s_mov_b32 s13, 0x3fb8aa3b
	v_mul_f32_e32 v64, 0x3fb8aa3b, v55
	v_fma_f32 v65, v55, s13, -v64
	v_rndne_f32_e32 v66, v64
	v_fmac_f32_e32 v65, 0x32a5705f, v55
	v_sub_f32_e32 v64, v64, v66
	v_add_f32_e32 v64, v64, v65
	v_exp_f32_e32 v64, v64
	v_cvt_i32_f32_e32 v65, v66
	s_mov_b32 s13, 0xc2ce8ed0
	v_cmp_ngt_f32_e32 vcc, s13, v55
	s_mov_b32 s13, 0x42b17218
	v_ldexp_f32 v64, v64, v65
	v_cndmask_b32_e32 v64, 0, v64, vcc
	v_mov_b32_e32 v65, 0x7f800000
	v_cmp_nlt_f32_e32 vcc, s13, v55
	v_cndmask_b32_e32 v86, v65, v64, vcc
	v_add_f32_e32 v55, 1.0, v86
	v_add_f32_e32 v64, -1.0, v55
	v_sub_f32_e32 v65, v64, v55
	v_add_f32_e32 v65, 1.0, v65
	v_sub_f32_e32 v64, v86, v64
	v_add_f32_e32 v66, v64, v65
	v_frexp_mant_f32_e32 v67, v55
	s_mov_b32 s13, 0x3f2aaaab
	v_cvt_f64_f32_e32 v[64:65], v55
	v_frexp_exp_i32_f64_e32 v64, v[64:65]
	v_cmp_gt_f32_e32 vcc, s13, v67
	v_subbrev_co_u32_e32 v80, vcc, 0, v64, vcc
	v_sub_u32_e32 v64, 0, v80
	v_ldexp_f32 v55, v55, v64
	v_ldexp_f32 v64, v66, v64
	v_add_f32_e32 v66, -1.0, v55
	v_add_f32_e32 v65, 1.0, v66
	v_sub_f32_e32 v65, v55, v65
	v_add_f32_e32 v67, v64, v65
	v_add_f32_e32 v65, 1.0, v55
	v_add_f32_e32 v68, -1.0, v65
	v_sub_f32_e32 v55, v55, v68
	v_add_f32_e32 v55, v64, v55
	v_add_f32_e32 v81, v65, v55
	v_rcp_f32_e32 v82, v81
	v_sub_f32_e32 v64, v65, v81
	v_add_f32_e32 v65, v66, v67
	v_add_f32_e32 v55, v55, v64
	v_mul_f32_e32 v84, v65, v82
	v_sub_f32_e32 v64, v66, v65
	v_mul_f32_e32 v66, v81, v84
	v_fma_f32 v68, v84, v81, -v66
	v_fmac_f32_e32 v68, v84, v55
	v_add_f32_e32 v83, v67, v64
	v_add_f32_e32 v64, v66, v68
	v_sub_f32_e32 v67, v65, v64
	v_pk_add_f32 v[70:71], v[64:65], v[66:67] neg_lo:[0,1] neg_hi:[0,1]
	v_mov_b32_e32 v69, v64
	v_pk_add_f32 v[64:65], v[70:71], v[68:69] neg_lo:[0,1] neg_hi:[0,1]
	v_add_f32_e32 v65, v83, v65
	v_add_f32_e32 v64, v64, v65
	;; [unrolled: 1-line block ×3, first 2 shown]
	v_mul_f32_e32 v83, v82, v65
	v_mul_f32_e32 v66, v81, v83
	v_fma_f32 v68, v83, v81, -v66
	v_fmac_f32_e32 v68, v83, v55
	v_sub_f32_e32 v55, v67, v65
	v_add_f32_e32 v55, v64, v55
	v_add_f32_e32 v64, v66, v68
	v_sub_f32_e32 v67, v65, v64
	v_pk_add_f32 v[70:71], v[64:65], v[66:67] neg_lo:[0,1] neg_hi:[0,1]
	v_mov_b32_e32 v69, v64
	v_pk_add_f32 v[64:65], v[70:71], v[68:69] neg_lo:[0,1] neg_hi:[0,1]
	v_add_f32_e32 v55, v55, v65
	v_add_f32_e32 v55, v64, v55
	;; [unrolled: 1-line block ×4, first 2 shown]
	v_sub_f32_e32 v65, v64, v84
	v_mul_f32_e32 v55, v82, v55
	v_sub_f32_e32 v65, v83, v65
	v_add_f32_e32 v55, v65, v55
	v_add_f32_e32 v67, v64, v55
	v_mul_f32_e32 v68, v67, v67
	v_mov_b32_e32 v66, 0x3ecc95a3
	v_fmac_f32_e32 v66, 0x3e9b6dac, v68
	v_mov_b32_e32 v65, 0x3f2aaada
	v_fmac_f32_e32 v65, v68, v66
	v_cvt_f32_i32_e32 v66, v80
	v_sub_f32_e32 v64, v67, v64
	v_sub_f32_e32 v55, v55, v64
	v_ldexp_f32 v69, v67, 1
	v_mul_f32_e32 v67, v67, v68
	v_mov_b32_e32 v64, 0x3f317218
	s_mov_b32 s13, 0x3f317218
	v_pk_mul_f32 v[64:65], v[66:67], v[64:65]
	v_fma_f32 v68, v66, s13, -v64
	v_fmac_f32_e32 v68, 0xb102e308, v66
	v_pk_add_f32 v[66:67], v[64:65], v[68:69]
	v_sub_f32_e32 v69, v67, v69
	v_ldexp_f32 v55, v55, 1
	v_sub_f32_e32 v69, v65, v69
	v_add_f32_e32 v71, v55, v69
	v_mov_b32_e32 v70, v64
	v_pk_add_f32 v[64:65], v[66:67], v[64:65] neg_lo:[0,1] neg_hi:[0,1]
	v_pk_add_f32 v[80:81], v[66:67], v[70:71]
	v_mov_b32_e32 v65, v81
	v_mov_b32_e32 v69, v66
	v_pk_add_f32 v[82:83], v[68:69], v[64:65] neg_lo:[0,1] neg_hi:[0,1]
	v_pk_add_f32 v[64:65], v[68:69], v[64:65]
	v_mov_b32_e32 v68, v65
	v_pk_add_f32 v[84:85], v[68:69], v[66:67] neg_lo:[0,1] neg_hi:[0,1]
	v_mov_b32_e32 v55, v84
	v_pk_add_f32 v[96:97], v[80:81], v[54:55] neg_lo:[0,1] neg_hi:[0,1]
	v_mov_b32_e32 v64, v81
	v_mov_b32_e32 v80, v67
	v_mov_b32_e32 v81, v84
	v_mov_b32_e32 v83, v65
	v_pk_add_f32 v[64:65], v[64:65], v[80:81] neg_lo:[0,1] neg_hi:[0,1]
	v_mov_b32_e32 v70, v71
	v_mov_b32_e32 v71, v66
	v_pk_add_f32 v[64:65], v[70:71], v[64:65] neg_lo:[0,1] neg_hi:[0,1]
	v_mov_b32_e32 v96, v82
	v_pk_add_f32 v[66:67], v[96:97], v[64:65]
	v_mov_b32_e32 v70, v67
	v_pk_add_f32 v[70:71], v[66:67], v[70:71]
	v_pk_add_f32 v[68:69], v[68:69], v[70:71]
	v_mov_b32_e32 v67, v68
	v_pk_add_f32 v[80:81], v[66:67], v[82:83] neg_lo:[0,1] neg_hi:[0,1]
	v_mov_b32_e32 v65, v70
	v_sub_f32_e32 v55, v66, v80
	v_pk_add_f32 v[64:65], v[64:65], v[80:81] neg_lo:[0,1] neg_hi:[0,1]
	v_sub_f32_e32 v55, v82, v55
	s_mov_b32 s14, 0x7f800000
	v_add_f32_e32 v55, v64, v55
	s_mov_b32 s13, 0x33800000
	v_add_f32_e32 v55, v55, v65
	v_cmp_eq_f32_e32 vcc, s14, v86
	v_cmp_lt_f32_e64 s[14:15], |v86|, s13
	v_add_f32_e32 v55, v68, v55
	s_or_b64 vcc, vcc, s[14:15]
	v_cndmask_b32_e32 v55, v55, v86, vcc
	v_add_f32_e32 v64, v54, v55
.LBB512_228:
	s_or_b64 exec, exec, s[10:11]
	v_bfe_u32 v54, v64, 16, 1
	s_movk_i32 s13, 0x7fff
	v_add3_u32 v54, v64, v54, s13
	v_lshrrev_b32_e32 v54, 16, v54
	v_mov_b32_e32 v55, 0x7fc0
	v_cmp_o_f32_e32 vcc, v64, v64
	v_cndmask_b32_e32 v54, v55, v54, vcc
	v_lshlrev_b32_e32 v65, 16, v54
	v_max_f32_e32 v64, v65, v65
	v_min_f32_e32 v66, v64, v101
	v_cmp_u_f32_e32 vcc, v65, v65
	v_max_f32_e32 v64, v64, v101
	v_cndmask_b32_e32 v66, v66, v65, vcc
	v_cndmask_b32_e32 v64, v64, v65, vcc
	v_cndmask_b32_e64 v66, v66, v87, s[36:37]
	v_cndmask_b32_e64 v64, v64, v87, s[36:37]
	v_cmp_neq_f32_e32 vcc, v66, v64
	v_cmp_class_f32_e64 s[10:11], v66, s12
	s_or_b64 s[14:15], vcc, s[10:11]
	s_and_saveexec_b64 s[10:11], s[14:15]
	s_cbranch_execz .LBB512_230
; %bb.229:
	v_sub_f32_e32 v65, v66, v64
	s_mov_b32 s12, 0x3fb8aa3b
	v_mul_f32_e32 v66, 0x3fb8aa3b, v65
	v_fma_f32 v67, v65, s12, -v66
	v_rndne_f32_e32 v68, v66
	v_fmac_f32_e32 v67, 0x32a5705f, v65
	v_sub_f32_e32 v66, v66, v68
	v_add_f32_e32 v66, v66, v67
	v_exp_f32_e32 v66, v66
	v_cvt_i32_f32_e32 v67, v68
	s_mov_b32 s12, 0xc2ce8ed0
	v_cmp_ngt_f32_e32 vcc, s12, v65
	s_mov_b32 s12, 0x42b17218
	v_ldexp_f32 v66, v66, v67
	v_cndmask_b32_e32 v66, 0, v66, vcc
	v_mov_b32_e32 v67, 0x7f800000
	v_cmp_nlt_f32_e32 vcc, s12, v65
	v_cndmask_b32_e32 v100, v67, v66, vcc
	v_add_f32_e32 v65, 1.0, v100
	v_add_f32_e32 v66, -1.0, v65
	v_sub_f32_e32 v67, v66, v65
	v_add_f32_e32 v67, 1.0, v67
	v_sub_f32_e32 v66, v100, v66
	v_add_f32_e32 v68, v66, v67
	v_frexp_mant_f32_e32 v69, v65
	s_mov_b32 s12, 0x3f2aaaab
	v_cvt_f64_f32_e32 v[66:67], v65
	v_frexp_exp_i32_f64_e32 v66, v[66:67]
	v_cmp_gt_f32_e32 vcc, s12, v69
	v_subbrev_co_u32_e32 v82, vcc, 0, v66, vcc
	v_sub_u32_e32 v66, 0, v82
	v_ldexp_f32 v65, v65, v66
	v_ldexp_f32 v66, v68, v66
	v_add_f32_e32 v68, -1.0, v65
	v_add_f32_e32 v67, 1.0, v68
	v_sub_f32_e32 v67, v65, v67
	v_add_f32_e32 v69, v66, v67
	v_add_f32_e32 v67, 1.0, v65
	v_add_f32_e32 v70, -1.0, v67
	v_sub_f32_e32 v65, v65, v70
	v_add_f32_e32 v65, v66, v65
	v_add_f32_e32 v83, v67, v65
	v_rcp_f32_e32 v84, v83
	v_sub_f32_e32 v66, v67, v83
	v_add_f32_e32 v67, v68, v69
	v_add_f32_e32 v65, v65, v66
	v_mul_f32_e32 v86, v67, v84
	v_sub_f32_e32 v66, v68, v67
	v_mul_f32_e32 v68, v83, v86
	v_fma_f32 v70, v86, v83, -v68
	v_fmac_f32_e32 v70, v86, v65
	v_add_f32_e32 v85, v69, v66
	v_add_f32_e32 v66, v68, v70
	v_sub_f32_e32 v69, v67, v66
	v_pk_add_f32 v[80:81], v[66:67], v[68:69] neg_lo:[0,1] neg_hi:[0,1]
	v_mov_b32_e32 v71, v66
	v_pk_add_f32 v[66:67], v[80:81], v[70:71] neg_lo:[0,1] neg_hi:[0,1]
	v_add_f32_e32 v67, v85, v67
	v_add_f32_e32 v66, v66, v67
	;; [unrolled: 1-line block ×3, first 2 shown]
	v_mul_f32_e32 v85, v84, v67
	v_mul_f32_e32 v68, v83, v85
	v_fma_f32 v70, v85, v83, -v68
	v_fmac_f32_e32 v70, v85, v65
	v_sub_f32_e32 v65, v69, v67
	v_add_f32_e32 v65, v66, v65
	v_add_f32_e32 v66, v68, v70
	v_sub_f32_e32 v69, v67, v66
	v_pk_add_f32 v[80:81], v[66:67], v[68:69] neg_lo:[0,1] neg_hi:[0,1]
	v_mov_b32_e32 v71, v66
	v_pk_add_f32 v[66:67], v[80:81], v[70:71] neg_lo:[0,1] neg_hi:[0,1]
	v_add_f32_e32 v65, v65, v67
	v_add_f32_e32 v65, v66, v65
	;; [unrolled: 1-line block ×4, first 2 shown]
	v_sub_f32_e32 v67, v66, v86
	v_mul_f32_e32 v65, v84, v65
	v_sub_f32_e32 v67, v85, v67
	v_add_f32_e32 v65, v67, v65
	v_add_f32_e32 v69, v66, v65
	v_mul_f32_e32 v70, v69, v69
	v_mov_b32_e32 v68, 0x3ecc95a3
	v_fmac_f32_e32 v68, 0x3e9b6dac, v70
	v_mov_b32_e32 v67, 0x3f2aaada
	v_fmac_f32_e32 v67, v70, v68
	v_cvt_f32_i32_e32 v68, v82
	v_sub_f32_e32 v66, v69, v66
	v_sub_f32_e32 v65, v65, v66
	v_ldexp_f32 v71, v69, 1
	v_mul_f32_e32 v69, v69, v70
	v_mov_b32_e32 v66, 0x3f317218
	s_mov_b32 s12, 0x3f317218
	v_pk_mul_f32 v[66:67], v[68:69], v[66:67]
	v_fma_f32 v70, v68, s12, -v66
	v_fmac_f32_e32 v70, 0xb102e308, v68
	v_pk_add_f32 v[68:69], v[66:67], v[70:71]
	v_sub_f32_e32 v71, v69, v71
	v_ldexp_f32 v65, v65, 1
	v_sub_f32_e32 v71, v67, v71
	v_add_f32_e32 v81, v65, v71
	v_mov_b32_e32 v80, v66
	v_pk_add_f32 v[66:67], v[68:69], v[66:67] neg_lo:[0,1] neg_hi:[0,1]
	v_pk_add_f32 v[82:83], v[68:69], v[80:81]
	v_mov_b32_e32 v67, v83
	v_mov_b32_e32 v71, v68
	v_pk_add_f32 v[84:85], v[70:71], v[66:67] neg_lo:[0,1] neg_hi:[0,1]
	v_pk_add_f32 v[66:67], v[70:71], v[66:67]
	v_mov_b32_e32 v70, v67
	v_pk_add_f32 v[86:87], v[70:71], v[68:69] neg_lo:[0,1] neg_hi:[0,1]
	v_mov_b32_e32 v65, v86
	v_pk_add_f32 v[96:97], v[82:83], v[64:65] neg_lo:[0,1] neg_hi:[0,1]
	v_mov_b32_e32 v66, v83
	v_mov_b32_e32 v82, v69
	;; [unrolled: 1-line block ×4, first 2 shown]
	v_pk_add_f32 v[66:67], v[66:67], v[82:83] neg_lo:[0,1] neg_hi:[0,1]
	v_mov_b32_e32 v80, v81
	v_mov_b32_e32 v81, v68
	v_pk_add_f32 v[66:67], v[80:81], v[66:67] neg_lo:[0,1] neg_hi:[0,1]
	v_mov_b32_e32 v96, v84
	v_pk_add_f32 v[68:69], v[96:97], v[66:67]
	v_mov_b32_e32 v80, v69
	v_pk_add_f32 v[80:81], v[68:69], v[80:81]
	v_pk_add_f32 v[70:71], v[70:71], v[80:81]
	v_mov_b32_e32 v69, v70
	v_pk_add_f32 v[82:83], v[68:69], v[84:85] neg_lo:[0,1] neg_hi:[0,1]
	v_mov_b32_e32 v67, v80
	v_sub_f32_e32 v65, v68, v82
	v_pk_add_f32 v[66:67], v[66:67], v[82:83] neg_lo:[0,1] neg_hi:[0,1]
	v_sub_f32_e32 v65, v84, v65
	s_mov_b32 s14, 0x7f800000
	v_add_f32_e32 v65, v66, v65
	s_mov_b32 s12, 0x33800000
	v_add_f32_e32 v65, v65, v67
	v_cmp_eq_f32_e32 vcc, s14, v100
	v_cmp_lt_f32_e64 s[14:15], |v100|, s12
	v_add_f32_e32 v65, v70, v65
	s_or_b64 vcc, vcc, s[14:15]
	v_cndmask_b32_e32 v65, v65, v100, vcc
	v_add_f32_e32 v65, v64, v65
.LBB512_230:
	s_or_b64 exec, exec, s[10:11]
	v_bfe_u32 v64, v65, 16, 1
	v_add3_u32 v64, v65, v64, s13
	v_lshrrev_b32_e32 v64, 16, v64
	v_cmp_o_f32_e32 vcc, v65, v65
	v_cndmask_b32_e32 v55, v55, v64, vcc
	v_lshlrev_b32_e32 v66, 16, v55
	v_max_f32_e32 v64, v66, v66
	v_min_f32_e32 v65, v64, v112
	v_cmp_u_f32_e32 vcc, v66, v66
	v_max_f32_e32 v64, v64, v112
	v_cndmask_b32_e32 v65, v65, v66, vcc
	v_cndmask_b32_e32 v64, v64, v66, vcc
	v_cndmask_b32_e64 v65, v65, v98, s[38:39]
	v_cndmask_b32_e64 v64, v64, v98, s[38:39]
	s_movk_i32 s12, 0x1f8
	v_cmp_neq_f32_e32 vcc, v65, v64
	v_cmp_class_f32_e64 s[10:11], v65, s12
	s_or_b64 s[14:15], vcc, s[10:11]
	s_and_saveexec_b64 s[10:11], s[14:15]
	s_cbranch_execz .LBB512_232
; %bb.231:
	v_sub_f32_e32 v65, v65, v64
	s_mov_b32 s13, 0x3fb8aa3b
	v_mul_f32_e32 v66, 0x3fb8aa3b, v65
	v_fma_f32 v67, v65, s13, -v66
	v_rndne_f32_e32 v68, v66
	v_fmac_f32_e32 v67, 0x32a5705f, v65
	v_sub_f32_e32 v66, v66, v68
	v_add_f32_e32 v66, v66, v67
	v_exp_f32_e32 v66, v66
	v_cvt_i32_f32_e32 v67, v68
	s_mov_b32 s13, 0xc2ce8ed0
	v_cmp_ngt_f32_e32 vcc, s13, v65
	s_mov_b32 s13, 0x42b17218
	v_ldexp_f32 v66, v66, v67
	v_cndmask_b32_e32 v66, 0, v66, vcc
	v_mov_b32_e32 v67, 0x7f800000
	v_cmp_nlt_f32_e32 vcc, s13, v65
	v_cndmask_b32_e32 v98, v67, v66, vcc
	v_add_f32_e32 v65, 1.0, v98
	v_add_f32_e32 v66, -1.0, v65
	v_sub_f32_e32 v67, v66, v65
	v_add_f32_e32 v67, 1.0, v67
	v_sub_f32_e32 v66, v98, v66
	v_add_f32_e32 v68, v66, v67
	v_frexp_mant_f32_e32 v69, v65
	s_mov_b32 s13, 0x3f2aaaab
	v_cvt_f64_f32_e32 v[66:67], v65
	v_frexp_exp_i32_f64_e32 v66, v[66:67]
	v_cmp_gt_f32_e32 vcc, s13, v69
	v_subbrev_co_u32_e32 v82, vcc, 0, v66, vcc
	v_sub_u32_e32 v66, 0, v82
	v_ldexp_f32 v65, v65, v66
	v_ldexp_f32 v66, v68, v66
	v_add_f32_e32 v68, -1.0, v65
	v_add_f32_e32 v67, 1.0, v68
	v_sub_f32_e32 v67, v65, v67
	v_add_f32_e32 v69, v66, v67
	v_add_f32_e32 v67, 1.0, v65
	v_add_f32_e32 v70, -1.0, v67
	v_sub_f32_e32 v65, v65, v70
	v_add_f32_e32 v65, v66, v65
	v_add_f32_e32 v83, v67, v65
	v_rcp_f32_e32 v84, v83
	v_sub_f32_e32 v66, v67, v83
	v_add_f32_e32 v67, v68, v69
	v_add_f32_e32 v65, v65, v66
	v_mul_f32_e32 v86, v67, v84
	v_sub_f32_e32 v66, v68, v67
	v_mul_f32_e32 v68, v83, v86
	v_fma_f32 v70, v86, v83, -v68
	v_fmac_f32_e32 v70, v86, v65
	v_add_f32_e32 v85, v69, v66
	v_add_f32_e32 v66, v68, v70
	v_sub_f32_e32 v69, v67, v66
	v_pk_add_f32 v[80:81], v[66:67], v[68:69] neg_lo:[0,1] neg_hi:[0,1]
	v_mov_b32_e32 v71, v66
	v_pk_add_f32 v[66:67], v[80:81], v[70:71] neg_lo:[0,1] neg_hi:[0,1]
	v_add_f32_e32 v67, v85, v67
	v_add_f32_e32 v66, v66, v67
	;; [unrolled: 1-line block ×3, first 2 shown]
	v_mul_f32_e32 v85, v84, v67
	v_mul_f32_e32 v68, v83, v85
	v_fma_f32 v70, v85, v83, -v68
	v_fmac_f32_e32 v70, v85, v65
	v_sub_f32_e32 v65, v69, v67
	v_add_f32_e32 v65, v66, v65
	v_add_f32_e32 v66, v68, v70
	v_sub_f32_e32 v69, v67, v66
	v_pk_add_f32 v[80:81], v[66:67], v[68:69] neg_lo:[0,1] neg_hi:[0,1]
	v_mov_b32_e32 v71, v66
	v_pk_add_f32 v[66:67], v[80:81], v[70:71] neg_lo:[0,1] neg_hi:[0,1]
	v_add_f32_e32 v65, v65, v67
	v_add_f32_e32 v65, v66, v65
	;; [unrolled: 1-line block ×4, first 2 shown]
	v_sub_f32_e32 v67, v66, v86
	v_mul_f32_e32 v65, v84, v65
	v_sub_f32_e32 v67, v85, v67
	v_add_f32_e32 v65, v67, v65
	v_add_f32_e32 v69, v66, v65
	v_mul_f32_e32 v70, v69, v69
	v_mov_b32_e32 v68, 0x3ecc95a3
	v_fmac_f32_e32 v68, 0x3e9b6dac, v70
	v_mov_b32_e32 v67, 0x3f2aaada
	v_fmac_f32_e32 v67, v70, v68
	v_cvt_f32_i32_e32 v68, v82
	v_sub_f32_e32 v66, v69, v66
	v_sub_f32_e32 v65, v65, v66
	v_ldexp_f32 v71, v69, 1
	v_mul_f32_e32 v69, v69, v70
	v_mov_b32_e32 v66, 0x3f317218
	s_mov_b32 s13, 0x3f317218
	v_pk_mul_f32 v[66:67], v[68:69], v[66:67]
	v_fma_f32 v70, v68, s13, -v66
	v_fmac_f32_e32 v70, 0xb102e308, v68
	v_pk_add_f32 v[68:69], v[66:67], v[70:71]
	v_sub_f32_e32 v71, v69, v71
	v_ldexp_f32 v65, v65, 1
	v_sub_f32_e32 v71, v67, v71
	v_add_f32_e32 v81, v65, v71
	v_mov_b32_e32 v80, v66
	v_pk_add_f32 v[66:67], v[68:69], v[66:67] neg_lo:[0,1] neg_hi:[0,1]
	v_pk_add_f32 v[82:83], v[68:69], v[80:81]
	v_mov_b32_e32 v67, v83
	v_mov_b32_e32 v71, v68
	v_pk_add_f32 v[84:85], v[70:71], v[66:67] neg_lo:[0,1] neg_hi:[0,1]
	v_pk_add_f32 v[66:67], v[70:71], v[66:67]
	v_mov_b32_e32 v70, v67
	v_pk_add_f32 v[86:87], v[70:71], v[68:69] neg_lo:[0,1] neg_hi:[0,1]
	v_mov_b32_e32 v65, v86
	v_pk_add_f32 v[96:97], v[82:83], v[64:65] neg_lo:[0,1] neg_hi:[0,1]
	v_mov_b32_e32 v66, v83
	v_mov_b32_e32 v82, v69
	;; [unrolled: 1-line block ×4, first 2 shown]
	v_pk_add_f32 v[66:67], v[66:67], v[82:83] neg_lo:[0,1] neg_hi:[0,1]
	v_mov_b32_e32 v80, v81
	v_mov_b32_e32 v81, v68
	v_pk_add_f32 v[66:67], v[80:81], v[66:67] neg_lo:[0,1] neg_hi:[0,1]
	v_mov_b32_e32 v96, v84
	v_pk_add_f32 v[68:69], v[96:97], v[66:67]
	v_mov_b32_e32 v80, v69
	v_pk_add_f32 v[80:81], v[68:69], v[80:81]
	v_pk_add_f32 v[70:71], v[70:71], v[80:81]
	v_mov_b32_e32 v69, v70
	v_pk_add_f32 v[82:83], v[68:69], v[84:85] neg_lo:[0,1] neg_hi:[0,1]
	v_mov_b32_e32 v67, v80
	v_sub_f32_e32 v65, v68, v82
	v_pk_add_f32 v[66:67], v[66:67], v[82:83] neg_lo:[0,1] neg_hi:[0,1]
	v_sub_f32_e32 v65, v84, v65
	s_mov_b32 s14, 0x7f800000
	v_add_f32_e32 v65, v66, v65
	s_mov_b32 s13, 0x33800000
	v_add_f32_e32 v65, v65, v67
	v_cmp_eq_f32_e32 vcc, s14, v98
	v_cmp_lt_f32_e64 s[14:15], |v98|, s13
	v_add_f32_e32 v65, v70, v65
	s_or_b64 vcc, vcc, s[14:15]
	v_cndmask_b32_e32 v65, v65, v98, vcc
	v_add_f32_e32 v66, v64, v65
.LBB512_232:
	s_or_b64 exec, exec, s[10:11]
	v_bfe_u32 v64, v66, 16, 1
	s_movk_i32 s13, 0x7fff
	v_add3_u32 v64, v66, v64, s13
	v_lshrrev_b32_e32 v64, 16, v64
	v_mov_b32_e32 v65, 0x7fc0
	v_cmp_o_f32_e32 vcc, v66, v66
	v_cndmask_b32_e32 v64, v65, v64, vcc
	v_lshlrev_b32_e32 v67, 16, v64
	v_max_f32_e32 v66, v67, v67
	v_min_f32_e32 v68, v66, v113
	v_cmp_u_f32_e32 vcc, v67, v67
	v_max_f32_e32 v66, v66, v113
	v_cndmask_b32_e32 v68, v68, v67, vcc
	v_cndmask_b32_e32 v66, v66, v67, vcc
	v_cndmask_b32_e64 v68, v68, v99, s[40:41]
	v_cndmask_b32_e64 v66, v66, v99, s[40:41]
	v_cmp_neq_f32_e32 vcc, v68, v66
	v_cmp_class_f32_e64 s[10:11], v68, s12
	s_or_b64 s[14:15], vcc, s[10:11]
	s_and_saveexec_b64 s[10:11], s[14:15]
	s_cbranch_execz .LBB512_234
; %bb.233:
	v_sub_f32_e32 v67, v68, v66
	s_mov_b32 s12, 0x3fb8aa3b
	v_mul_f32_e32 v68, 0x3fb8aa3b, v67
	v_fma_f32 v69, v67, s12, -v68
	v_rndne_f32_e32 v70, v68
	v_fmac_f32_e32 v69, 0x32a5705f, v67
	v_sub_f32_e32 v68, v68, v70
	v_add_f32_e32 v68, v68, v69
	v_exp_f32_e32 v68, v68
	v_cvt_i32_f32_e32 v69, v70
	s_mov_b32 s12, 0xc2ce8ed0
	v_cmp_ngt_f32_e32 vcc, s12, v67
	s_mov_b32 s12, 0x42b17218
	v_ldexp_f32 v68, v68, v69
	v_cndmask_b32_e32 v68, 0, v68, vcc
	v_mov_b32_e32 v69, 0x7f800000
	v_cmp_nlt_f32_e32 vcc, s12, v67
	v_cndmask_b32_e32 v100, v69, v68, vcc
	v_add_f32_e32 v67, 1.0, v100
	v_add_f32_e32 v68, -1.0, v67
	v_sub_f32_e32 v69, v68, v67
	v_add_f32_e32 v69, 1.0, v69
	v_sub_f32_e32 v68, v100, v68
	v_add_f32_e32 v70, v68, v69
	v_frexp_mant_f32_e32 v71, v67
	s_mov_b32 s12, 0x3f2aaaab
	v_cvt_f64_f32_e32 v[68:69], v67
	v_frexp_exp_i32_f64_e32 v68, v[68:69]
	v_cmp_gt_f32_e32 vcc, s12, v71
	v_subbrev_co_u32_e32 v84, vcc, 0, v68, vcc
	v_sub_u32_e32 v68, 0, v84
	v_ldexp_f32 v67, v67, v68
	v_ldexp_f32 v68, v70, v68
	v_add_f32_e32 v70, -1.0, v67
	v_add_f32_e32 v69, 1.0, v70
	v_sub_f32_e32 v69, v67, v69
	v_add_f32_e32 v71, v68, v69
	v_add_f32_e32 v69, 1.0, v67
	v_add_f32_e32 v80, -1.0, v69
	v_sub_f32_e32 v67, v67, v80
	v_add_f32_e32 v67, v68, v67
	v_add_f32_e32 v85, v69, v67
	v_rcp_f32_e32 v86, v85
	v_sub_f32_e32 v68, v69, v85
	v_add_f32_e32 v69, v70, v71
	v_add_f32_e32 v67, v67, v68
	v_mul_f32_e32 v96, v69, v86
	v_sub_f32_e32 v68, v70, v69
	v_mul_f32_e32 v70, v85, v96
	v_fma_f32 v80, v96, v85, -v70
	v_fmac_f32_e32 v80, v96, v67
	v_add_f32_e32 v87, v71, v68
	v_add_f32_e32 v68, v70, v80
	v_sub_f32_e32 v71, v69, v68
	v_pk_add_f32 v[82:83], v[68:69], v[70:71] neg_lo:[0,1] neg_hi:[0,1]
	v_mov_b32_e32 v81, v68
	v_pk_add_f32 v[68:69], v[82:83], v[80:81] neg_lo:[0,1] neg_hi:[0,1]
	v_add_f32_e32 v69, v87, v69
	v_add_f32_e32 v68, v68, v69
	;; [unrolled: 1-line block ×3, first 2 shown]
	v_mul_f32_e32 v87, v86, v69
	v_mul_f32_e32 v70, v85, v87
	v_fma_f32 v80, v87, v85, -v70
	v_fmac_f32_e32 v80, v87, v67
	v_sub_f32_e32 v67, v71, v69
	v_add_f32_e32 v67, v68, v67
	v_add_f32_e32 v68, v70, v80
	v_sub_f32_e32 v71, v69, v68
	v_pk_add_f32 v[82:83], v[68:69], v[70:71] neg_lo:[0,1] neg_hi:[0,1]
	v_mov_b32_e32 v81, v68
	v_pk_add_f32 v[68:69], v[82:83], v[80:81] neg_lo:[0,1] neg_hi:[0,1]
	v_add_f32_e32 v67, v67, v69
	v_add_f32_e32 v67, v68, v67
	;; [unrolled: 1-line block ×4, first 2 shown]
	v_sub_f32_e32 v69, v68, v96
	v_mul_f32_e32 v67, v86, v67
	v_sub_f32_e32 v69, v87, v69
	v_add_f32_e32 v67, v69, v67
	v_add_f32_e32 v71, v68, v67
	v_mul_f32_e32 v80, v71, v71
	v_mov_b32_e32 v70, 0x3ecc95a3
	v_fmac_f32_e32 v70, 0x3e9b6dac, v80
	v_mov_b32_e32 v69, 0x3f2aaada
	v_fmac_f32_e32 v69, v80, v70
	v_cvt_f32_i32_e32 v70, v84
	v_sub_f32_e32 v68, v71, v68
	v_sub_f32_e32 v67, v67, v68
	v_ldexp_f32 v81, v71, 1
	v_mul_f32_e32 v71, v71, v80
	v_mov_b32_e32 v68, 0x3f317218
	s_mov_b32 s12, 0x3f317218
	v_pk_mul_f32 v[68:69], v[70:71], v[68:69]
	v_fma_f32 v80, v70, s12, -v68
	v_fmac_f32_e32 v80, 0xb102e308, v70
	v_pk_add_f32 v[70:71], v[68:69], v[80:81]
	v_sub_f32_e32 v81, v71, v81
	v_ldexp_f32 v67, v67, 1
	v_sub_f32_e32 v81, v69, v81
	v_add_f32_e32 v83, v67, v81
	v_mov_b32_e32 v82, v68
	v_pk_add_f32 v[68:69], v[70:71], v[68:69] neg_lo:[0,1] neg_hi:[0,1]
	v_pk_add_f32 v[84:85], v[70:71], v[82:83]
	v_mov_b32_e32 v69, v85
	v_mov_b32_e32 v81, v70
	v_pk_add_f32 v[86:87], v[80:81], v[68:69] neg_lo:[0,1] neg_hi:[0,1]
	v_pk_add_f32 v[68:69], v[80:81], v[68:69]
	v_mov_b32_e32 v80, v69
	v_pk_add_f32 v[96:97], v[80:81], v[70:71] neg_lo:[0,1] neg_hi:[0,1]
	v_mov_b32_e32 v67, v96
	v_pk_add_f32 v[98:99], v[84:85], v[66:67] neg_lo:[0,1] neg_hi:[0,1]
	v_mov_b32_e32 v68, v85
	v_mov_b32_e32 v84, v71
	;; [unrolled: 1-line block ×4, first 2 shown]
	v_pk_add_f32 v[68:69], v[68:69], v[84:85] neg_lo:[0,1] neg_hi:[0,1]
	v_mov_b32_e32 v82, v83
	v_mov_b32_e32 v83, v70
	v_pk_add_f32 v[68:69], v[82:83], v[68:69] neg_lo:[0,1] neg_hi:[0,1]
	v_mov_b32_e32 v98, v86
	v_pk_add_f32 v[70:71], v[98:99], v[68:69]
	v_mov_b32_e32 v82, v71
	v_pk_add_f32 v[82:83], v[70:71], v[82:83]
	v_pk_add_f32 v[80:81], v[80:81], v[82:83]
	v_mov_b32_e32 v71, v80
	v_pk_add_f32 v[84:85], v[70:71], v[86:87] neg_lo:[0,1] neg_hi:[0,1]
	v_mov_b32_e32 v69, v82
	v_sub_f32_e32 v67, v70, v84
	v_pk_add_f32 v[68:69], v[68:69], v[84:85] neg_lo:[0,1] neg_hi:[0,1]
	v_sub_f32_e32 v67, v86, v67
	s_mov_b32 s14, 0x7f800000
	v_add_f32_e32 v67, v68, v67
	s_mov_b32 s12, 0x33800000
	v_add_f32_e32 v67, v67, v69
	v_cmp_eq_f32_e32 vcc, s14, v100
	v_cmp_lt_f32_e64 s[14:15], |v100|, s12
	v_add_f32_e32 v67, v80, v67
	s_or_b64 vcc, vcc, s[14:15]
	v_cndmask_b32_e32 v67, v67, v100, vcc
	v_add_f32_e32 v67, v66, v67
.LBB512_234:
	s_or_b64 exec, exec, s[10:11]
	v_bfe_u32 v66, v67, 16, 1
	v_add3_u32 v66, v67, v66, s13
	v_lshrrev_b32_e32 v66, 16, v66
	v_cmp_o_f32_e32 vcc, v67, v67
	v_cndmask_b32_e32 v65, v65, v66, vcc
	v_lshlrev_b32_e32 v68, 16, v65
	v_max_f32_e32 v66, v68, v68
	v_min_f32_e32 v67, v66, v116
	v_cmp_u_f32_e32 vcc, v68, v68
	v_max_f32_e32 v66, v66, v116
	v_cndmask_b32_e32 v67, v67, v68, vcc
	v_cndmask_b32_e32 v66, v66, v68, vcc
	v_cndmask_b32_e64 v67, v67, v102, s[42:43]
	v_cndmask_b32_e64 v66, v66, v102, s[42:43]
	s_movk_i32 s12, 0x1f8
	v_cmp_neq_f32_e32 vcc, v67, v66
	v_cmp_class_f32_e64 s[10:11], v67, s12
	s_or_b64 s[14:15], vcc, s[10:11]
	s_and_saveexec_b64 s[10:11], s[14:15]
	s_cbranch_execz .LBB512_236
; %bb.235:
	v_sub_f32_e32 v67, v67, v66
	s_mov_b32 s13, 0x3fb8aa3b
	v_mul_f32_e32 v68, 0x3fb8aa3b, v67
	v_fma_f32 v69, v67, s13, -v68
	v_rndne_f32_e32 v70, v68
	v_fmac_f32_e32 v69, 0x32a5705f, v67
	v_sub_f32_e32 v68, v68, v70
	v_add_f32_e32 v68, v68, v69
	v_exp_f32_e32 v68, v68
	v_cvt_i32_f32_e32 v69, v70
	s_mov_b32 s13, 0xc2ce8ed0
	v_cmp_ngt_f32_e32 vcc, s13, v67
	s_mov_b32 s13, 0x42b17218
	v_ldexp_f32 v68, v68, v69
	v_cndmask_b32_e32 v68, 0, v68, vcc
	v_mov_b32_e32 v69, 0x7f800000
	v_cmp_nlt_f32_e32 vcc, s13, v67
	v_cndmask_b32_e32 v100, v69, v68, vcc
	v_add_f32_e32 v67, 1.0, v100
	v_add_f32_e32 v68, -1.0, v67
	v_sub_f32_e32 v69, v68, v67
	v_add_f32_e32 v69, 1.0, v69
	v_sub_f32_e32 v68, v100, v68
	v_add_f32_e32 v70, v68, v69
	v_frexp_mant_f32_e32 v71, v67
	s_mov_b32 s13, 0x3f2aaaab
	v_cvt_f64_f32_e32 v[68:69], v67
	v_frexp_exp_i32_f64_e32 v68, v[68:69]
	v_cmp_gt_f32_e32 vcc, s13, v71
	v_subbrev_co_u32_e32 v84, vcc, 0, v68, vcc
	v_sub_u32_e32 v68, 0, v84
	v_ldexp_f32 v67, v67, v68
	v_ldexp_f32 v68, v70, v68
	v_add_f32_e32 v70, -1.0, v67
	v_add_f32_e32 v69, 1.0, v70
	v_sub_f32_e32 v69, v67, v69
	v_add_f32_e32 v71, v68, v69
	v_add_f32_e32 v69, 1.0, v67
	v_add_f32_e32 v80, -1.0, v69
	v_sub_f32_e32 v67, v67, v80
	v_add_f32_e32 v67, v68, v67
	v_add_f32_e32 v85, v69, v67
	v_rcp_f32_e32 v86, v85
	v_sub_f32_e32 v68, v69, v85
	v_add_f32_e32 v69, v70, v71
	v_add_f32_e32 v67, v67, v68
	v_mul_f32_e32 v96, v69, v86
	v_sub_f32_e32 v68, v70, v69
	v_mul_f32_e32 v70, v85, v96
	v_fma_f32 v80, v96, v85, -v70
	v_fmac_f32_e32 v80, v96, v67
	v_add_f32_e32 v87, v71, v68
	v_add_f32_e32 v68, v70, v80
	v_sub_f32_e32 v71, v69, v68
	v_pk_add_f32 v[82:83], v[68:69], v[70:71] neg_lo:[0,1] neg_hi:[0,1]
	v_mov_b32_e32 v81, v68
	v_pk_add_f32 v[68:69], v[82:83], v[80:81] neg_lo:[0,1] neg_hi:[0,1]
	v_add_f32_e32 v69, v87, v69
	v_add_f32_e32 v68, v68, v69
	;; [unrolled: 1-line block ×3, first 2 shown]
	v_mul_f32_e32 v87, v86, v69
	v_mul_f32_e32 v70, v85, v87
	v_fma_f32 v80, v87, v85, -v70
	v_fmac_f32_e32 v80, v87, v67
	v_sub_f32_e32 v67, v71, v69
	v_add_f32_e32 v67, v68, v67
	v_add_f32_e32 v68, v70, v80
	v_sub_f32_e32 v71, v69, v68
	v_pk_add_f32 v[82:83], v[68:69], v[70:71] neg_lo:[0,1] neg_hi:[0,1]
	v_mov_b32_e32 v81, v68
	v_pk_add_f32 v[68:69], v[82:83], v[80:81] neg_lo:[0,1] neg_hi:[0,1]
	v_add_f32_e32 v67, v67, v69
	v_add_f32_e32 v67, v68, v67
	;; [unrolled: 1-line block ×4, first 2 shown]
	v_sub_f32_e32 v69, v68, v96
	v_mul_f32_e32 v67, v86, v67
	v_sub_f32_e32 v69, v87, v69
	v_add_f32_e32 v67, v69, v67
	v_add_f32_e32 v71, v68, v67
	v_mul_f32_e32 v80, v71, v71
	v_mov_b32_e32 v70, 0x3ecc95a3
	v_fmac_f32_e32 v70, 0x3e9b6dac, v80
	v_mov_b32_e32 v69, 0x3f2aaada
	v_fmac_f32_e32 v69, v80, v70
	v_cvt_f32_i32_e32 v70, v84
	v_sub_f32_e32 v68, v71, v68
	v_sub_f32_e32 v67, v67, v68
	v_ldexp_f32 v81, v71, 1
	v_mul_f32_e32 v71, v71, v80
	v_mov_b32_e32 v68, 0x3f317218
	s_mov_b32 s13, 0x3f317218
	v_pk_mul_f32 v[68:69], v[70:71], v[68:69]
	v_fma_f32 v80, v70, s13, -v68
	v_fmac_f32_e32 v80, 0xb102e308, v70
	v_pk_add_f32 v[70:71], v[68:69], v[80:81]
	v_sub_f32_e32 v81, v71, v81
	v_ldexp_f32 v67, v67, 1
	v_sub_f32_e32 v81, v69, v81
	v_add_f32_e32 v83, v67, v81
	v_mov_b32_e32 v82, v68
	v_pk_add_f32 v[68:69], v[70:71], v[68:69] neg_lo:[0,1] neg_hi:[0,1]
	v_pk_add_f32 v[84:85], v[70:71], v[82:83]
	v_mov_b32_e32 v69, v85
	v_mov_b32_e32 v81, v70
	v_pk_add_f32 v[86:87], v[80:81], v[68:69] neg_lo:[0,1] neg_hi:[0,1]
	v_pk_add_f32 v[68:69], v[80:81], v[68:69]
	v_mov_b32_e32 v80, v69
	v_pk_add_f32 v[96:97], v[80:81], v[70:71] neg_lo:[0,1] neg_hi:[0,1]
	v_mov_b32_e32 v67, v96
	v_pk_add_f32 v[98:99], v[84:85], v[66:67] neg_lo:[0,1] neg_hi:[0,1]
	v_mov_b32_e32 v68, v85
	v_mov_b32_e32 v84, v71
	;; [unrolled: 1-line block ×4, first 2 shown]
	v_pk_add_f32 v[68:69], v[68:69], v[84:85] neg_lo:[0,1] neg_hi:[0,1]
	v_mov_b32_e32 v82, v83
	v_mov_b32_e32 v83, v70
	v_pk_add_f32 v[68:69], v[82:83], v[68:69] neg_lo:[0,1] neg_hi:[0,1]
	v_mov_b32_e32 v98, v86
	v_pk_add_f32 v[70:71], v[98:99], v[68:69]
	v_mov_b32_e32 v82, v71
	v_pk_add_f32 v[82:83], v[70:71], v[82:83]
	v_pk_add_f32 v[80:81], v[80:81], v[82:83]
	v_mov_b32_e32 v71, v80
	v_pk_add_f32 v[84:85], v[70:71], v[86:87] neg_lo:[0,1] neg_hi:[0,1]
	v_mov_b32_e32 v69, v82
	v_sub_f32_e32 v67, v70, v84
	v_pk_add_f32 v[68:69], v[68:69], v[84:85] neg_lo:[0,1] neg_hi:[0,1]
	v_sub_f32_e32 v67, v86, v67
	s_mov_b32 s14, 0x7f800000
	v_add_f32_e32 v67, v68, v67
	s_mov_b32 s13, 0x33800000
	v_add_f32_e32 v67, v67, v69
	v_cmp_eq_f32_e32 vcc, s14, v100
	v_cmp_lt_f32_e64 s[14:15], |v100|, s13
	v_add_f32_e32 v67, v80, v67
	s_or_b64 vcc, vcc, s[14:15]
	v_cndmask_b32_e32 v67, v67, v100, vcc
	v_add_f32_e32 v68, v66, v67
.LBB512_236:
	s_or_b64 exec, exec, s[10:11]
	v_bfe_u32 v66, v68, 16, 1
	s_movk_i32 s13, 0x7fff
	v_add3_u32 v66, v68, v66, s13
	v_lshrrev_b32_e32 v66, 16, v66
	v_mov_b32_e32 v67, 0x7fc0
	v_cmp_o_f32_e32 vcc, v68, v68
	v_cndmask_b32_e32 v66, v67, v66, vcc
	v_lshlrev_b32_e32 v69, 16, v66
	v_max_f32_e32 v68, v69, v69
	v_min_f32_e32 v70, v68, v117
	v_cmp_u_f32_e32 vcc, v69, v69
	v_max_f32_e32 v68, v68, v117
	v_cndmask_b32_e32 v70, v70, v69, vcc
	v_cndmask_b32_e32 v68, v68, v69, vcc
	v_cndmask_b32_e64 v70, v70, v103, s[44:45]
	v_cndmask_b32_e64 v68, v68, v103, s[44:45]
	v_cmp_neq_f32_e32 vcc, v70, v68
	v_cmp_class_f32_e64 s[10:11], v70, s12
	s_or_b64 s[14:15], vcc, s[10:11]
	s_and_saveexec_b64 s[10:11], s[14:15]
	s_cbranch_execz .LBB512_238
; %bb.237:
	v_sub_f32_e32 v69, v70, v68
	s_mov_b32 s12, 0x3fb8aa3b
	v_mul_f32_e32 v70, 0x3fb8aa3b, v69
	v_fma_f32 v71, v69, s12, -v70
	v_rndne_f32_e32 v80, v70
	v_fmac_f32_e32 v71, 0x32a5705f, v69
	v_sub_f32_e32 v70, v70, v80
	v_add_f32_e32 v70, v70, v71
	v_exp_f32_e32 v70, v70
	v_cvt_i32_f32_e32 v71, v80
	s_mov_b32 s12, 0xc2ce8ed0
	v_cmp_ngt_f32_e32 vcc, s12, v69
	s_mov_b32 s12, 0x42b17218
	v_ldexp_f32 v70, v70, v71
	v_cndmask_b32_e32 v70, 0, v70, vcc
	v_mov_b32_e32 v71, 0x7f800000
	v_cmp_nlt_f32_e32 vcc, s12, v69
	v_cndmask_b32_e32 v102, v71, v70, vcc
	v_add_f32_e32 v69, 1.0, v102
	v_add_f32_e32 v70, -1.0, v69
	v_sub_f32_e32 v71, v70, v69
	v_add_f32_e32 v71, 1.0, v71
	v_sub_f32_e32 v70, v102, v70
	v_add_f32_e32 v80, v70, v71
	v_frexp_mant_f32_e32 v81, v69
	s_mov_b32 s12, 0x3f2aaaab
	v_cvt_f64_f32_e32 v[70:71], v69
	v_frexp_exp_i32_f64_e32 v70, v[70:71]
	v_cmp_gt_f32_e32 vcc, s12, v81
	v_subbrev_co_u32_e32 v86, vcc, 0, v70, vcc
	v_sub_u32_e32 v70, 0, v86
	v_ldexp_f32 v69, v69, v70
	v_ldexp_f32 v70, v80, v70
	v_add_f32_e32 v80, -1.0, v69
	v_add_f32_e32 v71, 1.0, v80
	v_sub_f32_e32 v71, v69, v71
	v_add_f32_e32 v81, v70, v71
	v_add_f32_e32 v71, 1.0, v69
	v_add_f32_e32 v82, -1.0, v71
	v_sub_f32_e32 v69, v69, v82
	v_add_f32_e32 v69, v70, v69
	v_add_f32_e32 v87, v71, v69
	v_rcp_f32_e32 v96, v87
	v_sub_f32_e32 v70, v71, v87
	v_add_f32_e32 v71, v80, v81
	v_add_f32_e32 v69, v69, v70
	v_mul_f32_e32 v98, v71, v96
	v_sub_f32_e32 v70, v80, v71
	v_mul_f32_e32 v80, v87, v98
	v_fma_f32 v82, v98, v87, -v80
	v_fmac_f32_e32 v82, v98, v69
	v_add_f32_e32 v97, v81, v70
	v_add_f32_e32 v70, v80, v82
	v_sub_f32_e32 v81, v71, v70
	v_pk_add_f32 v[84:85], v[70:71], v[80:81] neg_lo:[0,1] neg_hi:[0,1]
	v_mov_b32_e32 v83, v70
	v_pk_add_f32 v[70:71], v[84:85], v[82:83] neg_lo:[0,1] neg_hi:[0,1]
	v_add_f32_e32 v71, v97, v71
	v_add_f32_e32 v70, v70, v71
	v_add_f32_e32 v71, v81, v70
	v_mul_f32_e32 v97, v96, v71
	v_mul_f32_e32 v80, v87, v97
	v_fma_f32 v82, v97, v87, -v80
	v_fmac_f32_e32 v82, v97, v69
	v_sub_f32_e32 v69, v81, v71
	v_add_f32_e32 v69, v70, v69
	v_add_f32_e32 v70, v80, v82
	v_sub_f32_e32 v81, v71, v70
	v_pk_add_f32 v[84:85], v[70:71], v[80:81] neg_lo:[0,1] neg_hi:[0,1]
	v_mov_b32_e32 v83, v70
	v_pk_add_f32 v[70:71], v[84:85], v[82:83] neg_lo:[0,1] neg_hi:[0,1]
	v_add_f32_e32 v69, v69, v71
	v_add_f32_e32 v69, v70, v69
	;; [unrolled: 1-line block ×4, first 2 shown]
	v_sub_f32_e32 v71, v70, v98
	v_mul_f32_e32 v69, v96, v69
	v_sub_f32_e32 v71, v97, v71
	v_add_f32_e32 v69, v71, v69
	v_add_f32_e32 v81, v70, v69
	v_mul_f32_e32 v82, v81, v81
	v_mov_b32_e32 v80, 0x3ecc95a3
	v_fmac_f32_e32 v80, 0x3e9b6dac, v82
	v_mov_b32_e32 v71, 0x3f2aaada
	v_fmac_f32_e32 v71, v82, v80
	v_cvt_f32_i32_e32 v80, v86
	v_sub_f32_e32 v70, v81, v70
	v_sub_f32_e32 v69, v69, v70
	v_ldexp_f32 v83, v81, 1
	v_mul_f32_e32 v81, v81, v82
	v_mov_b32_e32 v70, 0x3f317218
	s_mov_b32 s12, 0x3f317218
	v_pk_mul_f32 v[70:71], v[80:81], v[70:71]
	v_fma_f32 v82, v80, s12, -v70
	v_fmac_f32_e32 v82, 0xb102e308, v80
	v_pk_add_f32 v[80:81], v[70:71], v[82:83]
	v_sub_f32_e32 v83, v81, v83
	v_ldexp_f32 v69, v69, 1
	v_sub_f32_e32 v83, v71, v83
	v_add_f32_e32 v85, v69, v83
	v_mov_b32_e32 v84, v70
	v_pk_add_f32 v[70:71], v[80:81], v[70:71] neg_lo:[0,1] neg_hi:[0,1]
	v_pk_add_f32 v[86:87], v[80:81], v[84:85]
	v_mov_b32_e32 v71, v87
	v_mov_b32_e32 v83, v80
	v_pk_add_f32 v[96:97], v[82:83], v[70:71] neg_lo:[0,1] neg_hi:[0,1]
	v_pk_add_f32 v[70:71], v[82:83], v[70:71]
	v_mov_b32_e32 v82, v71
	v_pk_add_f32 v[98:99], v[82:83], v[80:81] neg_lo:[0,1] neg_hi:[0,1]
	v_mov_b32_e32 v69, v98
	v_pk_add_f32 v[100:101], v[86:87], v[68:69] neg_lo:[0,1] neg_hi:[0,1]
	v_mov_b32_e32 v70, v87
	v_mov_b32_e32 v86, v81
	;; [unrolled: 1-line block ×4, first 2 shown]
	v_pk_add_f32 v[70:71], v[70:71], v[86:87] neg_lo:[0,1] neg_hi:[0,1]
	v_mov_b32_e32 v84, v85
	v_mov_b32_e32 v85, v80
	v_pk_add_f32 v[70:71], v[84:85], v[70:71] neg_lo:[0,1] neg_hi:[0,1]
	v_mov_b32_e32 v100, v96
	v_pk_add_f32 v[80:81], v[100:101], v[70:71]
	v_mov_b32_e32 v84, v81
	v_pk_add_f32 v[84:85], v[80:81], v[84:85]
	v_pk_add_f32 v[82:83], v[82:83], v[84:85]
	v_mov_b32_e32 v81, v82
	v_pk_add_f32 v[86:87], v[80:81], v[96:97] neg_lo:[0,1] neg_hi:[0,1]
	v_mov_b32_e32 v71, v84
	v_sub_f32_e32 v69, v80, v86
	v_pk_add_f32 v[70:71], v[70:71], v[86:87] neg_lo:[0,1] neg_hi:[0,1]
	v_sub_f32_e32 v69, v96, v69
	s_mov_b32 s14, 0x7f800000
	v_add_f32_e32 v69, v70, v69
	s_mov_b32 s12, 0x33800000
	v_add_f32_e32 v69, v69, v71
	v_cmp_eq_f32_e32 vcc, s14, v102
	v_cmp_lt_f32_e64 s[14:15], |v102|, s12
	v_add_f32_e32 v69, v82, v69
	s_or_b64 vcc, vcc, s[14:15]
	v_cndmask_b32_e32 v69, v69, v102, vcc
	v_add_f32_e32 v69, v68, v69
.LBB512_238:
	s_or_b64 exec, exec, s[10:11]
	v_bfe_u32 v68, v69, 16, 1
	v_add3_u32 v68, v69, v68, s13
	v_lshrrev_b32_e32 v68, 16, v68
	v_cmp_o_f32_e32 vcc, v69, v69
	v_cndmask_b32_e32 v67, v67, v68, vcc
	v_lshlrev_b32_e32 v70, 16, v67
	v_max_f32_e32 v68, v70, v70
	v_min_f32_e32 v69, v68, v128
	v_cmp_u_f32_e32 vcc, v70, v70
	v_max_f32_e32 v68, v68, v128
	v_cndmask_b32_e32 v69, v69, v70, vcc
	v_cndmask_b32_e32 v68, v68, v70, vcc
	v_cndmask_b32_e64 v69, v69, v114, s[46:47]
	v_cndmask_b32_e64 v68, v68, v114, s[46:47]
	s_movk_i32 s12, 0x1f8
	v_cmp_neq_f32_e32 vcc, v69, v68
	v_cmp_class_f32_e64 s[10:11], v69, s12
	s_or_b64 s[14:15], vcc, s[10:11]
	s_and_saveexec_b64 s[10:11], s[14:15]
	s_cbranch_execz .LBB512_240
; %bb.239:
	v_sub_f32_e32 v69, v69, v68
	s_mov_b32 s13, 0x3fb8aa3b
	v_mul_f32_e32 v70, 0x3fb8aa3b, v69
	v_fma_f32 v71, v69, s13, -v70
	v_rndne_f32_e32 v80, v70
	v_fmac_f32_e32 v71, 0x32a5705f, v69
	v_sub_f32_e32 v70, v70, v80
	v_add_f32_e32 v70, v70, v71
	v_exp_f32_e32 v70, v70
	v_cvt_i32_f32_e32 v71, v80
	s_mov_b32 s13, 0xc2ce8ed0
	v_cmp_ngt_f32_e32 vcc, s13, v69
	s_mov_b32 s13, 0x42b17218
	v_ldexp_f32 v70, v70, v71
	v_cndmask_b32_e32 v70, 0, v70, vcc
	v_mov_b32_e32 v71, 0x7f800000
	v_cmp_nlt_f32_e32 vcc, s13, v69
	v_cndmask_b32_e32 v102, v71, v70, vcc
	v_add_f32_e32 v69, 1.0, v102
	v_add_f32_e32 v70, -1.0, v69
	v_sub_f32_e32 v71, v70, v69
	v_add_f32_e32 v71, 1.0, v71
	v_sub_f32_e32 v70, v102, v70
	v_add_f32_e32 v80, v70, v71
	v_frexp_mant_f32_e32 v81, v69
	s_mov_b32 s13, 0x3f2aaaab
	v_cvt_f64_f32_e32 v[70:71], v69
	v_frexp_exp_i32_f64_e32 v70, v[70:71]
	v_cmp_gt_f32_e32 vcc, s13, v81
	v_subbrev_co_u32_e32 v86, vcc, 0, v70, vcc
	v_sub_u32_e32 v70, 0, v86
	v_ldexp_f32 v69, v69, v70
	v_ldexp_f32 v70, v80, v70
	v_add_f32_e32 v80, -1.0, v69
	v_add_f32_e32 v71, 1.0, v80
	v_sub_f32_e32 v71, v69, v71
	v_add_f32_e32 v81, v70, v71
	v_add_f32_e32 v71, 1.0, v69
	v_add_f32_e32 v82, -1.0, v71
	v_sub_f32_e32 v69, v69, v82
	v_add_f32_e32 v69, v70, v69
	v_add_f32_e32 v87, v71, v69
	v_rcp_f32_e32 v96, v87
	v_sub_f32_e32 v70, v71, v87
	v_add_f32_e32 v71, v80, v81
	v_add_f32_e32 v69, v69, v70
	v_mul_f32_e32 v98, v71, v96
	v_sub_f32_e32 v70, v80, v71
	v_mul_f32_e32 v80, v87, v98
	v_fma_f32 v82, v98, v87, -v80
	v_fmac_f32_e32 v82, v98, v69
	v_add_f32_e32 v97, v81, v70
	v_add_f32_e32 v70, v80, v82
	v_sub_f32_e32 v81, v71, v70
	v_pk_add_f32 v[84:85], v[70:71], v[80:81] neg_lo:[0,1] neg_hi:[0,1]
	v_mov_b32_e32 v83, v70
	v_pk_add_f32 v[70:71], v[84:85], v[82:83] neg_lo:[0,1] neg_hi:[0,1]
	v_add_f32_e32 v71, v97, v71
	v_add_f32_e32 v70, v70, v71
	;; [unrolled: 1-line block ×3, first 2 shown]
	v_mul_f32_e32 v97, v96, v71
	v_mul_f32_e32 v80, v87, v97
	v_fma_f32 v82, v97, v87, -v80
	v_fmac_f32_e32 v82, v97, v69
	v_sub_f32_e32 v69, v81, v71
	v_add_f32_e32 v69, v70, v69
	v_add_f32_e32 v70, v80, v82
	v_sub_f32_e32 v81, v71, v70
	v_pk_add_f32 v[84:85], v[70:71], v[80:81] neg_lo:[0,1] neg_hi:[0,1]
	v_mov_b32_e32 v83, v70
	v_pk_add_f32 v[70:71], v[84:85], v[82:83] neg_lo:[0,1] neg_hi:[0,1]
	v_add_f32_e32 v69, v69, v71
	v_add_f32_e32 v69, v70, v69
	v_add_f32_e32 v70, v98, v97
	v_add_f32_e32 v69, v81, v69
	v_sub_f32_e32 v71, v70, v98
	v_mul_f32_e32 v69, v96, v69
	v_sub_f32_e32 v71, v97, v71
	v_add_f32_e32 v69, v71, v69
	v_add_f32_e32 v81, v70, v69
	v_mul_f32_e32 v82, v81, v81
	v_mov_b32_e32 v80, 0x3ecc95a3
	v_fmac_f32_e32 v80, 0x3e9b6dac, v82
	v_mov_b32_e32 v71, 0x3f2aaada
	v_fmac_f32_e32 v71, v82, v80
	v_cvt_f32_i32_e32 v80, v86
	v_sub_f32_e32 v70, v81, v70
	v_sub_f32_e32 v69, v69, v70
	v_ldexp_f32 v83, v81, 1
	v_mul_f32_e32 v81, v81, v82
	v_mov_b32_e32 v70, 0x3f317218
	s_mov_b32 s13, 0x3f317218
	v_pk_mul_f32 v[70:71], v[80:81], v[70:71]
	v_fma_f32 v82, v80, s13, -v70
	v_fmac_f32_e32 v82, 0xb102e308, v80
	v_pk_add_f32 v[80:81], v[70:71], v[82:83]
	v_sub_f32_e32 v83, v81, v83
	v_ldexp_f32 v69, v69, 1
	v_sub_f32_e32 v83, v71, v83
	v_add_f32_e32 v85, v69, v83
	v_mov_b32_e32 v84, v70
	v_pk_add_f32 v[70:71], v[80:81], v[70:71] neg_lo:[0,1] neg_hi:[0,1]
	v_pk_add_f32 v[86:87], v[80:81], v[84:85]
	v_mov_b32_e32 v71, v87
	v_mov_b32_e32 v83, v80
	v_pk_add_f32 v[96:97], v[82:83], v[70:71] neg_lo:[0,1] neg_hi:[0,1]
	v_pk_add_f32 v[70:71], v[82:83], v[70:71]
	v_mov_b32_e32 v82, v71
	v_pk_add_f32 v[98:99], v[82:83], v[80:81] neg_lo:[0,1] neg_hi:[0,1]
	v_mov_b32_e32 v69, v98
	v_pk_add_f32 v[100:101], v[86:87], v[68:69] neg_lo:[0,1] neg_hi:[0,1]
	v_mov_b32_e32 v70, v87
	v_mov_b32_e32 v86, v81
	;; [unrolled: 1-line block ×4, first 2 shown]
	v_pk_add_f32 v[70:71], v[70:71], v[86:87] neg_lo:[0,1] neg_hi:[0,1]
	v_mov_b32_e32 v84, v85
	v_mov_b32_e32 v85, v80
	v_pk_add_f32 v[70:71], v[84:85], v[70:71] neg_lo:[0,1] neg_hi:[0,1]
	v_mov_b32_e32 v100, v96
	v_pk_add_f32 v[80:81], v[100:101], v[70:71]
	v_mov_b32_e32 v84, v81
	v_pk_add_f32 v[84:85], v[80:81], v[84:85]
	v_pk_add_f32 v[82:83], v[82:83], v[84:85]
	v_mov_b32_e32 v81, v82
	v_pk_add_f32 v[86:87], v[80:81], v[96:97] neg_lo:[0,1] neg_hi:[0,1]
	v_mov_b32_e32 v71, v84
	v_sub_f32_e32 v69, v80, v86
	v_pk_add_f32 v[70:71], v[70:71], v[86:87] neg_lo:[0,1] neg_hi:[0,1]
	v_sub_f32_e32 v69, v96, v69
	s_mov_b32 s14, 0x7f800000
	v_add_f32_e32 v69, v70, v69
	s_mov_b32 s13, 0x33800000
	v_add_f32_e32 v69, v69, v71
	v_cmp_eq_f32_e32 vcc, s14, v102
	v_cmp_lt_f32_e64 s[14:15], |v102|, s13
	v_add_f32_e32 v69, v82, v69
	s_or_b64 vcc, vcc, s[14:15]
	v_cndmask_b32_e32 v69, v69, v102, vcc
	v_add_f32_e32 v70, v68, v69
.LBB512_240:
	s_or_b64 exec, exec, s[10:11]
	v_bfe_u32 v68, v70, 16, 1
	s_movk_i32 s13, 0x7fff
	v_add3_u32 v68, v70, v68, s13
	v_lshrrev_b32_e32 v68, 16, v68
	v_mov_b32_e32 v69, 0x7fc0
	v_cmp_o_f32_e32 vcc, v70, v70
	v_cndmask_b32_e32 v68, v69, v68, vcc
	v_lshlrev_b32_e32 v71, 16, v68
	v_max_f32_e32 v70, v71, v71
	v_min_f32_e32 v80, v70, v129
	v_cmp_u_f32_e32 vcc, v71, v71
	v_max_f32_e32 v70, v70, v129
	v_cndmask_b32_e32 v80, v80, v71, vcc
	v_cndmask_b32_e32 v70, v70, v71, vcc
	v_cndmask_b32_e64 v80, v80, v115, s[48:49]
	v_cndmask_b32_e64 v70, v70, v115, s[48:49]
	v_cmp_neq_f32_e32 vcc, v80, v70
	v_cmp_class_f32_e64 s[10:11], v80, s12
	s_or_b64 s[14:15], vcc, s[10:11]
	s_and_saveexec_b64 s[10:11], s[14:15]
	s_cbranch_execz .LBB512_242
; %bb.241:
	v_sub_f32_e32 v71, v80, v70
	s_mov_b32 s12, 0x3fb8aa3b
	v_mul_f32_e32 v80, 0x3fb8aa3b, v71
	v_fma_f32 v81, v71, s12, -v80
	v_rndne_f32_e32 v82, v80
	v_fmac_f32_e32 v81, 0x32a5705f, v71
	v_sub_f32_e32 v80, v80, v82
	v_add_f32_e32 v80, v80, v81
	v_exp_f32_e32 v80, v80
	v_cvt_i32_f32_e32 v81, v82
	s_mov_b32 s12, 0xc2ce8ed0
	v_cmp_ngt_f32_e32 vcc, s12, v71
	s_mov_b32 s12, 0x42b17218
	v_ldexp_f32 v80, v80, v81
	v_cndmask_b32_e32 v80, 0, v80, vcc
	v_mov_b32_e32 v81, 0x7f800000
	v_cmp_nlt_f32_e32 vcc, s12, v71
	v_cndmask_b32_e32 v112, v81, v80, vcc
	v_add_f32_e32 v71, 1.0, v112
	v_add_f32_e32 v80, -1.0, v71
	v_sub_f32_e32 v81, v80, v71
	v_add_f32_e32 v81, 1.0, v81
	v_sub_f32_e32 v80, v112, v80
	v_add_f32_e32 v82, v80, v81
	v_frexp_mant_f32_e32 v83, v71
	s_mov_b32 s12, 0x3f2aaaab
	v_cvt_f64_f32_e32 v[80:81], v71
	v_frexp_exp_i32_f64_e32 v80, v[80:81]
	v_cmp_gt_f32_e32 vcc, s12, v83
	v_subbrev_co_u32_e32 v96, vcc, 0, v80, vcc
	v_sub_u32_e32 v80, 0, v96
	v_ldexp_f32 v71, v71, v80
	v_ldexp_f32 v80, v82, v80
	v_add_f32_e32 v82, -1.0, v71
	v_add_f32_e32 v81, 1.0, v82
	v_sub_f32_e32 v81, v71, v81
	v_add_f32_e32 v83, v80, v81
	v_add_f32_e32 v81, 1.0, v71
	v_add_f32_e32 v84, -1.0, v81
	v_sub_f32_e32 v71, v71, v84
	v_add_f32_e32 v71, v80, v71
	v_add_f32_e32 v97, v81, v71
	v_rcp_f32_e32 v98, v97
	v_sub_f32_e32 v80, v81, v97
	v_add_f32_e32 v81, v82, v83
	v_add_f32_e32 v71, v71, v80
	v_mul_f32_e32 v100, v81, v98
	v_sub_f32_e32 v80, v82, v81
	v_mul_f32_e32 v82, v97, v100
	v_fma_f32 v84, v100, v97, -v82
	v_fmac_f32_e32 v84, v100, v71
	v_add_f32_e32 v99, v83, v80
	v_add_f32_e32 v80, v82, v84
	v_sub_f32_e32 v83, v81, v80
	v_pk_add_f32 v[86:87], v[80:81], v[82:83] neg_lo:[0,1] neg_hi:[0,1]
	v_mov_b32_e32 v85, v80
	v_pk_add_f32 v[80:81], v[86:87], v[84:85] neg_lo:[0,1] neg_hi:[0,1]
	v_add_f32_e32 v81, v99, v81
	v_add_f32_e32 v80, v80, v81
	;; [unrolled: 1-line block ×3, first 2 shown]
	v_mul_f32_e32 v99, v98, v81
	v_mul_f32_e32 v82, v97, v99
	v_fma_f32 v84, v99, v97, -v82
	v_fmac_f32_e32 v84, v99, v71
	v_sub_f32_e32 v71, v83, v81
	v_add_f32_e32 v71, v80, v71
	v_add_f32_e32 v80, v82, v84
	v_sub_f32_e32 v83, v81, v80
	v_pk_add_f32 v[86:87], v[80:81], v[82:83] neg_lo:[0,1] neg_hi:[0,1]
	v_mov_b32_e32 v85, v80
	v_pk_add_f32 v[80:81], v[86:87], v[84:85] neg_lo:[0,1] neg_hi:[0,1]
	v_add_f32_e32 v71, v71, v81
	v_add_f32_e32 v71, v80, v71
	;; [unrolled: 1-line block ×4, first 2 shown]
	v_sub_f32_e32 v81, v80, v100
	v_mul_f32_e32 v71, v98, v71
	v_sub_f32_e32 v81, v99, v81
	v_add_f32_e32 v71, v81, v71
	v_add_f32_e32 v83, v80, v71
	v_mul_f32_e32 v84, v83, v83
	v_mov_b32_e32 v82, 0x3ecc95a3
	v_fmac_f32_e32 v82, 0x3e9b6dac, v84
	v_mov_b32_e32 v81, 0x3f2aaada
	v_fmac_f32_e32 v81, v84, v82
	v_cvt_f32_i32_e32 v82, v96
	v_sub_f32_e32 v80, v83, v80
	v_sub_f32_e32 v71, v71, v80
	v_ldexp_f32 v85, v83, 1
	v_mul_f32_e32 v83, v83, v84
	v_mov_b32_e32 v80, 0x3f317218
	s_mov_b32 s12, 0x3f317218
	v_pk_mul_f32 v[80:81], v[82:83], v[80:81]
	v_fma_f32 v84, v82, s12, -v80
	v_fmac_f32_e32 v84, 0xb102e308, v82
	v_pk_add_f32 v[82:83], v[80:81], v[84:85]
	v_sub_f32_e32 v85, v83, v85
	v_ldexp_f32 v71, v71, 1
	v_sub_f32_e32 v85, v81, v85
	v_add_f32_e32 v87, v71, v85
	v_mov_b32_e32 v86, v80
	v_pk_add_f32 v[80:81], v[82:83], v[80:81] neg_lo:[0,1] neg_hi:[0,1]
	v_pk_add_f32 v[96:97], v[82:83], v[86:87]
	v_mov_b32_e32 v81, v97
	v_mov_b32_e32 v85, v82
	v_pk_add_f32 v[98:99], v[84:85], v[80:81] neg_lo:[0,1] neg_hi:[0,1]
	v_pk_add_f32 v[80:81], v[84:85], v[80:81]
	v_mov_b32_e32 v84, v81
	v_pk_add_f32 v[100:101], v[84:85], v[82:83] neg_lo:[0,1] neg_hi:[0,1]
	v_mov_b32_e32 v71, v100
	v_pk_add_f32 v[102:103], v[96:97], v[70:71] neg_lo:[0,1] neg_hi:[0,1]
	v_mov_b32_e32 v80, v97
	v_mov_b32_e32 v96, v83
	;; [unrolled: 1-line block ×4, first 2 shown]
	v_pk_add_f32 v[80:81], v[80:81], v[96:97] neg_lo:[0,1] neg_hi:[0,1]
	v_mov_b32_e32 v86, v87
	v_mov_b32_e32 v87, v82
	v_pk_add_f32 v[80:81], v[86:87], v[80:81] neg_lo:[0,1] neg_hi:[0,1]
	v_mov_b32_e32 v102, v98
	v_pk_add_f32 v[82:83], v[102:103], v[80:81]
	v_mov_b32_e32 v86, v83
	v_pk_add_f32 v[86:87], v[82:83], v[86:87]
	v_pk_add_f32 v[84:85], v[84:85], v[86:87]
	v_mov_b32_e32 v83, v84
	v_pk_add_f32 v[96:97], v[82:83], v[98:99] neg_lo:[0,1] neg_hi:[0,1]
	v_mov_b32_e32 v81, v86
	v_sub_f32_e32 v71, v82, v96
	v_pk_add_f32 v[80:81], v[80:81], v[96:97] neg_lo:[0,1] neg_hi:[0,1]
	v_sub_f32_e32 v71, v98, v71
	s_mov_b32 s14, 0x7f800000
	v_add_f32_e32 v71, v80, v71
	s_mov_b32 s12, 0x33800000
	v_add_f32_e32 v71, v71, v81
	v_cmp_eq_f32_e32 vcc, s14, v112
	v_cmp_lt_f32_e64 s[14:15], |v112|, s12
	v_add_f32_e32 v71, v84, v71
	s_or_b64 vcc, vcc, s[14:15]
	v_cndmask_b32_e32 v71, v71, v112, vcc
	v_add_f32_e32 v71, v70, v71
.LBB512_242:
	s_or_b64 exec, exec, s[10:11]
	v_bfe_u32 v70, v71, 16, 1
	v_add3_u32 v70, v71, v70, s13
	v_lshrrev_b32_e32 v70, 16, v70
	v_cmp_o_f32_e32 vcc, v71, v71
	v_cndmask_b32_e32 v69, v69, v70, vcc
	v_lshlrev_b32_e32 v80, 16, v69
	v_max_f32_e32 v70, v80, v80
	v_min_f32_e32 v71, v70, v132
	v_cmp_u_f32_e32 vcc, v80, v80
	v_max_f32_e32 v70, v70, v132
	v_cndmask_b32_e32 v71, v71, v80, vcc
	v_cndmask_b32_e32 v70, v70, v80, vcc
	v_cndmask_b32_e64 v71, v71, v118, s[50:51]
	v_cndmask_b32_e64 v70, v70, v118, s[50:51]
	s_movk_i32 s12, 0x1f8
	v_cmp_neq_f32_e32 vcc, v71, v70
	v_cmp_class_f32_e64 s[10:11], v71, s12
	s_or_b64 s[14:15], vcc, s[10:11]
	s_and_saveexec_b64 s[10:11], s[14:15]
	s_cbranch_execz .LBB512_244
; %bb.243:
	v_sub_f32_e32 v71, v71, v70
	s_mov_b32 s13, 0x3fb8aa3b
	v_mul_f32_e32 v80, 0x3fb8aa3b, v71
	v_fma_f32 v81, v71, s13, -v80
	v_rndne_f32_e32 v82, v80
	v_fmac_f32_e32 v81, 0x32a5705f, v71
	v_sub_f32_e32 v80, v80, v82
	v_add_f32_e32 v80, v80, v81
	v_exp_f32_e32 v80, v80
	v_cvt_i32_f32_e32 v81, v82
	s_mov_b32 s13, 0xc2ce8ed0
	v_cmp_ngt_f32_e32 vcc, s13, v71
	s_mov_b32 s13, 0x42b17218
	v_ldexp_f32 v80, v80, v81
	v_cndmask_b32_e32 v80, 0, v80, vcc
	v_mov_b32_e32 v81, 0x7f800000
	v_cmp_nlt_f32_e32 vcc, s13, v71
	v_cndmask_b32_e32 v112, v81, v80, vcc
	v_add_f32_e32 v71, 1.0, v112
	v_add_f32_e32 v80, -1.0, v71
	v_sub_f32_e32 v81, v80, v71
	v_add_f32_e32 v81, 1.0, v81
	v_sub_f32_e32 v80, v112, v80
	v_add_f32_e32 v82, v80, v81
	v_frexp_mant_f32_e32 v83, v71
	s_mov_b32 s13, 0x3f2aaaab
	v_cvt_f64_f32_e32 v[80:81], v71
	v_frexp_exp_i32_f64_e32 v80, v[80:81]
	v_cmp_gt_f32_e32 vcc, s13, v83
	v_subbrev_co_u32_e32 v96, vcc, 0, v80, vcc
	v_sub_u32_e32 v80, 0, v96
	v_ldexp_f32 v71, v71, v80
	v_ldexp_f32 v80, v82, v80
	v_add_f32_e32 v82, -1.0, v71
	v_add_f32_e32 v81, 1.0, v82
	v_sub_f32_e32 v81, v71, v81
	v_add_f32_e32 v83, v80, v81
	v_add_f32_e32 v81, 1.0, v71
	v_add_f32_e32 v84, -1.0, v81
	v_sub_f32_e32 v71, v71, v84
	v_add_f32_e32 v71, v80, v71
	v_add_f32_e32 v97, v81, v71
	v_rcp_f32_e32 v98, v97
	v_sub_f32_e32 v80, v81, v97
	v_add_f32_e32 v81, v82, v83
	v_add_f32_e32 v71, v71, v80
	v_mul_f32_e32 v100, v81, v98
	v_sub_f32_e32 v80, v82, v81
	v_mul_f32_e32 v82, v97, v100
	v_fma_f32 v84, v100, v97, -v82
	v_fmac_f32_e32 v84, v100, v71
	v_add_f32_e32 v99, v83, v80
	v_add_f32_e32 v80, v82, v84
	v_sub_f32_e32 v83, v81, v80
	v_pk_add_f32 v[86:87], v[80:81], v[82:83] neg_lo:[0,1] neg_hi:[0,1]
	v_mov_b32_e32 v85, v80
	v_pk_add_f32 v[80:81], v[86:87], v[84:85] neg_lo:[0,1] neg_hi:[0,1]
	v_add_f32_e32 v81, v99, v81
	v_add_f32_e32 v80, v80, v81
	;; [unrolled: 1-line block ×3, first 2 shown]
	v_mul_f32_e32 v99, v98, v81
	v_mul_f32_e32 v82, v97, v99
	v_fma_f32 v84, v99, v97, -v82
	v_fmac_f32_e32 v84, v99, v71
	v_sub_f32_e32 v71, v83, v81
	v_add_f32_e32 v71, v80, v71
	v_add_f32_e32 v80, v82, v84
	v_sub_f32_e32 v83, v81, v80
	v_pk_add_f32 v[86:87], v[80:81], v[82:83] neg_lo:[0,1] neg_hi:[0,1]
	v_mov_b32_e32 v85, v80
	v_pk_add_f32 v[80:81], v[86:87], v[84:85] neg_lo:[0,1] neg_hi:[0,1]
	v_add_f32_e32 v71, v71, v81
	v_add_f32_e32 v71, v80, v71
	;; [unrolled: 1-line block ×4, first 2 shown]
	v_sub_f32_e32 v81, v80, v100
	v_mul_f32_e32 v71, v98, v71
	v_sub_f32_e32 v81, v99, v81
	v_add_f32_e32 v71, v81, v71
	v_add_f32_e32 v83, v80, v71
	v_mul_f32_e32 v84, v83, v83
	v_mov_b32_e32 v82, 0x3ecc95a3
	v_fmac_f32_e32 v82, 0x3e9b6dac, v84
	v_mov_b32_e32 v81, 0x3f2aaada
	v_fmac_f32_e32 v81, v84, v82
	v_cvt_f32_i32_e32 v82, v96
	v_sub_f32_e32 v80, v83, v80
	v_sub_f32_e32 v71, v71, v80
	v_ldexp_f32 v85, v83, 1
	v_mul_f32_e32 v83, v83, v84
	v_mov_b32_e32 v80, 0x3f317218
	s_mov_b32 s13, 0x3f317218
	v_pk_mul_f32 v[80:81], v[82:83], v[80:81]
	v_fma_f32 v84, v82, s13, -v80
	v_fmac_f32_e32 v84, 0xb102e308, v82
	v_pk_add_f32 v[82:83], v[80:81], v[84:85]
	v_sub_f32_e32 v85, v83, v85
	v_ldexp_f32 v71, v71, 1
	v_sub_f32_e32 v85, v81, v85
	v_add_f32_e32 v87, v71, v85
	v_mov_b32_e32 v86, v80
	v_pk_add_f32 v[80:81], v[82:83], v[80:81] neg_lo:[0,1] neg_hi:[0,1]
	v_pk_add_f32 v[96:97], v[82:83], v[86:87]
	v_mov_b32_e32 v81, v97
	v_mov_b32_e32 v85, v82
	v_pk_add_f32 v[98:99], v[84:85], v[80:81] neg_lo:[0,1] neg_hi:[0,1]
	v_pk_add_f32 v[80:81], v[84:85], v[80:81]
	v_mov_b32_e32 v84, v81
	v_pk_add_f32 v[100:101], v[84:85], v[82:83] neg_lo:[0,1] neg_hi:[0,1]
	v_mov_b32_e32 v71, v100
	v_pk_add_f32 v[102:103], v[96:97], v[70:71] neg_lo:[0,1] neg_hi:[0,1]
	v_mov_b32_e32 v80, v97
	v_mov_b32_e32 v96, v83
	;; [unrolled: 1-line block ×4, first 2 shown]
	v_pk_add_f32 v[80:81], v[80:81], v[96:97] neg_lo:[0,1] neg_hi:[0,1]
	v_mov_b32_e32 v86, v87
	v_mov_b32_e32 v87, v82
	v_pk_add_f32 v[80:81], v[86:87], v[80:81] neg_lo:[0,1] neg_hi:[0,1]
	v_mov_b32_e32 v102, v98
	v_pk_add_f32 v[82:83], v[102:103], v[80:81]
	v_mov_b32_e32 v86, v83
	v_pk_add_f32 v[86:87], v[82:83], v[86:87]
	v_pk_add_f32 v[84:85], v[84:85], v[86:87]
	v_mov_b32_e32 v83, v84
	v_pk_add_f32 v[96:97], v[82:83], v[98:99] neg_lo:[0,1] neg_hi:[0,1]
	v_mov_b32_e32 v81, v86
	v_sub_f32_e32 v71, v82, v96
	v_pk_add_f32 v[80:81], v[80:81], v[96:97] neg_lo:[0,1] neg_hi:[0,1]
	v_sub_f32_e32 v71, v98, v71
	s_mov_b32 s14, 0x7f800000
	v_add_f32_e32 v71, v80, v71
	s_mov_b32 s13, 0x33800000
	v_add_f32_e32 v71, v71, v81
	v_cmp_eq_f32_e32 vcc, s14, v112
	v_cmp_lt_f32_e64 s[14:15], |v112|, s13
	v_add_f32_e32 v71, v84, v71
	s_or_b64 vcc, vcc, s[14:15]
	v_cndmask_b32_e32 v71, v71, v112, vcc
	v_add_f32_e32 v80, v70, v71
.LBB512_244:
	s_or_b64 exec, exec, s[10:11]
	v_bfe_u32 v70, v80, 16, 1
	s_movk_i32 s13, 0x7fff
	v_add3_u32 v70, v80, v70, s13
	v_lshrrev_b32_e32 v70, 16, v70
	v_mov_b32_e32 v71, 0x7fc0
	v_cmp_o_f32_e32 vcc, v80, v80
	v_cndmask_b32_e32 v70, v71, v70, vcc
	v_lshlrev_b32_e32 v81, 16, v70
	v_max_f32_e32 v80, v81, v81
	v_min_f32_e32 v82, v80, v133
	v_cmp_u_f32_e32 vcc, v81, v81
	v_max_f32_e32 v80, v80, v133
	v_cndmask_b32_e32 v82, v82, v81, vcc
	v_cndmask_b32_e32 v80, v80, v81, vcc
	v_cndmask_b32_e64 v82, v82, v119, s[52:53]
	v_cndmask_b32_e64 v80, v80, v119, s[52:53]
	v_cmp_neq_f32_e32 vcc, v82, v80
	v_cmp_class_f32_e64 s[10:11], v82, s12
	s_or_b64 s[14:15], vcc, s[10:11]
	s_and_saveexec_b64 s[10:11], s[14:15]
	s_cbranch_execz .LBB512_246
; %bb.245:
	v_sub_f32_e32 v81, v82, v80
	s_mov_b32 s12, 0x3fb8aa3b
	v_mul_f32_e32 v82, 0x3fb8aa3b, v81
	v_fma_f32 v83, v81, s12, -v82
	v_rndne_f32_e32 v84, v82
	v_fmac_f32_e32 v83, 0x32a5705f, v81
	v_sub_f32_e32 v82, v82, v84
	v_add_f32_e32 v82, v82, v83
	v_exp_f32_e32 v82, v82
	v_cvt_i32_f32_e32 v83, v84
	s_mov_b32 s12, 0xc2ce8ed0
	v_cmp_ngt_f32_e32 vcc, s12, v81
	s_mov_b32 s12, 0x42b17218
	v_ldexp_f32 v82, v82, v83
	v_cndmask_b32_e32 v82, 0, v82, vcc
	v_mov_b32_e32 v83, 0x7f800000
	v_cmp_nlt_f32_e32 vcc, s12, v81
	v_cndmask_b32_e32 v114, v83, v82, vcc
	v_add_f32_e32 v81, 1.0, v114
	v_add_f32_e32 v82, -1.0, v81
	v_sub_f32_e32 v83, v82, v81
	v_add_f32_e32 v83, 1.0, v83
	v_sub_f32_e32 v82, v114, v82
	v_add_f32_e32 v84, v82, v83
	v_frexp_mant_f32_e32 v85, v81
	s_mov_b32 s12, 0x3f2aaaab
	v_cvt_f64_f32_e32 v[82:83], v81
	v_frexp_exp_i32_f64_e32 v82, v[82:83]
	v_cmp_gt_f32_e32 vcc, s12, v85
	v_subbrev_co_u32_e32 v98, vcc, 0, v82, vcc
	v_sub_u32_e32 v82, 0, v98
	v_ldexp_f32 v81, v81, v82
	v_ldexp_f32 v82, v84, v82
	v_add_f32_e32 v84, -1.0, v81
	v_add_f32_e32 v83, 1.0, v84
	v_sub_f32_e32 v83, v81, v83
	v_add_f32_e32 v85, v82, v83
	v_add_f32_e32 v83, 1.0, v81
	v_add_f32_e32 v86, -1.0, v83
	v_sub_f32_e32 v81, v81, v86
	v_add_f32_e32 v81, v82, v81
	v_add_f32_e32 v99, v83, v81
	v_rcp_f32_e32 v100, v99
	v_sub_f32_e32 v82, v83, v99
	v_add_f32_e32 v83, v84, v85
	v_add_f32_e32 v81, v81, v82
	v_mul_f32_e32 v102, v83, v100
	v_sub_f32_e32 v82, v84, v83
	v_mul_f32_e32 v84, v99, v102
	v_fma_f32 v86, v102, v99, -v84
	v_fmac_f32_e32 v86, v102, v81
	v_add_f32_e32 v101, v85, v82
	v_add_f32_e32 v82, v84, v86
	v_sub_f32_e32 v85, v83, v82
	v_pk_add_f32 v[96:97], v[82:83], v[84:85] neg_lo:[0,1] neg_hi:[0,1]
	v_mov_b32_e32 v87, v82
	v_pk_add_f32 v[82:83], v[96:97], v[86:87] neg_lo:[0,1] neg_hi:[0,1]
	v_add_f32_e32 v83, v101, v83
	v_add_f32_e32 v82, v82, v83
	;; [unrolled: 1-line block ×3, first 2 shown]
	v_mul_f32_e32 v101, v100, v83
	v_mul_f32_e32 v84, v99, v101
	v_fma_f32 v86, v101, v99, -v84
	v_fmac_f32_e32 v86, v101, v81
	v_sub_f32_e32 v81, v85, v83
	v_add_f32_e32 v81, v82, v81
	v_add_f32_e32 v82, v84, v86
	v_sub_f32_e32 v85, v83, v82
	v_pk_add_f32 v[96:97], v[82:83], v[84:85] neg_lo:[0,1] neg_hi:[0,1]
	v_mov_b32_e32 v87, v82
	v_pk_add_f32 v[82:83], v[96:97], v[86:87] neg_lo:[0,1] neg_hi:[0,1]
	v_add_f32_e32 v81, v81, v83
	v_add_f32_e32 v81, v82, v81
	;; [unrolled: 1-line block ×4, first 2 shown]
	v_sub_f32_e32 v83, v82, v102
	v_mul_f32_e32 v81, v100, v81
	v_sub_f32_e32 v83, v101, v83
	v_add_f32_e32 v81, v83, v81
	v_add_f32_e32 v85, v82, v81
	v_mul_f32_e32 v86, v85, v85
	v_mov_b32_e32 v84, 0x3ecc95a3
	v_fmac_f32_e32 v84, 0x3e9b6dac, v86
	v_mov_b32_e32 v83, 0x3f2aaada
	v_fmac_f32_e32 v83, v86, v84
	v_cvt_f32_i32_e32 v84, v98
	v_sub_f32_e32 v82, v85, v82
	v_sub_f32_e32 v81, v81, v82
	v_ldexp_f32 v87, v85, 1
	v_mul_f32_e32 v85, v85, v86
	v_mov_b32_e32 v82, 0x3f317218
	s_mov_b32 s12, 0x3f317218
	v_pk_mul_f32 v[82:83], v[84:85], v[82:83]
	v_fma_f32 v86, v84, s12, -v82
	v_fmac_f32_e32 v86, 0xb102e308, v84
	v_pk_add_f32 v[84:85], v[82:83], v[86:87]
	v_sub_f32_e32 v87, v85, v87
	v_ldexp_f32 v81, v81, 1
	v_sub_f32_e32 v87, v83, v87
	v_add_f32_e32 v97, v81, v87
	v_mov_b32_e32 v96, v82
	v_pk_add_f32 v[82:83], v[84:85], v[82:83] neg_lo:[0,1] neg_hi:[0,1]
	v_pk_add_f32 v[98:99], v[84:85], v[96:97]
	v_mov_b32_e32 v83, v99
	v_mov_b32_e32 v87, v84
	v_pk_add_f32 v[100:101], v[86:87], v[82:83] neg_lo:[0,1] neg_hi:[0,1]
	v_pk_add_f32 v[82:83], v[86:87], v[82:83]
	v_mov_b32_e32 v86, v83
	v_pk_add_f32 v[102:103], v[86:87], v[84:85] neg_lo:[0,1] neg_hi:[0,1]
	v_mov_b32_e32 v81, v102
	v_pk_add_f32 v[112:113], v[98:99], v[80:81] neg_lo:[0,1] neg_hi:[0,1]
	v_mov_b32_e32 v82, v99
	v_mov_b32_e32 v98, v85
	;; [unrolled: 1-line block ×4, first 2 shown]
	v_pk_add_f32 v[82:83], v[82:83], v[98:99] neg_lo:[0,1] neg_hi:[0,1]
	v_mov_b32_e32 v96, v97
	v_mov_b32_e32 v97, v84
	v_pk_add_f32 v[82:83], v[96:97], v[82:83] neg_lo:[0,1] neg_hi:[0,1]
	v_mov_b32_e32 v112, v100
	v_pk_add_f32 v[84:85], v[112:113], v[82:83]
	v_mov_b32_e32 v96, v85
	v_pk_add_f32 v[96:97], v[84:85], v[96:97]
	v_pk_add_f32 v[86:87], v[86:87], v[96:97]
	v_mov_b32_e32 v85, v86
	v_pk_add_f32 v[98:99], v[84:85], v[100:101] neg_lo:[0,1] neg_hi:[0,1]
	v_mov_b32_e32 v83, v96
	v_sub_f32_e32 v81, v84, v98
	v_pk_add_f32 v[82:83], v[82:83], v[98:99] neg_lo:[0,1] neg_hi:[0,1]
	v_sub_f32_e32 v81, v100, v81
	s_mov_b32 s14, 0x7f800000
	v_add_f32_e32 v81, v82, v81
	s_mov_b32 s12, 0x33800000
	v_add_f32_e32 v81, v81, v83
	v_cmp_eq_f32_e32 vcc, s14, v114
	v_cmp_lt_f32_e64 s[14:15], |v114|, s12
	v_add_f32_e32 v81, v86, v81
	s_or_b64 vcc, vcc, s[14:15]
	v_cndmask_b32_e32 v81, v81, v114, vcc
	v_add_f32_e32 v81, v80, v81
.LBB512_246:
	s_or_b64 exec, exec, s[10:11]
	v_bfe_u32 v80, v81, 16, 1
	v_add3_u32 v80, v81, v80, s13
	v_lshrrev_b32_e32 v80, 16, v80
	v_cmp_o_f32_e32 vcc, v81, v81
	v_cndmask_b32_e32 v71, v71, v80, vcc
	v_lshlrev_b32_e32 v82, 16, v71
	v_max_f32_e32 v80, v82, v82
	v_min_f32_e32 v81, v80, v134
	v_cmp_u_f32_e32 vcc, v82, v82
	v_max_f32_e32 v80, v80, v134
	v_cndmask_b32_e32 v81, v81, v82, vcc
	v_cndmask_b32_e32 v80, v80, v82, vcc
	v_cndmask_b32_e64 v81, v81, v130, s[54:55]
	v_cndmask_b32_e64 v80, v80, v130, s[54:55]
	s_movk_i32 s12, 0x1f8
	v_cmp_neq_f32_e32 vcc, v81, v80
	v_cmp_class_f32_e64 s[10:11], v81, s12
	s_or_b64 s[14:15], vcc, s[10:11]
	s_and_saveexec_b64 s[10:11], s[14:15]
	s_cbranch_execz .LBB512_248
; %bb.247:
	v_sub_f32_e32 v81, v81, v80
	s_mov_b32 s13, 0x3fb8aa3b
	v_mul_f32_e32 v82, 0x3fb8aa3b, v81
	v_fma_f32 v83, v81, s13, -v82
	v_rndne_f32_e32 v84, v82
	v_fmac_f32_e32 v83, 0x32a5705f, v81
	v_sub_f32_e32 v82, v82, v84
	v_add_f32_e32 v82, v82, v83
	v_exp_f32_e32 v82, v82
	v_cvt_i32_f32_e32 v83, v84
	s_mov_b32 s13, 0xc2ce8ed0
	v_cmp_ngt_f32_e32 vcc, s13, v81
	s_mov_b32 s13, 0x42b17218
	v_ldexp_f32 v82, v82, v83
	v_cndmask_b32_e32 v82, 0, v82, vcc
	v_mov_b32_e32 v83, 0x7f800000
	v_cmp_nlt_f32_e32 vcc, s13, v81
	v_cndmask_b32_e32 v114, v83, v82, vcc
	v_add_f32_e32 v81, 1.0, v114
	v_add_f32_e32 v82, -1.0, v81
	v_sub_f32_e32 v83, v82, v81
	v_add_f32_e32 v83, 1.0, v83
	v_sub_f32_e32 v82, v114, v82
	v_add_f32_e32 v84, v82, v83
	v_frexp_mant_f32_e32 v85, v81
	s_mov_b32 s13, 0x3f2aaaab
	v_cvt_f64_f32_e32 v[82:83], v81
	v_frexp_exp_i32_f64_e32 v82, v[82:83]
	v_cmp_gt_f32_e32 vcc, s13, v85
	v_subbrev_co_u32_e32 v98, vcc, 0, v82, vcc
	v_sub_u32_e32 v82, 0, v98
	v_ldexp_f32 v81, v81, v82
	v_ldexp_f32 v82, v84, v82
	v_add_f32_e32 v84, -1.0, v81
	v_add_f32_e32 v83, 1.0, v84
	v_sub_f32_e32 v83, v81, v83
	v_add_f32_e32 v85, v82, v83
	v_add_f32_e32 v83, 1.0, v81
	v_add_f32_e32 v86, -1.0, v83
	v_sub_f32_e32 v81, v81, v86
	v_add_f32_e32 v81, v82, v81
	v_add_f32_e32 v99, v83, v81
	v_rcp_f32_e32 v100, v99
	v_sub_f32_e32 v82, v83, v99
	v_add_f32_e32 v83, v84, v85
	v_add_f32_e32 v81, v81, v82
	v_mul_f32_e32 v102, v83, v100
	v_sub_f32_e32 v82, v84, v83
	v_mul_f32_e32 v84, v99, v102
	v_fma_f32 v86, v102, v99, -v84
	v_fmac_f32_e32 v86, v102, v81
	v_add_f32_e32 v101, v85, v82
	v_add_f32_e32 v82, v84, v86
	v_sub_f32_e32 v85, v83, v82
	v_pk_add_f32 v[96:97], v[82:83], v[84:85] neg_lo:[0,1] neg_hi:[0,1]
	v_mov_b32_e32 v87, v82
	v_pk_add_f32 v[82:83], v[96:97], v[86:87] neg_lo:[0,1] neg_hi:[0,1]
	v_add_f32_e32 v83, v101, v83
	v_add_f32_e32 v82, v82, v83
	;; [unrolled: 1-line block ×3, first 2 shown]
	v_mul_f32_e32 v101, v100, v83
	v_mul_f32_e32 v84, v99, v101
	v_fma_f32 v86, v101, v99, -v84
	v_fmac_f32_e32 v86, v101, v81
	v_sub_f32_e32 v81, v85, v83
	v_add_f32_e32 v81, v82, v81
	v_add_f32_e32 v82, v84, v86
	v_sub_f32_e32 v85, v83, v82
	v_pk_add_f32 v[96:97], v[82:83], v[84:85] neg_lo:[0,1] neg_hi:[0,1]
	v_mov_b32_e32 v87, v82
	v_pk_add_f32 v[82:83], v[96:97], v[86:87] neg_lo:[0,1] neg_hi:[0,1]
	v_add_f32_e32 v81, v81, v83
	v_add_f32_e32 v81, v82, v81
	;; [unrolled: 1-line block ×4, first 2 shown]
	v_sub_f32_e32 v83, v82, v102
	v_mul_f32_e32 v81, v100, v81
	v_sub_f32_e32 v83, v101, v83
	v_add_f32_e32 v81, v83, v81
	v_add_f32_e32 v85, v82, v81
	v_mul_f32_e32 v86, v85, v85
	v_mov_b32_e32 v84, 0x3ecc95a3
	v_fmac_f32_e32 v84, 0x3e9b6dac, v86
	v_mov_b32_e32 v83, 0x3f2aaada
	v_fmac_f32_e32 v83, v86, v84
	v_cvt_f32_i32_e32 v84, v98
	v_sub_f32_e32 v82, v85, v82
	v_sub_f32_e32 v81, v81, v82
	v_ldexp_f32 v87, v85, 1
	v_mul_f32_e32 v85, v85, v86
	v_mov_b32_e32 v82, 0x3f317218
	s_mov_b32 s13, 0x3f317218
	v_pk_mul_f32 v[82:83], v[84:85], v[82:83]
	v_fma_f32 v86, v84, s13, -v82
	v_fmac_f32_e32 v86, 0xb102e308, v84
	v_pk_add_f32 v[84:85], v[82:83], v[86:87]
	v_sub_f32_e32 v87, v85, v87
	v_ldexp_f32 v81, v81, 1
	v_sub_f32_e32 v87, v83, v87
	v_add_f32_e32 v97, v81, v87
	v_mov_b32_e32 v96, v82
	v_pk_add_f32 v[82:83], v[84:85], v[82:83] neg_lo:[0,1] neg_hi:[0,1]
	v_pk_add_f32 v[98:99], v[84:85], v[96:97]
	v_mov_b32_e32 v83, v99
	v_mov_b32_e32 v87, v84
	v_pk_add_f32 v[100:101], v[86:87], v[82:83] neg_lo:[0,1] neg_hi:[0,1]
	v_pk_add_f32 v[82:83], v[86:87], v[82:83]
	v_mov_b32_e32 v86, v83
	v_pk_add_f32 v[102:103], v[86:87], v[84:85] neg_lo:[0,1] neg_hi:[0,1]
	v_mov_b32_e32 v81, v102
	v_pk_add_f32 v[112:113], v[98:99], v[80:81] neg_lo:[0,1] neg_hi:[0,1]
	v_mov_b32_e32 v82, v99
	v_mov_b32_e32 v98, v85
	;; [unrolled: 1-line block ×4, first 2 shown]
	v_pk_add_f32 v[82:83], v[82:83], v[98:99] neg_lo:[0,1] neg_hi:[0,1]
	v_mov_b32_e32 v96, v97
	v_mov_b32_e32 v97, v84
	v_pk_add_f32 v[82:83], v[96:97], v[82:83] neg_lo:[0,1] neg_hi:[0,1]
	v_mov_b32_e32 v112, v100
	v_pk_add_f32 v[84:85], v[112:113], v[82:83]
	v_mov_b32_e32 v96, v85
	v_pk_add_f32 v[96:97], v[84:85], v[96:97]
	v_pk_add_f32 v[86:87], v[86:87], v[96:97]
	v_mov_b32_e32 v85, v86
	v_pk_add_f32 v[98:99], v[84:85], v[100:101] neg_lo:[0,1] neg_hi:[0,1]
	v_mov_b32_e32 v83, v96
	v_sub_f32_e32 v81, v84, v98
	v_pk_add_f32 v[82:83], v[82:83], v[98:99] neg_lo:[0,1] neg_hi:[0,1]
	v_sub_f32_e32 v81, v100, v81
	s_mov_b32 s14, 0x7f800000
	v_add_f32_e32 v81, v82, v81
	s_mov_b32 s13, 0x33800000
	v_add_f32_e32 v81, v81, v83
	v_cmp_eq_f32_e32 vcc, s14, v114
	v_cmp_lt_f32_e64 s[14:15], |v114|, s13
	v_add_f32_e32 v81, v86, v81
	s_or_b64 vcc, vcc, s[14:15]
	v_cndmask_b32_e32 v81, v81, v114, vcc
	v_add_f32_e32 v82, v80, v81
.LBB512_248:
	s_or_b64 exec, exec, s[10:11]
	v_bfe_u32 v80, v82, 16, 1
	s_movk_i32 s13, 0x7fff
	v_add3_u32 v80, v82, v80, s13
	v_lshrrev_b32_e32 v80, 16, v80
	v_mov_b32_e32 v81, 0x7fc0
	v_cmp_o_f32_e32 vcc, v82, v82
	v_cndmask_b32_e32 v80, v81, v80, vcc
	v_lshlrev_b32_e32 v83, 16, v80
	v_max_f32_e32 v82, v83, v83
	v_min_f32_e32 v84, v82, v135
	v_cmp_u_f32_e32 vcc, v83, v83
	v_max_f32_e32 v82, v82, v135
	v_cndmask_b32_e32 v84, v84, v83, vcc
	v_cndmask_b32_e32 v82, v82, v83, vcc
	v_cndmask_b32_e64 v84, v84, v131, s[56:57]
	v_cndmask_b32_e64 v82, v82, v131, s[56:57]
	v_cmp_neq_f32_e32 vcc, v84, v82
	v_cmp_class_f32_e64 s[10:11], v84, s12
	s_or_b64 s[14:15], vcc, s[10:11]
	s_and_saveexec_b64 s[10:11], s[14:15]
	s_cbranch_execz .LBB512_250
; %bb.249:
	v_sub_f32_e32 v83, v84, v82
	s_mov_b32 s12, 0x3fb8aa3b
	v_mul_f32_e32 v84, 0x3fb8aa3b, v83
	v_fma_f32 v85, v83, s12, -v84
	v_rndne_f32_e32 v86, v84
	v_fmac_f32_e32 v85, 0x32a5705f, v83
	v_sub_f32_e32 v84, v84, v86
	v_add_f32_e32 v84, v84, v85
	v_exp_f32_e32 v84, v84
	v_cvt_i32_f32_e32 v85, v86
	s_mov_b32 s12, 0xc2ce8ed0
	v_cmp_ngt_f32_e32 vcc, s12, v83
	s_mov_b32 s12, 0x42b17218
	v_ldexp_f32 v84, v84, v85
	v_cndmask_b32_e32 v84, 0, v84, vcc
	v_mov_b32_e32 v85, 0x7f800000
	v_cmp_nlt_f32_e32 vcc, s12, v83
	v_cndmask_b32_e32 v116, v85, v84, vcc
	v_add_f32_e32 v83, 1.0, v116
	v_add_f32_e32 v84, -1.0, v83
	v_sub_f32_e32 v85, v84, v83
	v_add_f32_e32 v85, 1.0, v85
	v_sub_f32_e32 v84, v116, v84
	v_add_f32_e32 v86, v84, v85
	v_frexp_mant_f32_e32 v87, v83
	s_mov_b32 s12, 0x3f2aaaab
	v_cvt_f64_f32_e32 v[84:85], v83
	v_frexp_exp_i32_f64_e32 v84, v[84:85]
	v_cmp_gt_f32_e32 vcc, s12, v87
	v_subbrev_co_u32_e32 v100, vcc, 0, v84, vcc
	v_sub_u32_e32 v84, 0, v100
	v_ldexp_f32 v83, v83, v84
	v_ldexp_f32 v84, v86, v84
	v_add_f32_e32 v86, -1.0, v83
	v_add_f32_e32 v85, 1.0, v86
	v_sub_f32_e32 v85, v83, v85
	v_add_f32_e32 v87, v84, v85
	v_add_f32_e32 v85, 1.0, v83
	v_add_f32_e32 v96, -1.0, v85
	v_sub_f32_e32 v83, v83, v96
	v_add_f32_e32 v83, v84, v83
	v_add_f32_e32 v101, v85, v83
	v_rcp_f32_e32 v102, v101
	v_sub_f32_e32 v84, v85, v101
	v_add_f32_e32 v85, v86, v87
	v_add_f32_e32 v83, v83, v84
	v_mul_f32_e32 v112, v85, v102
	v_sub_f32_e32 v84, v86, v85
	v_mul_f32_e32 v86, v101, v112
	v_fma_f32 v96, v112, v101, -v86
	v_fmac_f32_e32 v96, v112, v83
	v_add_f32_e32 v103, v87, v84
	v_add_f32_e32 v84, v86, v96
	v_sub_f32_e32 v87, v85, v84
	v_pk_add_f32 v[98:99], v[84:85], v[86:87] neg_lo:[0,1] neg_hi:[0,1]
	v_mov_b32_e32 v97, v84
	v_pk_add_f32 v[84:85], v[98:99], v[96:97] neg_lo:[0,1] neg_hi:[0,1]
	v_add_f32_e32 v85, v103, v85
	v_add_f32_e32 v84, v84, v85
	v_add_f32_e32 v85, v87, v84
	v_mul_f32_e32 v103, v102, v85
	v_mul_f32_e32 v86, v101, v103
	v_fma_f32 v96, v103, v101, -v86
	v_fmac_f32_e32 v96, v103, v83
	v_sub_f32_e32 v83, v87, v85
	v_add_f32_e32 v83, v84, v83
	v_add_f32_e32 v84, v86, v96
	v_sub_f32_e32 v87, v85, v84
	v_pk_add_f32 v[98:99], v[84:85], v[86:87] neg_lo:[0,1] neg_hi:[0,1]
	v_mov_b32_e32 v97, v84
	v_pk_add_f32 v[84:85], v[98:99], v[96:97] neg_lo:[0,1] neg_hi:[0,1]
	v_add_f32_e32 v83, v83, v85
	v_add_f32_e32 v83, v84, v83
	v_add_f32_e32 v84, v112, v103
	v_add_f32_e32 v83, v87, v83
	v_sub_f32_e32 v85, v84, v112
	v_mul_f32_e32 v83, v102, v83
	v_sub_f32_e32 v85, v103, v85
	v_add_f32_e32 v83, v85, v83
	v_add_f32_e32 v87, v84, v83
	v_mul_f32_e32 v96, v87, v87
	v_mov_b32_e32 v86, 0x3ecc95a3
	v_fmac_f32_e32 v86, 0x3e9b6dac, v96
	v_mov_b32_e32 v85, 0x3f2aaada
	v_fmac_f32_e32 v85, v96, v86
	v_cvt_f32_i32_e32 v86, v100
	v_sub_f32_e32 v84, v87, v84
	v_sub_f32_e32 v83, v83, v84
	v_ldexp_f32 v97, v87, 1
	v_mul_f32_e32 v87, v87, v96
	v_mov_b32_e32 v84, 0x3f317218
	s_mov_b32 s12, 0x3f317218
	v_pk_mul_f32 v[84:85], v[86:87], v[84:85]
	v_fma_f32 v96, v86, s12, -v84
	v_fmac_f32_e32 v96, 0xb102e308, v86
	v_pk_add_f32 v[86:87], v[84:85], v[96:97]
	v_sub_f32_e32 v97, v87, v97
	v_ldexp_f32 v83, v83, 1
	v_sub_f32_e32 v97, v85, v97
	v_add_f32_e32 v99, v83, v97
	v_mov_b32_e32 v98, v84
	v_pk_add_f32 v[84:85], v[86:87], v[84:85] neg_lo:[0,1] neg_hi:[0,1]
	v_pk_add_f32 v[100:101], v[86:87], v[98:99]
	v_mov_b32_e32 v85, v101
	v_mov_b32_e32 v97, v86
	v_pk_add_f32 v[102:103], v[96:97], v[84:85] neg_lo:[0,1] neg_hi:[0,1]
	v_pk_add_f32 v[84:85], v[96:97], v[84:85]
	v_mov_b32_e32 v96, v85
	v_pk_add_f32 v[112:113], v[96:97], v[86:87] neg_lo:[0,1] neg_hi:[0,1]
	v_mov_b32_e32 v83, v112
	v_pk_add_f32 v[114:115], v[100:101], v[82:83] neg_lo:[0,1] neg_hi:[0,1]
	v_mov_b32_e32 v84, v101
	v_mov_b32_e32 v100, v87
	;; [unrolled: 1-line block ×4, first 2 shown]
	v_pk_add_f32 v[84:85], v[84:85], v[100:101] neg_lo:[0,1] neg_hi:[0,1]
	v_mov_b32_e32 v98, v99
	v_mov_b32_e32 v99, v86
	v_pk_add_f32 v[84:85], v[98:99], v[84:85] neg_lo:[0,1] neg_hi:[0,1]
	v_mov_b32_e32 v114, v102
	v_pk_add_f32 v[86:87], v[114:115], v[84:85]
	v_mov_b32_e32 v98, v87
	v_pk_add_f32 v[98:99], v[86:87], v[98:99]
	v_pk_add_f32 v[96:97], v[96:97], v[98:99]
	v_mov_b32_e32 v87, v96
	v_pk_add_f32 v[100:101], v[86:87], v[102:103] neg_lo:[0,1] neg_hi:[0,1]
	v_mov_b32_e32 v85, v98
	v_sub_f32_e32 v83, v86, v100
	v_pk_add_f32 v[84:85], v[84:85], v[100:101] neg_lo:[0,1] neg_hi:[0,1]
	v_sub_f32_e32 v83, v102, v83
	s_mov_b32 s14, 0x7f800000
	v_add_f32_e32 v83, v84, v83
	s_mov_b32 s12, 0x33800000
	v_add_f32_e32 v83, v83, v85
	v_cmp_eq_f32_e32 vcc, s14, v116
	v_cmp_lt_f32_e64 s[14:15], |v116|, s12
	v_add_f32_e32 v83, v96, v83
	s_or_b64 vcc, vcc, s[14:15]
	v_cndmask_b32_e32 v83, v83, v116, vcc
	v_add_f32_e32 v83, v82, v83
.LBB512_250:
	s_or_b64 exec, exec, s[10:11]
	v_bfe_u32 v82, v83, 16, 1
	v_add3_u32 v82, v83, v82, s13
	v_lshrrev_b32_e32 v82, 16, v82
	v_cmp_o_f32_e32 vcc, v83, v83
	v_cndmask_b32_e32 v81, v81, v82, vcc
	s_branch .LBB512_381
.LBB512_251:
                                        ; implicit-def: $vgpr30
                                        ; implicit-def: $vgpr31
                                        ; implicit-def: $vgpr32
                                        ; implicit-def: $vgpr33
                                        ; implicit-def: $vgpr34
                                        ; implicit-def: $vgpr35
                                        ; implicit-def: $vgpr36
                                        ; implicit-def: $vgpr37
                                        ; implicit-def: $vgpr50
                                        ; implicit-def: $vgpr52
                                        ; implicit-def: $vgpr51
                                        ; implicit-def: $vgpr53
                                        ; implicit-def: $vgpr54
                                        ; implicit-def: $vgpr55
                                        ; implicit-def: $vgpr64
                                        ; implicit-def: $vgpr65
                                        ; implicit-def: $vgpr66
                                        ; implicit-def: $vgpr67
                                        ; implicit-def: $vgpr68
                                        ; implicit-def: $vgpr69
                                        ; implicit-def: $vgpr70
                                        ; implicit-def: $vgpr71
                                        ; implicit-def: $vgpr80
                                        ; implicit-def: $vgpr81
	s_cbranch_execz .LBB512_381
; %bb.252:
	v_cmp_ne_u64_e32 vcc, 0, v[6:7]
	s_and_b64 s[10:11], s[8:9], vcc
	v_mov_b32_e32 v30, v20
	s_and_saveexec_b64 s[8:9], s[10:11]
	s_cbranch_execz .LBB512_256
; %bb.253:
	flat_load_ushort v2, v[2:3]
	v_lshlrev_b32_e32 v7, 16, v20
	v_max_f32_e32 v6, v7, v7
	s_movk_i32 s10, 0x1f8
	s_waitcnt vmcnt(0) lgkmcnt(0)
	v_lshlrev_b32_e32 v3, 16, v2
	v_max_f32_e32 v2, v3, v3
	v_min_f32_e32 v30, v2, v6
	v_max_f32_e32 v2, v2, v6
	v_cmp_u_f32_e32 vcc, v3, v3
	v_cndmask_b32_e32 v6, v30, v3, vcc
	v_cndmask_b32_e32 v2, v2, v3, vcc
	v_cmp_u_f32_e32 vcc, v7, v7
	v_cndmask_b32_e32 v6, v6, v7, vcc
	v_cndmask_b32_e32 v2, v2, v7, vcc
	v_cmp_neq_f32_e32 vcc, v6, v2
	v_cmp_class_f32_e64 s[10:11], v6, s10
	s_or_b64 s[12:13], vcc, s[10:11]
	s_and_saveexec_b64 s[10:11], s[12:13]
	s_cbranch_execz .LBB512_255
; %bb.254:
	v_sub_f32_e32 v3, v6, v2
	s_mov_b32 s12, 0x3fb8aa3b
	v_mul_f32_e32 v6, 0x3fb8aa3b, v3
	v_fma_f32 v7, v3, s12, -v6
	v_rndne_f32_e32 v30, v6
	v_fmac_f32_e32 v7, 0x32a5705f, v3
	v_sub_f32_e32 v6, v6, v30
	v_add_f32_e32 v6, v6, v7
	v_exp_f32_e32 v6, v6
	v_cvt_i32_f32_e32 v7, v30
	s_mov_b32 s12, 0xc2ce8ed0
	v_cmp_ngt_f32_e32 vcc, s12, v3
	s_mov_b32 s12, 0x42b17218
	v_ldexp_f32 v6, v6, v7
	v_cndmask_b32_e32 v6, 0, v6, vcc
	v_mov_b32_e32 v7, 0x7f800000
	v_cmp_nlt_f32_e32 vcc, s12, v3
	v_cndmask_b32_e32 v64, v7, v6, vcc
	v_add_f32_e32 v3, 1.0, v64
	v_add_f32_e32 v6, -1.0, v3
	v_sub_f32_e32 v7, v6, v3
	v_add_f32_e32 v7, 1.0, v7
	v_sub_f32_e32 v6, v64, v6
	v_add_f32_e32 v30, v6, v7
	v_frexp_mant_f32_e32 v31, v3
	s_mov_b32 s12, 0x3f2aaaab
	v_cvt_f64_f32_e32 v[6:7], v3
	v_frexp_exp_i32_f64_e32 v6, v[6:7]
	v_cmp_gt_f32_e32 vcc, s12, v31
	v_subbrev_co_u32_e32 v36, vcc, 0, v6, vcc
	v_sub_u32_e32 v6, 0, v36
	v_ldexp_f32 v3, v3, v6
	v_ldexp_f32 v6, v30, v6
	v_add_f32_e32 v30, -1.0, v3
	v_add_f32_e32 v7, 1.0, v30
	v_sub_f32_e32 v7, v3, v7
	v_add_f32_e32 v31, v6, v7
	v_add_f32_e32 v7, 1.0, v3
	v_add_f32_e32 v32, -1.0, v7
	v_sub_f32_e32 v3, v3, v32
	v_add_f32_e32 v3, v6, v3
	v_add_f32_e32 v37, v7, v3
	v_rcp_f32_e32 v50, v37
	v_sub_f32_e32 v6, v7, v37
	v_add_f32_e32 v7, v30, v31
	v_add_f32_e32 v3, v3, v6
	v_mul_f32_e32 v52, v7, v50
	v_sub_f32_e32 v6, v30, v7
	v_mul_f32_e32 v30, v37, v52
	v_fma_f32 v32, v52, v37, -v30
	v_fmac_f32_e32 v32, v52, v3
	v_add_f32_e32 v51, v31, v6
	v_add_f32_e32 v6, v30, v32
	v_sub_f32_e32 v31, v7, v6
	v_pk_add_f32 v[34:35], v[6:7], v[30:31] neg_lo:[0,1] neg_hi:[0,1]
	v_mov_b32_e32 v33, v6
	v_pk_add_f32 v[6:7], v[34:35], v[32:33] neg_lo:[0,1] neg_hi:[0,1]
	v_add_f32_e32 v7, v51, v7
	v_add_f32_e32 v6, v6, v7
	v_add_f32_e32 v7, v31, v6
	v_mul_f32_e32 v51, v50, v7
	v_mul_f32_e32 v30, v37, v51
	v_fma_f32 v32, v51, v37, -v30
	v_fmac_f32_e32 v32, v51, v3
	v_sub_f32_e32 v3, v31, v7
	v_add_f32_e32 v3, v6, v3
	v_add_f32_e32 v6, v30, v32
	v_sub_f32_e32 v31, v7, v6
	v_pk_add_f32 v[34:35], v[6:7], v[30:31] neg_lo:[0,1] neg_hi:[0,1]
	v_mov_b32_e32 v33, v6
	v_pk_add_f32 v[6:7], v[34:35], v[32:33] neg_lo:[0,1] neg_hi:[0,1]
	v_add_f32_e32 v3, v3, v7
	v_add_f32_e32 v3, v6, v3
	;; [unrolled: 1-line block ×4, first 2 shown]
	v_sub_f32_e32 v7, v6, v52
	v_mul_f32_e32 v3, v50, v3
	v_sub_f32_e32 v7, v51, v7
	v_add_f32_e32 v3, v7, v3
	v_add_f32_e32 v31, v6, v3
	v_mul_f32_e32 v32, v31, v31
	v_mov_b32_e32 v30, 0x3ecc95a3
	v_fmac_f32_e32 v30, 0x3e9b6dac, v32
	v_mov_b32_e32 v7, 0x3f2aaada
	v_fmac_f32_e32 v7, v32, v30
	v_cvt_f32_i32_e32 v30, v36
	v_sub_f32_e32 v6, v31, v6
	v_sub_f32_e32 v3, v3, v6
	v_ldexp_f32 v33, v31, 1
	v_mul_f32_e32 v31, v31, v32
	v_mov_b32_e32 v6, 0x3f317218
	s_mov_b32 s12, 0x3f317218
	v_pk_mul_f32 v[6:7], v[30:31], v[6:7]
	v_fma_f32 v32, v30, s12, -v6
	v_fmac_f32_e32 v32, 0xb102e308, v30
	v_pk_add_f32 v[30:31], v[6:7], v[32:33]
	v_sub_f32_e32 v33, v31, v33
	v_ldexp_f32 v3, v3, 1
	v_sub_f32_e32 v33, v7, v33
	v_add_f32_e32 v35, v3, v33
	v_mov_b32_e32 v34, v6
	v_pk_add_f32 v[6:7], v[30:31], v[6:7] neg_lo:[0,1] neg_hi:[0,1]
	v_pk_add_f32 v[36:37], v[30:31], v[34:35]
	v_mov_b32_e32 v7, v37
	v_mov_b32_e32 v33, v30
	v_pk_add_f32 v[50:51], v[32:33], v[6:7] neg_lo:[0,1] neg_hi:[0,1]
	v_pk_add_f32 v[6:7], v[32:33], v[6:7]
	v_mov_b32_e32 v32, v7
	v_pk_add_f32 v[52:53], v[32:33], v[30:31] neg_lo:[0,1] neg_hi:[0,1]
	v_mov_b32_e32 v3, v52
	v_pk_add_f32 v[54:55], v[36:37], v[2:3] neg_lo:[0,1] neg_hi:[0,1]
	v_mov_b32_e32 v6, v37
	v_mov_b32_e32 v36, v31
	;; [unrolled: 1-line block ×4, first 2 shown]
	v_pk_add_f32 v[6:7], v[6:7], v[36:37] neg_lo:[0,1] neg_hi:[0,1]
	v_mov_b32_e32 v34, v35
	v_mov_b32_e32 v35, v30
	v_pk_add_f32 v[6:7], v[34:35], v[6:7] neg_lo:[0,1] neg_hi:[0,1]
	v_mov_b32_e32 v54, v50
	v_pk_add_f32 v[30:31], v[54:55], v[6:7]
	v_mov_b32_e32 v34, v31
	v_pk_add_f32 v[34:35], v[30:31], v[34:35]
	v_pk_add_f32 v[32:33], v[32:33], v[34:35]
	v_mov_b32_e32 v31, v32
	v_pk_add_f32 v[36:37], v[30:31], v[50:51] neg_lo:[0,1] neg_hi:[0,1]
	v_mov_b32_e32 v7, v34
	v_sub_f32_e32 v3, v30, v36
	v_pk_add_f32 v[6:7], v[6:7], v[36:37] neg_lo:[0,1] neg_hi:[0,1]
	v_sub_f32_e32 v3, v50, v3
	s_mov_b32 s13, 0x7f800000
	v_add_f32_e32 v3, v6, v3
	s_mov_b32 s12, 0x33800000
	v_add_f32_e32 v3, v3, v7
	v_cmp_eq_f32_e32 vcc, s13, v64
	v_cmp_lt_f32_e64 s[12:13], |v64|, s12
	v_add_f32_e32 v3, v32, v3
	s_or_b64 vcc, vcc, s[12:13]
	v_cndmask_b32_e32 v3, v3, v64, vcc
	v_add_f32_e32 v3, v2, v3
.LBB512_255:
	s_or_b64 exec, exec, s[10:11]
	v_bfe_u32 v2, v3, 16, 1
	s_movk_i32 s10, 0x7fff
	v_add3_u32 v2, v3, v2, s10
	v_lshrrev_b32_e32 v2, 16, v2
	v_mov_b32_e32 v6, 0x7fc0
	v_cmp_o_f32_e32 vcc, v3, v3
	v_cndmask_b32_e32 v30, v6, v2, vcc
.LBB512_256:
	s_or_b64 exec, exec, s[8:9]
	v_mov_b32_e32 v3, 16
	v_lshlrev_b32_e32 v32, 16, v30
	v_lshlrev_b32_sdwa v2, v3, v20 dst_sel:DWORD dst_unused:UNUSED_PAD src0_sel:DWORD src1_sel:WORD_1
	v_max_f32_e32 v31, v2, v2
	v_max_f32_e32 v100, v32, v32
	v_min_f32_e32 v98, v100, v31
	v_cmp_u_f32_e64 s[54:55], v32, v32
	v_cndmask_b32_e64 v6, v98, v32, s[54:55]
	v_cmp_u_f32_e32 vcc, v2, v2
	v_max_f32_e32 v99, v100, v31
	v_cndmask_b32_e32 v20, v6, v2, vcc
	v_cndmask_b32_e64 v6, v99, v32, s[54:55]
	v_cndmask_b32_e32 v6, v6, v2, vcc
	s_movk_i32 s12, 0x1f8
	v_cmp_neq_f32_e64 s[8:9], v20, v6
	v_cmp_class_f32_e64 s[10:11], v20, s12
	s_or_b64 s[8:9], s[8:9], s[10:11]
	v_mov_b32_e32 v7, v32
	s_and_saveexec_b64 s[10:11], s[8:9]
	s_cbranch_execz .LBB512_258
; %bb.257:
	v_sub_f32_e32 v7, v20, v6
	s_mov_b32 s8, 0x3fb8aa3b
	v_mul_f32_e32 v20, 0x3fb8aa3b, v7
	v_fma_f32 v33, v7, s8, -v20
	v_rndne_f32_e32 v34, v20
	v_fmac_f32_e32 v33, 0x32a5705f, v7
	v_sub_f32_e32 v20, v20, v34
	v_add_f32_e32 v20, v20, v33
	v_exp_f32_e32 v20, v20
	v_cvt_i32_f32_e32 v33, v34
	s_mov_b32 s8, 0xc2ce8ed0
	v_cmp_ngt_f32_e64 s[8:9], s8, v7
	s_mov_b32 s13, 0x7f800000
	v_ldexp_f32 v20, v20, v33
	v_cndmask_b32_e64 v20, 0, v20, s[8:9]
	s_mov_b32 s8, 0x42b17218
	v_mov_b32_e32 v33, 0x7f800000
	v_cmp_nlt_f32_e64 s[8:9], s8, v7
	v_cndmask_b32_e64 v33, v33, v20, s[8:9]
	v_add_f32_e32 v7, 1.0, v33
	v_add_f32_e32 v20, -1.0, v7
	v_sub_f32_e32 v34, v20, v7
	v_add_f32_e32 v34, 1.0, v34
	v_sub_f32_e32 v20, v33, v20
	v_add_f32_e32 v20, v20, v34
	v_frexp_mant_f32_e32 v36, v7
	s_mov_b32 s8, 0x3f2aaaab
	v_cvt_f64_f32_e32 v[34:35], v7
	v_frexp_exp_i32_f64_e32 v34, v[34:35]
	v_cmp_gt_f32_e64 s[8:9], s8, v36
	v_subbrev_co_u32_e64 v54, s[8:9], 0, v34, s[8:9]
	v_sub_u32_e32 v34, 0, v54
	v_ldexp_f32 v7, v7, v34
	v_ldexp_f32 v20, v20, v34
	v_add_f32_e32 v34, -1.0, v7
	v_add_f32_e32 v35, 1.0, v34
	v_sub_f32_e32 v35, v7, v35
	v_add_f32_e32 v36, v20, v35
	v_add_f32_e32 v35, 1.0, v7
	v_add_f32_e32 v37, -1.0, v35
	v_sub_f32_e32 v7, v7, v37
	v_add_f32_e32 v7, v20, v7
	v_add_f32_e32 v20, v35, v7
	v_rcp_f32_e32 v55, v20
	v_sub_f32_e32 v35, v35, v20
	v_add_f32_e32 v7, v7, v35
	v_add_f32_e32 v35, v34, v36
	v_sub_f32_e32 v34, v34, v35
	v_mul_f32_e32 v65, v35, v55
	v_add_f32_e32 v64, v36, v34
	v_mul_f32_e32 v36, v20, v65
	v_fma_f32 v50, v65, v20, -v36
	v_fmac_f32_e32 v50, v65, v7
	v_add_f32_e32 v34, v36, v50
	v_sub_f32_e32 v37, v35, v34
	v_pk_add_f32 v[52:53], v[34:35], v[36:37] neg_lo:[0,1] neg_hi:[0,1]
	v_mov_b32_e32 v51, v34
	v_pk_add_f32 v[34:35], v[52:53], v[50:51] neg_lo:[0,1] neg_hi:[0,1]
	v_add_f32_e32 v35, v64, v35
	v_add_f32_e32 v34, v34, v35
	;; [unrolled: 1-line block ×3, first 2 shown]
	v_mul_f32_e32 v64, v55, v35
	v_mul_f32_e32 v36, v20, v64
	v_fma_f32 v50, v64, v20, -v36
	v_fmac_f32_e32 v50, v64, v7
	v_sub_f32_e32 v7, v37, v35
	v_add_f32_e32 v7, v34, v7
	v_add_f32_e32 v34, v36, v50
	v_sub_f32_e32 v37, v35, v34
	v_pk_add_f32 v[52:53], v[34:35], v[36:37] neg_lo:[0,1] neg_hi:[0,1]
	v_mov_b32_e32 v51, v34
	v_pk_add_f32 v[34:35], v[52:53], v[50:51] neg_lo:[0,1] neg_hi:[0,1]
	v_add_f32_e32 v7, v7, v35
	v_add_f32_e32 v7, v34, v7
	v_add_f32_e32 v20, v65, v64
	v_add_f32_e32 v7, v37, v7
	v_sub_f32_e32 v34, v20, v65
	v_mul_f32_e32 v7, v55, v7
	v_sub_f32_e32 v34, v64, v34
	v_add_f32_e32 v7, v34, v7
	v_add_f32_e32 v34, v20, v7
	v_mul_f32_e32 v37, v34, v34
	v_mov_b32_e32 v36, 0x3ecc95a3
	v_fmac_f32_e32 v36, 0x3e9b6dac, v37
	v_mov_b32_e32 v35, 0x3f2aaada
	v_fmac_f32_e32 v35, v37, v36
	v_cvt_f32_i32_e32 v36, v54
	v_sub_f32_e32 v20, v34, v20
	v_ldexp_f32 v51, v34, 1
	v_mul_f32_e32 v37, v34, v37
	v_mov_b32_e32 v34, 0x3f317218
	s_mov_b32 s8, 0x3f317218
	v_pk_mul_f32 v[34:35], v[36:37], v[34:35]
	v_fma_f32 v50, v36, s8, -v34
	v_fmac_f32_e32 v50, 0xb102e308, v36
	v_pk_add_f32 v[36:37], v[34:35], v[50:51]
	v_sub_f32_e32 v7, v7, v20
	v_sub_f32_e32 v20, v37, v51
	v_ldexp_f32 v7, v7, 1
	v_sub_f32_e32 v20, v35, v20
	v_add_f32_e32 v53, v7, v20
	v_mov_b32_e32 v52, v34
	v_pk_add_f32 v[34:35], v[36:37], v[34:35] neg_lo:[0,1] neg_hi:[0,1]
	v_pk_add_f32 v[54:55], v[36:37], v[52:53]
	v_mov_b32_e32 v35, v55
	v_mov_b32_e32 v51, v36
	v_pk_add_f32 v[64:65], v[50:51], v[34:35] neg_lo:[0,1] neg_hi:[0,1]
	v_pk_add_f32 v[34:35], v[50:51], v[34:35]
	v_mov_b32_e32 v20, v35
	v_pk_add_f32 v[50:51], v[20:21], v[36:37] neg_lo:[0,1] neg_hi:[0,1]
	v_mov_b32_e32 v7, v50
	v_pk_add_f32 v[66:67], v[54:55], v[6:7] neg_lo:[0,1] neg_hi:[0,1]
	v_mov_b32_e32 v34, v55
	v_mov_b32_e32 v54, v37
	;; [unrolled: 1-line block ×4, first 2 shown]
	v_pk_add_f32 v[34:35], v[34:35], v[54:55] neg_lo:[0,1] neg_hi:[0,1]
	v_mov_b32_e32 v50, v53
	v_mov_b32_e32 v51, v36
	v_pk_add_f32 v[34:35], v[50:51], v[34:35] neg_lo:[0,1] neg_hi:[0,1]
	v_mov_b32_e32 v66, v64
	v_pk_add_f32 v[36:37], v[66:67], v[34:35]
	v_mov_b32_e32 v50, v37
	v_pk_add_f32 v[50:51], v[36:37], v[50:51]
	v_pk_add_f32 v[52:53], v[20:21], v[50:51]
	v_mov_b32_e32 v37, v52
	v_pk_add_f32 v[54:55], v[36:37], v[64:65] neg_lo:[0,1] neg_hi:[0,1]
	v_mov_b32_e32 v35, v50
	v_sub_f32_e32 v7, v36, v54
	v_pk_add_f32 v[34:35], v[34:35], v[54:55] neg_lo:[0,1] neg_hi:[0,1]
	v_sub_f32_e32 v7, v64, v7
	v_add_f32_e32 v7, v34, v7
	v_cmp_eq_f32_e64 s[8:9], s13, v33
	s_mov_b32 s13, 0x33800000
	v_add_f32_e32 v7, v7, v35
	v_cmp_lt_f32_e64 s[14:15], |v33|, s13
	v_add_f32_e32 v7, v52, v7
	s_or_b64 s[8:9], s[8:9], s[14:15]
	v_cndmask_b32_e64 v7, v7, v33, s[8:9]
	v_add_f32_e32 v7, v6, v7
.LBB512_258:
	s_or_b64 exec, exec, s[10:11]
	v_bfe_u32 v6, v7, 16, 1
	s_movk_i32 s14, 0x7fff
	v_add3_u32 v6, v7, v6, s14
	v_and_b32_e32 v20, 0xffff0000, v6
	v_mov_b32_e32 v6, 0x7fc00000
	v_cmp_o_f32_e64 s[8:9], v7, v7
	v_cndmask_b32_e64 v33, v6, v20, s[8:9]
	v_lshlrev_b32_sdwa v3, v3, v21 dst_sel:DWORD dst_unused:UNUSED_PAD src0_sel:DWORD src1_sel:WORD_0
	v_max_f32_e32 v7, v33, v33
	v_max_f32_e32 v20, v3, v3
	v_min_f32_e32 v34, v7, v20
	v_cmp_u_f32_e64 s[10:11], v33, v33
	v_max_f32_e32 v7, v7, v20
	v_cndmask_b32_e64 v34, v34, v33, s[10:11]
	v_cmp_u_f32_e64 s[8:9], v3, v3
	v_cndmask_b32_e64 v7, v7, v33, s[10:11]
	v_cndmask_b32_e64 v34, v34, v3, s[8:9]
	;; [unrolled: 1-line block ×3, first 2 shown]
	v_cmp_neq_f32_e64 s[10:11], v34, v7
	v_cmp_class_f32_e64 s[12:13], v34, s12
	s_or_b64 s[10:11], s[10:11], s[12:13]
	s_and_saveexec_b64 s[12:13], s[10:11]
	s_cbranch_execz .LBB512_260
; %bb.259:
	v_sub_f32_e32 v33, v34, v7
	s_mov_b32 s10, 0x3fb8aa3b
	v_mul_f32_e32 v34, 0x3fb8aa3b, v33
	v_fma_f32 v35, v33, s10, -v34
	v_rndne_f32_e32 v36, v34
	v_fmac_f32_e32 v35, 0x32a5705f, v33
	v_sub_f32_e32 v34, v34, v36
	v_add_f32_e32 v34, v34, v35
	v_exp_f32_e32 v34, v34
	v_cvt_i32_f32_e32 v35, v36
	s_mov_b32 s10, 0xc2ce8ed0
	v_cmp_ngt_f32_e64 s[10:11], s10, v33
	s_mov_b32 s15, 0x7f800000
	v_ldexp_f32 v34, v34, v35
	v_cndmask_b32_e64 v34, 0, v34, s[10:11]
	s_mov_b32 s10, 0x42b17218
	v_mov_b32_e32 v35, 0x7f800000
	v_cmp_nlt_f32_e64 s[10:11], s10, v33
	v_cndmask_b32_e64 v70, v35, v34, s[10:11]
	v_add_f32_e32 v33, 1.0, v70
	v_add_f32_e32 v34, -1.0, v33
	v_sub_f32_e32 v35, v34, v33
	v_add_f32_e32 v35, 1.0, v35
	v_sub_f32_e32 v34, v70, v34
	v_add_f32_e32 v36, v34, v35
	v_frexp_mant_f32_e32 v37, v33
	s_mov_b32 s10, 0x3f2aaaab
	v_cvt_f64_f32_e32 v[34:35], v33
	v_frexp_exp_i32_f64_e32 v34, v[34:35]
	v_cmp_gt_f32_e64 s[10:11], s10, v37
	v_subbrev_co_u32_e64 v54, s[10:11], 0, v34, s[10:11]
	v_sub_u32_e32 v34, 0, v54
	v_ldexp_f32 v33, v33, v34
	v_ldexp_f32 v34, v36, v34
	v_add_f32_e32 v36, -1.0, v33
	v_add_f32_e32 v35, 1.0, v36
	v_sub_f32_e32 v35, v33, v35
	v_add_f32_e32 v37, v34, v35
	v_add_f32_e32 v35, 1.0, v33
	v_add_f32_e32 v50, -1.0, v35
	v_sub_f32_e32 v33, v33, v50
	v_add_f32_e32 v33, v34, v33
	v_add_f32_e32 v55, v35, v33
	v_rcp_f32_e32 v64, v55
	v_sub_f32_e32 v34, v35, v55
	v_add_f32_e32 v35, v36, v37
	v_add_f32_e32 v33, v33, v34
	v_mul_f32_e32 v66, v35, v64
	v_sub_f32_e32 v34, v36, v35
	v_mul_f32_e32 v36, v55, v66
	v_fma_f32 v50, v66, v55, -v36
	v_fmac_f32_e32 v50, v66, v33
	v_add_f32_e32 v65, v37, v34
	v_add_f32_e32 v34, v36, v50
	v_sub_f32_e32 v37, v35, v34
	v_pk_add_f32 v[52:53], v[34:35], v[36:37] neg_lo:[0,1] neg_hi:[0,1]
	v_mov_b32_e32 v51, v34
	v_pk_add_f32 v[34:35], v[52:53], v[50:51] neg_lo:[0,1] neg_hi:[0,1]
	v_add_f32_e32 v35, v65, v35
	v_add_f32_e32 v34, v34, v35
	;; [unrolled: 1-line block ×3, first 2 shown]
	v_mul_f32_e32 v65, v64, v35
	v_mul_f32_e32 v36, v55, v65
	v_fma_f32 v50, v65, v55, -v36
	v_fmac_f32_e32 v50, v65, v33
	v_sub_f32_e32 v33, v37, v35
	v_add_f32_e32 v33, v34, v33
	v_add_f32_e32 v34, v36, v50
	v_sub_f32_e32 v37, v35, v34
	v_pk_add_f32 v[52:53], v[34:35], v[36:37] neg_lo:[0,1] neg_hi:[0,1]
	v_mov_b32_e32 v51, v34
	v_pk_add_f32 v[34:35], v[52:53], v[50:51] neg_lo:[0,1] neg_hi:[0,1]
	v_add_f32_e32 v33, v33, v35
	v_add_f32_e32 v33, v34, v33
	v_add_f32_e32 v34, v66, v65
	v_add_f32_e32 v33, v37, v33
	v_sub_f32_e32 v35, v34, v66
	v_mul_f32_e32 v33, v64, v33
	v_sub_f32_e32 v35, v65, v35
	v_add_f32_e32 v33, v35, v33
	v_add_f32_e32 v37, v34, v33
	v_mul_f32_e32 v50, v37, v37
	v_mov_b32_e32 v36, 0x3ecc95a3
	v_fmac_f32_e32 v36, 0x3e9b6dac, v50
	v_mov_b32_e32 v35, 0x3f2aaada
	v_fmac_f32_e32 v35, v50, v36
	v_cvt_f32_i32_e32 v36, v54
	v_sub_f32_e32 v34, v37, v34
	v_sub_f32_e32 v33, v33, v34
	v_ldexp_f32 v51, v37, 1
	v_mul_f32_e32 v37, v37, v50
	v_mov_b32_e32 v34, 0x3f317218
	s_mov_b32 s10, 0x3f317218
	v_pk_mul_f32 v[34:35], v[36:37], v[34:35]
	v_fma_f32 v50, v36, s10, -v34
	v_fmac_f32_e32 v50, 0xb102e308, v36
	v_pk_add_f32 v[36:37], v[34:35], v[50:51]
	v_sub_f32_e32 v51, v37, v51
	v_ldexp_f32 v33, v33, 1
	v_sub_f32_e32 v51, v35, v51
	v_add_f32_e32 v53, v33, v51
	v_mov_b32_e32 v52, v34
	v_pk_add_f32 v[34:35], v[36:37], v[34:35] neg_lo:[0,1] neg_hi:[0,1]
	v_pk_add_f32 v[54:55], v[36:37], v[52:53]
	v_mov_b32_e32 v35, v55
	v_mov_b32_e32 v51, v36
	v_pk_add_f32 v[64:65], v[50:51], v[34:35] neg_lo:[0,1] neg_hi:[0,1]
	v_pk_add_f32 v[34:35], v[50:51], v[34:35]
	v_mov_b32_e32 v50, v35
	v_pk_add_f32 v[66:67], v[50:51], v[36:37] neg_lo:[0,1] neg_hi:[0,1]
	v_mov_b32_e32 v33, v66
	v_pk_add_f32 v[68:69], v[54:55], v[32:33] neg_lo:[0,1] neg_hi:[0,1]
	v_mov_b32_e32 v34, v55
	v_mov_b32_e32 v54, v37
	;; [unrolled: 1-line block ×4, first 2 shown]
	v_pk_add_f32 v[34:35], v[34:35], v[54:55] neg_lo:[0,1] neg_hi:[0,1]
	v_mov_b32_e32 v52, v53
	v_mov_b32_e32 v53, v36
	v_pk_add_f32 v[34:35], v[52:53], v[34:35] neg_lo:[0,1] neg_hi:[0,1]
	v_mov_b32_e32 v68, v64
	v_pk_add_f32 v[36:37], v[68:69], v[34:35]
	v_mov_b32_e32 v52, v37
	v_pk_add_f32 v[52:53], v[36:37], v[52:53]
	v_pk_add_f32 v[50:51], v[50:51], v[52:53]
	v_mov_b32_e32 v37, v50
	v_pk_add_f32 v[54:55], v[36:37], v[64:65] neg_lo:[0,1] neg_hi:[0,1]
	v_mov_b32_e32 v35, v52
	v_sub_f32_e32 v33, v36, v54
	v_pk_add_f32 v[34:35], v[34:35], v[54:55] neg_lo:[0,1] neg_hi:[0,1]
	v_sub_f32_e32 v33, v64, v33
	v_add_f32_e32 v33, v34, v33
	v_cmp_eq_f32_e64 s[10:11], s15, v70
	s_mov_b32 s15, 0x33800000
	v_add_f32_e32 v33, v33, v35
	v_cmp_lt_f32_e64 s[16:17], |v70|, s15
	v_add_f32_e32 v33, v50, v33
	s_or_b64 s[10:11], s[10:11], s[16:17]
	v_cndmask_b32_e64 v33, v33, v70, s[10:11]
	v_add_f32_e32 v33, v7, v33
.LBB512_260:
	s_or_b64 exec, exec, s[12:13]
	v_bfe_u32 v7, v33, 16, 1
	v_add3_u32 v7, v33, v7, s14
	v_and_b32_e32 v7, 0xffff0000, v7
	v_cmp_o_f32_e64 s[10:11], v33, v33
	v_cndmask_b32_e64 v34, v6, v7, s[10:11]
	v_mov_b32_e32 v7, 16
	v_lshlrev_b32_sdwa v6, v7, v21 dst_sel:DWORD dst_unused:UNUSED_PAD src0_sel:DWORD src1_sel:WORD_1
	v_max_f32_e32 v21, v34, v34
	v_max_f32_e32 v33, v6, v6
	v_min_f32_e32 v35, v21, v33
	v_cmp_u_f32_e64 s[12:13], v34, v34
	v_max_f32_e32 v21, v21, v33
	v_cndmask_b32_e64 v35, v35, v34, s[12:13]
	v_cmp_u_f32_e64 s[10:11], v6, v6
	v_cndmask_b32_e64 v21, v21, v34, s[12:13]
	v_cndmask_b32_e64 v35, v35, v6, s[10:11]
	;; [unrolled: 1-line block ×3, first 2 shown]
	s_movk_i32 s16, 0x1f8
	v_cmp_neq_f32_e64 s[12:13], v35, v21
	v_cmp_class_f32_e64 s[14:15], v35, s16
	s_or_b64 s[12:13], s[12:13], s[14:15]
	s_and_saveexec_b64 s[14:15], s[12:13]
	s_cbranch_execz .LBB512_262
; %bb.261:
	v_sub_f32_e32 v34, v35, v21
	s_mov_b32 s12, 0x3fb8aa3b
	v_mul_f32_e32 v35, 0x3fb8aa3b, v34
	v_fma_f32 v36, v34, s12, -v35
	v_rndne_f32_e32 v37, v35
	v_fmac_f32_e32 v36, 0x32a5705f, v34
	v_sub_f32_e32 v35, v35, v37
	v_add_f32_e32 v35, v35, v36
	v_exp_f32_e32 v35, v35
	v_cvt_i32_f32_e32 v36, v37
	s_mov_b32 s12, 0xc2ce8ed0
	v_cmp_ngt_f32_e64 s[12:13], s12, v34
	s_mov_b32 s17, 0x7f800000
	v_ldexp_f32 v35, v35, v36
	v_cndmask_b32_e64 v35, 0, v35, s[12:13]
	s_mov_b32 s12, 0x42b17218
	v_mov_b32_e32 v36, 0x7f800000
	v_cmp_nlt_f32_e64 s[12:13], s12, v34
	v_cndmask_b32_e64 v70, v36, v35, s[12:13]
	v_add_f32_e32 v36, 1.0, v70
	v_add_f32_e32 v34, -1.0, v36
	v_sub_f32_e32 v35, v34, v36
	v_add_f32_e32 v35, 1.0, v35
	v_sub_f32_e32 v34, v70, v34
	v_add_f32_e32 v37, v34, v35
	v_frexp_mant_f32_e32 v50, v36
	s_mov_b32 s12, 0x3f2aaaab
	v_cvt_f64_f32_e32 v[34:35], v36
	v_frexp_exp_i32_f64_e32 v34, v[34:35]
	v_cmp_gt_f32_e64 s[12:13], s12, v50
	v_subbrev_co_u32_e64 v54, s[12:13], 0, v34, s[12:13]
	v_sub_u32_e32 v34, 0, v54
	v_ldexp_f32 v35, v36, v34
	v_add_f32_e32 v36, -1.0, v35
	v_add_f32_e32 v50, 1.0, v35
	v_ldexp_f32 v34, v37, v34
	v_add_f32_e32 v37, 1.0, v36
	v_add_f32_e32 v51, -1.0, v50
	v_sub_f32_e32 v37, v35, v37
	v_sub_f32_e32 v35, v35, v51
	v_add_f32_e32 v37, v34, v37
	v_add_f32_e32 v34, v34, v35
	;; [unrolled: 1-line block ×3, first 2 shown]
	v_rcp_f32_e32 v65, v55
	v_sub_f32_e32 v35, v50, v55
	v_add_f32_e32 v64, v34, v35
	v_add_f32_e32 v35, v36, v37
	v_mul_f32_e32 v67, v35, v65
	v_sub_f32_e32 v34, v36, v35
	v_mul_f32_e32 v36, v55, v67
	v_fma_f32 v50, v67, v55, -v36
	v_fmac_f32_e32 v50, v67, v64
	v_add_f32_e32 v66, v37, v34
	v_add_f32_e32 v34, v36, v50
	v_sub_f32_e32 v37, v35, v34
	v_pk_add_f32 v[52:53], v[34:35], v[36:37] neg_lo:[0,1] neg_hi:[0,1]
	v_mov_b32_e32 v51, v34
	v_pk_add_f32 v[34:35], v[52:53], v[50:51] neg_lo:[0,1] neg_hi:[0,1]
	v_add_f32_e32 v35, v66, v35
	v_add_f32_e32 v34, v34, v35
	v_add_f32_e32 v35, v37, v34
	v_mul_f32_e32 v66, v65, v35
	v_mul_f32_e32 v36, v55, v66
	v_fma_f32 v50, v66, v55, -v36
	v_fmac_f32_e32 v50, v66, v64
	v_sub_f32_e32 v37, v37, v35
	v_add_f32_e32 v55, v34, v37
	v_add_f32_e32 v34, v36, v50
	v_sub_f32_e32 v37, v35, v34
	v_pk_add_f32 v[52:53], v[34:35], v[36:37] neg_lo:[0,1] neg_hi:[0,1]
	v_mov_b32_e32 v51, v34
	v_pk_add_f32 v[34:35], v[52:53], v[50:51] neg_lo:[0,1] neg_hi:[0,1]
	v_add_f32_e32 v35, v55, v35
	v_add_f32_e32 v34, v34, v35
	;; [unrolled: 1-line block ×4, first 2 shown]
	v_sub_f32_e32 v35, v37, v67
	v_mul_f32_e32 v34, v65, v34
	v_sub_f32_e32 v35, v66, v35
	v_add_f32_e32 v34, v35, v34
	v_add_f32_e32 v50, v37, v34
	v_mul_f32_e32 v52, v50, v50
	v_mov_b32_e32 v36, 0x3ecc95a3
	v_fmac_f32_e32 v36, 0x3e9b6dac, v52
	v_mov_b32_e32 v35, 0x3f2aaada
	v_fmac_f32_e32 v35, v52, v36
	v_cvt_f32_i32_e32 v36, v54
	v_sub_f32_e32 v37, v50, v37
	v_sub_f32_e32 v34, v34, v37
	v_ldexp_f32 v53, v34, 1
	v_mul_f32_e32 v37, v50, v52
	v_mov_b32_e32 v34, 0x3f317218
	s_mov_b32 s12, 0x3f317218
	v_pk_mul_f32 v[34:35], v[36:37], v[34:35]
	v_ldexp_f32 v51, v50, 1
	v_fma_f32 v50, v36, s12, -v34
	v_fmac_f32_e32 v50, 0xb102e308, v36
	v_pk_add_f32 v[36:37], v[34:35], v[50:51]
	v_sub_f32_e32 v51, v37, v51
	v_sub_f32_e32 v51, v35, v51
	v_add_f32_e32 v53, v53, v51
	v_mov_b32_e32 v52, v34
	v_pk_add_f32 v[34:35], v[36:37], v[34:35] neg_lo:[0,1] neg_hi:[0,1]
	v_pk_add_f32 v[54:55], v[36:37], v[52:53]
	v_mov_b32_e32 v35, v55
	v_mov_b32_e32 v51, v36
	v_pk_add_f32 v[64:65], v[50:51], v[34:35] neg_lo:[0,1] neg_hi:[0,1]
	v_pk_add_f32 v[34:35], v[50:51], v[34:35]
	v_mov_b32_e32 v50, v35
	v_pk_add_f32 v[66:67], v[50:51], v[36:37] neg_lo:[0,1] neg_hi:[0,1]
	v_mov_b32_e32 v51, v66
	v_pk_add_f32 v[68:69], v[54:55], v[50:51] neg_lo:[0,1] neg_hi:[0,1]
	v_mov_b32_e32 v34, v55
	v_mov_b32_e32 v54, v37
	;; [unrolled: 1-line block ×4, first 2 shown]
	v_pk_add_f32 v[34:35], v[34:35], v[54:55] neg_lo:[0,1] neg_hi:[0,1]
	v_mov_b32_e32 v52, v53
	v_mov_b32_e32 v53, v36
	v_pk_add_f32 v[34:35], v[52:53], v[34:35] neg_lo:[0,1] neg_hi:[0,1]
	v_mov_b32_e32 v68, v64
	v_pk_add_f32 v[36:37], v[68:69], v[34:35]
	v_mov_b32_e32 v52, v37
	v_pk_add_f32 v[52:53], v[36:37], v[52:53]
	v_pk_add_f32 v[50:51], v[50:51], v[52:53]
	v_mov_b32_e32 v37, v50
	v_pk_add_f32 v[54:55], v[36:37], v[64:65] neg_lo:[0,1] neg_hi:[0,1]
	v_mov_b32_e32 v35, v52
	v_sub_f32_e32 v36, v36, v54
	v_pk_add_f32 v[34:35], v[34:35], v[54:55] neg_lo:[0,1] neg_hi:[0,1]
	v_sub_f32_e32 v36, v64, v36
	v_add_f32_e32 v34, v34, v36
	v_cmp_eq_f32_e64 s[12:13], s17, v70
	s_mov_b32 s17, 0x33800000
	v_add_f32_e32 v34, v34, v35
	v_cmp_lt_f32_e64 s[18:19], |v70|, s17
	v_add_f32_e32 v34, v50, v34
	s_or_b64 s[12:13], s[12:13], s[18:19]
	v_cndmask_b32_e64 v34, v34, v70, s[12:13]
	v_add_f32_e32 v34, v21, v34
.LBB512_262:
	s_or_b64 exec, exec, s[14:15]
	v_bfe_u32 v21, v34, 16, 1
	s_movk_i32 s18, 0x7fff
	v_add3_u32 v21, v34, v21, s18
	v_and_b32_e32 v35, 0xffff0000, v21
	v_mov_b32_e32 v21, 0x7fc00000
	v_cmp_o_f32_e64 s[12:13], v34, v34
	v_cndmask_b32_e64 v36, v21, v35, s[12:13]
	v_lshlrev_b32_sdwa v7, v7, v22 dst_sel:DWORD dst_unused:UNUSED_PAD src0_sel:DWORD src1_sel:WORD_0
	v_max_f32_e32 v35, v36, v36
	v_max_f32_e32 v34, v7, v7
	v_min_f32_e32 v37, v35, v34
	v_cmp_u_f32_e64 s[14:15], v36, v36
	v_max_f32_e32 v35, v35, v34
	v_cndmask_b32_e64 v37, v37, v36, s[14:15]
	v_cmp_u_f32_e64 s[12:13], v7, v7
	v_cndmask_b32_e64 v35, v35, v36, s[14:15]
	v_cndmask_b32_e64 v37, v37, v7, s[12:13]
	v_cndmask_b32_e64 v35, v35, v7, s[12:13]
	v_cmp_neq_f32_e64 s[14:15], v37, v35
	v_cmp_class_f32_e64 s[16:17], v37, s16
	s_or_b64 s[14:15], s[14:15], s[16:17]
	s_and_saveexec_b64 s[16:17], s[14:15]
	s_cbranch_execz .LBB512_264
; %bb.263:
	v_sub_f32_e32 v36, v37, v35
	s_mov_b32 s14, 0x3fb8aa3b
	v_mul_f32_e32 v37, 0x3fb8aa3b, v36
	v_fma_f32 v50, v36, s14, -v37
	v_rndne_f32_e32 v51, v37
	v_fmac_f32_e32 v50, 0x32a5705f, v36
	v_sub_f32_e32 v37, v37, v51
	v_add_f32_e32 v37, v37, v50
	v_exp_f32_e32 v37, v37
	v_cvt_i32_f32_e32 v50, v51
	s_mov_b32 s14, 0xc2ce8ed0
	v_cmp_ngt_f32_e64 s[14:15], s14, v36
	s_mov_b32 s19, 0x7f800000
	v_ldexp_f32 v37, v37, v50
	v_cndmask_b32_e64 v37, 0, v37, s[14:15]
	s_mov_b32 s14, 0x42b17218
	v_mov_b32_e32 v50, 0x7f800000
	v_cmp_nlt_f32_e64 s[14:15], s14, v36
	v_cndmask_b32_e64 v80, v50, v37, s[14:15]
	v_add_f32_e32 v50, 1.0, v80
	v_add_f32_e32 v36, -1.0, v50
	v_sub_f32_e32 v37, v36, v50
	v_add_f32_e32 v37, 1.0, v37
	v_sub_f32_e32 v36, v80, v36
	v_add_f32_e32 v51, v36, v37
	v_frexp_mant_f32_e32 v52, v50
	s_mov_b32 s14, 0x3f2aaaab
	v_cvt_f64_f32_e32 v[36:37], v50
	v_frexp_exp_i32_f64_e32 v36, v[36:37]
	v_cmp_gt_f32_e64 s[14:15], s14, v52
	v_subbrev_co_u32_e64 v64, s[14:15], 0, v36, s[14:15]
	v_sub_u32_e32 v36, 0, v64
	v_ldexp_f32 v37, v50, v36
	v_add_f32_e32 v50, -1.0, v37
	v_add_f32_e32 v52, 1.0, v37
	v_ldexp_f32 v36, v51, v36
	v_add_f32_e32 v51, 1.0, v50
	v_add_f32_e32 v53, -1.0, v52
	v_sub_f32_e32 v51, v37, v51
	v_sub_f32_e32 v37, v37, v53
	v_add_f32_e32 v51, v36, v51
	v_add_f32_e32 v36, v36, v37
	;; [unrolled: 1-line block ×3, first 2 shown]
	v_rcp_f32_e32 v67, v65
	v_sub_f32_e32 v37, v52, v65
	v_add_f32_e32 v66, v36, v37
	v_add_f32_e32 v37, v50, v51
	v_mul_f32_e32 v69, v37, v67
	v_sub_f32_e32 v36, v50, v37
	v_mul_f32_e32 v50, v65, v69
	v_fma_f32 v52, v69, v65, -v50
	v_fmac_f32_e32 v52, v69, v66
	v_add_f32_e32 v68, v51, v36
	v_add_f32_e32 v36, v50, v52
	v_sub_f32_e32 v51, v37, v36
	v_pk_add_f32 v[54:55], v[36:37], v[50:51] neg_lo:[0,1] neg_hi:[0,1]
	v_mov_b32_e32 v53, v36
	v_pk_add_f32 v[36:37], v[54:55], v[52:53] neg_lo:[0,1] neg_hi:[0,1]
	v_add_f32_e32 v37, v68, v37
	v_add_f32_e32 v36, v36, v37
	;; [unrolled: 1-line block ×3, first 2 shown]
	v_mul_f32_e32 v68, v67, v37
	v_mul_f32_e32 v50, v65, v68
	v_fma_f32 v52, v68, v65, -v50
	v_fmac_f32_e32 v52, v68, v66
	v_sub_f32_e32 v51, v51, v37
	v_add_f32_e32 v65, v36, v51
	v_add_f32_e32 v36, v50, v52
	v_sub_f32_e32 v51, v37, v36
	v_pk_add_f32 v[54:55], v[36:37], v[50:51] neg_lo:[0,1] neg_hi:[0,1]
	v_mov_b32_e32 v53, v36
	v_pk_add_f32 v[36:37], v[54:55], v[52:53] neg_lo:[0,1] neg_hi:[0,1]
	v_add_f32_e32 v37, v65, v37
	v_add_f32_e32 v36, v36, v37
	;; [unrolled: 1-line block ×4, first 2 shown]
	v_sub_f32_e32 v37, v51, v69
	v_mul_f32_e32 v36, v67, v36
	v_sub_f32_e32 v37, v68, v37
	v_add_f32_e32 v36, v37, v36
	v_add_f32_e32 v52, v51, v36
	v_mul_f32_e32 v54, v52, v52
	v_mov_b32_e32 v50, 0x3ecc95a3
	v_fmac_f32_e32 v50, 0x3e9b6dac, v54
	v_mov_b32_e32 v37, 0x3f2aaada
	v_fmac_f32_e32 v37, v54, v50
	v_cvt_f32_i32_e32 v50, v64
	v_sub_f32_e32 v51, v52, v51
	v_sub_f32_e32 v36, v36, v51
	v_ldexp_f32 v55, v36, 1
	v_mul_f32_e32 v51, v52, v54
	v_mov_b32_e32 v36, 0x3f317218
	s_mov_b32 s14, 0x3f317218
	v_pk_mul_f32 v[36:37], v[50:51], v[36:37]
	v_ldexp_f32 v53, v52, 1
	v_fma_f32 v52, v50, s14, -v36
	v_fmac_f32_e32 v52, 0xb102e308, v50
	v_pk_add_f32 v[50:51], v[36:37], v[52:53]
	v_sub_f32_e32 v53, v51, v53
	v_sub_f32_e32 v53, v37, v53
	v_add_f32_e32 v55, v55, v53
	v_mov_b32_e32 v54, v36
	v_pk_add_f32 v[36:37], v[50:51], v[36:37] neg_lo:[0,1] neg_hi:[0,1]
	v_pk_add_f32 v[64:65], v[50:51], v[54:55]
	v_mov_b32_e32 v37, v65
	v_mov_b32_e32 v53, v50
	v_pk_add_f32 v[66:67], v[52:53], v[36:37] neg_lo:[0,1] neg_hi:[0,1]
	v_pk_add_f32 v[36:37], v[52:53], v[36:37]
	v_mov_b32_e32 v52, v37
	v_pk_add_f32 v[68:69], v[52:53], v[50:51] neg_lo:[0,1] neg_hi:[0,1]
	v_mov_b32_e32 v53, v68
	v_pk_add_f32 v[70:71], v[64:65], v[52:53] neg_lo:[0,1] neg_hi:[0,1]
	v_mov_b32_e32 v36, v65
	v_mov_b32_e32 v64, v51
	;; [unrolled: 1-line block ×4, first 2 shown]
	v_pk_add_f32 v[36:37], v[36:37], v[64:65] neg_lo:[0,1] neg_hi:[0,1]
	v_mov_b32_e32 v54, v55
	v_mov_b32_e32 v55, v50
	v_pk_add_f32 v[36:37], v[54:55], v[36:37] neg_lo:[0,1] neg_hi:[0,1]
	v_mov_b32_e32 v70, v66
	v_pk_add_f32 v[50:51], v[70:71], v[36:37]
	v_mov_b32_e32 v54, v51
	v_pk_add_f32 v[54:55], v[50:51], v[54:55]
	v_pk_add_f32 v[52:53], v[52:53], v[54:55]
	v_mov_b32_e32 v51, v52
	v_pk_add_f32 v[64:65], v[50:51], v[66:67] neg_lo:[0,1] neg_hi:[0,1]
	v_mov_b32_e32 v37, v54
	v_sub_f32_e32 v50, v50, v64
	v_pk_add_f32 v[36:37], v[36:37], v[64:65] neg_lo:[0,1] neg_hi:[0,1]
	v_sub_f32_e32 v50, v66, v50
	v_add_f32_e32 v36, v36, v50
	v_cmp_eq_f32_e64 s[14:15], s19, v80
	s_mov_b32 s19, 0x33800000
	v_add_f32_e32 v36, v36, v37
	v_cmp_lt_f32_e64 s[20:21], |v80|, s19
	v_add_f32_e32 v36, v52, v36
	s_or_b64 s[14:15], s[14:15], s[20:21]
	v_cndmask_b32_e64 v36, v36, v80, s[14:15]
	v_add_f32_e32 v36, v35, v36
.LBB512_264:
	s_or_b64 exec, exec, s[16:17]
	v_bfe_u32 v35, v36, 16, 1
	v_add3_u32 v35, v36, v35, s18
	v_and_b32_e32 v35, 0xffff0000, v35
	v_cmp_o_f32_e64 s[14:15], v36, v36
	v_mov_b32_e32 v36, 16
	v_cndmask_b32_e64 v50, v21, v35, s[14:15]
	v_lshlrev_b32_sdwa v21, v36, v22 dst_sel:DWORD dst_unused:UNUSED_PAD src0_sel:DWORD src1_sel:WORD_1
	v_max_f32_e32 v22, v50, v50
	v_max_f32_e32 v35, v21, v21
	v_min_f32_e32 v37, v22, v35
	v_cmp_u_f32_e64 s[16:17], v50, v50
	v_max_f32_e32 v22, v22, v35
	v_cndmask_b32_e64 v37, v37, v50, s[16:17]
	v_cmp_u_f32_e64 s[14:15], v21, v21
	v_cndmask_b32_e64 v22, v22, v50, s[16:17]
	v_cndmask_b32_e64 v37, v37, v21, s[14:15]
	v_cndmask_b32_e64 v22, v22, v21, s[14:15]
	s_movk_i32 s20, 0x1f8
	v_cmp_neq_f32_e64 s[16:17], v37, v22
	v_cmp_class_f32_e64 s[18:19], v37, s20
	s_or_b64 s[16:17], s[16:17], s[18:19]
	s_and_saveexec_b64 s[18:19], s[16:17]
	s_cbranch_execz .LBB512_266
; %bb.265:
	v_sub_f32_e32 v37, v37, v22
	s_mov_b32 s16, 0x3fb8aa3b
	v_mul_f32_e32 v50, 0x3fb8aa3b, v37
	v_fma_f32 v51, v37, s16, -v50
	v_rndne_f32_e32 v52, v50
	v_fmac_f32_e32 v51, 0x32a5705f, v37
	v_sub_f32_e32 v50, v50, v52
	v_add_f32_e32 v50, v50, v51
	v_exp_f32_e32 v50, v50
	v_cvt_i32_f32_e32 v51, v52
	s_mov_b32 s16, 0xc2ce8ed0
	v_cmp_ngt_f32_e64 s[16:17], s16, v37
	s_mov_b32 s21, 0x7f800000
	v_ldexp_f32 v50, v50, v51
	v_cndmask_b32_e64 v50, 0, v50, s[16:17]
	s_mov_b32 s16, 0x42b17218
	v_mov_b32_e32 v51, 0x7f800000
	v_cmp_nlt_f32_e64 s[16:17], s16, v37
	v_cndmask_b32_e64 v82, v51, v50, s[16:17]
	v_add_f32_e32 v37, 1.0, v82
	v_add_f32_e32 v50, -1.0, v37
	v_sub_f32_e32 v51, v50, v37
	v_add_f32_e32 v51, 1.0, v51
	v_sub_f32_e32 v50, v82, v50
	v_add_f32_e32 v52, v50, v51
	v_frexp_mant_f32_e32 v53, v37
	s_mov_b32 s16, 0x3f2aaaab
	v_cvt_f64_f32_e32 v[50:51], v37
	v_frexp_exp_i32_f64_e32 v50, v[50:51]
	v_cmp_gt_f32_e64 s[16:17], s16, v53
	v_subbrev_co_u32_e64 v66, s[16:17], 0, v50, s[16:17]
	v_sub_u32_e32 v50, 0, v66
	v_ldexp_f32 v37, v37, v50
	v_ldexp_f32 v50, v52, v50
	v_add_f32_e32 v52, -1.0, v37
	v_add_f32_e32 v51, 1.0, v52
	v_sub_f32_e32 v51, v37, v51
	v_add_f32_e32 v53, v50, v51
	v_add_f32_e32 v51, 1.0, v37
	v_add_f32_e32 v54, -1.0, v51
	v_sub_f32_e32 v37, v37, v54
	v_add_f32_e32 v37, v50, v37
	v_add_f32_e32 v67, v51, v37
	v_rcp_f32_e32 v68, v67
	v_sub_f32_e32 v50, v51, v67
	v_add_f32_e32 v51, v52, v53
	v_add_f32_e32 v37, v37, v50
	v_mul_f32_e32 v70, v51, v68
	v_sub_f32_e32 v50, v52, v51
	v_mul_f32_e32 v52, v67, v70
	v_fma_f32 v54, v70, v67, -v52
	v_fmac_f32_e32 v54, v70, v37
	v_add_f32_e32 v69, v53, v50
	v_add_f32_e32 v50, v52, v54
	v_sub_f32_e32 v53, v51, v50
	v_pk_add_f32 v[64:65], v[50:51], v[52:53] neg_lo:[0,1] neg_hi:[0,1]
	v_mov_b32_e32 v55, v50
	v_pk_add_f32 v[50:51], v[64:65], v[54:55] neg_lo:[0,1] neg_hi:[0,1]
	v_add_f32_e32 v51, v69, v51
	v_add_f32_e32 v50, v50, v51
	;; [unrolled: 1-line block ×3, first 2 shown]
	v_mul_f32_e32 v69, v68, v51
	v_mul_f32_e32 v52, v67, v69
	v_fma_f32 v54, v69, v67, -v52
	v_fmac_f32_e32 v54, v69, v37
	v_sub_f32_e32 v37, v53, v51
	v_add_f32_e32 v37, v50, v37
	v_add_f32_e32 v50, v52, v54
	v_sub_f32_e32 v53, v51, v50
	v_pk_add_f32 v[64:65], v[50:51], v[52:53] neg_lo:[0,1] neg_hi:[0,1]
	v_mov_b32_e32 v55, v50
	v_pk_add_f32 v[50:51], v[64:65], v[54:55] neg_lo:[0,1] neg_hi:[0,1]
	v_add_f32_e32 v37, v37, v51
	v_add_f32_e32 v37, v50, v37
	;; [unrolled: 1-line block ×4, first 2 shown]
	v_sub_f32_e32 v51, v50, v70
	v_mul_f32_e32 v37, v68, v37
	v_sub_f32_e32 v51, v69, v51
	v_add_f32_e32 v37, v51, v37
	v_add_f32_e32 v53, v50, v37
	v_mul_f32_e32 v54, v53, v53
	v_mov_b32_e32 v52, 0x3ecc95a3
	v_fmac_f32_e32 v52, 0x3e9b6dac, v54
	v_mov_b32_e32 v51, 0x3f2aaada
	v_fmac_f32_e32 v51, v54, v52
	v_cvt_f32_i32_e32 v52, v66
	v_sub_f32_e32 v50, v53, v50
	v_sub_f32_e32 v37, v37, v50
	v_ldexp_f32 v55, v53, 1
	v_mul_f32_e32 v53, v53, v54
	v_mov_b32_e32 v50, 0x3f317218
	s_mov_b32 s16, 0x3f317218
	v_pk_mul_f32 v[50:51], v[52:53], v[50:51]
	v_fma_f32 v54, v52, s16, -v50
	v_fmac_f32_e32 v54, 0xb102e308, v52
	v_pk_add_f32 v[52:53], v[50:51], v[54:55]
	v_sub_f32_e32 v55, v53, v55
	v_ldexp_f32 v37, v37, 1
	v_sub_f32_e32 v55, v51, v55
	v_add_f32_e32 v65, v37, v55
	v_mov_b32_e32 v64, v50
	v_pk_add_f32 v[50:51], v[52:53], v[50:51] neg_lo:[0,1] neg_hi:[0,1]
	v_pk_add_f32 v[66:67], v[52:53], v[64:65]
	v_mov_b32_e32 v51, v67
	v_mov_b32_e32 v55, v52
	v_pk_add_f32 v[68:69], v[54:55], v[50:51] neg_lo:[0,1] neg_hi:[0,1]
	v_pk_add_f32 v[50:51], v[54:55], v[50:51]
	v_mov_b32_e32 v54, v51
	v_pk_add_f32 v[70:71], v[54:55], v[52:53] neg_lo:[0,1] neg_hi:[0,1]
	v_mov_b32_e32 v37, v70
	v_pk_add_f32 v[80:81], v[66:67], v[36:37] neg_lo:[0,1] neg_hi:[0,1]
	v_mov_b32_e32 v50, v67
	v_mov_b32_e32 v66, v53
	;; [unrolled: 1-line block ×4, first 2 shown]
	v_pk_add_f32 v[50:51], v[50:51], v[66:67] neg_lo:[0,1] neg_hi:[0,1]
	v_mov_b32_e32 v64, v65
	v_mov_b32_e32 v65, v52
	v_pk_add_f32 v[50:51], v[64:65], v[50:51] neg_lo:[0,1] neg_hi:[0,1]
	v_mov_b32_e32 v80, v68
	v_pk_add_f32 v[52:53], v[80:81], v[50:51]
	v_mov_b32_e32 v64, v53
	v_pk_add_f32 v[64:65], v[52:53], v[64:65]
	v_pk_add_f32 v[54:55], v[54:55], v[64:65]
	v_mov_b32_e32 v53, v54
	v_pk_add_f32 v[66:67], v[52:53], v[68:69] neg_lo:[0,1] neg_hi:[0,1]
	v_mov_b32_e32 v51, v64
	v_sub_f32_e32 v37, v52, v66
	v_pk_add_f32 v[50:51], v[50:51], v[66:67] neg_lo:[0,1] neg_hi:[0,1]
	v_sub_f32_e32 v37, v68, v37
	v_add_f32_e32 v37, v50, v37
	v_cmp_eq_f32_e64 s[16:17], s21, v82
	s_mov_b32 s21, 0x33800000
	v_add_f32_e32 v37, v37, v51
	v_cmp_lt_f32_e64 s[22:23], |v82|, s21
	v_add_f32_e32 v37, v54, v37
	s_or_b64 s[16:17], s[16:17], s[22:23]
	v_cndmask_b32_e64 v37, v37, v82, s[16:17]
	v_add_f32_e32 v50, v22, v37
.LBB512_266:
	s_or_b64 exec, exec, s[18:19]
	v_bfe_u32 v22, v50, 16, 1
	s_movk_i32 s22, 0x7fff
	v_add3_u32 v22, v50, v22, s22
	v_and_b32_e32 v22, 0xffff0000, v22
	v_mov_b32_e32 v37, 0x7fc00000
	v_cmp_o_f32_e64 s[16:17], v50, v50
	v_cndmask_b32_e64 v51, v37, v22, s[16:17]
	v_lshlrev_b32_sdwa v22, v36, v23 dst_sel:DWORD dst_unused:UNUSED_PAD src0_sel:DWORD src1_sel:WORD_0
	v_max_f32_e32 v50, v51, v51
	v_max_f32_e32 v36, v22, v22
	v_min_f32_e32 v52, v50, v36
	v_cmp_u_f32_e64 s[18:19], v51, v51
	v_max_f32_e32 v50, v50, v36
	v_cndmask_b32_e64 v52, v52, v51, s[18:19]
	v_cmp_u_f32_e64 s[16:17], v22, v22
	v_cndmask_b32_e64 v50, v50, v51, s[18:19]
	v_cndmask_b32_e64 v52, v52, v22, s[16:17]
	;; [unrolled: 1-line block ×3, first 2 shown]
	v_cmp_neq_f32_e64 s[18:19], v52, v50
	v_cmp_class_f32_e64 s[20:21], v52, s20
	s_or_b64 s[18:19], s[18:19], s[20:21]
	s_and_saveexec_b64 s[20:21], s[18:19]
	s_cbranch_execz .LBB512_268
; %bb.267:
	v_sub_f32_e32 v51, v52, v50
	s_mov_b32 s18, 0x3fb8aa3b
	v_mul_f32_e32 v52, 0x3fb8aa3b, v51
	v_fma_f32 v53, v51, s18, -v52
	v_rndne_f32_e32 v54, v52
	v_fmac_f32_e32 v53, 0x32a5705f, v51
	v_sub_f32_e32 v52, v52, v54
	v_add_f32_e32 v52, v52, v53
	v_exp_f32_e32 v52, v52
	v_cvt_i32_f32_e32 v53, v54
	s_mov_b32 s18, 0xc2ce8ed0
	v_cmp_ngt_f32_e64 s[18:19], s18, v51
	s_mov_b32 s23, 0x7f800000
	v_ldexp_f32 v52, v52, v53
	v_cndmask_b32_e64 v52, 0, v52, s[18:19]
	s_mov_b32 s18, 0x42b17218
	v_mov_b32_e32 v53, 0x7f800000
	v_cmp_nlt_f32_e64 s[18:19], s18, v51
	v_cndmask_b32_e64 v84, v53, v52, s[18:19]
	v_add_f32_e32 v51, 1.0, v84
	v_add_f32_e32 v52, -1.0, v51
	v_sub_f32_e32 v53, v52, v51
	v_add_f32_e32 v53, 1.0, v53
	v_sub_f32_e32 v52, v84, v52
	v_add_f32_e32 v54, v52, v53
	v_frexp_mant_f32_e32 v55, v51
	s_mov_b32 s18, 0x3f2aaaab
	v_cvt_f64_f32_e32 v[52:53], v51
	v_frexp_exp_i32_f64_e32 v52, v[52:53]
	v_cmp_gt_f32_e64 s[18:19], s18, v55
	v_subbrev_co_u32_e64 v68, s[18:19], 0, v52, s[18:19]
	v_sub_u32_e32 v52, 0, v68
	v_ldexp_f32 v51, v51, v52
	v_ldexp_f32 v52, v54, v52
	v_add_f32_e32 v54, -1.0, v51
	v_add_f32_e32 v53, 1.0, v54
	v_sub_f32_e32 v53, v51, v53
	v_add_f32_e32 v55, v52, v53
	v_add_f32_e32 v53, 1.0, v51
	v_add_f32_e32 v64, -1.0, v53
	v_sub_f32_e32 v51, v51, v64
	v_add_f32_e32 v51, v52, v51
	v_add_f32_e32 v69, v53, v51
	v_rcp_f32_e32 v70, v69
	v_sub_f32_e32 v52, v53, v69
	v_add_f32_e32 v53, v54, v55
	v_add_f32_e32 v51, v51, v52
	v_mul_f32_e32 v80, v53, v70
	v_sub_f32_e32 v52, v54, v53
	v_mul_f32_e32 v54, v69, v80
	v_fma_f32 v64, v80, v69, -v54
	v_fmac_f32_e32 v64, v80, v51
	v_add_f32_e32 v71, v55, v52
	v_add_f32_e32 v52, v54, v64
	v_sub_f32_e32 v55, v53, v52
	v_pk_add_f32 v[66:67], v[52:53], v[54:55] neg_lo:[0,1] neg_hi:[0,1]
	v_mov_b32_e32 v65, v52
	v_pk_add_f32 v[52:53], v[66:67], v[64:65] neg_lo:[0,1] neg_hi:[0,1]
	v_add_f32_e32 v53, v71, v53
	v_add_f32_e32 v52, v52, v53
	;; [unrolled: 1-line block ×3, first 2 shown]
	v_mul_f32_e32 v71, v70, v53
	v_mul_f32_e32 v54, v69, v71
	v_fma_f32 v64, v71, v69, -v54
	v_fmac_f32_e32 v64, v71, v51
	v_sub_f32_e32 v51, v55, v53
	v_add_f32_e32 v51, v52, v51
	v_add_f32_e32 v52, v54, v64
	v_sub_f32_e32 v55, v53, v52
	v_pk_add_f32 v[66:67], v[52:53], v[54:55] neg_lo:[0,1] neg_hi:[0,1]
	v_mov_b32_e32 v65, v52
	v_pk_add_f32 v[52:53], v[66:67], v[64:65] neg_lo:[0,1] neg_hi:[0,1]
	v_add_f32_e32 v51, v51, v53
	v_add_f32_e32 v51, v52, v51
	v_add_f32_e32 v52, v80, v71
	v_add_f32_e32 v51, v55, v51
	v_sub_f32_e32 v53, v52, v80
	v_mul_f32_e32 v51, v70, v51
	v_sub_f32_e32 v53, v71, v53
	v_add_f32_e32 v51, v53, v51
	v_add_f32_e32 v55, v52, v51
	v_mul_f32_e32 v64, v55, v55
	v_mov_b32_e32 v54, 0x3ecc95a3
	v_fmac_f32_e32 v54, 0x3e9b6dac, v64
	v_mov_b32_e32 v53, 0x3f2aaada
	v_fmac_f32_e32 v53, v64, v54
	v_cvt_f32_i32_e32 v54, v68
	v_sub_f32_e32 v52, v55, v52
	v_sub_f32_e32 v51, v51, v52
	v_ldexp_f32 v65, v55, 1
	v_mul_f32_e32 v55, v55, v64
	v_mov_b32_e32 v52, 0x3f317218
	s_mov_b32 s18, 0x3f317218
	v_pk_mul_f32 v[52:53], v[54:55], v[52:53]
	v_fma_f32 v64, v54, s18, -v52
	v_fmac_f32_e32 v64, 0xb102e308, v54
	v_pk_add_f32 v[54:55], v[52:53], v[64:65]
	v_sub_f32_e32 v65, v55, v65
	v_ldexp_f32 v51, v51, 1
	v_sub_f32_e32 v65, v53, v65
	v_add_f32_e32 v67, v51, v65
	v_mov_b32_e32 v66, v52
	v_pk_add_f32 v[52:53], v[54:55], v[52:53] neg_lo:[0,1] neg_hi:[0,1]
	v_pk_add_f32 v[68:69], v[54:55], v[66:67]
	v_mov_b32_e32 v53, v69
	v_mov_b32_e32 v65, v54
	v_pk_add_f32 v[70:71], v[64:65], v[52:53] neg_lo:[0,1] neg_hi:[0,1]
	v_pk_add_f32 v[52:53], v[64:65], v[52:53]
	v_mov_b32_e32 v64, v53
	v_pk_add_f32 v[80:81], v[64:65], v[54:55] neg_lo:[0,1] neg_hi:[0,1]
	v_mov_b32_e32 v51, v80
	v_pk_add_f32 v[82:83], v[68:69], v[50:51] neg_lo:[0,1] neg_hi:[0,1]
	v_mov_b32_e32 v52, v69
	v_mov_b32_e32 v68, v55
	;; [unrolled: 1-line block ×4, first 2 shown]
	v_pk_add_f32 v[52:53], v[52:53], v[68:69] neg_lo:[0,1] neg_hi:[0,1]
	v_mov_b32_e32 v66, v67
	v_mov_b32_e32 v67, v54
	v_pk_add_f32 v[52:53], v[66:67], v[52:53] neg_lo:[0,1] neg_hi:[0,1]
	v_mov_b32_e32 v82, v70
	v_pk_add_f32 v[54:55], v[82:83], v[52:53]
	v_mov_b32_e32 v66, v55
	v_pk_add_f32 v[66:67], v[54:55], v[66:67]
	v_pk_add_f32 v[64:65], v[64:65], v[66:67]
	v_mov_b32_e32 v55, v64
	v_pk_add_f32 v[68:69], v[54:55], v[70:71] neg_lo:[0,1] neg_hi:[0,1]
	v_mov_b32_e32 v53, v66
	v_sub_f32_e32 v51, v54, v68
	v_pk_add_f32 v[52:53], v[52:53], v[68:69] neg_lo:[0,1] neg_hi:[0,1]
	v_sub_f32_e32 v51, v70, v51
	v_add_f32_e32 v51, v52, v51
	v_cmp_eq_f32_e64 s[18:19], s23, v84
	s_mov_b32 s23, 0x33800000
	v_add_f32_e32 v51, v51, v53
	v_cmp_lt_f32_e64 s[24:25], |v84|, s23
	v_add_f32_e32 v51, v64, v51
	s_or_b64 s[18:19], s[18:19], s[24:25]
	v_cndmask_b32_e64 v51, v51, v84, s[18:19]
	v_add_f32_e32 v51, v50, v51
.LBB512_268:
	s_or_b64 exec, exec, s[20:21]
	v_bfe_u32 v50, v51, 16, 1
	v_add3_u32 v50, v51, v50, s22
	v_and_b32_e32 v50, 0xffff0000, v50
	v_cmp_o_f32_e64 s[18:19], v51, v51
	v_cndmask_b32_e64 v52, v37, v50, s[18:19]
	v_mov_b32_e32 v50, 16
	v_lshlrev_b32_sdwa v23, v50, v23 dst_sel:DWORD dst_unused:UNUSED_PAD src0_sel:DWORD src1_sel:WORD_1
	v_max_f32_e32 v51, v52, v52
	v_max_f32_e32 v37, v23, v23
	v_min_f32_e32 v53, v51, v37
	v_cmp_u_f32_e64 s[20:21], v52, v52
	v_max_f32_e32 v51, v51, v37
	v_cndmask_b32_e64 v53, v53, v52, s[20:21]
	v_cmp_u_f32_e64 s[18:19], v23, v23
	v_cndmask_b32_e64 v51, v51, v52, s[20:21]
	v_cndmask_b32_e64 v53, v53, v23, s[18:19]
	;; [unrolled: 1-line block ×3, first 2 shown]
	s_movk_i32 s24, 0x1f8
	v_cmp_neq_f32_e64 s[20:21], v53, v51
	v_cmp_class_f32_e64 s[22:23], v53, s24
	s_or_b64 s[20:21], s[20:21], s[22:23]
	s_and_saveexec_b64 s[22:23], s[20:21]
	s_cbranch_execz .LBB512_270
; %bb.269:
	v_sub_f32_e32 v52, v53, v51
	s_mov_b32 s20, 0x3fb8aa3b
	v_mul_f32_e32 v53, 0x3fb8aa3b, v52
	v_fma_f32 v54, v52, s20, -v53
	v_rndne_f32_e32 v55, v53
	v_fmac_f32_e32 v54, 0x32a5705f, v52
	v_sub_f32_e32 v53, v53, v55
	v_add_f32_e32 v53, v53, v54
	v_exp_f32_e32 v53, v53
	v_cvt_i32_f32_e32 v54, v55
	s_mov_b32 s20, 0xc2ce8ed0
	v_cmp_ngt_f32_e64 s[20:21], s20, v52
	s_mov_b32 s25, 0x7f800000
	v_ldexp_f32 v53, v53, v54
	v_cndmask_b32_e64 v53, 0, v53, s[20:21]
	s_mov_b32 s20, 0x42b17218
	v_mov_b32_e32 v54, 0x7f800000
	v_cmp_nlt_f32_e64 s[20:21], s20, v52
	v_cndmask_b32_e64 v84, v54, v53, s[20:21]
	v_add_f32_e32 v54, 1.0, v84
	v_add_f32_e32 v52, -1.0, v54
	v_sub_f32_e32 v53, v52, v54
	v_add_f32_e32 v53, 1.0, v53
	v_sub_f32_e32 v52, v84, v52
	v_add_f32_e32 v55, v52, v53
	v_frexp_mant_f32_e32 v64, v54
	s_mov_b32 s20, 0x3f2aaaab
	v_cvt_f64_f32_e32 v[52:53], v54
	v_frexp_exp_i32_f64_e32 v52, v[52:53]
	v_cmp_gt_f32_e64 s[20:21], s20, v64
	v_subbrev_co_u32_e64 v68, s[20:21], 0, v52, s[20:21]
	v_sub_u32_e32 v52, 0, v68
	v_ldexp_f32 v53, v54, v52
	v_add_f32_e32 v54, -1.0, v53
	v_add_f32_e32 v64, 1.0, v53
	v_ldexp_f32 v52, v55, v52
	v_add_f32_e32 v55, 1.0, v54
	v_add_f32_e32 v65, -1.0, v64
	v_sub_f32_e32 v55, v53, v55
	v_sub_f32_e32 v53, v53, v65
	v_add_f32_e32 v55, v52, v55
	v_add_f32_e32 v52, v52, v53
	;; [unrolled: 1-line block ×3, first 2 shown]
	v_rcp_f32_e32 v71, v69
	v_sub_f32_e32 v53, v64, v69
	v_add_f32_e32 v70, v52, v53
	v_add_f32_e32 v53, v54, v55
	v_mul_f32_e32 v81, v53, v71
	v_sub_f32_e32 v52, v54, v53
	v_mul_f32_e32 v54, v69, v81
	v_fma_f32 v64, v81, v69, -v54
	v_fmac_f32_e32 v64, v81, v70
	v_add_f32_e32 v80, v55, v52
	v_add_f32_e32 v52, v54, v64
	v_sub_f32_e32 v55, v53, v52
	v_pk_add_f32 v[66:67], v[52:53], v[54:55] neg_lo:[0,1] neg_hi:[0,1]
	v_mov_b32_e32 v65, v52
	v_pk_add_f32 v[52:53], v[66:67], v[64:65] neg_lo:[0,1] neg_hi:[0,1]
	v_add_f32_e32 v53, v80, v53
	v_add_f32_e32 v52, v52, v53
	;; [unrolled: 1-line block ×3, first 2 shown]
	v_mul_f32_e32 v80, v71, v53
	v_mul_f32_e32 v54, v69, v80
	v_fma_f32 v64, v80, v69, -v54
	v_fmac_f32_e32 v64, v80, v70
	v_sub_f32_e32 v55, v55, v53
	v_add_f32_e32 v69, v52, v55
	v_add_f32_e32 v52, v54, v64
	v_sub_f32_e32 v55, v53, v52
	v_pk_add_f32 v[66:67], v[52:53], v[54:55] neg_lo:[0,1] neg_hi:[0,1]
	v_mov_b32_e32 v65, v52
	v_pk_add_f32 v[52:53], v[66:67], v[64:65] neg_lo:[0,1] neg_hi:[0,1]
	v_add_f32_e32 v53, v69, v53
	v_add_f32_e32 v52, v52, v53
	;; [unrolled: 1-line block ×4, first 2 shown]
	v_sub_f32_e32 v53, v55, v81
	v_mul_f32_e32 v52, v71, v52
	v_sub_f32_e32 v53, v80, v53
	v_add_f32_e32 v52, v53, v52
	v_add_f32_e32 v64, v55, v52
	v_mul_f32_e32 v66, v64, v64
	v_mov_b32_e32 v54, 0x3ecc95a3
	v_fmac_f32_e32 v54, 0x3e9b6dac, v66
	v_mov_b32_e32 v53, 0x3f2aaada
	v_fmac_f32_e32 v53, v66, v54
	v_cvt_f32_i32_e32 v54, v68
	v_sub_f32_e32 v55, v64, v55
	v_sub_f32_e32 v52, v52, v55
	v_ldexp_f32 v67, v52, 1
	v_mul_f32_e32 v55, v64, v66
	v_mov_b32_e32 v52, 0x3f317218
	s_mov_b32 s20, 0x3f317218
	v_pk_mul_f32 v[52:53], v[54:55], v[52:53]
	v_ldexp_f32 v65, v64, 1
	v_fma_f32 v64, v54, s20, -v52
	v_fmac_f32_e32 v64, 0xb102e308, v54
	v_pk_add_f32 v[54:55], v[52:53], v[64:65]
	v_sub_f32_e32 v65, v55, v65
	v_sub_f32_e32 v65, v53, v65
	v_add_f32_e32 v67, v67, v65
	v_mov_b32_e32 v66, v52
	v_pk_add_f32 v[52:53], v[54:55], v[52:53] neg_lo:[0,1] neg_hi:[0,1]
	v_pk_add_f32 v[68:69], v[54:55], v[66:67]
	v_mov_b32_e32 v53, v69
	v_mov_b32_e32 v65, v54
	v_pk_add_f32 v[70:71], v[64:65], v[52:53] neg_lo:[0,1] neg_hi:[0,1]
	v_pk_add_f32 v[52:53], v[64:65], v[52:53]
	v_mov_b32_e32 v64, v53
	v_pk_add_f32 v[80:81], v[64:65], v[54:55] neg_lo:[0,1] neg_hi:[0,1]
	v_mov_b32_e32 v65, v80
	v_pk_add_f32 v[82:83], v[68:69], v[64:65] neg_lo:[0,1] neg_hi:[0,1]
	v_mov_b32_e32 v52, v69
	v_mov_b32_e32 v68, v55
	;; [unrolled: 1-line block ×4, first 2 shown]
	v_pk_add_f32 v[52:53], v[52:53], v[68:69] neg_lo:[0,1] neg_hi:[0,1]
	v_mov_b32_e32 v66, v67
	v_mov_b32_e32 v67, v54
	v_pk_add_f32 v[52:53], v[66:67], v[52:53] neg_lo:[0,1] neg_hi:[0,1]
	v_mov_b32_e32 v82, v70
	v_pk_add_f32 v[54:55], v[82:83], v[52:53]
	v_mov_b32_e32 v66, v55
	v_pk_add_f32 v[66:67], v[54:55], v[66:67]
	v_pk_add_f32 v[64:65], v[64:65], v[66:67]
	v_mov_b32_e32 v55, v64
	v_pk_add_f32 v[68:69], v[54:55], v[70:71] neg_lo:[0,1] neg_hi:[0,1]
	v_mov_b32_e32 v53, v66
	v_sub_f32_e32 v54, v54, v68
	v_pk_add_f32 v[52:53], v[52:53], v[68:69] neg_lo:[0,1] neg_hi:[0,1]
	v_sub_f32_e32 v54, v70, v54
	v_add_f32_e32 v52, v52, v54
	v_cmp_eq_f32_e64 s[20:21], s25, v84
	s_mov_b32 s25, 0x33800000
	v_add_f32_e32 v52, v52, v53
	v_cmp_lt_f32_e64 s[26:27], |v84|, s25
	v_add_f32_e32 v52, v64, v52
	s_or_b64 s[20:21], s[20:21], s[26:27]
	v_cndmask_b32_e64 v52, v52, v84, s[20:21]
	v_add_f32_e32 v52, v51, v52
.LBB512_270:
	s_or_b64 exec, exec, s[22:23]
	v_bfe_u32 v51, v52, 16, 1
	s_movk_i32 s26, 0x7fff
	v_add3_u32 v51, v52, v51, s26
	v_and_b32_e32 v53, 0xffff0000, v51
	v_mov_b32_e32 v51, 0x7fc00000
	v_cmp_o_f32_e64 s[20:21], v52, v52
	v_cndmask_b32_e64 v54, v51, v53, s[20:21]
	v_lshlrev_b32_sdwa v50, v50, v16 dst_sel:DWORD dst_unused:UNUSED_PAD src0_sel:DWORD src1_sel:WORD_0
	v_max_f32_e32 v53, v54, v54
	v_max_f32_e32 v52, v50, v50
	v_min_f32_e32 v55, v53, v52
	v_cmp_u_f32_e64 s[22:23], v54, v54
	v_max_f32_e32 v53, v53, v52
	v_cndmask_b32_e64 v55, v55, v54, s[22:23]
	v_cmp_u_f32_e64 s[20:21], v50, v50
	v_cndmask_b32_e64 v53, v53, v54, s[22:23]
	v_cndmask_b32_e64 v55, v55, v50, s[20:21]
	v_cndmask_b32_e64 v53, v53, v50, s[20:21]
	v_cmp_neq_f32_e64 s[22:23], v55, v53
	v_cmp_class_f32_e64 s[24:25], v55, s24
	s_or_b64 s[22:23], s[22:23], s[24:25]
	s_and_saveexec_b64 s[24:25], s[22:23]
	s_cbranch_execz .LBB512_272
; %bb.271:
	v_sub_f32_e32 v54, v55, v53
	s_mov_b32 s22, 0x3fb8aa3b
	v_mul_f32_e32 v55, 0x3fb8aa3b, v54
	v_fma_f32 v64, v54, s22, -v55
	v_rndne_f32_e32 v65, v55
	v_fmac_f32_e32 v64, 0x32a5705f, v54
	v_sub_f32_e32 v55, v55, v65
	v_add_f32_e32 v55, v55, v64
	v_exp_f32_e32 v55, v55
	v_cvt_i32_f32_e32 v64, v65
	s_mov_b32 s22, 0xc2ce8ed0
	v_cmp_ngt_f32_e64 s[22:23], s22, v54
	s_mov_b32 s27, 0x7f800000
	v_ldexp_f32 v55, v55, v64
	v_cndmask_b32_e64 v55, 0, v55, s[22:23]
	s_mov_b32 s22, 0x42b17218
	v_mov_b32_e32 v64, 0x7f800000
	v_cmp_nlt_f32_e64 s[22:23], s22, v54
	v_cndmask_b32_e64 v86, v64, v55, s[22:23]
	v_add_f32_e32 v64, 1.0, v86
	v_add_f32_e32 v54, -1.0, v64
	v_sub_f32_e32 v55, v54, v64
	v_add_f32_e32 v55, 1.0, v55
	v_sub_f32_e32 v54, v86, v54
	v_add_f32_e32 v65, v54, v55
	v_frexp_mant_f32_e32 v66, v64
	s_mov_b32 s22, 0x3f2aaaab
	v_cvt_f64_f32_e32 v[54:55], v64
	v_frexp_exp_i32_f64_e32 v54, v[54:55]
	v_cmp_gt_f32_e64 s[22:23], s22, v66
	v_subbrev_co_u32_e64 v70, s[22:23], 0, v54, s[22:23]
	v_sub_u32_e32 v54, 0, v70
	v_ldexp_f32 v55, v64, v54
	v_add_f32_e32 v64, -1.0, v55
	v_add_f32_e32 v66, 1.0, v55
	v_ldexp_f32 v54, v65, v54
	v_add_f32_e32 v65, 1.0, v64
	v_add_f32_e32 v67, -1.0, v66
	v_sub_f32_e32 v65, v55, v65
	v_sub_f32_e32 v55, v55, v67
	v_add_f32_e32 v65, v54, v65
	v_add_f32_e32 v54, v54, v55
	v_add_f32_e32 v71, v66, v54
	v_rcp_f32_e32 v81, v71
	v_sub_f32_e32 v55, v66, v71
	v_add_f32_e32 v80, v54, v55
	v_add_f32_e32 v55, v64, v65
	v_mul_f32_e32 v83, v55, v81
	v_sub_f32_e32 v54, v64, v55
	v_mul_f32_e32 v64, v71, v83
	v_fma_f32 v66, v83, v71, -v64
	v_fmac_f32_e32 v66, v83, v80
	v_add_f32_e32 v82, v65, v54
	v_add_f32_e32 v54, v64, v66
	v_sub_f32_e32 v65, v55, v54
	v_pk_add_f32 v[68:69], v[54:55], v[64:65] neg_lo:[0,1] neg_hi:[0,1]
	v_mov_b32_e32 v67, v54
	v_pk_add_f32 v[54:55], v[68:69], v[66:67] neg_lo:[0,1] neg_hi:[0,1]
	v_add_f32_e32 v55, v82, v55
	v_add_f32_e32 v54, v54, v55
	;; [unrolled: 1-line block ×3, first 2 shown]
	v_mul_f32_e32 v82, v81, v55
	v_mul_f32_e32 v64, v71, v82
	v_fma_f32 v66, v82, v71, -v64
	v_fmac_f32_e32 v66, v82, v80
	v_sub_f32_e32 v65, v65, v55
	v_add_f32_e32 v71, v54, v65
	v_add_f32_e32 v54, v64, v66
	v_sub_f32_e32 v65, v55, v54
	v_pk_add_f32 v[68:69], v[54:55], v[64:65] neg_lo:[0,1] neg_hi:[0,1]
	v_mov_b32_e32 v67, v54
	v_pk_add_f32 v[54:55], v[68:69], v[66:67] neg_lo:[0,1] neg_hi:[0,1]
	v_add_f32_e32 v55, v71, v55
	v_add_f32_e32 v54, v54, v55
	;; [unrolled: 1-line block ×4, first 2 shown]
	v_sub_f32_e32 v55, v65, v83
	v_mul_f32_e32 v54, v81, v54
	v_sub_f32_e32 v55, v82, v55
	v_add_f32_e32 v54, v55, v54
	v_add_f32_e32 v66, v65, v54
	v_mul_f32_e32 v68, v66, v66
	v_mov_b32_e32 v64, 0x3ecc95a3
	v_fmac_f32_e32 v64, 0x3e9b6dac, v68
	v_mov_b32_e32 v55, 0x3f2aaada
	v_fmac_f32_e32 v55, v68, v64
	v_cvt_f32_i32_e32 v64, v70
	v_sub_f32_e32 v65, v66, v65
	v_sub_f32_e32 v54, v54, v65
	v_ldexp_f32 v69, v54, 1
	v_mul_f32_e32 v65, v66, v68
	v_mov_b32_e32 v54, 0x3f317218
	s_mov_b32 s22, 0x3f317218
	v_pk_mul_f32 v[54:55], v[64:65], v[54:55]
	v_ldexp_f32 v67, v66, 1
	v_fma_f32 v66, v64, s22, -v54
	v_fmac_f32_e32 v66, 0xb102e308, v64
	v_pk_add_f32 v[64:65], v[54:55], v[66:67]
	v_sub_f32_e32 v67, v65, v67
	v_sub_f32_e32 v67, v55, v67
	v_add_f32_e32 v69, v69, v67
	v_mov_b32_e32 v68, v54
	v_pk_add_f32 v[54:55], v[64:65], v[54:55] neg_lo:[0,1] neg_hi:[0,1]
	v_pk_add_f32 v[70:71], v[64:65], v[68:69]
	v_mov_b32_e32 v55, v71
	v_mov_b32_e32 v67, v64
	v_pk_add_f32 v[80:81], v[66:67], v[54:55] neg_lo:[0,1] neg_hi:[0,1]
	v_pk_add_f32 v[54:55], v[66:67], v[54:55]
	v_mov_b32_e32 v66, v55
	v_pk_add_f32 v[82:83], v[66:67], v[64:65] neg_lo:[0,1] neg_hi:[0,1]
	v_mov_b32_e32 v67, v82
	v_pk_add_f32 v[84:85], v[70:71], v[66:67] neg_lo:[0,1] neg_hi:[0,1]
	v_mov_b32_e32 v54, v71
	v_mov_b32_e32 v70, v65
	;; [unrolled: 1-line block ×4, first 2 shown]
	v_pk_add_f32 v[54:55], v[54:55], v[70:71] neg_lo:[0,1] neg_hi:[0,1]
	v_mov_b32_e32 v68, v69
	v_mov_b32_e32 v69, v64
	v_pk_add_f32 v[54:55], v[68:69], v[54:55] neg_lo:[0,1] neg_hi:[0,1]
	v_mov_b32_e32 v84, v80
	v_pk_add_f32 v[64:65], v[84:85], v[54:55]
	v_mov_b32_e32 v68, v65
	v_pk_add_f32 v[68:69], v[64:65], v[68:69]
	v_pk_add_f32 v[66:67], v[66:67], v[68:69]
	v_mov_b32_e32 v65, v66
	v_pk_add_f32 v[70:71], v[64:65], v[80:81] neg_lo:[0,1] neg_hi:[0,1]
	v_mov_b32_e32 v55, v68
	v_sub_f32_e32 v64, v64, v70
	v_pk_add_f32 v[54:55], v[54:55], v[70:71] neg_lo:[0,1] neg_hi:[0,1]
	v_sub_f32_e32 v64, v80, v64
	v_add_f32_e32 v54, v54, v64
	v_cmp_eq_f32_e64 s[22:23], s27, v86
	s_mov_b32 s27, 0x33800000
	v_add_f32_e32 v54, v54, v55
	v_cmp_lt_f32_e64 s[28:29], |v86|, s27
	v_add_f32_e32 v54, v66, v54
	s_or_b64 s[22:23], s[22:23], s[28:29]
	v_cndmask_b32_e64 v54, v54, v86, s[22:23]
	v_add_f32_e32 v54, v53, v54
.LBB512_272:
	s_or_b64 exec, exec, s[24:25]
	v_bfe_u32 v53, v54, 16, 1
	v_add3_u32 v53, v54, v53, s26
	v_and_b32_e32 v53, 0xffff0000, v53
	v_cmp_o_f32_e64 s[22:23], v54, v54
	v_cndmask_b32_e64 v55, v51, v53, s[22:23]
	v_mov_b32_e32 v51, 16
	v_lshlrev_b32_sdwa v16, v51, v16 dst_sel:DWORD dst_unused:UNUSED_PAD src0_sel:DWORD src1_sel:WORD_1
	v_max_f32_e32 v54, v55, v55
	v_max_f32_e32 v53, v16, v16
	v_min_f32_e32 v64, v54, v53
	v_cmp_u_f32_e64 s[24:25], v55, v55
	v_max_f32_e32 v54, v54, v53
	v_cndmask_b32_e64 v64, v64, v55, s[24:25]
	v_cmp_u_f32_e64 s[22:23], v16, v16
	v_cndmask_b32_e64 v54, v54, v55, s[24:25]
	v_cndmask_b32_e64 v64, v64, v16, s[22:23]
	;; [unrolled: 1-line block ×3, first 2 shown]
	s_movk_i32 s28, 0x1f8
	v_cmp_neq_f32_e64 s[24:25], v64, v54
	v_cmp_class_f32_e64 s[26:27], v64, s28
	s_or_b64 s[24:25], s[24:25], s[26:27]
	s_and_saveexec_b64 s[26:27], s[24:25]
	s_cbranch_execz .LBB512_274
; %bb.273:
	v_sub_f32_e32 v55, v64, v54
	s_mov_b32 s24, 0x3fb8aa3b
	v_mul_f32_e32 v64, 0x3fb8aa3b, v55
	v_fma_f32 v65, v55, s24, -v64
	v_rndne_f32_e32 v66, v64
	v_fmac_f32_e32 v65, 0x32a5705f, v55
	v_sub_f32_e32 v64, v64, v66
	v_add_f32_e32 v64, v64, v65
	v_exp_f32_e32 v64, v64
	v_cvt_i32_f32_e32 v65, v66
	s_mov_b32 s24, 0xc2ce8ed0
	v_cmp_ngt_f32_e64 s[24:25], s24, v55
	s_mov_b32 s29, 0x7f800000
	v_ldexp_f32 v64, v64, v65
	v_cndmask_b32_e64 v64, 0, v64, s[24:25]
	s_mov_b32 s24, 0x42b17218
	v_mov_b32_e32 v65, 0x7f800000
	v_cmp_nlt_f32_e64 s[24:25], s24, v55
	v_cndmask_b32_e64 v96, v65, v64, s[24:25]
	v_add_f32_e32 v55, 1.0, v96
	v_add_f32_e32 v64, -1.0, v55
	v_sub_f32_e32 v65, v64, v55
	v_add_f32_e32 v65, 1.0, v65
	v_sub_f32_e32 v64, v96, v64
	v_add_f32_e32 v66, v64, v65
	v_frexp_mant_f32_e32 v67, v55
	s_mov_b32 s24, 0x3f2aaaab
	v_cvt_f64_f32_e32 v[64:65], v55
	v_frexp_exp_i32_f64_e32 v64, v[64:65]
	v_cmp_gt_f32_e64 s[24:25], s24, v67
	v_subbrev_co_u32_e64 v80, s[24:25], 0, v64, s[24:25]
	v_sub_u32_e32 v64, 0, v80
	v_ldexp_f32 v55, v55, v64
	v_ldexp_f32 v64, v66, v64
	v_add_f32_e32 v66, -1.0, v55
	v_add_f32_e32 v65, 1.0, v66
	v_sub_f32_e32 v65, v55, v65
	v_add_f32_e32 v67, v64, v65
	v_add_f32_e32 v65, 1.0, v55
	v_add_f32_e32 v68, -1.0, v65
	v_sub_f32_e32 v55, v55, v68
	v_add_f32_e32 v55, v64, v55
	v_add_f32_e32 v81, v65, v55
	v_rcp_f32_e32 v82, v81
	v_sub_f32_e32 v64, v65, v81
	v_add_f32_e32 v65, v66, v67
	v_add_f32_e32 v55, v55, v64
	v_mul_f32_e32 v84, v65, v82
	v_sub_f32_e32 v64, v66, v65
	v_mul_f32_e32 v66, v81, v84
	v_fma_f32 v68, v84, v81, -v66
	v_fmac_f32_e32 v68, v84, v55
	v_add_f32_e32 v83, v67, v64
	v_add_f32_e32 v64, v66, v68
	v_sub_f32_e32 v67, v65, v64
	v_pk_add_f32 v[70:71], v[64:65], v[66:67] neg_lo:[0,1] neg_hi:[0,1]
	v_mov_b32_e32 v69, v64
	v_pk_add_f32 v[64:65], v[70:71], v[68:69] neg_lo:[0,1] neg_hi:[0,1]
	v_add_f32_e32 v65, v83, v65
	v_add_f32_e32 v64, v64, v65
	;; [unrolled: 1-line block ×3, first 2 shown]
	v_mul_f32_e32 v83, v82, v65
	v_mul_f32_e32 v66, v81, v83
	v_fma_f32 v68, v83, v81, -v66
	v_fmac_f32_e32 v68, v83, v55
	v_sub_f32_e32 v55, v67, v65
	v_add_f32_e32 v55, v64, v55
	v_add_f32_e32 v64, v66, v68
	v_sub_f32_e32 v67, v65, v64
	v_pk_add_f32 v[70:71], v[64:65], v[66:67] neg_lo:[0,1] neg_hi:[0,1]
	v_mov_b32_e32 v69, v64
	v_pk_add_f32 v[64:65], v[70:71], v[68:69] neg_lo:[0,1] neg_hi:[0,1]
	v_add_f32_e32 v55, v55, v65
	v_add_f32_e32 v55, v64, v55
	v_add_f32_e32 v64, v84, v83
	v_add_f32_e32 v55, v67, v55
	v_sub_f32_e32 v65, v64, v84
	v_mul_f32_e32 v55, v82, v55
	v_sub_f32_e32 v65, v83, v65
	v_add_f32_e32 v55, v65, v55
	v_add_f32_e32 v67, v64, v55
	v_mul_f32_e32 v68, v67, v67
	v_mov_b32_e32 v66, 0x3ecc95a3
	v_fmac_f32_e32 v66, 0x3e9b6dac, v68
	v_mov_b32_e32 v65, 0x3f2aaada
	v_fmac_f32_e32 v65, v68, v66
	v_cvt_f32_i32_e32 v66, v80
	v_sub_f32_e32 v64, v67, v64
	v_sub_f32_e32 v55, v55, v64
	v_ldexp_f32 v69, v67, 1
	v_mul_f32_e32 v67, v67, v68
	v_mov_b32_e32 v64, 0x3f317218
	s_mov_b32 s24, 0x3f317218
	v_pk_mul_f32 v[64:65], v[66:67], v[64:65]
	v_fma_f32 v68, v66, s24, -v64
	v_fmac_f32_e32 v68, 0xb102e308, v66
	v_pk_add_f32 v[66:67], v[64:65], v[68:69]
	v_sub_f32_e32 v69, v67, v69
	v_ldexp_f32 v55, v55, 1
	v_sub_f32_e32 v69, v65, v69
	v_add_f32_e32 v71, v55, v69
	v_mov_b32_e32 v70, v64
	v_pk_add_f32 v[64:65], v[66:67], v[64:65] neg_lo:[0,1] neg_hi:[0,1]
	v_pk_add_f32 v[80:81], v[66:67], v[70:71]
	v_mov_b32_e32 v65, v81
	v_mov_b32_e32 v69, v66
	v_pk_add_f32 v[82:83], v[68:69], v[64:65] neg_lo:[0,1] neg_hi:[0,1]
	v_pk_add_f32 v[64:65], v[68:69], v[64:65]
	v_mov_b32_e32 v68, v65
	v_pk_add_f32 v[84:85], v[68:69], v[66:67] neg_lo:[0,1] neg_hi:[0,1]
	v_mov_b32_e32 v55, v84
	v_pk_add_f32 v[86:87], v[80:81], v[54:55] neg_lo:[0,1] neg_hi:[0,1]
	v_mov_b32_e32 v64, v81
	v_mov_b32_e32 v80, v67
	;; [unrolled: 1-line block ×4, first 2 shown]
	v_pk_add_f32 v[64:65], v[64:65], v[80:81] neg_lo:[0,1] neg_hi:[0,1]
	v_mov_b32_e32 v70, v71
	v_mov_b32_e32 v71, v66
	v_pk_add_f32 v[64:65], v[70:71], v[64:65] neg_lo:[0,1] neg_hi:[0,1]
	v_mov_b32_e32 v86, v82
	v_pk_add_f32 v[66:67], v[86:87], v[64:65]
	v_mov_b32_e32 v70, v67
	v_pk_add_f32 v[70:71], v[66:67], v[70:71]
	v_pk_add_f32 v[68:69], v[68:69], v[70:71]
	v_mov_b32_e32 v67, v68
	v_pk_add_f32 v[80:81], v[66:67], v[82:83] neg_lo:[0,1] neg_hi:[0,1]
	v_mov_b32_e32 v65, v70
	v_sub_f32_e32 v55, v66, v80
	v_pk_add_f32 v[64:65], v[64:65], v[80:81] neg_lo:[0,1] neg_hi:[0,1]
	v_sub_f32_e32 v55, v82, v55
	v_add_f32_e32 v55, v64, v55
	v_cmp_eq_f32_e64 s[24:25], s29, v96
	s_mov_b32 s29, 0x33800000
	v_add_f32_e32 v55, v55, v65
	v_cmp_lt_f32_e64 s[30:31], |v96|, s29
	v_add_f32_e32 v55, v68, v55
	s_or_b64 s[24:25], s[24:25], s[30:31]
	v_cndmask_b32_e64 v55, v55, v96, s[24:25]
	v_add_f32_e32 v55, v54, v55
.LBB512_274:
	s_or_b64 exec, exec, s[26:27]
	v_bfe_u32 v54, v55, 16, 1
	s_movk_i32 s30, 0x7fff
	v_add3_u32 v54, v55, v54, s30
	v_and_b32_e32 v64, 0xffff0000, v54
	v_mov_b32_e32 v54, 0x7fc00000
	v_cmp_o_f32_e64 s[24:25], v55, v55
	v_cndmask_b32_e64 v65, v54, v64, s[24:25]
	v_lshlrev_b32_sdwa v51, v51, v17 dst_sel:DWORD dst_unused:UNUSED_PAD src0_sel:DWORD src1_sel:WORD_0
	v_max_f32_e32 v64, v65, v65
	v_max_f32_e32 v55, v51, v51
	v_min_f32_e32 v66, v64, v55
	v_cmp_u_f32_e64 s[26:27], v65, v65
	v_max_f32_e32 v64, v64, v55
	v_cndmask_b32_e64 v66, v66, v65, s[26:27]
	v_cmp_u_f32_e64 s[24:25], v51, v51
	v_cndmask_b32_e64 v64, v64, v65, s[26:27]
	v_cndmask_b32_e64 v66, v66, v51, s[24:25]
	;; [unrolled: 1-line block ×3, first 2 shown]
	v_cmp_neq_f32_e64 s[26:27], v66, v64
	v_cmp_class_f32_e64 s[28:29], v66, s28
	s_or_b64 s[26:27], s[26:27], s[28:29]
	s_and_saveexec_b64 s[28:29], s[26:27]
	s_cbranch_execz .LBB512_276
; %bb.275:
	v_sub_f32_e32 v65, v66, v64
	s_mov_b32 s26, 0x3fb8aa3b
	v_mul_f32_e32 v66, 0x3fb8aa3b, v65
	v_fma_f32 v67, v65, s26, -v66
	v_rndne_f32_e32 v68, v66
	v_fmac_f32_e32 v67, 0x32a5705f, v65
	v_sub_f32_e32 v66, v66, v68
	v_add_f32_e32 v66, v66, v67
	v_exp_f32_e32 v66, v66
	v_cvt_i32_f32_e32 v67, v68
	s_mov_b32 s26, 0xc2ce8ed0
	v_cmp_ngt_f32_e64 s[26:27], s26, v65
	s_mov_b32 s31, 0x7f800000
	v_ldexp_f32 v66, v66, v67
	v_cndmask_b32_e64 v66, 0, v66, s[26:27]
	s_mov_b32 s26, 0x42b17218
	v_mov_b32_e32 v67, 0x7f800000
	v_cmp_nlt_f32_e64 s[26:27], s26, v65
	v_cndmask_b32_e64 v101, v67, v66, s[26:27]
	v_add_f32_e32 v65, 1.0, v101
	v_add_f32_e32 v66, -1.0, v65
	v_sub_f32_e32 v67, v66, v65
	v_add_f32_e32 v67, 1.0, v67
	v_sub_f32_e32 v66, v101, v66
	v_add_f32_e32 v68, v66, v67
	v_frexp_mant_f32_e32 v69, v65
	s_mov_b32 s26, 0x3f2aaaab
	v_cvt_f64_f32_e32 v[66:67], v65
	v_frexp_exp_i32_f64_e32 v66, v[66:67]
	v_cmp_gt_f32_e64 s[26:27], s26, v69
	v_subbrev_co_u32_e64 v82, s[26:27], 0, v66, s[26:27]
	v_sub_u32_e32 v66, 0, v82
	v_ldexp_f32 v65, v65, v66
	v_ldexp_f32 v66, v68, v66
	v_add_f32_e32 v68, -1.0, v65
	v_add_f32_e32 v67, 1.0, v68
	v_sub_f32_e32 v67, v65, v67
	v_add_f32_e32 v69, v66, v67
	v_add_f32_e32 v67, 1.0, v65
	v_add_f32_e32 v70, -1.0, v67
	v_sub_f32_e32 v65, v65, v70
	v_add_f32_e32 v65, v66, v65
	v_add_f32_e32 v83, v67, v65
	v_rcp_f32_e32 v84, v83
	v_sub_f32_e32 v66, v67, v83
	v_add_f32_e32 v67, v68, v69
	v_add_f32_e32 v65, v65, v66
	v_mul_f32_e32 v86, v67, v84
	v_sub_f32_e32 v66, v68, v67
	v_mul_f32_e32 v68, v83, v86
	v_fma_f32 v70, v86, v83, -v68
	v_fmac_f32_e32 v70, v86, v65
	v_add_f32_e32 v85, v69, v66
	v_add_f32_e32 v66, v68, v70
	v_sub_f32_e32 v69, v67, v66
	v_pk_add_f32 v[80:81], v[66:67], v[68:69] neg_lo:[0,1] neg_hi:[0,1]
	v_mov_b32_e32 v71, v66
	v_pk_add_f32 v[66:67], v[80:81], v[70:71] neg_lo:[0,1] neg_hi:[0,1]
	v_add_f32_e32 v67, v85, v67
	v_add_f32_e32 v66, v66, v67
	;; [unrolled: 1-line block ×3, first 2 shown]
	v_mul_f32_e32 v85, v84, v67
	v_mul_f32_e32 v68, v83, v85
	v_fma_f32 v70, v85, v83, -v68
	v_fmac_f32_e32 v70, v85, v65
	v_sub_f32_e32 v65, v69, v67
	v_add_f32_e32 v65, v66, v65
	v_add_f32_e32 v66, v68, v70
	v_sub_f32_e32 v69, v67, v66
	v_pk_add_f32 v[80:81], v[66:67], v[68:69] neg_lo:[0,1] neg_hi:[0,1]
	v_mov_b32_e32 v71, v66
	v_pk_add_f32 v[66:67], v[80:81], v[70:71] neg_lo:[0,1] neg_hi:[0,1]
	v_add_f32_e32 v65, v65, v67
	v_add_f32_e32 v65, v66, v65
	;; [unrolled: 1-line block ×4, first 2 shown]
	v_sub_f32_e32 v67, v66, v86
	v_mul_f32_e32 v65, v84, v65
	v_sub_f32_e32 v67, v85, v67
	v_add_f32_e32 v65, v67, v65
	v_add_f32_e32 v69, v66, v65
	v_mul_f32_e32 v70, v69, v69
	v_mov_b32_e32 v68, 0x3ecc95a3
	v_fmac_f32_e32 v68, 0x3e9b6dac, v70
	v_mov_b32_e32 v67, 0x3f2aaada
	v_fmac_f32_e32 v67, v70, v68
	v_cvt_f32_i32_e32 v68, v82
	v_sub_f32_e32 v66, v69, v66
	v_sub_f32_e32 v65, v65, v66
	v_ldexp_f32 v71, v69, 1
	v_mul_f32_e32 v69, v69, v70
	v_mov_b32_e32 v66, 0x3f317218
	s_mov_b32 s26, 0x3f317218
	v_pk_mul_f32 v[66:67], v[68:69], v[66:67]
	v_fma_f32 v70, v68, s26, -v66
	v_fmac_f32_e32 v70, 0xb102e308, v68
	v_pk_add_f32 v[68:69], v[66:67], v[70:71]
	v_sub_f32_e32 v71, v69, v71
	v_ldexp_f32 v65, v65, 1
	v_sub_f32_e32 v71, v67, v71
	v_add_f32_e32 v81, v65, v71
	v_mov_b32_e32 v80, v66
	v_pk_add_f32 v[66:67], v[68:69], v[66:67] neg_lo:[0,1] neg_hi:[0,1]
	v_pk_add_f32 v[82:83], v[68:69], v[80:81]
	v_mov_b32_e32 v67, v83
	v_mov_b32_e32 v71, v68
	v_pk_add_f32 v[84:85], v[70:71], v[66:67] neg_lo:[0,1] neg_hi:[0,1]
	v_pk_add_f32 v[66:67], v[70:71], v[66:67]
	v_mov_b32_e32 v70, v67
	v_pk_add_f32 v[86:87], v[70:71], v[68:69] neg_lo:[0,1] neg_hi:[0,1]
	v_mov_b32_e32 v65, v86
	v_pk_add_f32 v[96:97], v[82:83], v[64:65] neg_lo:[0,1] neg_hi:[0,1]
	v_mov_b32_e32 v66, v83
	v_mov_b32_e32 v82, v69
	;; [unrolled: 1-line block ×4, first 2 shown]
	v_pk_add_f32 v[66:67], v[66:67], v[82:83] neg_lo:[0,1] neg_hi:[0,1]
	v_mov_b32_e32 v80, v81
	v_mov_b32_e32 v81, v68
	v_pk_add_f32 v[66:67], v[80:81], v[66:67] neg_lo:[0,1] neg_hi:[0,1]
	v_mov_b32_e32 v96, v84
	v_pk_add_f32 v[68:69], v[96:97], v[66:67]
	v_mov_b32_e32 v80, v69
	v_pk_add_f32 v[80:81], v[68:69], v[80:81]
	v_pk_add_f32 v[70:71], v[70:71], v[80:81]
	v_mov_b32_e32 v69, v70
	v_pk_add_f32 v[82:83], v[68:69], v[84:85] neg_lo:[0,1] neg_hi:[0,1]
	v_mov_b32_e32 v67, v80
	v_sub_f32_e32 v65, v68, v82
	v_pk_add_f32 v[66:67], v[66:67], v[82:83] neg_lo:[0,1] neg_hi:[0,1]
	v_sub_f32_e32 v65, v84, v65
	v_add_f32_e32 v65, v66, v65
	v_cmp_eq_f32_e64 s[26:27], s31, v101
	s_mov_b32 s31, 0x33800000
	v_add_f32_e32 v65, v65, v67
	v_cmp_lt_f32_e64 s[34:35], |v101|, s31
	v_add_f32_e32 v65, v70, v65
	s_or_b64 s[26:27], s[26:27], s[34:35]
	v_cndmask_b32_e64 v65, v65, v101, s[26:27]
	v_add_f32_e32 v65, v64, v65
.LBB512_276:
	s_or_b64 exec, exec, s[28:29]
	v_bfe_u32 v64, v65, 16, 1
	v_add3_u32 v64, v65, v64, s30
	v_and_b32_e32 v64, 0xffff0000, v64
	v_cmp_o_f32_e64 s[26:27], v65, v65
	v_cndmask_b32_e64 v66, v54, v64, s[26:27]
	v_mov_b32_e32 v54, 16
	v_lshlrev_b32_sdwa v17, v54, v17 dst_sel:DWORD dst_unused:UNUSED_PAD src0_sel:DWORD src1_sel:WORD_1
	v_max_f32_e32 v65, v66, v66
	v_max_f32_e32 v64, v17, v17
	v_min_f32_e32 v67, v65, v64
	v_cmp_u_f32_e64 s[28:29], v66, v66
	v_max_f32_e32 v65, v65, v64
	v_cndmask_b32_e64 v67, v67, v66, s[28:29]
	v_cmp_u_f32_e64 s[26:27], v17, v17
	v_cndmask_b32_e64 v65, v65, v66, s[28:29]
	v_cndmask_b32_e64 v67, v67, v17, s[26:27]
	;; [unrolled: 1-line block ×3, first 2 shown]
	s_movk_i32 s34, 0x1f8
	v_cmp_neq_f32_e64 s[28:29], v67, v65
	v_cmp_class_f32_e64 s[30:31], v67, s34
	s_or_b64 s[28:29], s[28:29], s[30:31]
	s_and_saveexec_b64 s[30:31], s[28:29]
	s_cbranch_execz .LBB512_278
; %bb.277:
	v_sub_f32_e32 v66, v67, v65
	s_mov_b32 s28, 0x3fb8aa3b
	v_mul_f32_e32 v67, 0x3fb8aa3b, v66
	v_fma_f32 v68, v66, s28, -v67
	v_rndne_f32_e32 v69, v67
	v_fmac_f32_e32 v68, 0x32a5705f, v66
	v_sub_f32_e32 v67, v67, v69
	v_add_f32_e32 v67, v67, v68
	v_exp_f32_e32 v67, v67
	v_cvt_i32_f32_e32 v68, v69
	s_mov_b32 s28, 0xc2ce8ed0
	v_cmp_ngt_f32_e64 s[28:29], s28, v66
	s_mov_b32 s35, 0x7f800000
	v_ldexp_f32 v67, v67, v68
	v_cndmask_b32_e64 v67, 0, v67, s[28:29]
	s_mov_b32 s28, 0x42b17218
	v_mov_b32_e32 v68, 0x7f800000
	v_cmp_nlt_f32_e64 s[28:29], s28, v66
	v_cndmask_b32_e64 v101, v68, v67, s[28:29]
	v_add_f32_e32 v68, 1.0, v101
	v_add_f32_e32 v66, -1.0, v68
	v_sub_f32_e32 v67, v66, v68
	v_add_f32_e32 v67, 1.0, v67
	v_sub_f32_e32 v66, v101, v66
	v_add_f32_e32 v69, v66, v67
	v_frexp_mant_f32_e32 v70, v68
	s_mov_b32 s28, 0x3f2aaaab
	v_cvt_f64_f32_e32 v[66:67], v68
	v_frexp_exp_i32_f64_e32 v66, v[66:67]
	v_cmp_gt_f32_e64 s[28:29], s28, v70
	v_subbrev_co_u32_e64 v82, s[28:29], 0, v66, s[28:29]
	v_sub_u32_e32 v66, 0, v82
	v_ldexp_f32 v67, v68, v66
	v_add_f32_e32 v68, -1.0, v67
	v_add_f32_e32 v70, 1.0, v67
	v_ldexp_f32 v66, v69, v66
	v_add_f32_e32 v69, 1.0, v68
	v_add_f32_e32 v71, -1.0, v70
	v_sub_f32_e32 v69, v67, v69
	v_sub_f32_e32 v67, v67, v71
	v_add_f32_e32 v69, v66, v69
	v_add_f32_e32 v66, v66, v67
	;; [unrolled: 1-line block ×3, first 2 shown]
	v_rcp_f32_e32 v85, v83
	v_sub_f32_e32 v67, v70, v83
	v_add_f32_e32 v84, v66, v67
	v_add_f32_e32 v67, v68, v69
	v_mul_f32_e32 v87, v67, v85
	v_sub_f32_e32 v66, v68, v67
	v_mul_f32_e32 v68, v83, v87
	v_fma_f32 v70, v87, v83, -v68
	v_fmac_f32_e32 v70, v87, v84
	v_add_f32_e32 v86, v69, v66
	v_add_f32_e32 v66, v68, v70
	v_sub_f32_e32 v69, v67, v66
	v_pk_add_f32 v[80:81], v[66:67], v[68:69] neg_lo:[0,1] neg_hi:[0,1]
	v_mov_b32_e32 v71, v66
	v_pk_add_f32 v[66:67], v[80:81], v[70:71] neg_lo:[0,1] neg_hi:[0,1]
	v_add_f32_e32 v67, v86, v67
	v_add_f32_e32 v66, v66, v67
	v_add_f32_e32 v67, v69, v66
	v_mul_f32_e32 v86, v85, v67
	v_mul_f32_e32 v68, v83, v86
	v_fma_f32 v70, v86, v83, -v68
	v_fmac_f32_e32 v70, v86, v84
	v_sub_f32_e32 v69, v69, v67
	v_add_f32_e32 v83, v66, v69
	v_add_f32_e32 v66, v68, v70
	v_sub_f32_e32 v69, v67, v66
	v_pk_add_f32 v[80:81], v[66:67], v[68:69] neg_lo:[0,1] neg_hi:[0,1]
	v_mov_b32_e32 v71, v66
	v_pk_add_f32 v[66:67], v[80:81], v[70:71] neg_lo:[0,1] neg_hi:[0,1]
	v_add_f32_e32 v67, v83, v67
	v_add_f32_e32 v66, v66, v67
	;; [unrolled: 1-line block ×4, first 2 shown]
	v_sub_f32_e32 v67, v69, v87
	v_mul_f32_e32 v66, v85, v66
	v_sub_f32_e32 v67, v86, v67
	v_add_f32_e32 v66, v67, v66
	v_add_f32_e32 v70, v69, v66
	v_mul_f32_e32 v80, v70, v70
	v_mov_b32_e32 v68, 0x3ecc95a3
	v_fmac_f32_e32 v68, 0x3e9b6dac, v80
	v_mov_b32_e32 v67, 0x3f2aaada
	v_fmac_f32_e32 v67, v80, v68
	v_cvt_f32_i32_e32 v68, v82
	v_sub_f32_e32 v69, v70, v69
	v_sub_f32_e32 v66, v66, v69
	v_ldexp_f32 v81, v66, 1
	v_mul_f32_e32 v69, v70, v80
	v_mov_b32_e32 v66, 0x3f317218
	s_mov_b32 s28, 0x3f317218
	v_pk_mul_f32 v[66:67], v[68:69], v[66:67]
	v_ldexp_f32 v71, v70, 1
	v_fma_f32 v70, v68, s28, -v66
	v_fmac_f32_e32 v70, 0xb102e308, v68
	v_pk_add_f32 v[68:69], v[66:67], v[70:71]
	v_sub_f32_e32 v71, v69, v71
	v_sub_f32_e32 v71, v67, v71
	v_add_f32_e32 v81, v81, v71
	v_mov_b32_e32 v80, v66
	v_pk_add_f32 v[66:67], v[68:69], v[66:67] neg_lo:[0,1] neg_hi:[0,1]
	v_pk_add_f32 v[82:83], v[68:69], v[80:81]
	v_mov_b32_e32 v67, v83
	v_mov_b32_e32 v71, v68
	v_pk_add_f32 v[84:85], v[70:71], v[66:67] neg_lo:[0,1] neg_hi:[0,1]
	v_pk_add_f32 v[66:67], v[70:71], v[66:67]
	v_mov_b32_e32 v70, v67
	v_pk_add_f32 v[86:87], v[70:71], v[68:69] neg_lo:[0,1] neg_hi:[0,1]
	v_mov_b32_e32 v71, v86
	v_pk_add_f32 v[96:97], v[82:83], v[70:71] neg_lo:[0,1] neg_hi:[0,1]
	v_mov_b32_e32 v66, v83
	v_mov_b32_e32 v82, v69
	;; [unrolled: 1-line block ×4, first 2 shown]
	v_pk_add_f32 v[66:67], v[66:67], v[82:83] neg_lo:[0,1] neg_hi:[0,1]
	v_mov_b32_e32 v80, v81
	v_mov_b32_e32 v81, v68
	v_pk_add_f32 v[66:67], v[80:81], v[66:67] neg_lo:[0,1] neg_hi:[0,1]
	v_mov_b32_e32 v96, v84
	v_pk_add_f32 v[68:69], v[96:97], v[66:67]
	v_mov_b32_e32 v80, v69
	v_pk_add_f32 v[80:81], v[68:69], v[80:81]
	v_pk_add_f32 v[70:71], v[70:71], v[80:81]
	v_mov_b32_e32 v69, v70
	v_pk_add_f32 v[82:83], v[68:69], v[84:85] neg_lo:[0,1] neg_hi:[0,1]
	v_mov_b32_e32 v67, v80
	v_sub_f32_e32 v68, v68, v82
	v_pk_add_f32 v[66:67], v[66:67], v[82:83] neg_lo:[0,1] neg_hi:[0,1]
	v_sub_f32_e32 v68, v84, v68
	v_add_f32_e32 v66, v66, v68
	v_cmp_eq_f32_e64 s[28:29], s35, v101
	s_mov_b32 s35, 0x33800000
	v_add_f32_e32 v66, v66, v67
	v_cmp_lt_f32_e64 s[36:37], |v101|, s35
	v_add_f32_e32 v66, v70, v66
	s_or_b64 s[28:29], s[28:29], s[36:37]
	v_cndmask_b32_e64 v66, v66, v101, s[28:29]
	v_add_f32_e32 v66, v65, v66
.LBB512_278:
	s_or_b64 exec, exec, s[30:31]
	v_bfe_u32 v65, v66, 16, 1
	s_movk_i32 s36, 0x7fff
	v_add3_u32 v65, v66, v65, s36
	v_and_b32_e32 v67, 0xffff0000, v65
	v_mov_b32_e32 v65, 0x7fc00000
	v_cmp_o_f32_e64 s[28:29], v66, v66
	v_cndmask_b32_e64 v68, v65, v67, s[28:29]
	v_lshlrev_b32_sdwa v54, v54, v18 dst_sel:DWORD dst_unused:UNUSED_PAD src0_sel:DWORD src1_sel:WORD_0
	v_max_f32_e32 v67, v68, v68
	v_max_f32_e32 v66, v54, v54
	v_min_f32_e32 v69, v67, v66
	v_cmp_u_f32_e64 s[30:31], v68, v68
	v_max_f32_e32 v67, v67, v66
	v_cndmask_b32_e64 v69, v69, v68, s[30:31]
	v_cmp_u_f32_e64 s[28:29], v54, v54
	v_cndmask_b32_e64 v67, v67, v68, s[30:31]
	v_cndmask_b32_e64 v69, v69, v54, s[28:29]
	;; [unrolled: 1-line block ×3, first 2 shown]
	v_cmp_neq_f32_e64 s[30:31], v69, v67
	v_cmp_class_f32_e64 s[34:35], v69, s34
	s_or_b64 s[30:31], s[30:31], s[34:35]
	s_and_saveexec_b64 s[34:35], s[30:31]
	s_cbranch_execz .LBB512_280
; %bb.279:
	v_sub_f32_e32 v68, v69, v67
	s_mov_b32 s30, 0x3fb8aa3b
	v_mul_f32_e32 v69, 0x3fb8aa3b, v68
	v_fma_f32 v70, v68, s30, -v69
	v_rndne_f32_e32 v71, v69
	v_fmac_f32_e32 v70, 0x32a5705f, v68
	v_sub_f32_e32 v69, v69, v71
	v_add_f32_e32 v69, v69, v70
	v_exp_f32_e32 v69, v69
	v_cvt_i32_f32_e32 v70, v71
	s_mov_b32 s30, 0xc2ce8ed0
	v_cmp_ngt_f32_e64 s[30:31], s30, v68
	s_mov_b32 s37, 0x7f800000
	v_ldexp_f32 v69, v69, v70
	v_cndmask_b32_e64 v69, 0, v69, s[30:31]
	s_mov_b32 s30, 0x42b17218
	v_mov_b32_e32 v70, 0x7f800000
	v_cmp_nlt_f32_e64 s[30:31], s30, v68
	v_cndmask_b32_e64 v101, v70, v69, s[30:31]
	v_add_f32_e32 v70, 1.0, v101
	v_add_f32_e32 v68, -1.0, v70
	v_sub_f32_e32 v69, v68, v70
	v_add_f32_e32 v69, 1.0, v69
	v_sub_f32_e32 v68, v101, v68
	v_add_f32_e32 v71, v68, v69
	v_frexp_mant_f32_e32 v80, v70
	s_mov_b32 s30, 0x3f2aaaab
	v_cvt_f64_f32_e32 v[68:69], v70
	v_frexp_exp_i32_f64_e32 v68, v[68:69]
	v_cmp_gt_f32_e64 s[30:31], s30, v80
	v_subbrev_co_u32_e64 v84, s[30:31], 0, v68, s[30:31]
	v_sub_u32_e32 v68, 0, v84
	v_ldexp_f32 v69, v70, v68
	v_add_f32_e32 v70, -1.0, v69
	v_add_f32_e32 v80, 1.0, v69
	v_ldexp_f32 v68, v71, v68
	v_add_f32_e32 v71, 1.0, v70
	v_add_f32_e32 v81, -1.0, v80
	v_sub_f32_e32 v71, v69, v71
	v_sub_f32_e32 v69, v69, v81
	v_add_f32_e32 v71, v68, v71
	v_add_f32_e32 v68, v68, v69
	;; [unrolled: 1-line block ×3, first 2 shown]
	v_rcp_f32_e32 v87, v85
	v_sub_f32_e32 v69, v80, v85
	v_add_f32_e32 v86, v68, v69
	v_add_f32_e32 v69, v70, v71
	v_mul_f32_e32 v97, v69, v87
	v_sub_f32_e32 v68, v70, v69
	v_mul_f32_e32 v70, v85, v97
	v_fma_f32 v80, v97, v85, -v70
	v_fmac_f32_e32 v80, v97, v86
	v_add_f32_e32 v96, v71, v68
	v_add_f32_e32 v68, v70, v80
	v_sub_f32_e32 v71, v69, v68
	v_pk_add_f32 v[82:83], v[68:69], v[70:71] neg_lo:[0,1] neg_hi:[0,1]
	v_mov_b32_e32 v81, v68
	v_pk_add_f32 v[68:69], v[82:83], v[80:81] neg_lo:[0,1] neg_hi:[0,1]
	v_add_f32_e32 v69, v96, v69
	v_add_f32_e32 v68, v68, v69
	;; [unrolled: 1-line block ×3, first 2 shown]
	v_mul_f32_e32 v96, v87, v69
	v_mul_f32_e32 v70, v85, v96
	v_fma_f32 v80, v96, v85, -v70
	v_fmac_f32_e32 v80, v96, v86
	v_sub_f32_e32 v71, v71, v69
	v_add_f32_e32 v85, v68, v71
	v_add_f32_e32 v68, v70, v80
	v_sub_f32_e32 v71, v69, v68
	v_pk_add_f32 v[82:83], v[68:69], v[70:71] neg_lo:[0,1] neg_hi:[0,1]
	v_mov_b32_e32 v81, v68
	v_pk_add_f32 v[68:69], v[82:83], v[80:81] neg_lo:[0,1] neg_hi:[0,1]
	v_add_f32_e32 v69, v85, v69
	v_add_f32_e32 v68, v68, v69
	;; [unrolled: 1-line block ×4, first 2 shown]
	v_sub_f32_e32 v69, v71, v97
	v_mul_f32_e32 v68, v87, v68
	v_sub_f32_e32 v69, v96, v69
	v_add_f32_e32 v68, v69, v68
	v_add_f32_e32 v80, v71, v68
	v_mul_f32_e32 v82, v80, v80
	v_mov_b32_e32 v70, 0x3ecc95a3
	v_fmac_f32_e32 v70, 0x3e9b6dac, v82
	v_mov_b32_e32 v69, 0x3f2aaada
	v_fmac_f32_e32 v69, v82, v70
	v_cvt_f32_i32_e32 v70, v84
	v_sub_f32_e32 v71, v80, v71
	v_sub_f32_e32 v68, v68, v71
	v_ldexp_f32 v83, v68, 1
	v_mul_f32_e32 v71, v80, v82
	v_mov_b32_e32 v68, 0x3f317218
	s_mov_b32 s30, 0x3f317218
	v_pk_mul_f32 v[68:69], v[70:71], v[68:69]
	v_ldexp_f32 v81, v80, 1
	v_fma_f32 v80, v70, s30, -v68
	v_fmac_f32_e32 v80, 0xb102e308, v70
	v_pk_add_f32 v[70:71], v[68:69], v[80:81]
	v_sub_f32_e32 v81, v71, v81
	v_sub_f32_e32 v81, v69, v81
	v_add_f32_e32 v83, v83, v81
	v_mov_b32_e32 v82, v68
	v_pk_add_f32 v[68:69], v[70:71], v[68:69] neg_lo:[0,1] neg_hi:[0,1]
	v_pk_add_f32 v[84:85], v[70:71], v[82:83]
	v_mov_b32_e32 v69, v85
	v_mov_b32_e32 v81, v70
	v_pk_add_f32 v[86:87], v[80:81], v[68:69] neg_lo:[0,1] neg_hi:[0,1]
	v_pk_add_f32 v[68:69], v[80:81], v[68:69]
	v_mov_b32_e32 v80, v69
	v_pk_add_f32 v[96:97], v[80:81], v[70:71] neg_lo:[0,1] neg_hi:[0,1]
	v_mov_b32_e32 v81, v96
	v_pk_add_f32 v[102:103], v[84:85], v[80:81] neg_lo:[0,1] neg_hi:[0,1]
	v_mov_b32_e32 v68, v85
	v_mov_b32_e32 v84, v71
	;; [unrolled: 1-line block ×4, first 2 shown]
	v_pk_add_f32 v[68:69], v[68:69], v[84:85] neg_lo:[0,1] neg_hi:[0,1]
	v_mov_b32_e32 v82, v83
	v_mov_b32_e32 v83, v70
	v_pk_add_f32 v[68:69], v[82:83], v[68:69] neg_lo:[0,1] neg_hi:[0,1]
	v_mov_b32_e32 v102, v86
	v_pk_add_f32 v[70:71], v[102:103], v[68:69]
	v_mov_b32_e32 v82, v71
	v_pk_add_f32 v[82:83], v[70:71], v[82:83]
	v_pk_add_f32 v[80:81], v[80:81], v[82:83]
	v_mov_b32_e32 v71, v80
	v_pk_add_f32 v[84:85], v[70:71], v[86:87] neg_lo:[0,1] neg_hi:[0,1]
	v_mov_b32_e32 v69, v82
	v_sub_f32_e32 v70, v70, v84
	v_pk_add_f32 v[68:69], v[68:69], v[84:85] neg_lo:[0,1] neg_hi:[0,1]
	v_sub_f32_e32 v70, v86, v70
	v_add_f32_e32 v68, v68, v70
	v_cmp_eq_f32_e64 s[30:31], s37, v101
	s_mov_b32 s37, 0x33800000
	v_add_f32_e32 v68, v68, v69
	v_cmp_lt_f32_e64 s[38:39], |v101|, s37
	v_add_f32_e32 v68, v80, v68
	s_or_b64 s[30:31], s[30:31], s[38:39]
	v_cndmask_b32_e64 v68, v68, v101, s[30:31]
	v_add_f32_e32 v68, v67, v68
.LBB512_280:
	s_or_b64 exec, exec, s[34:35]
	v_bfe_u32 v67, v68, 16, 1
	v_add3_u32 v67, v68, v67, s36
	v_and_b32_e32 v67, 0xffff0000, v67
	v_cmp_o_f32_e64 s[30:31], v68, v68
	v_cndmask_b32_e64 v69, v65, v67, s[30:31]
	v_mov_b32_e32 v65, 16
	v_lshlrev_b32_sdwa v18, v65, v18 dst_sel:DWORD dst_unused:UNUSED_PAD src0_sel:DWORD src1_sel:WORD_1
	v_max_f32_e32 v68, v69, v69
	v_max_f32_e32 v67, v18, v18
	v_min_f32_e32 v70, v68, v67
	v_cmp_u_f32_e64 s[34:35], v69, v69
	v_max_f32_e32 v68, v68, v67
	v_cndmask_b32_e64 v70, v70, v69, s[34:35]
	v_cmp_u_f32_e64 s[30:31], v18, v18
	v_cndmask_b32_e64 v68, v68, v69, s[34:35]
	v_cndmask_b32_e64 v70, v70, v18, s[30:31]
	;; [unrolled: 1-line block ×3, first 2 shown]
	s_movk_i32 s38, 0x1f8
	v_cmp_neq_f32_e64 s[34:35], v70, v68
	v_cmp_class_f32_e64 s[36:37], v70, s38
	s_or_b64 s[34:35], s[34:35], s[36:37]
	s_and_saveexec_b64 s[36:37], s[34:35]
	s_cbranch_execz .LBB512_282
; %bb.281:
	v_sub_f32_e32 v69, v70, v68
	s_mov_b32 s34, 0x3fb8aa3b
	v_mul_f32_e32 v70, 0x3fb8aa3b, v69
	v_fma_f32 v71, v69, s34, -v70
	v_rndne_f32_e32 v80, v70
	v_fmac_f32_e32 v71, 0x32a5705f, v69
	v_sub_f32_e32 v70, v70, v80
	v_add_f32_e32 v70, v70, v71
	v_exp_f32_e32 v70, v70
	v_cvt_i32_f32_e32 v71, v80
	s_mov_b32 s34, 0xc2ce8ed0
	v_cmp_ngt_f32_e64 s[34:35], s34, v69
	s_mov_b32 s39, 0x7f800000
	v_ldexp_f32 v70, v70, v71
	v_cndmask_b32_e64 v70, 0, v70, s[34:35]
	s_mov_b32 s34, 0x42b17218
	v_mov_b32_e32 v71, 0x7f800000
	v_cmp_nlt_f32_e64 s[34:35], s34, v69
	v_cndmask_b32_e64 v101, v71, v70, s[34:35]
	v_add_f32_e32 v69, 1.0, v101
	v_add_f32_e32 v70, -1.0, v69
	v_sub_f32_e32 v71, v70, v69
	v_add_f32_e32 v71, 1.0, v71
	v_sub_f32_e32 v70, v101, v70
	v_add_f32_e32 v80, v70, v71
	v_frexp_mant_f32_e32 v81, v69
	s_mov_b32 s34, 0x3f2aaaab
	v_cvt_f64_f32_e32 v[70:71], v69
	v_frexp_exp_i32_f64_e32 v70, v[70:71]
	v_cmp_gt_f32_e64 s[34:35], s34, v81
	v_subbrev_co_u32_e64 v86, s[34:35], 0, v70, s[34:35]
	v_sub_u32_e32 v70, 0, v86
	v_ldexp_f32 v69, v69, v70
	v_ldexp_f32 v70, v80, v70
	v_add_f32_e32 v80, -1.0, v69
	v_add_f32_e32 v71, 1.0, v80
	v_sub_f32_e32 v71, v69, v71
	v_add_f32_e32 v81, v70, v71
	v_add_f32_e32 v71, 1.0, v69
	v_add_f32_e32 v82, -1.0, v71
	v_sub_f32_e32 v69, v69, v82
	v_add_f32_e32 v69, v70, v69
	v_add_f32_e32 v87, v71, v69
	v_rcp_f32_e32 v96, v87
	v_sub_f32_e32 v70, v71, v87
	v_add_f32_e32 v71, v80, v81
	v_add_f32_e32 v69, v69, v70
	v_mul_f32_e32 v102, v71, v96
	v_sub_f32_e32 v70, v80, v71
	v_mul_f32_e32 v80, v87, v102
	v_fma_f32 v82, v102, v87, -v80
	v_fmac_f32_e32 v82, v102, v69
	v_add_f32_e32 v97, v81, v70
	v_add_f32_e32 v70, v80, v82
	v_sub_f32_e32 v81, v71, v70
	v_pk_add_f32 v[84:85], v[70:71], v[80:81] neg_lo:[0,1] neg_hi:[0,1]
	v_mov_b32_e32 v83, v70
	v_pk_add_f32 v[70:71], v[84:85], v[82:83] neg_lo:[0,1] neg_hi:[0,1]
	v_add_f32_e32 v71, v97, v71
	v_add_f32_e32 v70, v70, v71
	;; [unrolled: 1-line block ×3, first 2 shown]
	v_mul_f32_e32 v97, v96, v71
	v_mul_f32_e32 v80, v87, v97
	v_fma_f32 v82, v97, v87, -v80
	v_fmac_f32_e32 v82, v97, v69
	v_sub_f32_e32 v69, v81, v71
	v_add_f32_e32 v69, v70, v69
	v_add_f32_e32 v70, v80, v82
	v_sub_f32_e32 v81, v71, v70
	v_pk_add_f32 v[84:85], v[70:71], v[80:81] neg_lo:[0,1] neg_hi:[0,1]
	v_mov_b32_e32 v83, v70
	v_pk_add_f32 v[70:71], v[84:85], v[82:83] neg_lo:[0,1] neg_hi:[0,1]
	v_add_f32_e32 v69, v69, v71
	v_add_f32_e32 v69, v70, v69
	;; [unrolled: 1-line block ×4, first 2 shown]
	v_sub_f32_e32 v71, v70, v102
	v_mul_f32_e32 v69, v96, v69
	v_sub_f32_e32 v71, v97, v71
	v_add_f32_e32 v69, v71, v69
	v_add_f32_e32 v81, v70, v69
	v_mul_f32_e32 v82, v81, v81
	v_mov_b32_e32 v80, 0x3ecc95a3
	v_fmac_f32_e32 v80, 0x3e9b6dac, v82
	v_mov_b32_e32 v71, 0x3f2aaada
	v_fmac_f32_e32 v71, v82, v80
	v_cvt_f32_i32_e32 v80, v86
	v_sub_f32_e32 v70, v81, v70
	v_sub_f32_e32 v69, v69, v70
	v_ldexp_f32 v83, v81, 1
	v_mul_f32_e32 v81, v81, v82
	v_mov_b32_e32 v70, 0x3f317218
	s_mov_b32 s34, 0x3f317218
	v_pk_mul_f32 v[70:71], v[80:81], v[70:71]
	v_fma_f32 v82, v80, s34, -v70
	v_fmac_f32_e32 v82, 0xb102e308, v80
	v_pk_add_f32 v[80:81], v[70:71], v[82:83]
	v_sub_f32_e32 v83, v81, v83
	v_ldexp_f32 v69, v69, 1
	v_sub_f32_e32 v83, v71, v83
	v_add_f32_e32 v85, v69, v83
	v_mov_b32_e32 v84, v70
	v_pk_add_f32 v[70:71], v[80:81], v[70:71] neg_lo:[0,1] neg_hi:[0,1]
	v_pk_add_f32 v[86:87], v[80:81], v[84:85]
	v_mov_b32_e32 v71, v87
	v_mov_b32_e32 v83, v80
	v_pk_add_f32 v[96:97], v[82:83], v[70:71] neg_lo:[0,1] neg_hi:[0,1]
	v_pk_add_f32 v[70:71], v[82:83], v[70:71]
	v_mov_b32_e32 v82, v71
	v_pk_add_f32 v[102:103], v[82:83], v[80:81] neg_lo:[0,1] neg_hi:[0,1]
	v_mov_b32_e32 v69, v102
	v_pk_add_f32 v[112:113], v[86:87], v[68:69] neg_lo:[0,1] neg_hi:[0,1]
	v_mov_b32_e32 v70, v87
	v_mov_b32_e32 v86, v81
	;; [unrolled: 1-line block ×4, first 2 shown]
	v_pk_add_f32 v[70:71], v[70:71], v[86:87] neg_lo:[0,1] neg_hi:[0,1]
	v_mov_b32_e32 v84, v85
	v_mov_b32_e32 v85, v80
	v_pk_add_f32 v[70:71], v[84:85], v[70:71] neg_lo:[0,1] neg_hi:[0,1]
	v_mov_b32_e32 v112, v96
	v_pk_add_f32 v[80:81], v[112:113], v[70:71]
	v_mov_b32_e32 v84, v81
	v_pk_add_f32 v[84:85], v[80:81], v[84:85]
	v_pk_add_f32 v[82:83], v[82:83], v[84:85]
	v_mov_b32_e32 v81, v82
	v_pk_add_f32 v[86:87], v[80:81], v[96:97] neg_lo:[0,1] neg_hi:[0,1]
	v_mov_b32_e32 v71, v84
	v_sub_f32_e32 v69, v80, v86
	v_pk_add_f32 v[70:71], v[70:71], v[86:87] neg_lo:[0,1] neg_hi:[0,1]
	v_sub_f32_e32 v69, v96, v69
	v_add_f32_e32 v69, v70, v69
	v_cmp_eq_f32_e64 s[34:35], s39, v101
	s_mov_b32 s39, 0x33800000
	v_add_f32_e32 v69, v69, v71
	v_cmp_lt_f32_e64 s[40:41], |v101|, s39
	v_add_f32_e32 v69, v82, v69
	s_or_b64 s[34:35], s[34:35], s[40:41]
	v_cndmask_b32_e64 v69, v69, v101, s[34:35]
	v_add_f32_e32 v69, v68, v69
.LBB512_282:
	s_or_b64 exec, exec, s[36:37]
	v_bfe_u32 v68, v69, 16, 1
	s_movk_i32 s40, 0x7fff
	v_add3_u32 v68, v69, v68, s40
	v_and_b32_e32 v70, 0xffff0000, v68
	v_mov_b32_e32 v68, 0x7fc00000
	v_cmp_o_f32_e64 s[34:35], v69, v69
	v_cndmask_b32_e64 v71, v68, v70, s[34:35]
	v_lshlrev_b32_sdwa v65, v65, v19 dst_sel:DWORD dst_unused:UNUSED_PAD src0_sel:DWORD src1_sel:WORD_0
	v_max_f32_e32 v70, v71, v71
	v_max_f32_e32 v69, v65, v65
	v_min_f32_e32 v80, v70, v69
	v_cmp_u_f32_e64 s[36:37], v71, v71
	v_max_f32_e32 v70, v70, v69
	v_cndmask_b32_e64 v80, v80, v71, s[36:37]
	v_cmp_u_f32_e64 s[34:35], v65, v65
	v_cndmask_b32_e64 v70, v70, v71, s[36:37]
	v_cndmask_b32_e64 v80, v80, v65, s[34:35]
	;; [unrolled: 1-line block ×3, first 2 shown]
	v_cmp_neq_f32_e64 s[36:37], v80, v70
	v_cmp_class_f32_e64 s[38:39], v80, s38
	s_or_b64 s[36:37], s[36:37], s[38:39]
	s_and_saveexec_b64 s[38:39], s[36:37]
	s_cbranch_execz .LBB512_284
; %bb.283:
	v_sub_f32_e32 v71, v80, v70
	s_mov_b32 s36, 0x3fb8aa3b
	v_mul_f32_e32 v80, 0x3fb8aa3b, v71
	v_fma_f32 v81, v71, s36, -v80
	v_rndne_f32_e32 v82, v80
	v_fmac_f32_e32 v81, 0x32a5705f, v71
	v_sub_f32_e32 v80, v80, v82
	v_add_f32_e32 v80, v80, v81
	v_exp_f32_e32 v80, v80
	v_cvt_i32_f32_e32 v81, v82
	s_mov_b32 s36, 0xc2ce8ed0
	v_cmp_ngt_f32_e64 s[36:37], s36, v71
	s_mov_b32 s41, 0x7f800000
	v_ldexp_f32 v80, v80, v81
	v_cndmask_b32_e64 v80, 0, v80, s[36:37]
	s_mov_b32 s36, 0x42b17218
	v_mov_b32_e32 v81, 0x7f800000
	v_cmp_nlt_f32_e64 s[36:37], s36, v71
	v_cndmask_b32_e64 v101, v81, v80, s[36:37]
	v_add_f32_e32 v71, 1.0, v101
	v_add_f32_e32 v80, -1.0, v71
	v_sub_f32_e32 v81, v80, v71
	v_add_f32_e32 v81, 1.0, v81
	v_sub_f32_e32 v80, v101, v80
	v_add_f32_e32 v82, v80, v81
	v_frexp_mant_f32_e32 v83, v71
	s_mov_b32 s36, 0x3f2aaaab
	v_cvt_f64_f32_e32 v[80:81], v71
	v_frexp_exp_i32_f64_e32 v80, v[80:81]
	v_cmp_gt_f32_e64 s[36:37], s36, v83
	v_subbrev_co_u32_e64 v96, s[36:37], 0, v80, s[36:37]
	v_sub_u32_e32 v80, 0, v96
	v_ldexp_f32 v71, v71, v80
	v_ldexp_f32 v80, v82, v80
	v_add_f32_e32 v82, -1.0, v71
	v_add_f32_e32 v81, 1.0, v82
	v_sub_f32_e32 v81, v71, v81
	v_add_f32_e32 v83, v80, v81
	v_add_f32_e32 v81, 1.0, v71
	v_add_f32_e32 v84, -1.0, v81
	v_sub_f32_e32 v71, v71, v84
	v_add_f32_e32 v71, v80, v71
	v_add_f32_e32 v97, v81, v71
	v_rcp_f32_e32 v102, v97
	v_sub_f32_e32 v80, v81, v97
	v_add_f32_e32 v81, v82, v83
	v_add_f32_e32 v71, v71, v80
	v_mul_f32_e32 v112, v81, v102
	v_sub_f32_e32 v80, v82, v81
	v_mul_f32_e32 v82, v97, v112
	v_fma_f32 v84, v112, v97, -v82
	v_fmac_f32_e32 v84, v112, v71
	v_add_f32_e32 v103, v83, v80
	v_add_f32_e32 v80, v82, v84
	v_sub_f32_e32 v83, v81, v80
	v_pk_add_f32 v[86:87], v[80:81], v[82:83] neg_lo:[0,1] neg_hi:[0,1]
	v_mov_b32_e32 v85, v80
	v_pk_add_f32 v[80:81], v[86:87], v[84:85] neg_lo:[0,1] neg_hi:[0,1]
	v_add_f32_e32 v81, v103, v81
	v_add_f32_e32 v80, v80, v81
	;; [unrolled: 1-line block ×3, first 2 shown]
	v_mul_f32_e32 v103, v102, v81
	v_mul_f32_e32 v82, v97, v103
	v_fma_f32 v84, v103, v97, -v82
	v_fmac_f32_e32 v84, v103, v71
	v_sub_f32_e32 v71, v83, v81
	v_add_f32_e32 v71, v80, v71
	v_add_f32_e32 v80, v82, v84
	v_sub_f32_e32 v83, v81, v80
	v_pk_add_f32 v[86:87], v[80:81], v[82:83] neg_lo:[0,1] neg_hi:[0,1]
	v_mov_b32_e32 v85, v80
	v_pk_add_f32 v[80:81], v[86:87], v[84:85] neg_lo:[0,1] neg_hi:[0,1]
	v_add_f32_e32 v71, v71, v81
	v_add_f32_e32 v71, v80, v71
	v_add_f32_e32 v80, v112, v103
	v_add_f32_e32 v71, v83, v71
	v_sub_f32_e32 v81, v80, v112
	v_mul_f32_e32 v71, v102, v71
	v_sub_f32_e32 v81, v103, v81
	v_add_f32_e32 v71, v81, v71
	v_add_f32_e32 v83, v80, v71
	v_mul_f32_e32 v84, v83, v83
	v_mov_b32_e32 v82, 0x3ecc95a3
	v_fmac_f32_e32 v82, 0x3e9b6dac, v84
	v_mov_b32_e32 v81, 0x3f2aaada
	v_fmac_f32_e32 v81, v84, v82
	v_cvt_f32_i32_e32 v82, v96
	v_sub_f32_e32 v80, v83, v80
	v_sub_f32_e32 v71, v71, v80
	v_ldexp_f32 v85, v83, 1
	v_mul_f32_e32 v83, v83, v84
	v_mov_b32_e32 v80, 0x3f317218
	s_mov_b32 s36, 0x3f317218
	v_pk_mul_f32 v[80:81], v[82:83], v[80:81]
	v_fma_f32 v84, v82, s36, -v80
	v_fmac_f32_e32 v84, 0xb102e308, v82
	v_pk_add_f32 v[82:83], v[80:81], v[84:85]
	v_sub_f32_e32 v85, v83, v85
	v_ldexp_f32 v71, v71, 1
	v_sub_f32_e32 v85, v81, v85
	v_add_f32_e32 v87, v71, v85
	v_mov_b32_e32 v86, v80
	v_pk_add_f32 v[80:81], v[82:83], v[80:81] neg_lo:[0,1] neg_hi:[0,1]
	v_pk_add_f32 v[96:97], v[82:83], v[86:87]
	v_mov_b32_e32 v81, v97
	v_mov_b32_e32 v85, v82
	v_pk_add_f32 v[102:103], v[84:85], v[80:81] neg_lo:[0,1] neg_hi:[0,1]
	v_pk_add_f32 v[80:81], v[84:85], v[80:81]
	v_mov_b32_e32 v84, v81
	v_pk_add_f32 v[112:113], v[84:85], v[82:83] neg_lo:[0,1] neg_hi:[0,1]
	v_mov_b32_e32 v71, v112
	v_pk_add_f32 v[114:115], v[96:97], v[70:71] neg_lo:[0,1] neg_hi:[0,1]
	v_mov_b32_e32 v80, v97
	v_mov_b32_e32 v96, v83
	;; [unrolled: 1-line block ×4, first 2 shown]
	v_pk_add_f32 v[80:81], v[80:81], v[96:97] neg_lo:[0,1] neg_hi:[0,1]
	v_mov_b32_e32 v86, v87
	v_mov_b32_e32 v87, v82
	v_pk_add_f32 v[80:81], v[86:87], v[80:81] neg_lo:[0,1] neg_hi:[0,1]
	v_mov_b32_e32 v114, v102
	v_pk_add_f32 v[82:83], v[114:115], v[80:81]
	v_mov_b32_e32 v86, v83
	v_pk_add_f32 v[86:87], v[82:83], v[86:87]
	v_pk_add_f32 v[84:85], v[84:85], v[86:87]
	v_mov_b32_e32 v83, v84
	v_pk_add_f32 v[96:97], v[82:83], v[102:103] neg_lo:[0,1] neg_hi:[0,1]
	v_mov_b32_e32 v81, v86
	v_sub_f32_e32 v71, v82, v96
	v_pk_add_f32 v[80:81], v[80:81], v[96:97] neg_lo:[0,1] neg_hi:[0,1]
	v_sub_f32_e32 v71, v102, v71
	v_add_f32_e32 v71, v80, v71
	v_cmp_eq_f32_e64 s[36:37], s41, v101
	s_mov_b32 s41, 0x33800000
	v_add_f32_e32 v71, v71, v81
	v_cmp_lt_f32_e64 s[42:43], |v101|, s41
	v_add_f32_e32 v71, v84, v71
	s_or_b64 s[36:37], s[36:37], s[42:43]
	v_cndmask_b32_e64 v71, v71, v101, s[36:37]
	v_add_f32_e32 v71, v70, v71
.LBB512_284:
	s_or_b64 exec, exec, s[38:39]
	v_bfe_u32 v70, v71, 16, 1
	v_add3_u32 v70, v71, v70, s40
	v_and_b32_e32 v70, 0xffff0000, v70
	v_cmp_o_f32_e64 s[36:37], v71, v71
	v_cndmask_b32_e64 v80, v68, v70, s[36:37]
	v_mov_b32_e32 v68, 16
	v_lshlrev_b32_sdwa v19, v68, v19 dst_sel:DWORD dst_unused:UNUSED_PAD src0_sel:DWORD src1_sel:WORD_1
	v_max_f32_e32 v71, v80, v80
	v_max_f32_e32 v70, v19, v19
	v_min_f32_e32 v81, v71, v70
	v_cmp_u_f32_e64 s[38:39], v80, v80
	v_max_f32_e32 v71, v71, v70
	v_cndmask_b32_e64 v81, v81, v80, s[38:39]
	v_cmp_u_f32_e64 s[36:37], v19, v19
	v_cndmask_b32_e64 v71, v71, v80, s[38:39]
	v_cndmask_b32_e64 v81, v81, v19, s[36:37]
	;; [unrolled: 1-line block ×3, first 2 shown]
	s_movk_i32 s42, 0x1f8
	v_cmp_neq_f32_e64 s[38:39], v81, v71
	v_cmp_class_f32_e64 s[40:41], v81, s42
	s_or_b64 s[38:39], s[38:39], s[40:41]
	s_and_saveexec_b64 s[40:41], s[38:39]
	s_cbranch_execz .LBB512_286
; %bb.285:
	v_sub_f32_e32 v80, v81, v71
	s_mov_b32 s38, 0x3fb8aa3b
	v_mul_f32_e32 v81, 0x3fb8aa3b, v80
	v_fma_f32 v82, v80, s38, -v81
	v_rndne_f32_e32 v83, v81
	v_fmac_f32_e32 v82, 0x32a5705f, v80
	v_sub_f32_e32 v81, v81, v83
	v_add_f32_e32 v81, v81, v82
	v_exp_f32_e32 v81, v81
	v_cvt_i32_f32_e32 v82, v83
	s_mov_b32 s38, 0xc2ce8ed0
	v_cmp_ngt_f32_e64 s[38:39], s38, v80
	s_mov_b32 s43, 0x7f800000
	v_ldexp_f32 v81, v81, v82
	v_cndmask_b32_e64 v81, 0, v81, s[38:39]
	s_mov_b32 s38, 0x42b17218
	v_mov_b32_e32 v82, 0x7f800000
	v_cmp_nlt_f32_e64 s[38:39], s38, v80
	v_cndmask_b32_e64 v101, v82, v81, s[38:39]
	v_add_f32_e32 v82, 1.0, v101
	v_add_f32_e32 v80, -1.0, v82
	v_sub_f32_e32 v81, v80, v82
	v_add_f32_e32 v81, 1.0, v81
	v_sub_f32_e32 v80, v101, v80
	v_add_f32_e32 v83, v80, v81
	v_frexp_mant_f32_e32 v84, v82
	s_mov_b32 s38, 0x3f2aaaab
	v_cvt_f64_f32_e32 v[80:81], v82
	v_frexp_exp_i32_f64_e32 v80, v[80:81]
	v_cmp_gt_f32_e64 s[38:39], s38, v84
	v_subbrev_co_u32_e64 v96, s[38:39], 0, v80, s[38:39]
	v_sub_u32_e32 v80, 0, v96
	v_ldexp_f32 v81, v82, v80
	v_add_f32_e32 v82, -1.0, v81
	v_add_f32_e32 v84, 1.0, v81
	v_ldexp_f32 v80, v83, v80
	v_add_f32_e32 v83, 1.0, v82
	v_add_f32_e32 v85, -1.0, v84
	v_sub_f32_e32 v83, v81, v83
	v_sub_f32_e32 v81, v81, v85
	v_add_f32_e32 v83, v80, v83
	v_add_f32_e32 v80, v80, v81
	;; [unrolled: 1-line block ×3, first 2 shown]
	v_rcp_f32_e32 v103, v97
	v_sub_f32_e32 v81, v84, v97
	v_add_f32_e32 v102, v80, v81
	v_add_f32_e32 v81, v82, v83
	v_mul_f32_e32 v113, v81, v103
	v_sub_f32_e32 v80, v82, v81
	v_mul_f32_e32 v82, v97, v113
	v_fma_f32 v84, v113, v97, -v82
	v_fmac_f32_e32 v84, v113, v102
	v_add_f32_e32 v112, v83, v80
	v_add_f32_e32 v80, v82, v84
	v_sub_f32_e32 v83, v81, v80
	v_pk_add_f32 v[86:87], v[80:81], v[82:83] neg_lo:[0,1] neg_hi:[0,1]
	v_mov_b32_e32 v85, v80
	v_pk_add_f32 v[80:81], v[86:87], v[84:85] neg_lo:[0,1] neg_hi:[0,1]
	v_add_f32_e32 v81, v112, v81
	v_add_f32_e32 v80, v80, v81
	;; [unrolled: 1-line block ×3, first 2 shown]
	v_mul_f32_e32 v112, v103, v81
	v_mul_f32_e32 v82, v97, v112
	v_fma_f32 v84, v112, v97, -v82
	v_fmac_f32_e32 v84, v112, v102
	v_sub_f32_e32 v83, v83, v81
	v_add_f32_e32 v97, v80, v83
	v_add_f32_e32 v80, v82, v84
	v_sub_f32_e32 v83, v81, v80
	v_pk_add_f32 v[86:87], v[80:81], v[82:83] neg_lo:[0,1] neg_hi:[0,1]
	v_mov_b32_e32 v85, v80
	v_pk_add_f32 v[80:81], v[86:87], v[84:85] neg_lo:[0,1] neg_hi:[0,1]
	v_add_f32_e32 v81, v97, v81
	v_add_f32_e32 v80, v80, v81
	;; [unrolled: 1-line block ×4, first 2 shown]
	v_sub_f32_e32 v81, v83, v113
	v_mul_f32_e32 v80, v103, v80
	v_sub_f32_e32 v81, v112, v81
	v_add_f32_e32 v80, v81, v80
	v_add_f32_e32 v84, v83, v80
	v_mul_f32_e32 v86, v84, v84
	v_mov_b32_e32 v82, 0x3ecc95a3
	v_fmac_f32_e32 v82, 0x3e9b6dac, v86
	v_mov_b32_e32 v81, 0x3f2aaada
	v_fmac_f32_e32 v81, v86, v82
	v_cvt_f32_i32_e32 v82, v96
	v_sub_f32_e32 v83, v84, v83
	v_sub_f32_e32 v80, v80, v83
	v_ldexp_f32 v87, v80, 1
	v_mul_f32_e32 v83, v84, v86
	v_mov_b32_e32 v80, 0x3f317218
	s_mov_b32 s38, 0x3f317218
	v_pk_mul_f32 v[80:81], v[82:83], v[80:81]
	v_ldexp_f32 v85, v84, 1
	v_fma_f32 v84, v82, s38, -v80
	v_fmac_f32_e32 v84, 0xb102e308, v82
	v_pk_add_f32 v[82:83], v[80:81], v[84:85]
	v_sub_f32_e32 v85, v83, v85
	v_sub_f32_e32 v85, v81, v85
	v_add_f32_e32 v87, v87, v85
	v_mov_b32_e32 v86, v80
	v_pk_add_f32 v[80:81], v[82:83], v[80:81] neg_lo:[0,1] neg_hi:[0,1]
	v_pk_add_f32 v[96:97], v[82:83], v[86:87]
	v_mov_b32_e32 v81, v97
	v_mov_b32_e32 v85, v82
	v_pk_add_f32 v[102:103], v[84:85], v[80:81] neg_lo:[0,1] neg_hi:[0,1]
	v_pk_add_f32 v[80:81], v[84:85], v[80:81]
	v_mov_b32_e32 v84, v81
	v_pk_add_f32 v[112:113], v[84:85], v[82:83] neg_lo:[0,1] neg_hi:[0,1]
	v_mov_b32_e32 v85, v112
	v_pk_add_f32 v[114:115], v[96:97], v[84:85] neg_lo:[0,1] neg_hi:[0,1]
	v_mov_b32_e32 v80, v97
	v_mov_b32_e32 v96, v83
	;; [unrolled: 1-line block ×4, first 2 shown]
	v_pk_add_f32 v[80:81], v[80:81], v[96:97] neg_lo:[0,1] neg_hi:[0,1]
	v_mov_b32_e32 v86, v87
	v_mov_b32_e32 v87, v82
	v_pk_add_f32 v[80:81], v[86:87], v[80:81] neg_lo:[0,1] neg_hi:[0,1]
	v_mov_b32_e32 v114, v102
	v_pk_add_f32 v[82:83], v[114:115], v[80:81]
	v_mov_b32_e32 v86, v83
	v_pk_add_f32 v[86:87], v[82:83], v[86:87]
	v_pk_add_f32 v[84:85], v[84:85], v[86:87]
	v_mov_b32_e32 v83, v84
	v_pk_add_f32 v[96:97], v[82:83], v[102:103] neg_lo:[0,1] neg_hi:[0,1]
	v_mov_b32_e32 v81, v86
	v_sub_f32_e32 v82, v82, v96
	v_pk_add_f32 v[80:81], v[80:81], v[96:97] neg_lo:[0,1] neg_hi:[0,1]
	v_sub_f32_e32 v82, v102, v82
	v_add_f32_e32 v80, v80, v82
	v_cmp_eq_f32_e64 s[38:39], s43, v101
	s_mov_b32 s43, 0x33800000
	v_add_f32_e32 v80, v80, v81
	v_cmp_lt_f32_e64 s[44:45], |v101|, s43
	v_add_f32_e32 v80, v84, v80
	s_or_b64 s[38:39], s[38:39], s[44:45]
	v_cndmask_b32_e64 v80, v80, v101, s[38:39]
	v_add_f32_e32 v80, v71, v80
.LBB512_286:
	s_or_b64 exec, exec, s[40:41]
	v_bfe_u32 v71, v80, 16, 1
	s_movk_i32 s44, 0x7fff
	v_add3_u32 v71, v80, v71, s44
	v_and_b32_e32 v81, 0xffff0000, v71
	v_mov_b32_e32 v71, 0x7fc00000
	v_cmp_o_f32_e64 s[38:39], v80, v80
	v_cndmask_b32_e64 v82, v71, v81, s[38:39]
	v_lshlrev_b32_sdwa v68, v68, v12 dst_sel:DWORD dst_unused:UNUSED_PAD src0_sel:DWORD src1_sel:WORD_0
	v_max_f32_e32 v81, v82, v82
	v_max_f32_e32 v80, v68, v68
	v_min_f32_e32 v83, v81, v80
	v_cmp_u_f32_e64 s[40:41], v82, v82
	v_max_f32_e32 v81, v81, v80
	v_cndmask_b32_e64 v83, v83, v82, s[40:41]
	v_cmp_u_f32_e64 s[38:39], v68, v68
	v_cndmask_b32_e64 v81, v81, v82, s[40:41]
	v_cndmask_b32_e64 v83, v83, v68, s[38:39]
	;; [unrolled: 1-line block ×3, first 2 shown]
	v_cmp_neq_f32_e64 s[40:41], v83, v81
	v_cmp_class_f32_e64 s[42:43], v83, s42
	s_or_b64 s[40:41], s[40:41], s[42:43]
	s_and_saveexec_b64 s[42:43], s[40:41]
	s_cbranch_execz .LBB512_288
; %bb.287:
	v_sub_f32_e32 v82, v83, v81
	s_mov_b32 s40, 0x3fb8aa3b
	v_mul_f32_e32 v83, 0x3fb8aa3b, v82
	v_fma_f32 v84, v82, s40, -v83
	v_rndne_f32_e32 v85, v83
	v_fmac_f32_e32 v84, 0x32a5705f, v82
	v_sub_f32_e32 v83, v83, v85
	v_add_f32_e32 v83, v83, v84
	v_exp_f32_e32 v83, v83
	v_cvt_i32_f32_e32 v84, v85
	s_mov_b32 s40, 0xc2ce8ed0
	v_cmp_ngt_f32_e64 s[40:41], s40, v82
	s_mov_b32 s45, 0x7f800000
	v_ldexp_f32 v83, v83, v84
	v_cndmask_b32_e64 v83, 0, v83, s[40:41]
	s_mov_b32 s40, 0x42b17218
	v_mov_b32_e32 v84, 0x7f800000
	v_cmp_nlt_f32_e64 s[40:41], s40, v82
	v_cndmask_b32_e64 v101, v84, v83, s[40:41]
	v_add_f32_e32 v84, 1.0, v101
	v_add_f32_e32 v82, -1.0, v84
	v_sub_f32_e32 v83, v82, v84
	v_add_f32_e32 v83, 1.0, v83
	v_sub_f32_e32 v82, v101, v82
	v_add_f32_e32 v85, v82, v83
	v_frexp_mant_f32_e32 v86, v84
	s_mov_b32 s40, 0x3f2aaaab
	v_cvt_f64_f32_e32 v[82:83], v84
	v_frexp_exp_i32_f64_e32 v82, v[82:83]
	v_cmp_gt_f32_e64 s[40:41], s40, v86
	v_subbrev_co_u32_e64 v102, s[40:41], 0, v82, s[40:41]
	v_sub_u32_e32 v82, 0, v102
	v_ldexp_f32 v83, v84, v82
	v_add_f32_e32 v84, -1.0, v83
	v_add_f32_e32 v86, 1.0, v83
	v_ldexp_f32 v82, v85, v82
	v_add_f32_e32 v85, 1.0, v84
	v_add_f32_e32 v87, -1.0, v86
	v_sub_f32_e32 v85, v83, v85
	v_sub_f32_e32 v83, v83, v87
	v_add_f32_e32 v85, v82, v85
	v_add_f32_e32 v82, v82, v83
	;; [unrolled: 1-line block ×3, first 2 shown]
	v_rcp_f32_e32 v113, v103
	v_sub_f32_e32 v83, v86, v103
	v_add_f32_e32 v112, v82, v83
	v_add_f32_e32 v83, v84, v85
	v_mul_f32_e32 v115, v83, v113
	v_sub_f32_e32 v82, v84, v83
	v_mul_f32_e32 v84, v103, v115
	v_fma_f32 v86, v115, v103, -v84
	v_fmac_f32_e32 v86, v115, v112
	v_add_f32_e32 v114, v85, v82
	v_add_f32_e32 v82, v84, v86
	v_sub_f32_e32 v85, v83, v82
	v_pk_add_f32 v[96:97], v[82:83], v[84:85] neg_lo:[0,1] neg_hi:[0,1]
	v_mov_b32_e32 v87, v82
	v_pk_add_f32 v[82:83], v[96:97], v[86:87] neg_lo:[0,1] neg_hi:[0,1]
	v_add_f32_e32 v83, v114, v83
	v_add_f32_e32 v82, v82, v83
	;; [unrolled: 1-line block ×3, first 2 shown]
	v_mul_f32_e32 v114, v113, v83
	v_mul_f32_e32 v84, v103, v114
	v_fma_f32 v86, v114, v103, -v84
	v_fmac_f32_e32 v86, v114, v112
	v_sub_f32_e32 v85, v85, v83
	v_add_f32_e32 v103, v82, v85
	v_add_f32_e32 v82, v84, v86
	v_sub_f32_e32 v85, v83, v82
	v_pk_add_f32 v[96:97], v[82:83], v[84:85] neg_lo:[0,1] neg_hi:[0,1]
	v_mov_b32_e32 v87, v82
	v_pk_add_f32 v[82:83], v[96:97], v[86:87] neg_lo:[0,1] neg_hi:[0,1]
	v_add_f32_e32 v83, v103, v83
	v_add_f32_e32 v82, v82, v83
	;; [unrolled: 1-line block ×4, first 2 shown]
	v_sub_f32_e32 v83, v85, v115
	v_mul_f32_e32 v82, v113, v82
	v_sub_f32_e32 v83, v114, v83
	v_add_f32_e32 v82, v83, v82
	v_add_f32_e32 v86, v85, v82
	v_mul_f32_e32 v96, v86, v86
	v_mov_b32_e32 v84, 0x3ecc95a3
	v_fmac_f32_e32 v84, 0x3e9b6dac, v96
	v_mov_b32_e32 v83, 0x3f2aaada
	v_fmac_f32_e32 v83, v96, v84
	v_cvt_f32_i32_e32 v84, v102
	v_sub_f32_e32 v85, v86, v85
	v_sub_f32_e32 v82, v82, v85
	v_ldexp_f32 v97, v82, 1
	v_mul_f32_e32 v85, v86, v96
	v_mov_b32_e32 v82, 0x3f317218
	s_mov_b32 s40, 0x3f317218
	v_pk_mul_f32 v[82:83], v[84:85], v[82:83]
	v_ldexp_f32 v87, v86, 1
	v_fma_f32 v86, v84, s40, -v82
	v_fmac_f32_e32 v86, 0xb102e308, v84
	v_pk_add_f32 v[84:85], v[82:83], v[86:87]
	v_sub_f32_e32 v87, v85, v87
	v_sub_f32_e32 v87, v83, v87
	v_add_f32_e32 v97, v97, v87
	v_mov_b32_e32 v96, v82
	v_pk_add_f32 v[82:83], v[84:85], v[82:83] neg_lo:[0,1] neg_hi:[0,1]
	v_pk_add_f32 v[102:103], v[84:85], v[96:97]
	v_mov_b32_e32 v83, v103
	v_mov_b32_e32 v87, v84
	v_pk_add_f32 v[112:113], v[86:87], v[82:83] neg_lo:[0,1] neg_hi:[0,1]
	v_pk_add_f32 v[82:83], v[86:87], v[82:83]
	v_mov_b32_e32 v86, v83
	v_pk_add_f32 v[114:115], v[86:87], v[84:85] neg_lo:[0,1] neg_hi:[0,1]
	v_mov_b32_e32 v87, v114
	v_pk_add_f32 v[116:117], v[102:103], v[86:87] neg_lo:[0,1] neg_hi:[0,1]
	v_mov_b32_e32 v82, v103
	v_mov_b32_e32 v102, v85
	;; [unrolled: 1-line block ×4, first 2 shown]
	v_pk_add_f32 v[82:83], v[82:83], v[102:103] neg_lo:[0,1] neg_hi:[0,1]
	v_mov_b32_e32 v96, v97
	v_mov_b32_e32 v97, v84
	v_pk_add_f32 v[82:83], v[96:97], v[82:83] neg_lo:[0,1] neg_hi:[0,1]
	v_mov_b32_e32 v116, v112
	v_pk_add_f32 v[84:85], v[116:117], v[82:83]
	v_mov_b32_e32 v96, v85
	v_pk_add_f32 v[96:97], v[84:85], v[96:97]
	v_pk_add_f32 v[86:87], v[86:87], v[96:97]
	v_mov_b32_e32 v85, v86
	v_pk_add_f32 v[102:103], v[84:85], v[112:113] neg_lo:[0,1] neg_hi:[0,1]
	v_mov_b32_e32 v83, v96
	v_sub_f32_e32 v84, v84, v102
	v_pk_add_f32 v[82:83], v[82:83], v[102:103] neg_lo:[0,1] neg_hi:[0,1]
	v_sub_f32_e32 v84, v112, v84
	v_add_f32_e32 v82, v82, v84
	v_cmp_eq_f32_e64 s[40:41], s45, v101
	s_mov_b32 s45, 0x33800000
	v_add_f32_e32 v82, v82, v83
	v_cmp_lt_f32_e64 s[46:47], |v101|, s45
	v_add_f32_e32 v82, v86, v82
	s_or_b64 s[40:41], s[40:41], s[46:47]
	v_cndmask_b32_e64 v82, v82, v101, s[40:41]
	v_add_f32_e32 v82, v81, v82
.LBB512_288:
	s_or_b64 exec, exec, s[42:43]
	v_bfe_u32 v81, v82, 16, 1
	v_add3_u32 v81, v82, v81, s44
	v_and_b32_e32 v81, 0xffff0000, v81
	v_cmp_o_f32_e64 s[40:41], v82, v82
	v_cndmask_b32_e64 v83, v71, v81, s[40:41]
	v_mov_b32_e32 v71, 16
	v_lshlrev_b32_sdwa v12, v71, v12 dst_sel:DWORD dst_unused:UNUSED_PAD src0_sel:DWORD src1_sel:WORD_1
	v_max_f32_e32 v82, v83, v83
	v_max_f32_e32 v81, v12, v12
	v_min_f32_e32 v84, v82, v81
	v_cmp_u_f32_e64 s[42:43], v83, v83
	v_max_f32_e32 v82, v82, v81
	v_cndmask_b32_e64 v84, v84, v83, s[42:43]
	v_cmp_u_f32_e64 s[40:41], v12, v12
	v_cndmask_b32_e64 v82, v82, v83, s[42:43]
	v_cndmask_b32_e64 v84, v84, v12, s[40:41]
	;; [unrolled: 1-line block ×3, first 2 shown]
	s_movk_i32 s46, 0x1f8
	v_cmp_neq_f32_e64 s[42:43], v84, v82
	v_cmp_class_f32_e64 s[44:45], v84, s46
	s_or_b64 s[42:43], s[42:43], s[44:45]
	s_and_saveexec_b64 s[44:45], s[42:43]
	s_cbranch_execz .LBB512_290
; %bb.289:
	v_sub_f32_e32 v83, v84, v82
	s_mov_b32 s42, 0x3fb8aa3b
	v_mul_f32_e32 v84, 0x3fb8aa3b, v83
	v_fma_f32 v85, v83, s42, -v84
	v_rndne_f32_e32 v86, v84
	v_fmac_f32_e32 v85, 0x32a5705f, v83
	v_sub_f32_e32 v84, v84, v86
	v_add_f32_e32 v84, v84, v85
	v_exp_f32_e32 v84, v84
	v_cvt_i32_f32_e32 v85, v86
	s_mov_b32 s42, 0xc2ce8ed0
	v_cmp_ngt_f32_e64 s[42:43], s42, v83
	s_mov_b32 s47, 0x7f800000
	v_ldexp_f32 v84, v84, v85
	v_cndmask_b32_e64 v84, 0, v84, s[42:43]
	s_mov_b32 s42, 0x42b17218
	v_mov_b32_e32 v85, 0x7f800000
	v_cmp_nlt_f32_e64 s[42:43], s42, v83
	v_cndmask_b32_e64 v101, v85, v84, s[42:43]
	v_add_f32_e32 v83, 1.0, v101
	v_add_f32_e32 v84, -1.0, v83
	v_sub_f32_e32 v85, v84, v83
	v_add_f32_e32 v85, 1.0, v85
	v_sub_f32_e32 v84, v101, v84
	v_add_f32_e32 v86, v84, v85
	v_frexp_mant_f32_e32 v87, v83
	s_mov_b32 s42, 0x3f2aaaab
	v_cvt_f64_f32_e32 v[84:85], v83
	v_frexp_exp_i32_f64_e32 v84, v[84:85]
	v_cmp_gt_f32_e64 s[42:43], s42, v87
	v_subbrev_co_u32_e64 v112, s[42:43], 0, v84, s[42:43]
	v_sub_u32_e32 v84, 0, v112
	v_ldexp_f32 v83, v83, v84
	v_ldexp_f32 v84, v86, v84
	v_add_f32_e32 v86, -1.0, v83
	v_add_f32_e32 v85, 1.0, v86
	v_sub_f32_e32 v85, v83, v85
	v_add_f32_e32 v87, v84, v85
	v_add_f32_e32 v85, 1.0, v83
	v_add_f32_e32 v96, -1.0, v85
	v_sub_f32_e32 v83, v83, v96
	v_add_f32_e32 v83, v84, v83
	v_add_f32_e32 v113, v85, v83
	v_rcp_f32_e32 v114, v113
	v_sub_f32_e32 v84, v85, v113
	v_add_f32_e32 v85, v86, v87
	v_add_f32_e32 v83, v83, v84
	v_mul_f32_e32 v116, v85, v114
	v_sub_f32_e32 v84, v86, v85
	v_mul_f32_e32 v86, v113, v116
	v_fma_f32 v96, v116, v113, -v86
	v_fmac_f32_e32 v96, v116, v83
	v_add_f32_e32 v115, v87, v84
	v_add_f32_e32 v84, v86, v96
	v_sub_f32_e32 v87, v85, v84
	v_pk_add_f32 v[102:103], v[84:85], v[86:87] neg_lo:[0,1] neg_hi:[0,1]
	v_mov_b32_e32 v97, v84
	v_pk_add_f32 v[84:85], v[102:103], v[96:97] neg_lo:[0,1] neg_hi:[0,1]
	v_add_f32_e32 v85, v115, v85
	v_add_f32_e32 v84, v84, v85
	;; [unrolled: 1-line block ×3, first 2 shown]
	v_mul_f32_e32 v115, v114, v85
	v_mul_f32_e32 v86, v113, v115
	v_fma_f32 v96, v115, v113, -v86
	v_fmac_f32_e32 v96, v115, v83
	v_sub_f32_e32 v83, v87, v85
	v_add_f32_e32 v83, v84, v83
	v_add_f32_e32 v84, v86, v96
	v_sub_f32_e32 v87, v85, v84
	v_pk_add_f32 v[102:103], v[84:85], v[86:87] neg_lo:[0,1] neg_hi:[0,1]
	v_mov_b32_e32 v97, v84
	v_pk_add_f32 v[84:85], v[102:103], v[96:97] neg_lo:[0,1] neg_hi:[0,1]
	v_add_f32_e32 v83, v83, v85
	v_add_f32_e32 v83, v84, v83
	;; [unrolled: 1-line block ×4, first 2 shown]
	v_sub_f32_e32 v85, v84, v116
	v_mul_f32_e32 v83, v114, v83
	v_sub_f32_e32 v85, v115, v85
	v_add_f32_e32 v83, v85, v83
	v_add_f32_e32 v87, v84, v83
	v_mul_f32_e32 v96, v87, v87
	v_mov_b32_e32 v86, 0x3ecc95a3
	v_fmac_f32_e32 v86, 0x3e9b6dac, v96
	v_mov_b32_e32 v85, 0x3f2aaada
	v_fmac_f32_e32 v85, v96, v86
	v_cvt_f32_i32_e32 v86, v112
	v_sub_f32_e32 v84, v87, v84
	v_sub_f32_e32 v83, v83, v84
	v_ldexp_f32 v97, v87, 1
	v_mul_f32_e32 v87, v87, v96
	v_mov_b32_e32 v84, 0x3f317218
	s_mov_b32 s42, 0x3f317218
	v_pk_mul_f32 v[84:85], v[86:87], v[84:85]
	v_fma_f32 v96, v86, s42, -v84
	v_fmac_f32_e32 v96, 0xb102e308, v86
	v_pk_add_f32 v[86:87], v[84:85], v[96:97]
	v_sub_f32_e32 v97, v87, v97
	v_ldexp_f32 v83, v83, 1
	v_sub_f32_e32 v97, v85, v97
	v_add_f32_e32 v103, v83, v97
	v_mov_b32_e32 v102, v84
	v_pk_add_f32 v[84:85], v[86:87], v[84:85] neg_lo:[0,1] neg_hi:[0,1]
	v_pk_add_f32 v[112:113], v[86:87], v[102:103]
	v_mov_b32_e32 v85, v113
	v_mov_b32_e32 v97, v86
	v_pk_add_f32 v[114:115], v[96:97], v[84:85] neg_lo:[0,1] neg_hi:[0,1]
	v_pk_add_f32 v[84:85], v[96:97], v[84:85]
	v_mov_b32_e32 v96, v85
	v_pk_add_f32 v[116:117], v[96:97], v[86:87] neg_lo:[0,1] neg_hi:[0,1]
	v_mov_b32_e32 v83, v116
	v_pk_add_f32 v[118:119], v[112:113], v[82:83] neg_lo:[0,1] neg_hi:[0,1]
	v_mov_b32_e32 v84, v113
	v_mov_b32_e32 v112, v87
	v_mov_b32_e32 v113, v116
	v_mov_b32_e32 v115, v85
	v_pk_add_f32 v[84:85], v[84:85], v[112:113] neg_lo:[0,1] neg_hi:[0,1]
	v_mov_b32_e32 v102, v103
	v_mov_b32_e32 v103, v86
	v_pk_add_f32 v[84:85], v[102:103], v[84:85] neg_lo:[0,1] neg_hi:[0,1]
	v_mov_b32_e32 v118, v114
	v_pk_add_f32 v[86:87], v[118:119], v[84:85]
	v_mov_b32_e32 v102, v87
	v_pk_add_f32 v[102:103], v[86:87], v[102:103]
	v_pk_add_f32 v[96:97], v[96:97], v[102:103]
	v_mov_b32_e32 v87, v96
	v_pk_add_f32 v[112:113], v[86:87], v[114:115] neg_lo:[0,1] neg_hi:[0,1]
	v_mov_b32_e32 v85, v102
	v_sub_f32_e32 v83, v86, v112
	v_pk_add_f32 v[84:85], v[84:85], v[112:113] neg_lo:[0,1] neg_hi:[0,1]
	v_sub_f32_e32 v83, v114, v83
	v_add_f32_e32 v83, v84, v83
	v_cmp_eq_f32_e64 s[42:43], s47, v101
	s_mov_b32 s47, 0x33800000
	v_add_f32_e32 v83, v83, v85
	v_cmp_lt_f32_e64 s[48:49], |v101|, s47
	v_add_f32_e32 v83, v96, v83
	s_or_b64 s[42:43], s[42:43], s[48:49]
	v_cndmask_b32_e64 v83, v83, v101, s[42:43]
	v_add_f32_e32 v83, v82, v83
.LBB512_290:
	s_or_b64 exec, exec, s[44:45]
	v_bfe_u32 v82, v83, 16, 1
	s_movk_i32 s48, 0x7fff
	v_add3_u32 v82, v83, v82, s48
	v_and_b32_e32 v84, 0xffff0000, v82
	v_mov_b32_e32 v82, 0x7fc00000
	v_cmp_o_f32_e64 s[42:43], v83, v83
	v_cndmask_b32_e64 v85, v82, v84, s[42:43]
	v_lshlrev_b32_sdwa v71, v71, v13 dst_sel:DWORD dst_unused:UNUSED_PAD src0_sel:DWORD src1_sel:WORD_0
	v_max_f32_e32 v84, v85, v85
	v_max_f32_e32 v83, v71, v71
	v_min_f32_e32 v86, v84, v83
	v_cmp_u_f32_e64 s[44:45], v85, v85
	v_max_f32_e32 v84, v84, v83
	v_cndmask_b32_e64 v86, v86, v85, s[44:45]
	v_cmp_u_f32_e64 s[42:43], v71, v71
	v_cndmask_b32_e64 v84, v84, v85, s[44:45]
	v_cndmask_b32_e64 v86, v86, v71, s[42:43]
	;; [unrolled: 1-line block ×3, first 2 shown]
	v_cmp_neq_f32_e64 s[44:45], v86, v84
	v_cmp_class_f32_e64 s[46:47], v86, s46
	s_or_b64 s[44:45], s[44:45], s[46:47]
	s_and_saveexec_b64 s[46:47], s[44:45]
	s_cbranch_execz .LBB512_292
; %bb.291:
	v_sub_f32_e32 v85, v86, v84
	s_mov_b32 s44, 0x3fb8aa3b
	v_mul_f32_e32 v86, 0x3fb8aa3b, v85
	v_fma_f32 v87, v85, s44, -v86
	v_rndne_f32_e32 v96, v86
	v_fmac_f32_e32 v87, 0x32a5705f, v85
	v_sub_f32_e32 v86, v86, v96
	v_add_f32_e32 v86, v86, v87
	v_exp_f32_e32 v86, v86
	v_cvt_i32_f32_e32 v87, v96
	s_mov_b32 s44, 0xc2ce8ed0
	v_cmp_ngt_f32_e64 s[44:45], s44, v85
	s_mov_b32 s49, 0x7f800000
	v_ldexp_f32 v86, v86, v87
	v_cndmask_b32_e64 v86, 0, v86, s[44:45]
	s_mov_b32 s44, 0x42b17218
	v_mov_b32_e32 v87, 0x7f800000
	v_cmp_nlt_f32_e64 s[44:45], s44, v85
	v_cndmask_b32_e64 v101, v87, v86, s[44:45]
	v_add_f32_e32 v85, 1.0, v101
	v_add_f32_e32 v86, -1.0, v85
	v_sub_f32_e32 v87, v86, v85
	v_add_f32_e32 v87, 1.0, v87
	v_sub_f32_e32 v86, v101, v86
	v_add_f32_e32 v96, v86, v87
	v_frexp_mant_f32_e32 v97, v85
	s_mov_b32 s44, 0x3f2aaaab
	v_cvt_f64_f32_e32 v[86:87], v85
	v_frexp_exp_i32_f64_e32 v86, v[86:87]
	v_cmp_gt_f32_e64 s[44:45], s44, v97
	v_subbrev_co_u32_e64 v114, s[44:45], 0, v86, s[44:45]
	v_sub_u32_e32 v86, 0, v114
	v_ldexp_f32 v85, v85, v86
	v_ldexp_f32 v86, v96, v86
	v_add_f32_e32 v96, -1.0, v85
	v_add_f32_e32 v87, 1.0, v96
	v_sub_f32_e32 v87, v85, v87
	v_add_f32_e32 v97, v86, v87
	v_add_f32_e32 v87, 1.0, v85
	v_add_f32_e32 v102, -1.0, v87
	v_sub_f32_e32 v85, v85, v102
	v_add_f32_e32 v85, v86, v85
	v_add_f32_e32 v115, v87, v85
	v_rcp_f32_e32 v116, v115
	v_sub_f32_e32 v86, v87, v115
	v_add_f32_e32 v87, v96, v97
	v_add_f32_e32 v85, v85, v86
	v_mul_f32_e32 v118, v87, v116
	v_sub_f32_e32 v86, v96, v87
	v_mul_f32_e32 v96, v115, v118
	v_fma_f32 v102, v118, v115, -v96
	v_fmac_f32_e32 v102, v118, v85
	v_add_f32_e32 v117, v97, v86
	v_add_f32_e32 v86, v96, v102
	v_sub_f32_e32 v97, v87, v86
	v_pk_add_f32 v[112:113], v[86:87], v[96:97] neg_lo:[0,1] neg_hi:[0,1]
	v_mov_b32_e32 v103, v86
	v_pk_add_f32 v[86:87], v[112:113], v[102:103] neg_lo:[0,1] neg_hi:[0,1]
	v_add_f32_e32 v87, v117, v87
	v_add_f32_e32 v86, v86, v87
	;; [unrolled: 1-line block ×3, first 2 shown]
	v_mul_f32_e32 v117, v116, v87
	v_mul_f32_e32 v96, v115, v117
	v_fma_f32 v102, v117, v115, -v96
	v_fmac_f32_e32 v102, v117, v85
	v_sub_f32_e32 v85, v97, v87
	v_add_f32_e32 v85, v86, v85
	v_add_f32_e32 v86, v96, v102
	v_sub_f32_e32 v97, v87, v86
	v_pk_add_f32 v[112:113], v[86:87], v[96:97] neg_lo:[0,1] neg_hi:[0,1]
	v_mov_b32_e32 v103, v86
	v_pk_add_f32 v[86:87], v[112:113], v[102:103] neg_lo:[0,1] neg_hi:[0,1]
	v_add_f32_e32 v85, v85, v87
	v_add_f32_e32 v85, v86, v85
	;; [unrolled: 1-line block ×4, first 2 shown]
	v_sub_f32_e32 v87, v86, v118
	v_mul_f32_e32 v85, v116, v85
	v_sub_f32_e32 v87, v117, v87
	v_add_f32_e32 v85, v87, v85
	v_add_f32_e32 v97, v86, v85
	v_mul_f32_e32 v102, v97, v97
	v_mov_b32_e32 v96, 0x3ecc95a3
	v_fmac_f32_e32 v96, 0x3e9b6dac, v102
	v_mov_b32_e32 v87, 0x3f2aaada
	v_fmac_f32_e32 v87, v102, v96
	v_cvt_f32_i32_e32 v96, v114
	v_sub_f32_e32 v86, v97, v86
	v_sub_f32_e32 v85, v85, v86
	v_ldexp_f32 v103, v97, 1
	v_mul_f32_e32 v97, v97, v102
	v_mov_b32_e32 v86, 0x3f317218
	s_mov_b32 s44, 0x3f317218
	v_pk_mul_f32 v[86:87], v[96:97], v[86:87]
	v_fma_f32 v102, v96, s44, -v86
	v_fmac_f32_e32 v102, 0xb102e308, v96
	v_pk_add_f32 v[96:97], v[86:87], v[102:103]
	v_sub_f32_e32 v103, v97, v103
	v_ldexp_f32 v85, v85, 1
	v_sub_f32_e32 v103, v87, v103
	v_add_f32_e32 v113, v85, v103
	v_mov_b32_e32 v112, v86
	v_pk_add_f32 v[86:87], v[96:97], v[86:87] neg_lo:[0,1] neg_hi:[0,1]
	v_pk_add_f32 v[114:115], v[96:97], v[112:113]
	v_mov_b32_e32 v87, v115
	v_mov_b32_e32 v103, v96
	v_pk_add_f32 v[116:117], v[102:103], v[86:87] neg_lo:[0,1] neg_hi:[0,1]
	v_pk_add_f32 v[86:87], v[102:103], v[86:87]
	v_mov_b32_e32 v102, v87
	v_pk_add_f32 v[118:119], v[102:103], v[96:97] neg_lo:[0,1] neg_hi:[0,1]
	v_mov_b32_e32 v85, v118
	v_pk_add_f32 v[128:129], v[114:115], v[84:85] neg_lo:[0,1] neg_hi:[0,1]
	v_mov_b32_e32 v86, v115
	v_mov_b32_e32 v114, v97
	;; [unrolled: 1-line block ×4, first 2 shown]
	v_pk_add_f32 v[86:87], v[86:87], v[114:115] neg_lo:[0,1] neg_hi:[0,1]
	v_mov_b32_e32 v112, v113
	v_mov_b32_e32 v113, v96
	v_pk_add_f32 v[86:87], v[112:113], v[86:87] neg_lo:[0,1] neg_hi:[0,1]
	v_mov_b32_e32 v128, v116
	v_pk_add_f32 v[96:97], v[128:129], v[86:87]
	v_mov_b32_e32 v112, v97
	v_pk_add_f32 v[112:113], v[96:97], v[112:113]
	v_pk_add_f32 v[102:103], v[102:103], v[112:113]
	v_mov_b32_e32 v97, v102
	v_pk_add_f32 v[114:115], v[96:97], v[116:117] neg_lo:[0,1] neg_hi:[0,1]
	v_mov_b32_e32 v87, v112
	v_sub_f32_e32 v85, v96, v114
	v_pk_add_f32 v[86:87], v[86:87], v[114:115] neg_lo:[0,1] neg_hi:[0,1]
	v_sub_f32_e32 v85, v116, v85
	v_add_f32_e32 v85, v86, v85
	v_cmp_eq_f32_e64 s[44:45], s49, v101
	s_mov_b32 s49, 0x33800000
	v_add_f32_e32 v85, v85, v87
	v_cmp_lt_f32_e64 s[50:51], |v101|, s49
	v_add_f32_e32 v85, v102, v85
	s_or_b64 s[44:45], s[44:45], s[50:51]
	v_cndmask_b32_e64 v85, v85, v101, s[44:45]
	v_add_f32_e32 v85, v84, v85
.LBB512_292:
	s_or_b64 exec, exec, s[46:47]
	v_bfe_u32 v84, v85, 16, 1
	v_add3_u32 v84, v85, v84, s48
	v_and_b32_e32 v84, 0xffff0000, v84
	v_cmp_o_f32_e64 s[44:45], v85, v85
	v_cndmask_b32_e64 v86, v82, v84, s[44:45]
	v_mov_b32_e32 v82, 16
	v_lshlrev_b32_sdwa v13, v82, v13 dst_sel:DWORD dst_unused:UNUSED_PAD src0_sel:DWORD src1_sel:WORD_1
	v_max_f32_e32 v85, v86, v86
	v_max_f32_e32 v84, v13, v13
	v_min_f32_e32 v87, v85, v84
	v_cmp_u_f32_e64 s[46:47], v86, v86
	v_max_f32_e32 v85, v85, v84
	v_cndmask_b32_e64 v87, v87, v86, s[46:47]
	v_cmp_u_f32_e64 s[44:45], v13, v13
	v_cndmask_b32_e64 v85, v85, v86, s[46:47]
	v_cndmask_b32_e64 v87, v87, v13, s[44:45]
	;; [unrolled: 1-line block ×3, first 2 shown]
	s_movk_i32 s50, 0x1f8
	v_cmp_neq_f32_e64 s[46:47], v87, v85
	v_cmp_class_f32_e64 s[48:49], v87, s50
	s_or_b64 s[46:47], s[46:47], s[48:49]
	s_and_saveexec_b64 s[48:49], s[46:47]
	s_cbranch_execz .LBB512_294
; %bb.293:
	v_sub_f32_e32 v86, v87, v85
	s_mov_b32 s46, 0x3fb8aa3b
	v_mul_f32_e32 v87, 0x3fb8aa3b, v86
	v_fma_f32 v96, v86, s46, -v87
	v_rndne_f32_e32 v97, v87
	v_fmac_f32_e32 v96, 0x32a5705f, v86
	v_sub_f32_e32 v87, v87, v97
	v_add_f32_e32 v87, v87, v96
	v_exp_f32_e32 v87, v87
	v_cvt_i32_f32_e32 v96, v97
	s_mov_b32 s46, 0xc2ce8ed0
	v_cmp_ngt_f32_e64 s[46:47], s46, v86
	s_mov_b32 s51, 0x7f800000
	v_ldexp_f32 v87, v87, v96
	v_cndmask_b32_e64 v87, 0, v87, s[46:47]
	s_mov_b32 s46, 0x42b17218
	v_mov_b32_e32 v96, 0x7f800000
	v_cmp_nlt_f32_e64 s[46:47], s46, v86
	v_cndmask_b32_e64 v130, v96, v87, s[46:47]
	v_add_f32_e32 v96, 1.0, v130
	v_add_f32_e32 v86, -1.0, v96
	v_sub_f32_e32 v87, v86, v96
	v_add_f32_e32 v87, 1.0, v87
	v_sub_f32_e32 v86, v130, v86
	v_add_f32_e32 v97, v86, v87
	v_frexp_mant_f32_e32 v101, v96
	s_mov_b32 s46, 0x3f2aaaab
	v_cvt_f64_f32_e32 v[86:87], v96
	v_frexp_exp_i32_f64_e32 v86, v[86:87]
	v_cmp_gt_f32_e64 s[46:47], s46, v101
	v_subbrev_co_u32_e64 v101, s[46:47], 0, v86, s[46:47]
	v_sub_u32_e32 v86, 0, v101
	v_ldexp_f32 v87, v96, v86
	v_add_f32_e32 v96, -1.0, v87
	v_add_f32_e32 v102, 1.0, v87
	v_ldexp_f32 v86, v97, v86
	v_add_f32_e32 v97, 1.0, v96
	v_add_f32_e32 v103, -1.0, v102
	v_sub_f32_e32 v97, v87, v97
	v_sub_f32_e32 v87, v87, v103
	v_add_f32_e32 v97, v86, v97
	v_add_f32_e32 v86, v86, v87
	;; [unrolled: 1-line block ×3, first 2 shown]
	v_rcp_f32_e32 v116, v114
	v_sub_f32_e32 v87, v102, v114
	v_add_f32_e32 v115, v86, v87
	v_add_f32_e32 v87, v96, v97
	v_mul_f32_e32 v118, v87, v116
	v_sub_f32_e32 v86, v96, v87
	v_mul_f32_e32 v96, v114, v118
	v_fma_f32 v102, v118, v114, -v96
	v_fmac_f32_e32 v102, v118, v115
	v_add_f32_e32 v117, v97, v86
	v_add_f32_e32 v86, v96, v102
	v_sub_f32_e32 v97, v87, v86
	v_pk_add_f32 v[112:113], v[86:87], v[96:97] neg_lo:[0,1] neg_hi:[0,1]
	v_mov_b32_e32 v103, v86
	v_pk_add_f32 v[86:87], v[112:113], v[102:103] neg_lo:[0,1] neg_hi:[0,1]
	v_add_f32_e32 v87, v117, v87
	v_add_f32_e32 v86, v86, v87
	;; [unrolled: 1-line block ×3, first 2 shown]
	v_mul_f32_e32 v117, v116, v87
	v_mul_f32_e32 v96, v114, v117
	v_fma_f32 v102, v117, v114, -v96
	v_fmac_f32_e32 v102, v117, v115
	v_sub_f32_e32 v97, v97, v87
	v_add_f32_e32 v114, v86, v97
	v_add_f32_e32 v86, v96, v102
	v_sub_f32_e32 v97, v87, v86
	v_pk_add_f32 v[112:113], v[86:87], v[96:97] neg_lo:[0,1] neg_hi:[0,1]
	v_mov_b32_e32 v103, v86
	v_pk_add_f32 v[86:87], v[112:113], v[102:103] neg_lo:[0,1] neg_hi:[0,1]
	v_add_f32_e32 v87, v114, v87
	v_add_f32_e32 v86, v86, v87
	;; [unrolled: 1-line block ×4, first 2 shown]
	v_sub_f32_e32 v87, v97, v118
	v_mul_f32_e32 v86, v116, v86
	v_sub_f32_e32 v87, v117, v87
	v_add_f32_e32 v86, v87, v86
	v_add_f32_e32 v102, v97, v86
	v_mul_f32_e32 v112, v102, v102
	v_mov_b32_e32 v96, 0x3ecc95a3
	v_fmac_f32_e32 v96, 0x3e9b6dac, v112
	v_mov_b32_e32 v87, 0x3f2aaada
	v_fmac_f32_e32 v87, v112, v96
	v_cvt_f32_i32_e32 v96, v101
	v_sub_f32_e32 v97, v102, v97
	v_sub_f32_e32 v86, v86, v97
	v_ldexp_f32 v101, v86, 1
	v_mul_f32_e32 v97, v102, v112
	v_mov_b32_e32 v86, 0x3f317218
	s_mov_b32 s46, 0x3f317218
	v_pk_mul_f32 v[86:87], v[96:97], v[86:87]
	v_ldexp_f32 v103, v102, 1
	v_fma_f32 v102, v96, s46, -v86
	v_fmac_f32_e32 v102, 0xb102e308, v96
	v_pk_add_f32 v[96:97], v[86:87], v[102:103]
	v_sub_f32_e32 v103, v97, v103
	v_sub_f32_e32 v103, v87, v103
	v_add_f32_e32 v113, v101, v103
	v_mov_b32_e32 v112, v86
	v_pk_add_f32 v[86:87], v[96:97], v[86:87] neg_lo:[0,1] neg_hi:[0,1]
	v_pk_add_f32 v[114:115], v[96:97], v[112:113]
	v_mov_b32_e32 v87, v115
	v_mov_b32_e32 v103, v96
	v_pk_add_f32 v[116:117], v[102:103], v[86:87] neg_lo:[0,1] neg_hi:[0,1]
	v_pk_add_f32 v[86:87], v[102:103], v[86:87]
	v_mov_b32_e32 v102, v87
	v_pk_add_f32 v[118:119], v[102:103], v[96:97] neg_lo:[0,1] neg_hi:[0,1]
	v_mov_b32_e32 v101, v118
	v_pk_add_f32 v[128:129], v[114:115], v[100:101] neg_lo:[0,1] neg_hi:[0,1]
	v_mov_b32_e32 v86, v115
	v_mov_b32_e32 v114, v97
	;; [unrolled: 1-line block ×4, first 2 shown]
	v_pk_add_f32 v[86:87], v[86:87], v[114:115] neg_lo:[0,1] neg_hi:[0,1]
	v_mov_b32_e32 v112, v113
	v_mov_b32_e32 v113, v96
	v_pk_add_f32 v[86:87], v[112:113], v[86:87] neg_lo:[0,1] neg_hi:[0,1]
	v_mov_b32_e32 v128, v116
	v_pk_add_f32 v[96:97], v[128:129], v[86:87]
	v_mov_b32_e32 v112, v97
	v_pk_add_f32 v[112:113], v[96:97], v[112:113]
	v_pk_add_f32 v[102:103], v[102:103], v[112:113]
	v_mov_b32_e32 v97, v102
	v_pk_add_f32 v[114:115], v[96:97], v[116:117] neg_lo:[0,1] neg_hi:[0,1]
	v_mov_b32_e32 v87, v112
	v_sub_f32_e32 v96, v96, v114
	v_pk_add_f32 v[86:87], v[86:87], v[114:115] neg_lo:[0,1] neg_hi:[0,1]
	v_sub_f32_e32 v96, v116, v96
	v_add_f32_e32 v86, v86, v96
	v_cmp_eq_f32_e64 s[46:47], s51, v130
	s_mov_b32 s51, 0x33800000
	v_add_f32_e32 v86, v86, v87
	v_cmp_lt_f32_e64 s[52:53], |v130|, s51
	v_add_f32_e32 v86, v102, v86
	s_or_b64 s[46:47], s[46:47], s[52:53]
	v_cndmask_b32_e64 v86, v86, v130, s[46:47]
	v_add_f32_e32 v86, v85, v86
.LBB512_294:
	s_or_b64 exec, exec, s[48:49]
	v_bfe_u32 v85, v86, 16, 1
	s_movk_i32 s52, 0x7fff
	v_add3_u32 v85, v86, v85, s52
	v_and_b32_e32 v87, 0xffff0000, v85
	v_mov_b32_e32 v85, 0x7fc00000
	v_cmp_o_f32_e64 s[46:47], v86, v86
	v_cndmask_b32_e64 v96, v85, v87, s[46:47]
	v_lshlrev_b32_sdwa v82, v82, v14 dst_sel:DWORD dst_unused:UNUSED_PAD src0_sel:DWORD src1_sel:WORD_0
	v_max_f32_e32 v87, v96, v96
	v_max_f32_e32 v86, v82, v82
	v_min_f32_e32 v97, v87, v86
	v_cmp_u_f32_e64 s[48:49], v96, v96
	v_max_f32_e32 v87, v87, v86
	v_cndmask_b32_e64 v97, v97, v96, s[48:49]
	v_cmp_u_f32_e64 s[46:47], v82, v82
	v_cndmask_b32_e64 v87, v87, v96, s[48:49]
	v_cndmask_b32_e64 v97, v97, v82, s[46:47]
	;; [unrolled: 1-line block ×3, first 2 shown]
	v_cmp_neq_f32_e64 s[48:49], v97, v87
	v_cmp_class_f32_e64 s[50:51], v97, s50
	s_or_b64 s[48:49], s[48:49], s[50:51]
	s_and_saveexec_b64 s[50:51], s[48:49]
	s_cbranch_execz .LBB512_296
; %bb.295:
	v_sub_f32_e32 v96, v97, v87
	s_mov_b32 s48, 0x3fb8aa3b
	v_mul_f32_e32 v97, 0x3fb8aa3b, v96
	v_fma_f32 v101, v96, s48, -v97
	v_rndne_f32_e32 v102, v97
	v_fmac_f32_e32 v101, 0x32a5705f, v96
	v_sub_f32_e32 v97, v97, v102
	v_add_f32_e32 v97, v97, v101
	v_exp_f32_e32 v97, v97
	v_cvt_i32_f32_e32 v101, v102
	s_mov_b32 s48, 0xc2ce8ed0
	v_cmp_ngt_f32_e64 s[48:49], s48, v96
	s_mov_b32 s53, 0x7f800000
	v_ldexp_f32 v97, v97, v101
	v_cndmask_b32_e64 v97, 0, v97, s[48:49]
	s_mov_b32 s48, 0x42b17218
	v_mov_b32_e32 v101, 0x7f800000
	v_cmp_nlt_f32_e64 s[48:49], s48, v96
	v_cndmask_b32_e64 v132, v101, v97, s[48:49]
	v_add_f32_e32 v101, 1.0, v132
	v_add_f32_e32 v96, -1.0, v101
	v_sub_f32_e32 v97, v96, v101
	v_add_f32_e32 v97, 1.0, v97
	v_sub_f32_e32 v96, v132, v96
	v_add_f32_e32 v102, v96, v97
	v_frexp_mant_f32_e32 v103, v101
	s_mov_b32 s48, 0x3f2aaaab
	v_cvt_f64_f32_e32 v[96:97], v101
	v_frexp_exp_i32_f64_e32 v96, v[96:97]
	v_cmp_gt_f32_e64 s[48:49], s48, v103
	v_subbrev_co_u32_e64 v116, s[48:49], 0, v96, s[48:49]
	v_sub_u32_e32 v96, 0, v116
	v_ldexp_f32 v97, v101, v96
	v_add_f32_e32 v101, -1.0, v97
	v_add_f32_e32 v103, 1.0, v97
	v_ldexp_f32 v96, v102, v96
	v_add_f32_e32 v102, 1.0, v101
	v_add_f32_e32 v112, -1.0, v103
	v_sub_f32_e32 v102, v97, v102
	v_sub_f32_e32 v97, v97, v112
	v_add_f32_e32 v102, v96, v102
	v_add_f32_e32 v96, v96, v97
	;; [unrolled: 1-line block ×3, first 2 shown]
	v_rcp_f32_e32 v119, v117
	v_sub_f32_e32 v97, v103, v117
	v_add_f32_e32 v118, v96, v97
	v_add_f32_e32 v97, v101, v102
	v_sub_f32_e32 v96, v101, v97
	v_mul_f32_e32 v128, v97, v119
	v_add_f32_e32 v101, v102, v96
	v_mul_f32_e32 v102, v117, v128
	v_fma_f32 v112, v128, v117, -v102
	v_fmac_f32_e32 v112, v128, v118
	v_add_f32_e32 v96, v102, v112
	v_sub_f32_e32 v103, v97, v96
	v_pk_add_f32 v[114:115], v[96:97], v[102:103] neg_lo:[0,1] neg_hi:[0,1]
	v_mov_b32_e32 v113, v96
	v_pk_add_f32 v[96:97], v[114:115], v[112:113] neg_lo:[0,1] neg_hi:[0,1]
	v_add_f32_e32 v97, v101, v97
	v_add_f32_e32 v96, v96, v97
	;; [unrolled: 1-line block ×3, first 2 shown]
	v_mul_f32_e32 v101, v119, v97
	v_mul_f32_e32 v102, v117, v101
	v_fma_f32 v112, v101, v117, -v102
	v_fmac_f32_e32 v112, v101, v118
	v_sub_f32_e32 v103, v103, v97
	v_add_f32_e32 v117, v96, v103
	v_add_f32_e32 v96, v102, v112
	v_sub_f32_e32 v103, v97, v96
	v_pk_add_f32 v[114:115], v[96:97], v[102:103] neg_lo:[0,1] neg_hi:[0,1]
	v_mov_b32_e32 v113, v96
	v_pk_add_f32 v[96:97], v[114:115], v[112:113] neg_lo:[0,1] neg_hi:[0,1]
	v_add_f32_e32 v97, v117, v97
	v_add_f32_e32 v96, v96, v97
	;; [unrolled: 1-line block ×4, first 2 shown]
	v_sub_f32_e32 v97, v103, v128
	v_mul_f32_e32 v96, v119, v96
	v_sub_f32_e32 v97, v101, v97
	v_add_f32_e32 v96, v97, v96
	v_add_f32_e32 v101, v103, v96
	v_mul_f32_e32 v112, v101, v101
	v_mov_b32_e32 v102, 0x3ecc95a3
	v_fmac_f32_e32 v102, 0x3e9b6dac, v112
	v_mov_b32_e32 v97, 0x3f2aaada
	v_fmac_f32_e32 v97, v112, v102
	v_cvt_f32_i32_e32 v102, v116
	v_sub_f32_e32 v103, v101, v103
	v_sub_f32_e32 v96, v96, v103
	v_ldexp_f32 v114, v96, 1
	v_mul_f32_e32 v103, v101, v112
	v_mov_b32_e32 v96, 0x3f317218
	s_mov_b32 s48, 0x3f317218
	v_pk_mul_f32 v[96:97], v[102:103], v[96:97]
	v_fma_f32 v112, v102, s48, -v96
	v_ldexp_f32 v113, v101, 1
	v_fmac_f32_e32 v112, 0xb102e308, v102
	v_pk_add_f32 v[102:103], v[96:97], v[112:113]
	v_sub_f32_e32 v101, v103, v113
	v_sub_f32_e32 v101, v97, v101
	v_add_f32_e32 v115, v114, v101
	v_mov_b32_e32 v114, v96
	v_pk_add_f32 v[96:97], v[102:103], v[96:97] neg_lo:[0,1] neg_hi:[0,1]
	v_pk_add_f32 v[116:117], v[102:103], v[114:115]
	v_mov_b32_e32 v97, v117
	v_mov_b32_e32 v113, v102
	v_pk_add_f32 v[118:119], v[112:113], v[96:97] neg_lo:[0,1] neg_hi:[0,1]
	v_pk_add_f32 v[96:97], v[112:113], v[96:97]
	v_mov_b32_e32 v112, v97
	v_pk_add_f32 v[128:129], v[112:113], v[102:103] neg_lo:[0,1] neg_hi:[0,1]
	v_mov_b32_e32 v101, v128
	v_pk_add_f32 v[130:131], v[116:117], v[100:101] neg_lo:[0,1] neg_hi:[0,1]
	v_mov_b32_e32 v96, v117
	v_mov_b32_e32 v116, v103
	;; [unrolled: 1-line block ×4, first 2 shown]
	v_pk_add_f32 v[96:97], v[96:97], v[116:117] neg_lo:[0,1] neg_hi:[0,1]
	v_mov_b32_e32 v114, v115
	v_mov_b32_e32 v115, v102
	v_pk_add_f32 v[96:97], v[114:115], v[96:97] neg_lo:[0,1] neg_hi:[0,1]
	v_mov_b32_e32 v130, v118
	v_pk_add_f32 v[102:103], v[130:131], v[96:97]
	v_mov_b32_e32 v114, v103
	v_pk_add_f32 v[114:115], v[102:103], v[114:115]
	v_pk_add_f32 v[112:113], v[112:113], v[114:115]
	v_mov_b32_e32 v103, v112
	v_pk_add_f32 v[116:117], v[102:103], v[118:119] neg_lo:[0,1] neg_hi:[0,1]
	v_mov_b32_e32 v97, v114
	v_sub_f32_e32 v101, v102, v116
	v_pk_add_f32 v[96:97], v[96:97], v[116:117] neg_lo:[0,1] neg_hi:[0,1]
	v_sub_f32_e32 v101, v118, v101
	v_add_f32_e32 v96, v96, v101
	v_cmp_eq_f32_e64 s[48:49], s53, v132
	s_mov_b32 s53, 0x33800000
	v_add_f32_e32 v96, v96, v97
	v_cmp_lt_f32_e64 s[56:57], |v132|, s53
	v_add_f32_e32 v96, v112, v96
	s_or_b64 s[48:49], s[48:49], s[56:57]
	v_cndmask_b32_e64 v96, v96, v132, s[48:49]
	v_add_f32_e32 v96, v87, v96
.LBB512_296:
	s_or_b64 exec, exec, s[50:51]
	v_bfe_u32 v87, v96, 16, 1
	v_add3_u32 v87, v96, v87, s52
	v_and_b32_e32 v87, 0xffff0000, v87
	v_cmp_o_f32_e64 s[48:49], v96, v96
	v_cndmask_b32_e64 v101, v85, v87, s[48:49]
	v_mov_b32_e32 v85, 16
	v_lshlrev_b32_sdwa v14, v85, v14 dst_sel:DWORD dst_unused:UNUSED_PAD src0_sel:DWORD src1_sel:WORD_1
	v_max_f32_e32 v96, v101, v101
	v_max_f32_e32 v87, v14, v14
	v_min_f32_e32 v97, v96, v87
	v_cmp_u_f32_e64 s[50:51], v101, v101
	v_max_f32_e32 v96, v96, v87
	v_cndmask_b32_e64 v97, v97, v101, s[50:51]
	v_cmp_u_f32_e64 s[48:49], v14, v14
	v_cndmask_b32_e64 v96, v96, v101, s[50:51]
	v_cndmask_b32_e64 v97, v97, v14, s[48:49]
	;; [unrolled: 1-line block ×3, first 2 shown]
	s_movk_i32 s56, 0x1f8
	v_cmp_neq_f32_e64 s[50:51], v97, v96
	v_cmp_class_f32_e64 s[52:53], v97, s56
	s_or_b64 s[50:51], s[50:51], s[52:53]
	s_and_saveexec_b64 s[52:53], s[50:51]
	s_cbranch_execz .LBB512_298
; %bb.297:
	v_sub_f32_e32 v97, v97, v96
	s_mov_b32 s50, 0x3fb8aa3b
	v_mul_f32_e32 v101, 0x3fb8aa3b, v97
	v_fma_f32 v102, v97, s50, -v101
	v_rndne_f32_e32 v103, v101
	v_fmac_f32_e32 v102, 0x32a5705f, v97
	v_sub_f32_e32 v101, v101, v103
	v_add_f32_e32 v101, v101, v102
	v_exp_f32_e32 v101, v101
	v_cvt_i32_f32_e32 v102, v103
	s_mov_b32 s50, 0xc2ce8ed0
	v_cmp_ngt_f32_e64 s[50:51], s50, v97
	s_mov_b32 s57, 0x7f800000
	v_ldexp_f32 v101, v101, v102
	v_cndmask_b32_e64 v101, 0, v101, s[50:51]
	s_mov_b32 s50, 0x42b17218
	v_mov_b32_e32 v102, 0x7f800000
	v_cmp_nlt_f32_e64 s[50:51], s50, v97
	v_cndmask_b32_e64 v101, v102, v101, s[50:51]
	v_add_f32_e32 v97, 1.0, v101
	v_add_f32_e32 v102, -1.0, v97
	v_sub_f32_e32 v103, v102, v97
	v_add_f32_e32 v103, 1.0, v103
	v_sub_f32_e32 v102, v101, v102
	v_add_f32_e32 v112, v102, v103
	v_frexp_mant_f32_e32 v113, v97
	s_mov_b32 s50, 0x3f2aaaab
	v_cvt_f64_f32_e32 v[102:103], v97
	v_frexp_exp_i32_f64_e32 v102, v[102:103]
	v_cmp_gt_f32_e64 s[50:51], s50, v113
	v_subbrev_co_u32_e64 v118, s[50:51], 0, v102, s[50:51]
	v_sub_u32_e32 v102, 0, v118
	v_ldexp_f32 v97, v97, v102
	v_ldexp_f32 v102, v112, v102
	v_add_f32_e32 v112, -1.0, v97
	v_add_f32_e32 v103, 1.0, v112
	v_sub_f32_e32 v103, v97, v103
	v_add_f32_e32 v113, v102, v103
	v_add_f32_e32 v103, 1.0, v97
	v_add_f32_e32 v114, -1.0, v103
	v_sub_f32_e32 v97, v97, v114
	v_add_f32_e32 v97, v102, v97
	v_add_f32_e32 v119, v103, v97
	v_rcp_f32_e32 v128, v119
	v_sub_f32_e32 v102, v103, v119
	v_add_f32_e32 v103, v112, v113
	v_add_f32_e32 v97, v97, v102
	v_mul_f32_e32 v130, v103, v128
	v_sub_f32_e32 v102, v112, v103
	v_mul_f32_e32 v112, v119, v130
	v_fma_f32 v114, v130, v119, -v112
	v_fmac_f32_e32 v114, v130, v97
	v_add_f32_e32 v129, v113, v102
	v_add_f32_e32 v102, v112, v114
	v_sub_f32_e32 v113, v103, v102
	v_pk_add_f32 v[116:117], v[102:103], v[112:113] neg_lo:[0,1] neg_hi:[0,1]
	v_mov_b32_e32 v115, v102
	v_pk_add_f32 v[102:103], v[116:117], v[114:115] neg_lo:[0,1] neg_hi:[0,1]
	v_add_f32_e32 v103, v129, v103
	v_add_f32_e32 v102, v102, v103
	;; [unrolled: 1-line block ×3, first 2 shown]
	v_mul_f32_e32 v129, v128, v103
	v_mul_f32_e32 v112, v119, v129
	v_fma_f32 v114, v129, v119, -v112
	v_fmac_f32_e32 v114, v129, v97
	v_sub_f32_e32 v97, v113, v103
	v_add_f32_e32 v97, v102, v97
	v_add_f32_e32 v102, v112, v114
	v_sub_f32_e32 v113, v103, v102
	v_pk_add_f32 v[116:117], v[102:103], v[112:113] neg_lo:[0,1] neg_hi:[0,1]
	v_mov_b32_e32 v115, v102
	v_pk_add_f32 v[102:103], v[116:117], v[114:115] neg_lo:[0,1] neg_hi:[0,1]
	v_add_f32_e32 v97, v97, v103
	v_add_f32_e32 v97, v102, v97
	;; [unrolled: 1-line block ×4, first 2 shown]
	v_sub_f32_e32 v103, v102, v130
	v_mul_f32_e32 v97, v128, v97
	v_sub_f32_e32 v103, v129, v103
	v_add_f32_e32 v97, v103, v97
	v_add_f32_e32 v113, v102, v97
	v_mul_f32_e32 v114, v113, v113
	v_mov_b32_e32 v112, 0x3ecc95a3
	v_fmac_f32_e32 v112, 0x3e9b6dac, v114
	v_mov_b32_e32 v103, 0x3f2aaada
	v_fmac_f32_e32 v103, v114, v112
	v_cvt_f32_i32_e32 v112, v118
	v_sub_f32_e32 v102, v113, v102
	v_sub_f32_e32 v97, v97, v102
	v_ldexp_f32 v115, v113, 1
	v_mul_f32_e32 v113, v113, v114
	v_mov_b32_e32 v102, 0x3f317218
	s_mov_b32 s50, 0x3f317218
	v_pk_mul_f32 v[102:103], v[112:113], v[102:103]
	v_fma_f32 v114, v112, s50, -v102
	v_fmac_f32_e32 v114, 0xb102e308, v112
	v_pk_add_f32 v[112:113], v[102:103], v[114:115]
	v_sub_f32_e32 v115, v113, v115
	v_ldexp_f32 v97, v97, 1
	v_sub_f32_e32 v115, v103, v115
	v_add_f32_e32 v117, v97, v115
	v_mov_b32_e32 v116, v102
	v_pk_add_f32 v[102:103], v[112:113], v[102:103] neg_lo:[0,1] neg_hi:[0,1]
	v_pk_add_f32 v[118:119], v[112:113], v[116:117]
	v_mov_b32_e32 v103, v119
	v_mov_b32_e32 v115, v112
	v_pk_add_f32 v[128:129], v[114:115], v[102:103] neg_lo:[0,1] neg_hi:[0,1]
	v_pk_add_f32 v[102:103], v[114:115], v[102:103]
	v_mov_b32_e32 v114, v103
	v_pk_add_f32 v[130:131], v[114:115], v[112:113] neg_lo:[0,1] neg_hi:[0,1]
	v_mov_b32_e32 v97, v130
	v_pk_add_f32 v[132:133], v[118:119], v[96:97] neg_lo:[0,1] neg_hi:[0,1]
	v_mov_b32_e32 v102, v119
	v_mov_b32_e32 v118, v113
	;; [unrolled: 1-line block ×4, first 2 shown]
	v_pk_add_f32 v[102:103], v[102:103], v[118:119] neg_lo:[0,1] neg_hi:[0,1]
	v_mov_b32_e32 v116, v117
	v_mov_b32_e32 v117, v112
	v_pk_add_f32 v[102:103], v[116:117], v[102:103] neg_lo:[0,1] neg_hi:[0,1]
	v_mov_b32_e32 v132, v128
	v_pk_add_f32 v[112:113], v[132:133], v[102:103]
	v_mov_b32_e32 v116, v113
	v_pk_add_f32 v[116:117], v[112:113], v[116:117]
	v_pk_add_f32 v[114:115], v[114:115], v[116:117]
	v_mov_b32_e32 v113, v114
	v_pk_add_f32 v[118:119], v[112:113], v[128:129] neg_lo:[0,1] neg_hi:[0,1]
	v_mov_b32_e32 v103, v116
	v_sub_f32_e32 v97, v112, v118
	v_pk_add_f32 v[102:103], v[102:103], v[118:119] neg_lo:[0,1] neg_hi:[0,1]
	v_sub_f32_e32 v97, v128, v97
	v_add_f32_e32 v97, v102, v97
	v_cmp_eq_f32_e64 s[50:51], s57, v101
	s_mov_b32 s57, 0x33800000
	v_add_f32_e32 v97, v97, v103
	v_cmp_lt_f32_e64 s[58:59], |v101|, s57
	v_add_f32_e32 v97, v114, v97
	s_or_b64 s[50:51], s[50:51], s[58:59]
	v_cndmask_b32_e64 v97, v97, v101, s[50:51]
	v_add_f32_e32 v101, v96, v97
.LBB512_298:
	s_or_b64 exec, exec, s[52:53]
	v_bfe_u32 v96, v101, 16, 1
	s_movk_i32 s58, 0x7fff
	v_add3_u32 v96, v101, v96, s58
	v_and_b32_e32 v96, 0xffff0000, v96
	v_mov_b32_e32 v97, 0x7fc00000
	v_cmp_o_f32_e64 s[50:51], v101, v101
	v_cndmask_b32_e64 v102, v97, v96, s[50:51]
	v_lshlrev_b32_sdwa v85, v85, v15 dst_sel:DWORD dst_unused:UNUSED_PAD src0_sel:DWORD src1_sel:WORD_0
	v_max_f32_e32 v101, v102, v102
	v_max_f32_e32 v96, v85, v85
	v_min_f32_e32 v103, v101, v96
	v_cmp_u_f32_e64 s[52:53], v102, v102
	v_max_f32_e32 v101, v101, v96
	v_cndmask_b32_e64 v103, v103, v102, s[52:53]
	v_cmp_u_f32_e64 s[50:51], v85, v85
	v_cndmask_b32_e64 v101, v101, v102, s[52:53]
	v_cndmask_b32_e64 v103, v103, v85, s[50:51]
	;; [unrolled: 1-line block ×3, first 2 shown]
	v_cmp_neq_f32_e64 s[52:53], v103, v101
	v_cmp_class_f32_e64 s[56:57], v103, s56
	s_or_b64 s[52:53], s[52:53], s[56:57]
	s_and_saveexec_b64 s[56:57], s[52:53]
	s_cbranch_execz .LBB512_300
; %bb.299:
	v_sub_f32_e32 v102, v103, v101
	s_mov_b32 s52, 0x3fb8aa3b
	v_mul_f32_e32 v103, 0x3fb8aa3b, v102
	v_fma_f32 v112, v102, s52, -v103
	v_rndne_f32_e32 v113, v103
	v_fmac_f32_e32 v112, 0x32a5705f, v102
	v_sub_f32_e32 v103, v103, v113
	v_add_f32_e32 v103, v103, v112
	v_exp_f32_e32 v103, v103
	v_cvt_i32_f32_e32 v112, v113
	s_mov_b32 s52, 0xc2ce8ed0
	v_cmp_ngt_f32_e64 s[52:53], s52, v102
	s_mov_b32 s59, 0x7f800000
	v_ldexp_f32 v103, v103, v112
	v_cndmask_b32_e64 v103, 0, v103, s[52:53]
	s_mov_b32 s52, 0x42b17218
	v_mov_b32_e32 v112, 0x7f800000
	v_cmp_nlt_f32_e64 s[52:53], s52, v102
	v_cndmask_b32_e64 v134, v112, v103, s[52:53]
	v_add_f32_e32 v112, 1.0, v134
	v_add_f32_e32 v102, -1.0, v112
	v_sub_f32_e32 v103, v102, v112
	v_add_f32_e32 v103, 1.0, v103
	v_sub_f32_e32 v102, v134, v102
	v_add_f32_e32 v113, v102, v103
	v_frexp_mant_f32_e32 v114, v112
	s_mov_b32 s52, 0x3f2aaaab
	v_cvt_f64_f32_e32 v[102:103], v112
	v_frexp_exp_i32_f64_e32 v102, v[102:103]
	v_cmp_gt_f32_e64 s[52:53], s52, v114
	v_subbrev_co_u32_e64 v118, s[52:53], 0, v102, s[52:53]
	v_sub_u32_e32 v102, 0, v118
	v_ldexp_f32 v103, v112, v102
	v_add_f32_e32 v112, -1.0, v103
	v_add_f32_e32 v114, 1.0, v103
	v_ldexp_f32 v102, v113, v102
	v_add_f32_e32 v113, 1.0, v112
	v_add_f32_e32 v115, -1.0, v114
	v_sub_f32_e32 v113, v103, v113
	v_sub_f32_e32 v103, v103, v115
	v_add_f32_e32 v113, v102, v113
	v_add_f32_e32 v102, v102, v103
	v_add_f32_e32 v119, v114, v102
	v_rcp_f32_e32 v129, v119
	v_sub_f32_e32 v103, v114, v119
	v_add_f32_e32 v128, v102, v103
	v_add_f32_e32 v103, v112, v113
	v_mul_f32_e32 v131, v103, v129
	v_sub_f32_e32 v102, v112, v103
	v_mul_f32_e32 v112, v119, v131
	v_fma_f32 v114, v131, v119, -v112
	v_fmac_f32_e32 v114, v131, v128
	v_add_f32_e32 v130, v113, v102
	v_add_f32_e32 v102, v112, v114
	v_sub_f32_e32 v113, v103, v102
	v_pk_add_f32 v[116:117], v[102:103], v[112:113] neg_lo:[0,1] neg_hi:[0,1]
	v_mov_b32_e32 v115, v102
	v_pk_add_f32 v[102:103], v[116:117], v[114:115] neg_lo:[0,1] neg_hi:[0,1]
	v_add_f32_e32 v103, v130, v103
	v_add_f32_e32 v102, v102, v103
	;; [unrolled: 1-line block ×3, first 2 shown]
	v_mul_f32_e32 v130, v129, v103
	v_mul_f32_e32 v112, v119, v130
	v_fma_f32 v114, v130, v119, -v112
	v_fmac_f32_e32 v114, v130, v128
	v_sub_f32_e32 v113, v113, v103
	v_add_f32_e32 v119, v102, v113
	v_add_f32_e32 v102, v112, v114
	v_sub_f32_e32 v113, v103, v102
	v_pk_add_f32 v[116:117], v[102:103], v[112:113] neg_lo:[0,1] neg_hi:[0,1]
	v_mov_b32_e32 v115, v102
	v_pk_add_f32 v[102:103], v[116:117], v[114:115] neg_lo:[0,1] neg_hi:[0,1]
	v_add_f32_e32 v103, v119, v103
	v_add_f32_e32 v102, v102, v103
	;; [unrolled: 1-line block ×4, first 2 shown]
	v_sub_f32_e32 v103, v113, v131
	v_mul_f32_e32 v102, v129, v102
	v_sub_f32_e32 v103, v130, v103
	v_add_f32_e32 v102, v103, v102
	v_add_f32_e32 v114, v113, v102
	v_mul_f32_e32 v116, v114, v114
	v_mov_b32_e32 v112, 0x3ecc95a3
	v_fmac_f32_e32 v112, 0x3e9b6dac, v116
	v_mov_b32_e32 v103, 0x3f2aaada
	v_fmac_f32_e32 v103, v116, v112
	v_cvt_f32_i32_e32 v112, v118
	v_sub_f32_e32 v113, v114, v113
	v_sub_f32_e32 v102, v102, v113
	v_ldexp_f32 v117, v102, 1
	v_mul_f32_e32 v113, v114, v116
	v_mov_b32_e32 v102, 0x3f317218
	s_mov_b32 s52, 0x3f317218
	v_pk_mul_f32 v[102:103], v[112:113], v[102:103]
	v_ldexp_f32 v115, v114, 1
	v_fma_f32 v114, v112, s52, -v102
	v_fmac_f32_e32 v114, 0xb102e308, v112
	v_pk_add_f32 v[112:113], v[102:103], v[114:115]
	v_sub_f32_e32 v115, v113, v115
	v_sub_f32_e32 v115, v103, v115
	v_add_f32_e32 v117, v117, v115
	v_mov_b32_e32 v116, v102
	v_pk_add_f32 v[102:103], v[112:113], v[102:103] neg_lo:[0,1] neg_hi:[0,1]
	v_pk_add_f32 v[118:119], v[112:113], v[116:117]
	v_mov_b32_e32 v103, v119
	v_mov_b32_e32 v115, v112
	v_pk_add_f32 v[128:129], v[114:115], v[102:103] neg_lo:[0,1] neg_hi:[0,1]
	v_pk_add_f32 v[102:103], v[114:115], v[102:103]
	v_mov_b32_e32 v114, v103
	v_pk_add_f32 v[130:131], v[114:115], v[112:113] neg_lo:[0,1] neg_hi:[0,1]
	v_mov_b32_e32 v115, v130
	v_pk_add_f32 v[132:133], v[118:119], v[114:115] neg_lo:[0,1] neg_hi:[0,1]
	v_mov_b32_e32 v102, v119
	v_mov_b32_e32 v118, v113
	;; [unrolled: 1-line block ×4, first 2 shown]
	v_pk_add_f32 v[102:103], v[102:103], v[118:119] neg_lo:[0,1] neg_hi:[0,1]
	v_mov_b32_e32 v116, v117
	v_mov_b32_e32 v117, v112
	v_pk_add_f32 v[102:103], v[116:117], v[102:103] neg_lo:[0,1] neg_hi:[0,1]
	v_mov_b32_e32 v132, v128
	v_pk_add_f32 v[112:113], v[132:133], v[102:103]
	v_mov_b32_e32 v116, v113
	v_pk_add_f32 v[116:117], v[112:113], v[116:117]
	v_pk_add_f32 v[114:115], v[114:115], v[116:117]
	v_mov_b32_e32 v113, v114
	v_pk_add_f32 v[118:119], v[112:113], v[128:129] neg_lo:[0,1] neg_hi:[0,1]
	v_mov_b32_e32 v103, v116
	v_sub_f32_e32 v112, v112, v118
	v_pk_add_f32 v[102:103], v[102:103], v[118:119] neg_lo:[0,1] neg_hi:[0,1]
	v_sub_f32_e32 v112, v128, v112
	v_add_f32_e32 v102, v102, v112
	v_cmp_eq_f32_e64 s[52:53], s59, v134
	s_mov_b32 s59, 0x33800000
	v_add_f32_e32 v102, v102, v103
	v_cmp_lt_f32_e64 s[60:61], |v134|, s59
	v_add_f32_e32 v102, v114, v102
	s_or_b64 s[52:53], s[52:53], s[60:61]
	v_cndmask_b32_e64 v102, v102, v134, s[52:53]
	v_add_f32_e32 v102, v101, v102
.LBB512_300:
	s_or_b64 exec, exec, s[56:57]
	v_bfe_u32 v101, v102, 16, 1
	v_add3_u32 v101, v102, v101, s58
	v_and_b32_e32 v101, 0xffff0000, v101
	v_cmp_o_f32_e64 s[52:53], v102, v102
	v_cndmask_b32_e64 v102, v97, v101, s[52:53]
	v_mov_b32_e32 v97, 16
	v_lshlrev_b32_sdwa v15, v97, v15 dst_sel:DWORD dst_unused:UNUSED_PAD src0_sel:DWORD src1_sel:WORD_1
	v_max_f32_e32 v101, v102, v102
	v_max_f32_e32 v97, v15, v15
	v_min_f32_e32 v103, v101, v97
	v_cmp_u_f32_e64 s[56:57], v102, v102
	v_max_f32_e32 v101, v101, v97
	v_cndmask_b32_e64 v103, v103, v102, s[56:57]
	v_cmp_u_f32_e64 s[52:53], v15, v15
	v_cndmask_b32_e64 v101, v101, v102, s[56:57]
	v_cndmask_b32_e64 v103, v103, v15, s[52:53]
	;; [unrolled: 1-line block ×3, first 2 shown]
	s_movk_i32 s58, 0x1f8
	v_cmp_neq_f32_e64 s[56:57], v103, v101
	v_cmp_class_f32_e64 s[58:59], v103, s58
	s_or_b64 s[56:57], s[56:57], s[58:59]
	s_and_saveexec_b64 s[58:59], s[56:57]
	s_cbranch_execz .LBB512_302
; %bb.301:
	v_sub_f32_e32 v102, v103, v101
	s_mov_b32 s56, 0x3fb8aa3b
	v_mul_f32_e32 v103, 0x3fb8aa3b, v102
	v_fma_f32 v112, v102, s56, -v103
	v_rndne_f32_e32 v113, v103
	v_fmac_f32_e32 v112, 0x32a5705f, v102
	v_sub_f32_e32 v103, v103, v113
	v_add_f32_e32 v103, v103, v112
	v_exp_f32_e32 v103, v103
	v_cvt_i32_f32_e32 v112, v113
	s_mov_b32 s56, 0xc2ce8ed0
	v_cmp_ngt_f32_e64 s[56:57], s56, v102
	s_mov_b32 s60, 0x7f800000
	v_ldexp_f32 v103, v103, v112
	v_cndmask_b32_e64 v103, 0, v103, s[56:57]
	s_mov_b32 s56, 0x42b17218
	v_mov_b32_e32 v112, 0x7f800000
	v_cmp_nlt_f32_e64 s[56:57], s56, v102
	v_cndmask_b32_e64 v134, v112, v103, s[56:57]
	v_add_f32_e32 v112, 1.0, v134
	v_add_f32_e32 v102, -1.0, v112
	v_sub_f32_e32 v103, v102, v112
	v_add_f32_e32 v103, 1.0, v103
	v_sub_f32_e32 v102, v134, v102
	v_add_f32_e32 v113, v102, v103
	v_frexp_mant_f32_e32 v114, v112
	s_mov_b32 s56, 0x3f2aaaab
	v_cvt_f64_f32_e32 v[102:103], v112
	v_frexp_exp_i32_f64_e32 v102, v[102:103]
	v_cmp_gt_f32_e64 s[56:57], s56, v114
	v_subbrev_co_u32_e64 v118, s[56:57], 0, v102, s[56:57]
	v_sub_u32_e32 v102, 0, v118
	v_ldexp_f32 v103, v112, v102
	v_add_f32_e32 v112, -1.0, v103
	v_add_f32_e32 v114, 1.0, v103
	v_ldexp_f32 v102, v113, v102
	v_add_f32_e32 v113, 1.0, v112
	v_add_f32_e32 v115, -1.0, v114
	v_sub_f32_e32 v113, v103, v113
	v_sub_f32_e32 v103, v103, v115
	v_add_f32_e32 v113, v102, v113
	v_add_f32_e32 v102, v102, v103
	;; [unrolled: 1-line block ×3, first 2 shown]
	v_rcp_f32_e32 v129, v119
	v_sub_f32_e32 v103, v114, v119
	v_add_f32_e32 v128, v102, v103
	v_add_f32_e32 v103, v112, v113
	v_mul_f32_e32 v131, v103, v129
	v_sub_f32_e32 v102, v112, v103
	v_mul_f32_e32 v112, v119, v131
	v_fma_f32 v114, v131, v119, -v112
	v_fmac_f32_e32 v114, v131, v128
	v_add_f32_e32 v130, v113, v102
	v_add_f32_e32 v102, v112, v114
	v_sub_f32_e32 v113, v103, v102
	v_pk_add_f32 v[116:117], v[102:103], v[112:113] neg_lo:[0,1] neg_hi:[0,1]
	v_mov_b32_e32 v115, v102
	v_pk_add_f32 v[102:103], v[116:117], v[114:115] neg_lo:[0,1] neg_hi:[0,1]
	v_add_f32_e32 v103, v130, v103
	v_add_f32_e32 v102, v102, v103
	;; [unrolled: 1-line block ×3, first 2 shown]
	v_mul_f32_e32 v130, v129, v103
	v_mul_f32_e32 v112, v119, v130
	v_fma_f32 v114, v130, v119, -v112
	v_fmac_f32_e32 v114, v130, v128
	v_sub_f32_e32 v113, v113, v103
	v_add_f32_e32 v119, v102, v113
	v_add_f32_e32 v102, v112, v114
	v_sub_f32_e32 v113, v103, v102
	v_pk_add_f32 v[116:117], v[102:103], v[112:113] neg_lo:[0,1] neg_hi:[0,1]
	v_mov_b32_e32 v115, v102
	v_pk_add_f32 v[102:103], v[116:117], v[114:115] neg_lo:[0,1] neg_hi:[0,1]
	v_add_f32_e32 v103, v119, v103
	v_add_f32_e32 v102, v102, v103
	;; [unrolled: 1-line block ×4, first 2 shown]
	v_sub_f32_e32 v103, v113, v131
	v_mul_f32_e32 v102, v129, v102
	v_sub_f32_e32 v103, v130, v103
	v_add_f32_e32 v102, v103, v102
	v_add_f32_e32 v114, v113, v102
	v_mul_f32_e32 v116, v114, v114
	v_mov_b32_e32 v112, 0x3ecc95a3
	v_fmac_f32_e32 v112, 0x3e9b6dac, v116
	v_mov_b32_e32 v103, 0x3f2aaada
	v_fmac_f32_e32 v103, v116, v112
	v_cvt_f32_i32_e32 v112, v118
	v_sub_f32_e32 v113, v114, v113
	v_sub_f32_e32 v102, v102, v113
	v_ldexp_f32 v117, v102, 1
	v_mul_f32_e32 v113, v114, v116
	v_mov_b32_e32 v102, 0x3f317218
	s_mov_b32 s56, 0x3f317218
	v_pk_mul_f32 v[102:103], v[112:113], v[102:103]
	v_ldexp_f32 v115, v114, 1
	v_fma_f32 v114, v112, s56, -v102
	v_fmac_f32_e32 v114, 0xb102e308, v112
	v_pk_add_f32 v[112:113], v[102:103], v[114:115]
	v_sub_f32_e32 v115, v113, v115
	v_sub_f32_e32 v115, v103, v115
	v_add_f32_e32 v117, v117, v115
	v_mov_b32_e32 v116, v102
	v_pk_add_f32 v[102:103], v[112:113], v[102:103] neg_lo:[0,1] neg_hi:[0,1]
	v_pk_add_f32 v[118:119], v[112:113], v[116:117]
	v_mov_b32_e32 v103, v119
	v_mov_b32_e32 v115, v112
	v_pk_add_f32 v[128:129], v[114:115], v[102:103] neg_lo:[0,1] neg_hi:[0,1]
	v_pk_add_f32 v[102:103], v[114:115], v[102:103]
	v_mov_b32_e32 v114, v103
	v_pk_add_f32 v[130:131], v[114:115], v[112:113] neg_lo:[0,1] neg_hi:[0,1]
	v_mov_b32_e32 v115, v130
	v_pk_add_f32 v[132:133], v[118:119], v[114:115] neg_lo:[0,1] neg_hi:[0,1]
	v_mov_b32_e32 v102, v119
	v_mov_b32_e32 v118, v113
	;; [unrolled: 1-line block ×4, first 2 shown]
	v_pk_add_f32 v[102:103], v[102:103], v[118:119] neg_lo:[0,1] neg_hi:[0,1]
	v_mov_b32_e32 v116, v117
	v_mov_b32_e32 v117, v112
	v_pk_add_f32 v[102:103], v[116:117], v[102:103] neg_lo:[0,1] neg_hi:[0,1]
	v_mov_b32_e32 v132, v128
	v_pk_add_f32 v[112:113], v[132:133], v[102:103]
	v_mov_b32_e32 v116, v113
	v_pk_add_f32 v[116:117], v[112:113], v[116:117]
	v_pk_add_f32 v[114:115], v[114:115], v[116:117]
	v_mov_b32_e32 v113, v114
	v_pk_add_f32 v[118:119], v[112:113], v[128:129] neg_lo:[0,1] neg_hi:[0,1]
	v_mov_b32_e32 v103, v116
	v_sub_f32_e32 v112, v112, v118
	v_pk_add_f32 v[102:103], v[102:103], v[118:119] neg_lo:[0,1] neg_hi:[0,1]
	v_sub_f32_e32 v112, v128, v112
	v_add_f32_e32 v102, v102, v112
	v_cmp_eq_f32_e64 s[56:57], s60, v134
	s_mov_b32 s60, 0x33800000
	v_add_f32_e32 v102, v102, v103
	v_cmp_lt_f32_e64 s[60:61], |v134|, s60
	v_add_f32_e32 v102, v114, v102
	s_or_b64 s[56:57], s[56:57], s[60:61]
	v_cndmask_b32_e64 v102, v102, v134, s[56:57]
	v_add_f32_e32 v102, v101, v102
.LBB512_302:
	s_or_b64 exec, exec, s[58:59]
	v_bfe_u32 v101, v102, 16, 1
	s_movk_i32 s56, 0x7fff
	v_add3_u32 v101, v102, v101, s56
	v_lshrrev_b32_e32 v101, 16, v101
	v_mov_b32_e32 v103, 0x7fc0
	v_cmp_o_f32_e64 s[56:57], v102, v102
	v_cndmask_b32_e64 v103, v103, v101, s[56:57]
	v_mbcnt_lo_u32_b32 v101, -1, 0
	v_mbcnt_hi_u32_b32 v101, -1, v101
	v_and_b32_e32 v102, 15, v101
	v_and_b32_e32 v112, 0xffff, v103
	v_cmp_ne_u32_e64 s[56:57], 0, v102
	s_nop 0
	v_mov_b32_dpp v113, v112 row_shr:1 row_mask:0xf bank_mask:0xf
	s_and_saveexec_b64 s[60:61], s[56:57]
	s_cbranch_execz .LBB512_306
; %bb.303:
	v_lshlrev_b32_e32 v113, 16, v113
	v_lshlrev_b32_e32 v103, 16, v112
	v_max_f32_e32 v114, v103, v103
	v_max_f32_e32 v115, v113, v113
	v_min_f32_e32 v112, v115, v114
	v_cmp_u_f32_e64 s[56:57], v113, v113
	v_max_f32_e32 v114, v115, v114
	v_cndmask_b32_e64 v112, v112, v113, s[56:57]
	v_cmp_u_f32_e64 s[58:59], v103, v103
	v_cndmask_b32_e64 v114, v114, v113, s[56:57]
	v_cndmask_b32_e64 v112, v112, v103, s[58:59]
	;; [unrolled: 1-line block ×3, first 2 shown]
	s_movk_i32 s58, 0x1f8
	v_cmp_neq_f32_e64 s[56:57], v112, v103
	v_cmp_class_f32_e64 s[58:59], v112, s58
	s_or_b64 s[56:57], s[56:57], s[58:59]
	s_and_saveexec_b64 s[58:59], s[56:57]
	s_cbranch_execz .LBB512_305
; %bb.304:
	v_sub_f32_e32 v112, v112, v103
	s_mov_b32 s56, 0x3fb8aa3b
	v_mul_f32_e32 v113, 0x3fb8aa3b, v112
	v_fma_f32 v114, v112, s56, -v113
	v_rndne_f32_e32 v115, v113
	v_fmac_f32_e32 v114, 0x32a5705f, v112
	v_sub_f32_e32 v113, v113, v115
	v_add_f32_e32 v113, v113, v114
	v_exp_f32_e32 v113, v113
	v_cvt_i32_f32_e32 v114, v115
	s_mov_b32 s56, 0xc2ce8ed0
	v_cmp_ngt_f32_e64 s[56:57], s56, v112
	s_mov_b32 s62, 0x7f800000
	v_ldexp_f32 v113, v113, v114
	v_cndmask_b32_e64 v113, 0, v113, s[56:57]
	s_mov_b32 s56, 0x42b17218
	v_mov_b32_e32 v114, 0x7f800000
	v_cmp_nlt_f32_e64 s[56:57], s56, v112
	v_cndmask_b32_e64 v144, v114, v113, s[56:57]
	v_add_f32_e32 v114, 1.0, v144
	v_add_f32_e32 v112, -1.0, v114
	v_sub_f32_e32 v113, v112, v114
	v_add_f32_e32 v113, 1.0, v113
	v_sub_f32_e32 v112, v144, v112
	v_add_f32_e32 v115, v112, v113
	v_frexp_mant_f32_e32 v116, v114
	s_mov_b32 s56, 0x3f2aaaab
	v_cvt_f64_f32_e32 v[112:113], v114
	v_frexp_exp_i32_f64_e32 v112, v[112:113]
	v_cmp_gt_f32_e64 s[56:57], s56, v116
	v_subbrev_co_u32_e64 v128, s[56:57], 0, v112, s[56:57]
	v_sub_u32_e32 v112, 0, v128
	v_ldexp_f32 v113, v114, v112
	v_add_f32_e32 v114, -1.0, v113
	v_add_f32_e32 v116, 1.0, v113
	v_ldexp_f32 v112, v115, v112
	v_add_f32_e32 v115, 1.0, v114
	v_add_f32_e32 v117, -1.0, v116
	v_sub_f32_e32 v115, v113, v115
	v_sub_f32_e32 v113, v113, v117
	v_add_f32_e32 v115, v112, v115
	v_add_f32_e32 v112, v112, v113
	;; [unrolled: 1-line block ×3, first 2 shown]
	v_rcp_f32_e32 v131, v129
	v_sub_f32_e32 v113, v116, v129
	v_add_f32_e32 v130, v112, v113
	v_add_f32_e32 v113, v114, v115
	v_mul_f32_e32 v133, v113, v131
	v_sub_f32_e32 v112, v114, v113
	v_mul_f32_e32 v114, v129, v133
	v_fma_f32 v116, v133, v129, -v114
	v_fmac_f32_e32 v116, v133, v130
	v_add_f32_e32 v132, v115, v112
	v_add_f32_e32 v112, v114, v116
	v_sub_f32_e32 v115, v113, v112
	v_pk_add_f32 v[118:119], v[112:113], v[114:115] neg_lo:[0,1] neg_hi:[0,1]
	v_mov_b32_e32 v117, v112
	v_pk_add_f32 v[112:113], v[118:119], v[116:117] neg_lo:[0,1] neg_hi:[0,1]
	v_add_f32_e32 v113, v132, v113
	v_add_f32_e32 v112, v112, v113
	;; [unrolled: 1-line block ×3, first 2 shown]
	v_mul_f32_e32 v132, v131, v113
	v_mul_f32_e32 v114, v129, v132
	v_fma_f32 v116, v132, v129, -v114
	v_fmac_f32_e32 v116, v132, v130
	v_sub_f32_e32 v115, v115, v113
	v_add_f32_e32 v129, v112, v115
	v_add_f32_e32 v112, v114, v116
	v_sub_f32_e32 v115, v113, v112
	v_pk_add_f32 v[118:119], v[112:113], v[114:115] neg_lo:[0,1] neg_hi:[0,1]
	v_mov_b32_e32 v117, v112
	v_pk_add_f32 v[112:113], v[118:119], v[116:117] neg_lo:[0,1] neg_hi:[0,1]
	v_add_f32_e32 v113, v129, v113
	v_add_f32_e32 v112, v112, v113
	;; [unrolled: 1-line block ×4, first 2 shown]
	v_sub_f32_e32 v113, v115, v133
	v_mul_f32_e32 v112, v131, v112
	v_sub_f32_e32 v113, v132, v113
	v_add_f32_e32 v112, v113, v112
	v_add_f32_e32 v116, v115, v112
	v_mul_f32_e32 v118, v116, v116
	v_mov_b32_e32 v114, 0x3ecc95a3
	v_fmac_f32_e32 v114, 0x3e9b6dac, v118
	v_mov_b32_e32 v113, 0x3f2aaada
	v_fmac_f32_e32 v113, v118, v114
	v_cvt_f32_i32_e32 v114, v128
	v_sub_f32_e32 v115, v116, v115
	v_sub_f32_e32 v112, v112, v115
	v_ldexp_f32 v119, v112, 1
	v_mul_f32_e32 v115, v116, v118
	v_mov_b32_e32 v112, 0x3f317218
	s_mov_b32 s56, 0x3f317218
	v_pk_mul_f32 v[112:113], v[114:115], v[112:113]
	v_ldexp_f32 v117, v116, 1
	v_fma_f32 v116, v114, s56, -v112
	v_fmac_f32_e32 v116, 0xb102e308, v114
	v_pk_add_f32 v[114:115], v[112:113], v[116:117]
	v_sub_f32_e32 v117, v115, v117
	v_sub_f32_e32 v117, v113, v117
	v_add_f32_e32 v119, v119, v117
	v_mov_b32_e32 v118, v112
	v_pk_add_f32 v[112:113], v[114:115], v[112:113] neg_lo:[0,1] neg_hi:[0,1]
	v_pk_add_f32 v[128:129], v[114:115], v[118:119]
	v_mov_b32_e32 v113, v129
	v_mov_b32_e32 v117, v114
	v_pk_add_f32 v[130:131], v[116:117], v[112:113] neg_lo:[0,1] neg_hi:[0,1]
	v_pk_add_f32 v[112:113], v[116:117], v[112:113]
	v_mov_b32_e32 v116, v113
	v_pk_add_f32 v[132:133], v[116:117], v[114:115] neg_lo:[0,1] neg_hi:[0,1]
	v_mov_b32_e32 v117, v132
	v_pk_add_f32 v[134:135], v[128:129], v[116:117] neg_lo:[0,1] neg_hi:[0,1]
	v_mov_b32_e32 v112, v129
	v_mov_b32_e32 v128, v115
	;; [unrolled: 1-line block ×4, first 2 shown]
	v_pk_add_f32 v[112:113], v[112:113], v[128:129] neg_lo:[0,1] neg_hi:[0,1]
	v_mov_b32_e32 v118, v119
	v_mov_b32_e32 v119, v114
	v_pk_add_f32 v[112:113], v[118:119], v[112:113] neg_lo:[0,1] neg_hi:[0,1]
	v_mov_b32_e32 v134, v130
	v_pk_add_f32 v[114:115], v[134:135], v[112:113]
	v_mov_b32_e32 v118, v115
	v_pk_add_f32 v[118:119], v[114:115], v[118:119]
	v_pk_add_f32 v[116:117], v[116:117], v[118:119]
	v_mov_b32_e32 v115, v116
	v_pk_add_f32 v[128:129], v[114:115], v[130:131] neg_lo:[0,1] neg_hi:[0,1]
	v_mov_b32_e32 v113, v118
	v_sub_f32_e32 v114, v114, v128
	v_pk_add_f32 v[112:113], v[112:113], v[128:129] neg_lo:[0,1] neg_hi:[0,1]
	v_sub_f32_e32 v114, v130, v114
	v_add_f32_e32 v112, v112, v114
	v_cmp_eq_f32_e64 s[56:57], s62, v144
	s_mov_b32 s62, 0x33800000
	v_add_f32_e32 v112, v112, v113
	v_cmp_lt_f32_e64 s[62:63], |v144|, s62
	v_add_f32_e32 v112, v116, v112
	s_or_b64 s[56:57], s[56:57], s[62:63]
	v_cndmask_b32_e64 v112, v112, v144, s[56:57]
	v_add_f32_e32 v113, v103, v112
.LBB512_305:
	s_or_b64 exec, exec, s[58:59]
	v_bfe_u32 v103, v113, 16, 1
	s_movk_i32 s56, 0x7fff
	v_add3_u32 v103, v113, v103, s56
	v_lshrrev_b32_e32 v103, 16, v103
	v_mov_b32_e32 v112, 0x7fc0
	v_cmp_o_f32_e64 s[56:57], v113, v113
	v_cndmask_b32_e64 v103, v112, v103, s[56:57]
	v_and_b32_e32 v112, 0xffff, v103
.LBB512_306:
	s_or_b64 exec, exec, s[60:61]
	s_nop 0
	v_mov_b32_dpp v113, v112 row_shr:2 row_mask:0xf bank_mask:0xf
	v_cmp_lt_u32_e64 s[56:57], 1, v102
	s_and_saveexec_b64 s[60:61], s[56:57]
	s_cbranch_execz .LBB512_310
; %bb.307:
	v_lshlrev_b32_e32 v113, 16, v113
	v_lshlrev_b32_e32 v103, 16, v112
	v_max_f32_e32 v114, v103, v103
	v_max_f32_e32 v115, v113, v113
	v_min_f32_e32 v112, v115, v114
	v_cmp_u_f32_e64 s[56:57], v113, v113
	v_max_f32_e32 v114, v115, v114
	v_cndmask_b32_e64 v112, v112, v113, s[56:57]
	v_cmp_u_f32_e64 s[58:59], v103, v103
	v_cndmask_b32_e64 v114, v114, v113, s[56:57]
	v_cndmask_b32_e64 v112, v112, v103, s[58:59]
	;; [unrolled: 1-line block ×3, first 2 shown]
	s_movk_i32 s58, 0x1f8
	v_cmp_neq_f32_e64 s[56:57], v112, v103
	v_cmp_class_f32_e64 s[58:59], v112, s58
	s_or_b64 s[56:57], s[56:57], s[58:59]
	s_and_saveexec_b64 s[58:59], s[56:57]
	s_cbranch_execz .LBB512_309
; %bb.308:
	v_sub_f32_e32 v112, v112, v103
	s_mov_b32 s56, 0x3fb8aa3b
	v_mul_f32_e32 v113, 0x3fb8aa3b, v112
	v_fma_f32 v114, v112, s56, -v113
	v_rndne_f32_e32 v115, v113
	v_fmac_f32_e32 v114, 0x32a5705f, v112
	v_sub_f32_e32 v113, v113, v115
	v_add_f32_e32 v113, v113, v114
	v_exp_f32_e32 v113, v113
	v_cvt_i32_f32_e32 v114, v115
	s_mov_b32 s56, 0xc2ce8ed0
	v_cmp_ngt_f32_e64 s[56:57], s56, v112
	s_mov_b32 s62, 0x7f800000
	v_ldexp_f32 v113, v113, v114
	v_cndmask_b32_e64 v113, 0, v113, s[56:57]
	s_mov_b32 s56, 0x42b17218
	v_mov_b32_e32 v114, 0x7f800000
	v_cmp_nlt_f32_e64 s[56:57], s56, v112
	v_cndmask_b32_e64 v144, v114, v113, s[56:57]
	v_add_f32_e32 v114, 1.0, v144
	v_add_f32_e32 v112, -1.0, v114
	v_sub_f32_e32 v113, v112, v114
	v_add_f32_e32 v113, 1.0, v113
	v_sub_f32_e32 v112, v144, v112
	v_add_f32_e32 v115, v112, v113
	v_frexp_mant_f32_e32 v116, v114
	s_mov_b32 s56, 0x3f2aaaab
	v_cvt_f64_f32_e32 v[112:113], v114
	v_frexp_exp_i32_f64_e32 v112, v[112:113]
	v_cmp_gt_f32_e64 s[56:57], s56, v116
	v_subbrev_co_u32_e64 v128, s[56:57], 0, v112, s[56:57]
	v_sub_u32_e32 v112, 0, v128
	v_ldexp_f32 v113, v114, v112
	v_add_f32_e32 v114, -1.0, v113
	v_add_f32_e32 v116, 1.0, v113
	v_ldexp_f32 v112, v115, v112
	v_add_f32_e32 v115, 1.0, v114
	v_add_f32_e32 v117, -1.0, v116
	v_sub_f32_e32 v115, v113, v115
	v_sub_f32_e32 v113, v113, v117
	v_add_f32_e32 v115, v112, v115
	v_add_f32_e32 v112, v112, v113
	;; [unrolled: 1-line block ×3, first 2 shown]
	v_rcp_f32_e32 v131, v129
	v_sub_f32_e32 v113, v116, v129
	v_add_f32_e32 v130, v112, v113
	v_add_f32_e32 v113, v114, v115
	v_mul_f32_e32 v133, v113, v131
	v_sub_f32_e32 v112, v114, v113
	v_mul_f32_e32 v114, v129, v133
	v_fma_f32 v116, v133, v129, -v114
	v_fmac_f32_e32 v116, v133, v130
	v_add_f32_e32 v132, v115, v112
	v_add_f32_e32 v112, v114, v116
	v_sub_f32_e32 v115, v113, v112
	v_pk_add_f32 v[118:119], v[112:113], v[114:115] neg_lo:[0,1] neg_hi:[0,1]
	v_mov_b32_e32 v117, v112
	v_pk_add_f32 v[112:113], v[118:119], v[116:117] neg_lo:[0,1] neg_hi:[0,1]
	v_add_f32_e32 v113, v132, v113
	v_add_f32_e32 v112, v112, v113
	;; [unrolled: 1-line block ×3, first 2 shown]
	v_mul_f32_e32 v132, v131, v113
	v_mul_f32_e32 v114, v129, v132
	v_fma_f32 v116, v132, v129, -v114
	v_fmac_f32_e32 v116, v132, v130
	v_sub_f32_e32 v115, v115, v113
	v_add_f32_e32 v129, v112, v115
	v_add_f32_e32 v112, v114, v116
	v_sub_f32_e32 v115, v113, v112
	v_pk_add_f32 v[118:119], v[112:113], v[114:115] neg_lo:[0,1] neg_hi:[0,1]
	v_mov_b32_e32 v117, v112
	v_pk_add_f32 v[112:113], v[118:119], v[116:117] neg_lo:[0,1] neg_hi:[0,1]
	v_add_f32_e32 v113, v129, v113
	v_add_f32_e32 v112, v112, v113
	;; [unrolled: 1-line block ×4, first 2 shown]
	v_sub_f32_e32 v113, v115, v133
	v_mul_f32_e32 v112, v131, v112
	v_sub_f32_e32 v113, v132, v113
	v_add_f32_e32 v112, v113, v112
	v_add_f32_e32 v116, v115, v112
	v_mul_f32_e32 v118, v116, v116
	v_mov_b32_e32 v114, 0x3ecc95a3
	v_fmac_f32_e32 v114, 0x3e9b6dac, v118
	v_mov_b32_e32 v113, 0x3f2aaada
	v_fmac_f32_e32 v113, v118, v114
	v_cvt_f32_i32_e32 v114, v128
	v_sub_f32_e32 v115, v116, v115
	v_sub_f32_e32 v112, v112, v115
	v_ldexp_f32 v119, v112, 1
	v_mul_f32_e32 v115, v116, v118
	v_mov_b32_e32 v112, 0x3f317218
	s_mov_b32 s56, 0x3f317218
	v_pk_mul_f32 v[112:113], v[114:115], v[112:113]
	v_ldexp_f32 v117, v116, 1
	v_fma_f32 v116, v114, s56, -v112
	v_fmac_f32_e32 v116, 0xb102e308, v114
	v_pk_add_f32 v[114:115], v[112:113], v[116:117]
	v_sub_f32_e32 v117, v115, v117
	v_sub_f32_e32 v117, v113, v117
	v_add_f32_e32 v119, v119, v117
	v_mov_b32_e32 v118, v112
	v_pk_add_f32 v[112:113], v[114:115], v[112:113] neg_lo:[0,1] neg_hi:[0,1]
	v_pk_add_f32 v[128:129], v[114:115], v[118:119]
	v_mov_b32_e32 v113, v129
	v_mov_b32_e32 v117, v114
	v_pk_add_f32 v[130:131], v[116:117], v[112:113] neg_lo:[0,1] neg_hi:[0,1]
	v_pk_add_f32 v[112:113], v[116:117], v[112:113]
	v_mov_b32_e32 v116, v113
	v_pk_add_f32 v[132:133], v[116:117], v[114:115] neg_lo:[0,1] neg_hi:[0,1]
	v_mov_b32_e32 v117, v132
	v_pk_add_f32 v[134:135], v[128:129], v[116:117] neg_lo:[0,1] neg_hi:[0,1]
	v_mov_b32_e32 v112, v129
	v_mov_b32_e32 v128, v115
	;; [unrolled: 1-line block ×4, first 2 shown]
	v_pk_add_f32 v[112:113], v[112:113], v[128:129] neg_lo:[0,1] neg_hi:[0,1]
	v_mov_b32_e32 v118, v119
	v_mov_b32_e32 v119, v114
	v_pk_add_f32 v[112:113], v[118:119], v[112:113] neg_lo:[0,1] neg_hi:[0,1]
	v_mov_b32_e32 v134, v130
	v_pk_add_f32 v[114:115], v[134:135], v[112:113]
	v_mov_b32_e32 v118, v115
	v_pk_add_f32 v[118:119], v[114:115], v[118:119]
	v_pk_add_f32 v[116:117], v[116:117], v[118:119]
	v_mov_b32_e32 v115, v116
	v_pk_add_f32 v[128:129], v[114:115], v[130:131] neg_lo:[0,1] neg_hi:[0,1]
	v_mov_b32_e32 v113, v118
	v_sub_f32_e32 v114, v114, v128
	v_pk_add_f32 v[112:113], v[112:113], v[128:129] neg_lo:[0,1] neg_hi:[0,1]
	v_sub_f32_e32 v114, v130, v114
	v_add_f32_e32 v112, v112, v114
	v_cmp_eq_f32_e64 s[56:57], s62, v144
	s_mov_b32 s62, 0x33800000
	v_add_f32_e32 v112, v112, v113
	v_cmp_lt_f32_e64 s[62:63], |v144|, s62
	v_add_f32_e32 v112, v116, v112
	s_or_b64 s[56:57], s[56:57], s[62:63]
	v_cndmask_b32_e64 v112, v112, v144, s[56:57]
	v_add_f32_e32 v113, v103, v112
.LBB512_309:
	s_or_b64 exec, exec, s[58:59]
	v_bfe_u32 v103, v113, 16, 1
	s_movk_i32 s56, 0x7fff
	v_add3_u32 v103, v113, v103, s56
	v_lshrrev_b32_e32 v103, 16, v103
	v_mov_b32_e32 v112, 0x7fc0
	v_cmp_o_f32_e64 s[56:57], v113, v113
	v_cndmask_b32_e64 v103, v112, v103, s[56:57]
	v_and_b32_e32 v112, 0xffff, v103
.LBB512_310:
	s_or_b64 exec, exec, s[60:61]
	s_nop 0
	v_mov_b32_dpp v113, v112 row_shr:4 row_mask:0xf bank_mask:0xf
	v_cmp_lt_u32_e64 s[56:57], 3, v102
	s_and_saveexec_b64 s[60:61], s[56:57]
	s_cbranch_execz .LBB512_314
; %bb.311:
	v_lshlrev_b32_e32 v113, 16, v113
	v_lshlrev_b32_e32 v103, 16, v112
	v_max_f32_e32 v114, v103, v103
	v_max_f32_e32 v115, v113, v113
	v_min_f32_e32 v112, v115, v114
	v_cmp_u_f32_e64 s[56:57], v113, v113
	v_max_f32_e32 v114, v115, v114
	v_cndmask_b32_e64 v112, v112, v113, s[56:57]
	v_cmp_u_f32_e64 s[58:59], v103, v103
	v_cndmask_b32_e64 v114, v114, v113, s[56:57]
	v_cndmask_b32_e64 v112, v112, v103, s[58:59]
	;; [unrolled: 1-line block ×3, first 2 shown]
	s_movk_i32 s58, 0x1f8
	v_cmp_neq_f32_e64 s[56:57], v112, v103
	v_cmp_class_f32_e64 s[58:59], v112, s58
	s_or_b64 s[56:57], s[56:57], s[58:59]
	s_and_saveexec_b64 s[58:59], s[56:57]
	s_cbranch_execz .LBB512_313
; %bb.312:
	v_sub_f32_e32 v112, v112, v103
	s_mov_b32 s56, 0x3fb8aa3b
	v_mul_f32_e32 v113, 0x3fb8aa3b, v112
	v_fma_f32 v114, v112, s56, -v113
	v_rndne_f32_e32 v115, v113
	v_fmac_f32_e32 v114, 0x32a5705f, v112
	v_sub_f32_e32 v113, v113, v115
	v_add_f32_e32 v113, v113, v114
	v_exp_f32_e32 v113, v113
	v_cvt_i32_f32_e32 v114, v115
	s_mov_b32 s56, 0xc2ce8ed0
	v_cmp_ngt_f32_e64 s[56:57], s56, v112
	s_mov_b32 s62, 0x7f800000
	v_ldexp_f32 v113, v113, v114
	v_cndmask_b32_e64 v113, 0, v113, s[56:57]
	s_mov_b32 s56, 0x42b17218
	v_mov_b32_e32 v114, 0x7f800000
	v_cmp_nlt_f32_e64 s[56:57], s56, v112
	v_cndmask_b32_e64 v144, v114, v113, s[56:57]
	v_add_f32_e32 v114, 1.0, v144
	v_add_f32_e32 v112, -1.0, v114
	v_sub_f32_e32 v113, v112, v114
	v_add_f32_e32 v113, 1.0, v113
	v_sub_f32_e32 v112, v144, v112
	v_add_f32_e32 v115, v112, v113
	v_frexp_mant_f32_e32 v116, v114
	s_mov_b32 s56, 0x3f2aaaab
	v_cvt_f64_f32_e32 v[112:113], v114
	v_frexp_exp_i32_f64_e32 v112, v[112:113]
	v_cmp_gt_f32_e64 s[56:57], s56, v116
	v_subbrev_co_u32_e64 v128, s[56:57], 0, v112, s[56:57]
	v_sub_u32_e32 v112, 0, v128
	v_ldexp_f32 v113, v114, v112
	v_add_f32_e32 v114, -1.0, v113
	v_add_f32_e32 v116, 1.0, v113
	v_ldexp_f32 v112, v115, v112
	v_add_f32_e32 v115, 1.0, v114
	v_add_f32_e32 v117, -1.0, v116
	v_sub_f32_e32 v115, v113, v115
	v_sub_f32_e32 v113, v113, v117
	v_add_f32_e32 v115, v112, v115
	v_add_f32_e32 v112, v112, v113
	;; [unrolled: 1-line block ×3, first 2 shown]
	v_rcp_f32_e32 v131, v129
	v_sub_f32_e32 v113, v116, v129
	v_add_f32_e32 v130, v112, v113
	v_add_f32_e32 v113, v114, v115
	v_mul_f32_e32 v133, v113, v131
	v_sub_f32_e32 v112, v114, v113
	v_mul_f32_e32 v114, v129, v133
	v_fma_f32 v116, v133, v129, -v114
	v_fmac_f32_e32 v116, v133, v130
	v_add_f32_e32 v132, v115, v112
	v_add_f32_e32 v112, v114, v116
	v_sub_f32_e32 v115, v113, v112
	v_pk_add_f32 v[118:119], v[112:113], v[114:115] neg_lo:[0,1] neg_hi:[0,1]
	v_mov_b32_e32 v117, v112
	v_pk_add_f32 v[112:113], v[118:119], v[116:117] neg_lo:[0,1] neg_hi:[0,1]
	v_add_f32_e32 v113, v132, v113
	v_add_f32_e32 v112, v112, v113
	;; [unrolled: 1-line block ×3, first 2 shown]
	v_mul_f32_e32 v132, v131, v113
	v_mul_f32_e32 v114, v129, v132
	v_fma_f32 v116, v132, v129, -v114
	v_fmac_f32_e32 v116, v132, v130
	v_sub_f32_e32 v115, v115, v113
	v_add_f32_e32 v129, v112, v115
	v_add_f32_e32 v112, v114, v116
	v_sub_f32_e32 v115, v113, v112
	v_pk_add_f32 v[118:119], v[112:113], v[114:115] neg_lo:[0,1] neg_hi:[0,1]
	v_mov_b32_e32 v117, v112
	v_pk_add_f32 v[112:113], v[118:119], v[116:117] neg_lo:[0,1] neg_hi:[0,1]
	v_add_f32_e32 v113, v129, v113
	v_add_f32_e32 v112, v112, v113
	;; [unrolled: 1-line block ×4, first 2 shown]
	v_sub_f32_e32 v113, v115, v133
	v_mul_f32_e32 v112, v131, v112
	v_sub_f32_e32 v113, v132, v113
	v_add_f32_e32 v112, v113, v112
	v_add_f32_e32 v116, v115, v112
	v_mul_f32_e32 v118, v116, v116
	v_mov_b32_e32 v114, 0x3ecc95a3
	v_fmac_f32_e32 v114, 0x3e9b6dac, v118
	v_mov_b32_e32 v113, 0x3f2aaada
	v_fmac_f32_e32 v113, v118, v114
	v_cvt_f32_i32_e32 v114, v128
	v_sub_f32_e32 v115, v116, v115
	v_sub_f32_e32 v112, v112, v115
	v_ldexp_f32 v119, v112, 1
	v_mul_f32_e32 v115, v116, v118
	v_mov_b32_e32 v112, 0x3f317218
	s_mov_b32 s56, 0x3f317218
	v_pk_mul_f32 v[112:113], v[114:115], v[112:113]
	v_ldexp_f32 v117, v116, 1
	v_fma_f32 v116, v114, s56, -v112
	v_fmac_f32_e32 v116, 0xb102e308, v114
	v_pk_add_f32 v[114:115], v[112:113], v[116:117]
	v_sub_f32_e32 v117, v115, v117
	v_sub_f32_e32 v117, v113, v117
	v_add_f32_e32 v119, v119, v117
	v_mov_b32_e32 v118, v112
	v_pk_add_f32 v[112:113], v[114:115], v[112:113] neg_lo:[0,1] neg_hi:[0,1]
	v_pk_add_f32 v[128:129], v[114:115], v[118:119]
	v_mov_b32_e32 v113, v129
	v_mov_b32_e32 v117, v114
	v_pk_add_f32 v[130:131], v[116:117], v[112:113] neg_lo:[0,1] neg_hi:[0,1]
	v_pk_add_f32 v[112:113], v[116:117], v[112:113]
	v_mov_b32_e32 v116, v113
	v_pk_add_f32 v[132:133], v[116:117], v[114:115] neg_lo:[0,1] neg_hi:[0,1]
	v_mov_b32_e32 v117, v132
	v_pk_add_f32 v[134:135], v[128:129], v[116:117] neg_lo:[0,1] neg_hi:[0,1]
	v_mov_b32_e32 v112, v129
	v_mov_b32_e32 v128, v115
	;; [unrolled: 1-line block ×4, first 2 shown]
	v_pk_add_f32 v[112:113], v[112:113], v[128:129] neg_lo:[0,1] neg_hi:[0,1]
	v_mov_b32_e32 v118, v119
	v_mov_b32_e32 v119, v114
	v_pk_add_f32 v[112:113], v[118:119], v[112:113] neg_lo:[0,1] neg_hi:[0,1]
	v_mov_b32_e32 v134, v130
	v_pk_add_f32 v[114:115], v[134:135], v[112:113]
	v_mov_b32_e32 v118, v115
	v_pk_add_f32 v[118:119], v[114:115], v[118:119]
	v_pk_add_f32 v[116:117], v[116:117], v[118:119]
	v_mov_b32_e32 v115, v116
	v_pk_add_f32 v[128:129], v[114:115], v[130:131] neg_lo:[0,1] neg_hi:[0,1]
	v_mov_b32_e32 v113, v118
	v_sub_f32_e32 v114, v114, v128
	v_pk_add_f32 v[112:113], v[112:113], v[128:129] neg_lo:[0,1] neg_hi:[0,1]
	v_sub_f32_e32 v114, v130, v114
	v_add_f32_e32 v112, v112, v114
	v_cmp_eq_f32_e64 s[56:57], s62, v144
	s_mov_b32 s62, 0x33800000
	v_add_f32_e32 v112, v112, v113
	v_cmp_lt_f32_e64 s[62:63], |v144|, s62
	v_add_f32_e32 v112, v116, v112
	s_or_b64 s[56:57], s[56:57], s[62:63]
	v_cndmask_b32_e64 v112, v112, v144, s[56:57]
	v_add_f32_e32 v113, v103, v112
.LBB512_313:
	s_or_b64 exec, exec, s[58:59]
	v_bfe_u32 v103, v113, 16, 1
	s_movk_i32 s56, 0x7fff
	v_add3_u32 v103, v113, v103, s56
	v_lshrrev_b32_e32 v103, 16, v103
	v_mov_b32_e32 v112, 0x7fc0
	v_cmp_o_f32_e64 s[56:57], v113, v113
	v_cndmask_b32_e64 v103, v112, v103, s[56:57]
	v_and_b32_e32 v112, 0xffff, v103
.LBB512_314:
	s_or_b64 exec, exec, s[60:61]
	s_nop 0
	v_mov_b32_dpp v113, v112 row_shr:8 row_mask:0xf bank_mask:0xf
	v_cmp_lt_u32_e64 s[56:57], 7, v102
	s_and_saveexec_b64 s[60:61], s[56:57]
	s_cbranch_execz .LBB512_318
; %bb.315:
	v_lshlrev_b32_e32 v103, 16, v113
	v_lshlrev_b32_e32 v102, 16, v112
	v_max_f32_e32 v113, v102, v102
	v_max_f32_e32 v114, v103, v103
	v_min_f32_e32 v112, v114, v113
	v_cmp_u_f32_e64 s[56:57], v103, v103
	v_max_f32_e32 v113, v114, v113
	v_cndmask_b32_e64 v112, v112, v103, s[56:57]
	v_cmp_u_f32_e64 s[58:59], v102, v102
	v_cndmask_b32_e64 v113, v113, v103, s[56:57]
	v_cndmask_b32_e64 v112, v112, v102, s[58:59]
	;; [unrolled: 1-line block ×3, first 2 shown]
	s_movk_i32 s58, 0x1f8
	v_cmp_neq_f32_e64 s[56:57], v112, v102
	v_cmp_class_f32_e64 s[58:59], v112, s58
	s_or_b64 s[56:57], s[56:57], s[58:59]
	s_and_saveexec_b64 s[58:59], s[56:57]
	s_cbranch_execz .LBB512_317
; %bb.316:
	v_sub_f32_e32 v103, v112, v102
	s_mov_b32 s56, 0x3fb8aa3b
	v_mul_f32_e32 v112, 0x3fb8aa3b, v103
	v_fma_f32 v113, v103, s56, -v112
	v_rndne_f32_e32 v114, v112
	v_fmac_f32_e32 v113, 0x32a5705f, v103
	v_sub_f32_e32 v112, v112, v114
	v_add_f32_e32 v112, v112, v113
	v_exp_f32_e32 v112, v112
	v_cvt_i32_f32_e32 v113, v114
	s_mov_b32 s56, 0xc2ce8ed0
	v_cmp_ngt_f32_e64 s[56:57], s56, v103
	s_mov_b32 s62, 0x7f800000
	v_ldexp_f32 v112, v112, v113
	v_cndmask_b32_e64 v112, 0, v112, s[56:57]
	s_mov_b32 s56, 0x42b17218
	v_mov_b32_e32 v113, 0x7f800000
	v_cmp_nlt_f32_e64 s[56:57], s56, v103
	v_cndmask_b32_e64 v144, v113, v112, s[56:57]
	v_add_f32_e32 v103, 1.0, v144
	v_add_f32_e32 v112, -1.0, v103
	v_sub_f32_e32 v113, v112, v103
	v_add_f32_e32 v113, 1.0, v113
	v_sub_f32_e32 v112, v144, v112
	v_add_f32_e32 v114, v112, v113
	v_frexp_mant_f32_e32 v115, v103
	s_mov_b32 s56, 0x3f2aaaab
	v_cvt_f64_f32_e32 v[112:113], v103
	v_frexp_exp_i32_f64_e32 v112, v[112:113]
	v_cmp_gt_f32_e64 s[56:57], s56, v115
	v_subbrev_co_u32_e64 v128, s[56:57], 0, v112, s[56:57]
	v_sub_u32_e32 v112, 0, v128
	v_ldexp_f32 v103, v103, v112
	v_ldexp_f32 v112, v114, v112
	v_add_f32_e32 v114, -1.0, v103
	v_add_f32_e32 v113, 1.0, v114
	v_sub_f32_e32 v113, v103, v113
	v_add_f32_e32 v115, v112, v113
	v_add_f32_e32 v113, 1.0, v103
	v_add_f32_e32 v116, -1.0, v113
	v_sub_f32_e32 v103, v103, v116
	v_add_f32_e32 v103, v112, v103
	v_add_f32_e32 v129, v113, v103
	v_rcp_f32_e32 v130, v129
	v_sub_f32_e32 v112, v113, v129
	v_add_f32_e32 v113, v114, v115
	v_add_f32_e32 v103, v103, v112
	v_mul_f32_e32 v132, v113, v130
	v_sub_f32_e32 v112, v114, v113
	v_mul_f32_e32 v114, v129, v132
	v_fma_f32 v116, v132, v129, -v114
	v_fmac_f32_e32 v116, v132, v103
	v_add_f32_e32 v131, v115, v112
	v_add_f32_e32 v112, v114, v116
	v_sub_f32_e32 v115, v113, v112
	v_pk_add_f32 v[118:119], v[112:113], v[114:115] neg_lo:[0,1] neg_hi:[0,1]
	v_mov_b32_e32 v117, v112
	v_pk_add_f32 v[112:113], v[118:119], v[116:117] neg_lo:[0,1] neg_hi:[0,1]
	v_add_f32_e32 v113, v131, v113
	v_add_f32_e32 v112, v112, v113
	;; [unrolled: 1-line block ×3, first 2 shown]
	v_mul_f32_e32 v131, v130, v113
	v_mul_f32_e32 v114, v129, v131
	v_fma_f32 v116, v131, v129, -v114
	v_fmac_f32_e32 v116, v131, v103
	v_sub_f32_e32 v103, v115, v113
	v_add_f32_e32 v103, v112, v103
	v_add_f32_e32 v112, v114, v116
	v_sub_f32_e32 v115, v113, v112
	v_pk_add_f32 v[118:119], v[112:113], v[114:115] neg_lo:[0,1] neg_hi:[0,1]
	v_mov_b32_e32 v117, v112
	v_pk_add_f32 v[112:113], v[118:119], v[116:117] neg_lo:[0,1] neg_hi:[0,1]
	v_add_f32_e32 v103, v103, v113
	v_add_f32_e32 v103, v112, v103
	;; [unrolled: 1-line block ×4, first 2 shown]
	v_sub_f32_e32 v113, v112, v132
	v_mul_f32_e32 v103, v130, v103
	v_sub_f32_e32 v113, v131, v113
	v_add_f32_e32 v103, v113, v103
	v_add_f32_e32 v115, v112, v103
	v_mul_f32_e32 v116, v115, v115
	v_mov_b32_e32 v114, 0x3ecc95a3
	v_fmac_f32_e32 v114, 0x3e9b6dac, v116
	v_mov_b32_e32 v113, 0x3f2aaada
	v_fmac_f32_e32 v113, v116, v114
	v_cvt_f32_i32_e32 v114, v128
	v_sub_f32_e32 v112, v115, v112
	v_sub_f32_e32 v103, v103, v112
	v_ldexp_f32 v117, v115, 1
	v_mul_f32_e32 v115, v115, v116
	v_mov_b32_e32 v112, 0x3f317218
	s_mov_b32 s56, 0x3f317218
	v_pk_mul_f32 v[112:113], v[114:115], v[112:113]
	v_fma_f32 v116, v114, s56, -v112
	v_fmac_f32_e32 v116, 0xb102e308, v114
	v_pk_add_f32 v[114:115], v[112:113], v[116:117]
	v_sub_f32_e32 v117, v115, v117
	v_ldexp_f32 v103, v103, 1
	v_sub_f32_e32 v117, v113, v117
	v_add_f32_e32 v119, v103, v117
	v_mov_b32_e32 v118, v112
	v_pk_add_f32 v[112:113], v[114:115], v[112:113] neg_lo:[0,1] neg_hi:[0,1]
	v_pk_add_f32 v[128:129], v[114:115], v[118:119]
	v_mov_b32_e32 v113, v129
	v_mov_b32_e32 v117, v114
	v_pk_add_f32 v[130:131], v[116:117], v[112:113] neg_lo:[0,1] neg_hi:[0,1]
	v_pk_add_f32 v[112:113], v[116:117], v[112:113]
	v_mov_b32_e32 v116, v113
	v_pk_add_f32 v[132:133], v[116:117], v[114:115] neg_lo:[0,1] neg_hi:[0,1]
	v_mov_b32_e32 v103, v132
	v_pk_add_f32 v[134:135], v[128:129], v[102:103] neg_lo:[0,1] neg_hi:[0,1]
	v_mov_b32_e32 v112, v129
	v_mov_b32_e32 v128, v115
	v_mov_b32_e32 v129, v132
	v_mov_b32_e32 v131, v113
	v_pk_add_f32 v[112:113], v[112:113], v[128:129] neg_lo:[0,1] neg_hi:[0,1]
	v_mov_b32_e32 v118, v119
	v_mov_b32_e32 v119, v114
	v_pk_add_f32 v[112:113], v[118:119], v[112:113] neg_lo:[0,1] neg_hi:[0,1]
	v_mov_b32_e32 v134, v130
	v_pk_add_f32 v[114:115], v[134:135], v[112:113]
	v_mov_b32_e32 v118, v115
	v_pk_add_f32 v[118:119], v[114:115], v[118:119]
	v_pk_add_f32 v[116:117], v[116:117], v[118:119]
	v_mov_b32_e32 v115, v116
	v_pk_add_f32 v[128:129], v[114:115], v[130:131] neg_lo:[0,1] neg_hi:[0,1]
	v_mov_b32_e32 v113, v118
	v_sub_f32_e32 v103, v114, v128
	v_pk_add_f32 v[112:113], v[112:113], v[128:129] neg_lo:[0,1] neg_hi:[0,1]
	v_sub_f32_e32 v103, v130, v103
	v_add_f32_e32 v103, v112, v103
	v_cmp_eq_f32_e64 s[56:57], s62, v144
	s_mov_b32 s62, 0x33800000
	v_add_f32_e32 v103, v103, v113
	v_cmp_lt_f32_e64 s[62:63], |v144|, s62
	v_add_f32_e32 v103, v116, v103
	s_or_b64 s[56:57], s[56:57], s[62:63]
	v_cndmask_b32_e64 v103, v103, v144, s[56:57]
	v_add_f32_e32 v103, v102, v103
.LBB512_317:
	s_or_b64 exec, exec, s[58:59]
	v_bfe_u32 v102, v103, 16, 1
	s_movk_i32 s56, 0x7fff
	v_add3_u32 v102, v103, v102, s56
	v_lshrrev_b32_e32 v102, 16, v102
	v_mov_b32_e32 v112, 0x7fc0
	v_cmp_o_f32_e64 s[56:57], v103, v103
	v_cndmask_b32_e64 v103, v112, v102, s[56:57]
	v_and_b32_e32 v112, 0xffff, v103
.LBB512_318:
	s_or_b64 exec, exec, s[60:61]
	v_and_b32_e32 v113, 16, v101
	v_mov_b32_dpp v102, v112 row_bcast:15 row_mask:0xf bank_mask:0xf
	v_cmp_ne_u32_e64 s[56:57], 0, v113
	s_and_saveexec_b64 s[60:61], s[56:57]
	s_cbranch_execz .LBB512_322
; %bb.319:
	v_lshlrev_b32_e32 v103, 16, v102
	v_lshlrev_b32_e32 v102, 16, v112
	v_max_f32_e32 v113, v102, v102
	v_max_f32_e32 v114, v103, v103
	v_min_f32_e32 v112, v114, v113
	v_cmp_u_f32_e64 s[56:57], v103, v103
	v_max_f32_e32 v113, v114, v113
	v_cndmask_b32_e64 v112, v112, v103, s[56:57]
	v_cmp_u_f32_e64 s[58:59], v102, v102
	v_cndmask_b32_e64 v113, v113, v103, s[56:57]
	v_cndmask_b32_e64 v112, v112, v102, s[58:59]
	;; [unrolled: 1-line block ×3, first 2 shown]
	s_movk_i32 s58, 0x1f8
	v_cmp_neq_f32_e64 s[56:57], v112, v102
	v_cmp_class_f32_e64 s[58:59], v112, s58
	s_or_b64 s[56:57], s[56:57], s[58:59]
	s_and_saveexec_b64 s[58:59], s[56:57]
	s_cbranch_execz .LBB512_321
; %bb.320:
	v_sub_f32_e32 v103, v112, v102
	s_mov_b32 s56, 0x3fb8aa3b
	v_mul_f32_e32 v112, 0x3fb8aa3b, v103
	v_fma_f32 v113, v103, s56, -v112
	v_rndne_f32_e32 v114, v112
	v_fmac_f32_e32 v113, 0x32a5705f, v103
	v_sub_f32_e32 v112, v112, v114
	v_add_f32_e32 v112, v112, v113
	v_exp_f32_e32 v112, v112
	v_cvt_i32_f32_e32 v113, v114
	s_mov_b32 s56, 0xc2ce8ed0
	v_cmp_ngt_f32_e64 s[56:57], s56, v103
	s_mov_b32 s62, 0x7f800000
	v_ldexp_f32 v112, v112, v113
	v_cndmask_b32_e64 v112, 0, v112, s[56:57]
	s_mov_b32 s56, 0x42b17218
	v_mov_b32_e32 v113, 0x7f800000
	v_cmp_nlt_f32_e64 s[56:57], s56, v103
	v_cndmask_b32_e64 v144, v113, v112, s[56:57]
	v_add_f32_e32 v103, 1.0, v144
	v_add_f32_e32 v112, -1.0, v103
	v_sub_f32_e32 v113, v112, v103
	v_add_f32_e32 v113, 1.0, v113
	v_sub_f32_e32 v112, v144, v112
	v_add_f32_e32 v114, v112, v113
	v_frexp_mant_f32_e32 v115, v103
	s_mov_b32 s56, 0x3f2aaaab
	v_cvt_f64_f32_e32 v[112:113], v103
	v_frexp_exp_i32_f64_e32 v112, v[112:113]
	v_cmp_gt_f32_e64 s[56:57], s56, v115
	v_subbrev_co_u32_e64 v128, s[56:57], 0, v112, s[56:57]
	v_sub_u32_e32 v112, 0, v128
	v_ldexp_f32 v103, v103, v112
	v_ldexp_f32 v112, v114, v112
	v_add_f32_e32 v114, -1.0, v103
	v_add_f32_e32 v113, 1.0, v114
	v_sub_f32_e32 v113, v103, v113
	v_add_f32_e32 v115, v112, v113
	v_add_f32_e32 v113, 1.0, v103
	v_add_f32_e32 v116, -1.0, v113
	v_sub_f32_e32 v103, v103, v116
	v_add_f32_e32 v103, v112, v103
	v_add_f32_e32 v129, v113, v103
	v_rcp_f32_e32 v130, v129
	v_sub_f32_e32 v112, v113, v129
	v_add_f32_e32 v113, v114, v115
	v_add_f32_e32 v103, v103, v112
	v_mul_f32_e32 v132, v113, v130
	v_sub_f32_e32 v112, v114, v113
	v_mul_f32_e32 v114, v129, v132
	v_fma_f32 v116, v132, v129, -v114
	v_fmac_f32_e32 v116, v132, v103
	v_add_f32_e32 v131, v115, v112
	v_add_f32_e32 v112, v114, v116
	v_sub_f32_e32 v115, v113, v112
	v_pk_add_f32 v[118:119], v[112:113], v[114:115] neg_lo:[0,1] neg_hi:[0,1]
	v_mov_b32_e32 v117, v112
	v_pk_add_f32 v[112:113], v[118:119], v[116:117] neg_lo:[0,1] neg_hi:[0,1]
	v_add_f32_e32 v113, v131, v113
	v_add_f32_e32 v112, v112, v113
	;; [unrolled: 1-line block ×3, first 2 shown]
	v_mul_f32_e32 v131, v130, v113
	v_mul_f32_e32 v114, v129, v131
	v_fma_f32 v116, v131, v129, -v114
	v_fmac_f32_e32 v116, v131, v103
	v_sub_f32_e32 v103, v115, v113
	v_add_f32_e32 v103, v112, v103
	v_add_f32_e32 v112, v114, v116
	v_sub_f32_e32 v115, v113, v112
	v_pk_add_f32 v[118:119], v[112:113], v[114:115] neg_lo:[0,1] neg_hi:[0,1]
	v_mov_b32_e32 v117, v112
	v_pk_add_f32 v[112:113], v[118:119], v[116:117] neg_lo:[0,1] neg_hi:[0,1]
	v_add_f32_e32 v103, v103, v113
	v_add_f32_e32 v103, v112, v103
	;; [unrolled: 1-line block ×4, first 2 shown]
	v_sub_f32_e32 v113, v112, v132
	v_mul_f32_e32 v103, v130, v103
	v_sub_f32_e32 v113, v131, v113
	v_add_f32_e32 v103, v113, v103
	v_add_f32_e32 v115, v112, v103
	v_mul_f32_e32 v116, v115, v115
	v_mov_b32_e32 v114, 0x3ecc95a3
	v_fmac_f32_e32 v114, 0x3e9b6dac, v116
	v_mov_b32_e32 v113, 0x3f2aaada
	v_fmac_f32_e32 v113, v116, v114
	v_cvt_f32_i32_e32 v114, v128
	v_sub_f32_e32 v112, v115, v112
	v_sub_f32_e32 v103, v103, v112
	v_ldexp_f32 v117, v115, 1
	v_mul_f32_e32 v115, v115, v116
	v_mov_b32_e32 v112, 0x3f317218
	s_mov_b32 s56, 0x3f317218
	v_pk_mul_f32 v[112:113], v[114:115], v[112:113]
	v_fma_f32 v116, v114, s56, -v112
	v_fmac_f32_e32 v116, 0xb102e308, v114
	v_pk_add_f32 v[114:115], v[112:113], v[116:117]
	v_sub_f32_e32 v117, v115, v117
	v_ldexp_f32 v103, v103, 1
	v_sub_f32_e32 v117, v113, v117
	v_add_f32_e32 v119, v103, v117
	v_mov_b32_e32 v118, v112
	v_pk_add_f32 v[112:113], v[114:115], v[112:113] neg_lo:[0,1] neg_hi:[0,1]
	v_pk_add_f32 v[128:129], v[114:115], v[118:119]
	v_mov_b32_e32 v113, v129
	v_mov_b32_e32 v117, v114
	v_pk_add_f32 v[130:131], v[116:117], v[112:113] neg_lo:[0,1] neg_hi:[0,1]
	v_pk_add_f32 v[112:113], v[116:117], v[112:113]
	v_mov_b32_e32 v116, v113
	v_pk_add_f32 v[132:133], v[116:117], v[114:115] neg_lo:[0,1] neg_hi:[0,1]
	v_mov_b32_e32 v103, v132
	v_pk_add_f32 v[134:135], v[128:129], v[102:103] neg_lo:[0,1] neg_hi:[0,1]
	v_mov_b32_e32 v112, v129
	v_mov_b32_e32 v128, v115
	;; [unrolled: 1-line block ×4, first 2 shown]
	v_pk_add_f32 v[112:113], v[112:113], v[128:129] neg_lo:[0,1] neg_hi:[0,1]
	v_mov_b32_e32 v118, v119
	v_mov_b32_e32 v119, v114
	v_pk_add_f32 v[112:113], v[118:119], v[112:113] neg_lo:[0,1] neg_hi:[0,1]
	v_mov_b32_e32 v134, v130
	v_pk_add_f32 v[114:115], v[134:135], v[112:113]
	v_mov_b32_e32 v118, v115
	v_pk_add_f32 v[118:119], v[114:115], v[118:119]
	v_pk_add_f32 v[116:117], v[116:117], v[118:119]
	v_mov_b32_e32 v115, v116
	v_pk_add_f32 v[128:129], v[114:115], v[130:131] neg_lo:[0,1] neg_hi:[0,1]
	v_mov_b32_e32 v113, v118
	v_sub_f32_e32 v103, v114, v128
	v_pk_add_f32 v[112:113], v[112:113], v[128:129] neg_lo:[0,1] neg_hi:[0,1]
	v_sub_f32_e32 v103, v130, v103
	v_add_f32_e32 v103, v112, v103
	v_cmp_eq_f32_e64 s[56:57], s62, v144
	s_mov_b32 s62, 0x33800000
	v_add_f32_e32 v103, v103, v113
	v_cmp_lt_f32_e64 s[62:63], |v144|, s62
	v_add_f32_e32 v103, v116, v103
	s_or_b64 s[56:57], s[56:57], s[62:63]
	v_cndmask_b32_e64 v103, v103, v144, s[56:57]
	v_add_f32_e32 v103, v102, v103
.LBB512_321:
	s_or_b64 exec, exec, s[58:59]
	v_bfe_u32 v102, v103, 16, 1
	s_movk_i32 s56, 0x7fff
	v_add3_u32 v102, v103, v102, s56
	v_lshrrev_b32_e32 v102, 16, v102
	v_mov_b32_e32 v112, 0x7fc0
	v_cmp_o_f32_e64 s[56:57], v103, v103
	v_cndmask_b32_e64 v103, v112, v102, s[56:57]
	v_and_b32_e32 v112, 0xffff, v103
.LBB512_322:
	s_or_b64 exec, exec, s[60:61]
	s_nop 0
	v_mov_b32_dpp v102, v112 row_bcast:31 row_mask:0xf bank_mask:0xf
	v_cmp_lt_u32_e64 s[56:57], 31, v101
	s_and_saveexec_b64 s[60:61], s[56:57]
	s_cbranch_execz .LBB512_326
; %bb.323:
	v_lshlrev_b32_e32 v103, 16, v102
	v_lshlrev_b32_e32 v102, 16, v112
	v_max_f32_e32 v113, v102, v102
	v_max_f32_e32 v114, v103, v103
	v_min_f32_e32 v112, v114, v113
	v_cmp_u_f32_e64 s[56:57], v103, v103
	v_max_f32_e32 v113, v114, v113
	v_cndmask_b32_e64 v112, v112, v103, s[56:57]
	v_cmp_u_f32_e64 s[58:59], v102, v102
	v_cndmask_b32_e64 v113, v113, v103, s[56:57]
	v_cndmask_b32_e64 v112, v112, v102, s[58:59]
	;; [unrolled: 1-line block ×3, first 2 shown]
	s_movk_i32 s58, 0x1f8
	v_cmp_neq_f32_e64 s[56:57], v112, v102
	v_cmp_class_f32_e64 s[58:59], v112, s58
	s_or_b64 s[56:57], s[56:57], s[58:59]
	s_and_saveexec_b64 s[58:59], s[56:57]
	s_cbranch_execz .LBB512_325
; %bb.324:
	v_sub_f32_e32 v103, v112, v102
	s_mov_b32 s56, 0x3fb8aa3b
	v_mul_f32_e32 v112, 0x3fb8aa3b, v103
	v_fma_f32 v113, v103, s56, -v112
	v_rndne_f32_e32 v114, v112
	v_fmac_f32_e32 v113, 0x32a5705f, v103
	v_sub_f32_e32 v112, v112, v114
	v_add_f32_e32 v112, v112, v113
	v_exp_f32_e32 v112, v112
	v_cvt_i32_f32_e32 v113, v114
	s_mov_b32 s56, 0xc2ce8ed0
	v_cmp_ngt_f32_e64 s[56:57], s56, v103
	s_mov_b32 s62, 0x7f800000
	v_ldexp_f32 v112, v112, v113
	v_cndmask_b32_e64 v112, 0, v112, s[56:57]
	s_mov_b32 s56, 0x42b17218
	v_mov_b32_e32 v113, 0x7f800000
	v_cmp_nlt_f32_e64 s[56:57], s56, v103
	v_cndmask_b32_e64 v144, v113, v112, s[56:57]
	v_add_f32_e32 v103, 1.0, v144
	v_add_f32_e32 v112, -1.0, v103
	v_sub_f32_e32 v113, v112, v103
	v_add_f32_e32 v113, 1.0, v113
	v_sub_f32_e32 v112, v144, v112
	v_add_f32_e32 v114, v112, v113
	v_frexp_mant_f32_e32 v115, v103
	s_mov_b32 s56, 0x3f2aaaab
	v_cvt_f64_f32_e32 v[112:113], v103
	v_frexp_exp_i32_f64_e32 v112, v[112:113]
	v_cmp_gt_f32_e64 s[56:57], s56, v115
	v_subbrev_co_u32_e64 v128, s[56:57], 0, v112, s[56:57]
	v_sub_u32_e32 v112, 0, v128
	v_ldexp_f32 v103, v103, v112
	v_ldexp_f32 v112, v114, v112
	v_add_f32_e32 v114, -1.0, v103
	v_add_f32_e32 v113, 1.0, v114
	v_sub_f32_e32 v113, v103, v113
	v_add_f32_e32 v115, v112, v113
	v_add_f32_e32 v113, 1.0, v103
	v_add_f32_e32 v116, -1.0, v113
	v_sub_f32_e32 v103, v103, v116
	v_add_f32_e32 v103, v112, v103
	v_add_f32_e32 v129, v113, v103
	v_rcp_f32_e32 v130, v129
	v_sub_f32_e32 v112, v113, v129
	v_add_f32_e32 v113, v114, v115
	v_add_f32_e32 v103, v103, v112
	v_mul_f32_e32 v132, v113, v130
	v_sub_f32_e32 v112, v114, v113
	v_mul_f32_e32 v114, v129, v132
	v_fma_f32 v116, v132, v129, -v114
	v_fmac_f32_e32 v116, v132, v103
	v_add_f32_e32 v131, v115, v112
	v_add_f32_e32 v112, v114, v116
	v_sub_f32_e32 v115, v113, v112
	v_pk_add_f32 v[118:119], v[112:113], v[114:115] neg_lo:[0,1] neg_hi:[0,1]
	v_mov_b32_e32 v117, v112
	v_pk_add_f32 v[112:113], v[118:119], v[116:117] neg_lo:[0,1] neg_hi:[0,1]
	v_add_f32_e32 v113, v131, v113
	v_add_f32_e32 v112, v112, v113
	;; [unrolled: 1-line block ×3, first 2 shown]
	v_mul_f32_e32 v131, v130, v113
	v_mul_f32_e32 v114, v129, v131
	v_fma_f32 v116, v131, v129, -v114
	v_fmac_f32_e32 v116, v131, v103
	v_sub_f32_e32 v103, v115, v113
	v_add_f32_e32 v103, v112, v103
	v_add_f32_e32 v112, v114, v116
	v_sub_f32_e32 v115, v113, v112
	v_pk_add_f32 v[118:119], v[112:113], v[114:115] neg_lo:[0,1] neg_hi:[0,1]
	v_mov_b32_e32 v117, v112
	v_pk_add_f32 v[112:113], v[118:119], v[116:117] neg_lo:[0,1] neg_hi:[0,1]
	v_add_f32_e32 v103, v103, v113
	v_add_f32_e32 v103, v112, v103
	;; [unrolled: 1-line block ×4, first 2 shown]
	v_sub_f32_e32 v113, v112, v132
	v_mul_f32_e32 v103, v130, v103
	v_sub_f32_e32 v113, v131, v113
	v_add_f32_e32 v103, v113, v103
	v_add_f32_e32 v115, v112, v103
	v_mul_f32_e32 v116, v115, v115
	v_mov_b32_e32 v114, 0x3ecc95a3
	v_fmac_f32_e32 v114, 0x3e9b6dac, v116
	v_mov_b32_e32 v113, 0x3f2aaada
	v_fmac_f32_e32 v113, v116, v114
	v_cvt_f32_i32_e32 v114, v128
	v_sub_f32_e32 v112, v115, v112
	v_sub_f32_e32 v103, v103, v112
	v_ldexp_f32 v117, v115, 1
	v_mul_f32_e32 v115, v115, v116
	v_mov_b32_e32 v112, 0x3f317218
	s_mov_b32 s56, 0x3f317218
	v_pk_mul_f32 v[112:113], v[114:115], v[112:113]
	v_fma_f32 v116, v114, s56, -v112
	v_fmac_f32_e32 v116, 0xb102e308, v114
	v_pk_add_f32 v[114:115], v[112:113], v[116:117]
	v_sub_f32_e32 v117, v115, v117
	v_ldexp_f32 v103, v103, 1
	v_sub_f32_e32 v117, v113, v117
	v_add_f32_e32 v119, v103, v117
	v_mov_b32_e32 v118, v112
	v_pk_add_f32 v[112:113], v[114:115], v[112:113] neg_lo:[0,1] neg_hi:[0,1]
	v_pk_add_f32 v[128:129], v[114:115], v[118:119]
	v_mov_b32_e32 v113, v129
	v_mov_b32_e32 v117, v114
	v_pk_add_f32 v[130:131], v[116:117], v[112:113] neg_lo:[0,1] neg_hi:[0,1]
	v_pk_add_f32 v[112:113], v[116:117], v[112:113]
	v_mov_b32_e32 v116, v113
	v_pk_add_f32 v[132:133], v[116:117], v[114:115] neg_lo:[0,1] neg_hi:[0,1]
	v_mov_b32_e32 v103, v132
	v_pk_add_f32 v[134:135], v[128:129], v[102:103] neg_lo:[0,1] neg_hi:[0,1]
	v_mov_b32_e32 v112, v129
	v_mov_b32_e32 v128, v115
	;; [unrolled: 1-line block ×4, first 2 shown]
	v_pk_add_f32 v[112:113], v[112:113], v[128:129] neg_lo:[0,1] neg_hi:[0,1]
	v_mov_b32_e32 v118, v119
	v_mov_b32_e32 v119, v114
	v_pk_add_f32 v[112:113], v[118:119], v[112:113] neg_lo:[0,1] neg_hi:[0,1]
	v_mov_b32_e32 v134, v130
	v_pk_add_f32 v[114:115], v[134:135], v[112:113]
	v_mov_b32_e32 v118, v115
	v_pk_add_f32 v[118:119], v[114:115], v[118:119]
	v_pk_add_f32 v[116:117], v[116:117], v[118:119]
	v_mov_b32_e32 v115, v116
	v_pk_add_f32 v[128:129], v[114:115], v[130:131] neg_lo:[0,1] neg_hi:[0,1]
	v_mov_b32_e32 v113, v118
	v_sub_f32_e32 v103, v114, v128
	v_pk_add_f32 v[112:113], v[112:113], v[128:129] neg_lo:[0,1] neg_hi:[0,1]
	v_sub_f32_e32 v103, v130, v103
	v_add_f32_e32 v103, v112, v103
	v_cmp_eq_f32_e64 s[56:57], s62, v144
	s_mov_b32 s62, 0x33800000
	v_add_f32_e32 v103, v103, v113
	v_cmp_lt_f32_e64 s[62:63], |v144|, s62
	v_add_f32_e32 v103, v116, v103
	s_or_b64 s[56:57], s[56:57], s[62:63]
	v_cndmask_b32_e64 v103, v103, v144, s[56:57]
	v_add_f32_e32 v103, v102, v103
.LBB512_325:
	s_or_b64 exec, exec, s[58:59]
	v_bfe_u32 v102, v103, 16, 1
	s_movk_i32 s56, 0x7fff
	v_add3_u32 v102, v103, v102, s56
	v_lshrrev_b32_e32 v102, 16, v102
	v_mov_b32_e32 v112, 0x7fc0
	v_cmp_o_f32_e64 s[56:57], v103, v103
	v_cndmask_b32_e64 v103, v112, v102, s[56:57]
.LBB512_326:
	s_or_b64 exec, exec, s[60:61]
	v_cmp_eq_u32_e64 s[56:57], 63, v28
	s_and_saveexec_b64 s[58:59], s[56:57]
	s_cbranch_execz .LBB512_328
; %bb.327:
	v_mov_b32_e32 v102, 0
	ds_write_b16 v102, v103
.LBB512_328:
	s_or_b64 exec, exec, s[58:59]
	v_and_b32_e32 v102, 0xffff, v103
	v_add_u32_e32 v103, -1, v101
	v_and_b32_e32 v112, 64, v101
	v_cmp_lt_i32_e64 s[58:59], v103, v112
	v_cndmask_b32_e64 v101, v103, v101, s[58:59]
	v_lshlrev_b32_e32 v101, 2, v101
	ds_bpermute_b32 v101, v101, v102
	s_waitcnt lgkmcnt(0)
	; wave barrier
	s_waitcnt lgkmcnt(0)
	s_and_saveexec_b64 s[58:59], s[6:7]
	s_cbranch_execz .LBB512_332
; %bb.329:
	v_lshlrev_b32_e32 v98, 16, v101
	v_max_f32_e32 v30, v98, v98
	v_min_f32_e32 v99, v30, v100
	v_cmp_u_f32_e64 s[6:7], v98, v98
	v_max_f32_e32 v30, v30, v100
	v_cndmask_b32_e64 v99, v99, v98, s[6:7]
	v_cndmask_b32_e64 v30, v30, v98, s[6:7]
	;; [unrolled: 1-line block ×4, first 2 shown]
	s_movk_i32 s54, 0x1f8
	v_cmp_neq_f32_e64 s[6:7], v99, v30
	v_cmp_class_f32_e64 s[54:55], v99, s54
	s_or_b64 s[6:7], s[6:7], s[54:55]
	s_and_saveexec_b64 s[54:55], s[6:7]
	s_cbranch_execz .LBB512_331
; %bb.330:
	v_sub_f32_e32 v32, v99, v30
	s_mov_b32 s6, 0x3fb8aa3b
	v_mul_f32_e32 v98, 0x3fb8aa3b, v32
	v_fma_f32 v99, v32, s6, -v98
	v_rndne_f32_e32 v100, v98
	v_fmac_f32_e32 v99, 0x32a5705f, v32
	v_sub_f32_e32 v98, v98, v100
	v_add_f32_e32 v98, v98, v99
	v_exp_f32_e32 v98, v98
	v_cvt_i32_f32_e32 v99, v100
	s_mov_b32 s6, 0xc2ce8ed0
	v_cmp_ngt_f32_e64 s[6:7], s6, v32
	s_mov_b32 s60, 0x7f800000
	v_ldexp_f32 v98, v98, v99
	v_cndmask_b32_e64 v98, 0, v98, s[6:7]
	s_mov_b32 s6, 0x42b17218
	v_mov_b32_e32 v99, 0x7f800000
	v_cmp_nlt_f32_e64 s[6:7], s6, v32
	v_cndmask_b32_e64 v128, v99, v98, s[6:7]
	v_add_f32_e32 v32, 1.0, v128
	v_add_f32_e32 v98, -1.0, v32
	v_sub_f32_e32 v99, v98, v32
	v_add_f32_e32 v99, 1.0, v99
	v_sub_f32_e32 v98, v128, v98
	v_add_f32_e32 v100, v98, v99
	v_frexp_mant_f32_e32 v101, v32
	s_mov_b32 s6, 0x3f2aaaab
	v_cvt_f64_f32_e32 v[98:99], v32
	v_frexp_exp_i32_f64_e32 v98, v[98:99]
	v_cmp_gt_f32_e64 s[6:7], s6, v101
	v_subbrev_co_u32_e64 v114, s[6:7], 0, v98, s[6:7]
	v_sub_u32_e32 v98, 0, v114
	v_ldexp_f32 v32, v32, v98
	v_ldexp_f32 v98, v100, v98
	v_add_f32_e32 v100, -1.0, v32
	v_add_f32_e32 v99, 1.0, v100
	v_sub_f32_e32 v99, v32, v99
	v_add_f32_e32 v101, v98, v99
	v_add_f32_e32 v99, 1.0, v32
	v_add_f32_e32 v102, -1.0, v99
	v_sub_f32_e32 v32, v32, v102
	v_add_f32_e32 v32, v98, v32
	v_add_f32_e32 v115, v99, v32
	v_rcp_f32_e32 v116, v115
	v_sub_f32_e32 v98, v99, v115
	v_add_f32_e32 v99, v100, v101
	v_add_f32_e32 v32, v32, v98
	v_mul_f32_e32 v118, v99, v116
	v_sub_f32_e32 v98, v100, v99
	v_mul_f32_e32 v100, v115, v118
	v_fma_f32 v102, v118, v115, -v100
	v_fmac_f32_e32 v102, v118, v32
	v_add_f32_e32 v117, v101, v98
	v_add_f32_e32 v98, v100, v102
	v_sub_f32_e32 v101, v99, v98
	v_pk_add_f32 v[112:113], v[98:99], v[100:101] neg_lo:[0,1] neg_hi:[0,1]
	v_mov_b32_e32 v103, v98
	v_pk_add_f32 v[98:99], v[112:113], v[102:103] neg_lo:[0,1] neg_hi:[0,1]
	v_add_f32_e32 v99, v117, v99
	v_add_f32_e32 v98, v98, v99
	;; [unrolled: 1-line block ×3, first 2 shown]
	v_mul_f32_e32 v117, v116, v99
	v_mul_f32_e32 v100, v115, v117
	v_fma_f32 v102, v117, v115, -v100
	v_fmac_f32_e32 v102, v117, v32
	v_sub_f32_e32 v32, v101, v99
	v_add_f32_e32 v32, v98, v32
	v_add_f32_e32 v98, v100, v102
	v_sub_f32_e32 v101, v99, v98
	v_pk_add_f32 v[112:113], v[98:99], v[100:101] neg_lo:[0,1] neg_hi:[0,1]
	v_mov_b32_e32 v103, v98
	v_pk_add_f32 v[98:99], v[112:113], v[102:103] neg_lo:[0,1] neg_hi:[0,1]
	v_add_f32_e32 v32, v32, v99
	v_add_f32_e32 v32, v98, v32
	;; [unrolled: 1-line block ×4, first 2 shown]
	v_sub_f32_e32 v99, v98, v118
	v_mul_f32_e32 v32, v116, v32
	v_sub_f32_e32 v99, v117, v99
	v_add_f32_e32 v32, v99, v32
	v_add_f32_e32 v101, v98, v32
	v_mul_f32_e32 v102, v101, v101
	v_mov_b32_e32 v100, 0x3ecc95a3
	v_fmac_f32_e32 v100, 0x3e9b6dac, v102
	v_mov_b32_e32 v99, 0x3f2aaada
	v_fmac_f32_e32 v99, v102, v100
	v_cvt_f32_i32_e32 v100, v114
	v_sub_f32_e32 v98, v101, v98
	v_sub_f32_e32 v32, v32, v98
	v_ldexp_f32 v103, v101, 1
	v_mul_f32_e32 v101, v101, v102
	v_mov_b32_e32 v98, 0x3f317218
	s_mov_b32 s6, 0x3f317218
	v_pk_mul_f32 v[98:99], v[100:101], v[98:99]
	v_fma_f32 v102, v100, s6, -v98
	v_fmac_f32_e32 v102, 0xb102e308, v100
	v_pk_add_f32 v[100:101], v[98:99], v[102:103]
	v_sub_f32_e32 v103, v101, v103
	v_ldexp_f32 v32, v32, 1
	v_sub_f32_e32 v103, v99, v103
	v_add_f32_e32 v113, v32, v103
	v_mov_b32_e32 v112, v98
	v_pk_add_f32 v[98:99], v[100:101], v[98:99] neg_lo:[0,1] neg_hi:[0,1]
	v_pk_add_f32 v[114:115], v[100:101], v[112:113]
	v_mov_b32_e32 v99, v115
	v_mov_b32_e32 v103, v100
	v_pk_add_f32 v[116:117], v[102:103], v[98:99] neg_lo:[0,1] neg_hi:[0,1]
	v_pk_add_f32 v[98:99], v[102:103], v[98:99]
	v_mov_b32_e32 v32, v99
	v_pk_add_f32 v[102:103], v[32:33], v[100:101] neg_lo:[0,1] neg_hi:[0,1]
	v_mov_b32_e32 v103, v102
	v_pk_add_f32 v[118:119], v[114:115], v[102:103] neg_lo:[0,1] neg_hi:[0,1]
	v_mov_b32_e32 v98, v115
	v_mov_b32_e32 v114, v101
	;; [unrolled: 1-line block ×4, first 2 shown]
	v_pk_add_f32 v[98:99], v[98:99], v[114:115] neg_lo:[0,1] neg_hi:[0,1]
	v_mov_b32_e32 v102, v113
	v_mov_b32_e32 v103, v100
	v_pk_add_f32 v[98:99], v[102:103], v[98:99] neg_lo:[0,1] neg_hi:[0,1]
	v_mov_b32_e32 v118, v116
	v_pk_add_f32 v[100:101], v[118:119], v[98:99]
	v_mov_b32_e32 v102, v101
	v_pk_add_f32 v[102:103], v[100:101], v[102:103]
	v_pk_add_f32 v[112:113], v[32:33], v[102:103]
	v_mov_b32_e32 v101, v112
	v_pk_add_f32 v[114:115], v[100:101], v[116:117] neg_lo:[0,1] neg_hi:[0,1]
	v_mov_b32_e32 v99, v102
	v_sub_f32_e32 v32, v100, v114
	v_pk_add_f32 v[98:99], v[98:99], v[114:115] neg_lo:[0,1] neg_hi:[0,1]
	v_sub_f32_e32 v32, v116, v32
	v_add_f32_e32 v32, v98, v32
	v_cmp_eq_f32_e64 s[6:7], s60, v128
	s_mov_b32 s60, 0x33800000
	v_add_f32_e32 v32, v32, v99
	v_cmp_lt_f32_e64 s[60:61], |v128|, s60
	v_add_f32_e32 v32, v112, v32
	s_or_b64 s[6:7], s[6:7], s[60:61]
	v_cndmask_b32_e64 v32, v32, v128, s[6:7]
	v_add_f32_e32 v98, v30, v32
.LBB512_331:
	s_or_b64 exec, exec, s[54:55]
	v_bfe_u32 v30, v98, 16, 1
	s_movk_i32 s6, 0x7fff
	v_add3_u32 v30, v98, v30, s6
	v_lshrrev_b32_e32 v30, 16, v30
	v_mov_b32_e32 v32, 0x7fc0
	v_cmp_o_f32_e64 s[6:7], v98, v98
	v_cndmask_b32_e64 v30, v32, v30, s[6:7]
	v_lshlrev_b32_e32 v32, 16, v30
	v_max_f32_e32 v99, v32, v32
	v_min_f32_e32 v98, v99, v31
	v_max_f32_e32 v99, v99, v31
	;;#ASMSTART
	;;#ASMEND
.LBB512_332:
	s_or_b64 exec, exec, s[58:59]
	v_cmp_u_f32_e64 s[6:7], v32, v32
	v_cndmask_b32_e64 v31, v98, v32, s[6:7]
	v_cndmask_b32_e64 v98, v99, v32, s[6:7]
	v_cndmask_b32_e32 v31, v31, v2, vcc
	v_cndmask_b32_e32 v2, v98, v2, vcc
	s_movk_i32 s54, 0x1f8
	v_cmp_neq_f32_e32 vcc, v31, v2
	v_cmp_class_f32_e64 s[6:7], v31, s54
	s_or_b64 vcc, vcc, s[6:7]
	s_and_saveexec_b64 s[6:7], vcc
	s_cbranch_execz .LBB512_334
; %bb.333:
	v_sub_f32_e32 v31, v31, v2
	s_mov_b32 s55, 0x3fb8aa3b
	v_mul_f32_e32 v32, 0x3fb8aa3b, v31
	v_fma_f32 v98, v31, s55, -v32
	v_rndne_f32_e32 v99, v32
	v_fmac_f32_e32 v98, 0x32a5705f, v31
	v_sub_f32_e32 v32, v32, v99
	v_add_f32_e32 v32, v32, v98
	v_exp_f32_e32 v32, v32
	v_cvt_i32_f32_e32 v98, v99
	s_mov_b32 s55, 0xc2ce8ed0
	v_cmp_ngt_f32_e32 vcc, s55, v31
	s_mov_b32 s55, 0x42b17218
	v_ldexp_f32 v32, v32, v98
	v_cndmask_b32_e32 v32, 0, v32, vcc
	v_mov_b32_e32 v98, 0x7f800000
	v_cmp_nlt_f32_e32 vcc, s55, v31
	v_cndmask_b32_e32 v128, v98, v32, vcc
	v_add_f32_e32 v31, 1.0, v128
	v_add_f32_e32 v32, -1.0, v31
	v_sub_f32_e32 v98, v32, v31
	v_add_f32_e32 v98, 1.0, v98
	v_sub_f32_e32 v32, v128, v32
	v_add_f32_e32 v32, v32, v98
	v_frexp_mant_f32_e32 v100, v31
	s_mov_b32 s55, 0x3f2aaaab
	v_cvt_f64_f32_e32 v[98:99], v31
	v_frexp_exp_i32_f64_e32 v98, v[98:99]
	v_cmp_gt_f32_e32 vcc, s55, v100
	v_subbrev_co_u32_e32 v114, vcc, 0, v98, vcc
	v_sub_u32_e32 v98, 0, v114
	v_ldexp_f32 v31, v31, v98
	v_ldexp_f32 v32, v32, v98
	v_add_f32_e32 v98, -1.0, v31
	v_add_f32_e32 v99, 1.0, v98
	v_sub_f32_e32 v99, v31, v99
	v_add_f32_e32 v100, v32, v99
	v_add_f32_e32 v99, 1.0, v31
	v_add_f32_e32 v101, -1.0, v99
	v_sub_f32_e32 v31, v31, v101
	v_add_f32_e32 v31, v32, v31
	v_add_f32_e32 v32, v99, v31
	v_rcp_f32_e32 v115, v32
	v_sub_f32_e32 v99, v99, v32
	v_add_f32_e32 v31, v31, v99
	v_add_f32_e32 v99, v98, v100
	v_sub_f32_e32 v98, v98, v99
	v_mul_f32_e32 v117, v99, v115
	v_add_f32_e32 v116, v100, v98
	v_mul_f32_e32 v100, v32, v117
	v_fma_f32 v102, v117, v32, -v100
	v_fmac_f32_e32 v102, v117, v31
	v_add_f32_e32 v98, v100, v102
	v_sub_f32_e32 v101, v99, v98
	v_pk_add_f32 v[112:113], v[98:99], v[100:101] neg_lo:[0,1] neg_hi:[0,1]
	v_mov_b32_e32 v103, v98
	v_pk_add_f32 v[98:99], v[112:113], v[102:103] neg_lo:[0,1] neg_hi:[0,1]
	v_add_f32_e32 v99, v116, v99
	v_add_f32_e32 v98, v98, v99
	;; [unrolled: 1-line block ×3, first 2 shown]
	v_mul_f32_e32 v116, v115, v99
	v_mul_f32_e32 v100, v32, v116
	v_fma_f32 v102, v116, v32, -v100
	v_fmac_f32_e32 v102, v116, v31
	v_sub_f32_e32 v31, v101, v99
	v_add_f32_e32 v31, v98, v31
	v_add_f32_e32 v98, v100, v102
	v_sub_f32_e32 v101, v99, v98
	v_pk_add_f32 v[112:113], v[98:99], v[100:101] neg_lo:[0,1] neg_hi:[0,1]
	v_mov_b32_e32 v103, v98
	v_pk_add_f32 v[98:99], v[112:113], v[102:103] neg_lo:[0,1] neg_hi:[0,1]
	v_add_f32_e32 v31, v31, v99
	v_add_f32_e32 v31, v98, v31
	v_add_f32_e32 v32, v117, v116
	v_add_f32_e32 v31, v101, v31
	v_sub_f32_e32 v98, v32, v117
	v_mul_f32_e32 v31, v115, v31
	v_sub_f32_e32 v98, v116, v98
	v_add_f32_e32 v31, v98, v31
	v_add_f32_e32 v98, v32, v31
	v_mul_f32_e32 v101, v98, v98
	v_mov_b32_e32 v100, 0x3ecc95a3
	v_fmac_f32_e32 v100, 0x3e9b6dac, v101
	v_mov_b32_e32 v99, 0x3f2aaada
	v_fmac_f32_e32 v99, v101, v100
	v_cvt_f32_i32_e32 v100, v114
	v_sub_f32_e32 v32, v98, v32
	v_ldexp_f32 v103, v98, 1
	v_mul_f32_e32 v101, v98, v101
	v_mov_b32_e32 v98, 0x3f317218
	s_mov_b32 s55, 0x3f317218
	v_pk_mul_f32 v[98:99], v[100:101], v[98:99]
	v_fma_f32 v102, v100, s55, -v98
	v_fmac_f32_e32 v102, 0xb102e308, v100
	v_pk_add_f32 v[100:101], v[98:99], v[102:103]
	v_sub_f32_e32 v31, v31, v32
	v_sub_f32_e32 v32, v101, v103
	v_ldexp_f32 v31, v31, 1
	v_sub_f32_e32 v32, v99, v32
	v_add_f32_e32 v113, v31, v32
	v_mov_b32_e32 v112, v98
	v_pk_add_f32 v[98:99], v[100:101], v[98:99] neg_lo:[0,1] neg_hi:[0,1]
	v_pk_add_f32 v[114:115], v[100:101], v[112:113]
	v_mov_b32_e32 v99, v115
	v_mov_b32_e32 v103, v100
	v_pk_add_f32 v[116:117], v[102:103], v[98:99] neg_lo:[0,1] neg_hi:[0,1]
	v_pk_add_f32 v[98:99], v[102:103], v[98:99]
	v_mov_b32_e32 v32, v99
	v_pk_add_f32 v[102:103], v[32:33], v[100:101] neg_lo:[0,1] neg_hi:[0,1]
	v_mov_b32_e32 v31, v102
	v_pk_add_f32 v[118:119], v[114:115], v[30:31] neg_lo:[0,1] neg_hi:[0,1]
	v_mov_b32_e32 v98, v115
	v_mov_b32_e32 v114, v101
	;; [unrolled: 1-line block ×4, first 2 shown]
	v_pk_add_f32 v[98:99], v[98:99], v[114:115] neg_lo:[0,1] neg_hi:[0,1]
	v_mov_b32_e32 v102, v113
	v_mov_b32_e32 v103, v100
	v_pk_add_f32 v[98:99], v[102:103], v[98:99] neg_lo:[0,1] neg_hi:[0,1]
	v_mov_b32_e32 v118, v116
	v_pk_add_f32 v[100:101], v[118:119], v[98:99]
	v_mov_b32_e32 v102, v101
	v_pk_add_f32 v[102:103], v[100:101], v[102:103]
	v_pk_add_f32 v[112:113], v[32:33], v[102:103]
	v_mov_b32_e32 v101, v112
	v_pk_add_f32 v[114:115], v[100:101], v[116:117] neg_lo:[0,1] neg_hi:[0,1]
	v_mov_b32_e32 v99, v102
	v_sub_f32_e32 v31, v100, v114
	v_pk_add_f32 v[98:99], v[98:99], v[114:115] neg_lo:[0,1] neg_hi:[0,1]
	v_sub_f32_e32 v31, v116, v31
	s_mov_b32 s58, 0x7f800000
	v_add_f32_e32 v31, v98, v31
	s_mov_b32 s55, 0x33800000
	v_add_f32_e32 v31, v31, v99
	v_cmp_eq_f32_e32 vcc, s58, v128
	v_cmp_lt_f32_e64 s[58:59], |v128|, s55
	v_add_f32_e32 v31, v112, v31
	s_or_b64 vcc, vcc, s[58:59]
	v_cndmask_b32_e32 v31, v31, v128, vcc
	v_add_f32_e32 v32, v2, v31
.LBB512_334:
	s_or_b64 exec, exec, s[6:7]
	v_bfe_u32 v2, v32, 16, 1
	s_movk_i32 s55, 0x7fff
	v_add3_u32 v2, v32, v2, s55
	v_lshrrev_b32_e32 v31, 16, v2
	v_mov_b32_e32 v2, 0x7fc0
	v_cmp_o_f32_e32 vcc, v32, v32
	v_cndmask_b32_e32 v31, v2, v31, vcc
	v_lshlrev_b32_e32 v32, 16, v31
	v_max_f32_e32 v99, v32, v32
	v_min_f32_e32 v98, v99, v20
	v_cmp_u_f32_e32 vcc, v32, v32
	v_max_f32_e32 v20, v99, v20
	v_cndmask_b32_e32 v98, v98, v32, vcc
	v_cndmask_b32_e32 v20, v20, v32, vcc
	v_cndmask_b32_e64 v98, v98, v3, s[8:9]
	v_cndmask_b32_e64 v3, v20, v3, s[8:9]
	v_cmp_neq_f32_e32 vcc, v98, v3
	v_cmp_class_f32_e64 s[6:7], v98, s54
	s_or_b64 s[8:9], vcc, s[6:7]
	s_and_saveexec_b64 s[6:7], s[8:9]
	s_cbranch_execz .LBB512_336
; %bb.335:
	v_sub_f32_e32 v20, v98, v3
	s_mov_b32 s8, 0x3fb8aa3b
	v_mul_f32_e32 v32, 0x3fb8aa3b, v20
	v_fma_f32 v98, v20, s8, -v32
	v_rndne_f32_e32 v99, v32
	v_fmac_f32_e32 v98, 0x32a5705f, v20
	v_sub_f32_e32 v32, v32, v99
	v_add_f32_e32 v32, v32, v98
	v_exp_f32_e32 v32, v32
	v_cvt_i32_f32_e32 v98, v99
	s_mov_b32 s8, 0xc2ce8ed0
	v_cmp_ngt_f32_e32 vcc, s8, v20
	s_mov_b32 s8, 0x42b17218
	v_ldexp_f32 v32, v32, v98
	v_cndmask_b32_e32 v32, 0, v32, vcc
	v_mov_b32_e32 v98, 0x7f800000
	v_cmp_nlt_f32_e32 vcc, s8, v20
	v_cndmask_b32_e32 v128, v98, v32, vcc
	v_add_f32_e32 v20, 1.0, v128
	v_add_f32_e32 v32, -1.0, v20
	v_sub_f32_e32 v98, v32, v20
	v_add_f32_e32 v98, 1.0, v98
	v_sub_f32_e32 v32, v128, v32
	v_add_f32_e32 v32, v32, v98
	v_frexp_mant_f32_e32 v100, v20
	s_mov_b32 s8, 0x3f2aaaab
	v_cvt_f64_f32_e32 v[98:99], v20
	v_frexp_exp_i32_f64_e32 v98, v[98:99]
	v_cmp_gt_f32_e32 vcc, s8, v100
	v_subbrev_co_u32_e32 v114, vcc, 0, v98, vcc
	v_sub_u32_e32 v98, 0, v114
	v_ldexp_f32 v20, v20, v98
	v_ldexp_f32 v32, v32, v98
	v_add_f32_e32 v98, -1.0, v20
	v_add_f32_e32 v99, 1.0, v98
	v_sub_f32_e32 v99, v20, v99
	v_add_f32_e32 v100, v32, v99
	v_add_f32_e32 v99, 1.0, v20
	v_add_f32_e32 v101, -1.0, v99
	v_sub_f32_e32 v20, v20, v101
	v_add_f32_e32 v20, v32, v20
	v_add_f32_e32 v32, v99, v20
	v_rcp_f32_e32 v115, v32
	v_sub_f32_e32 v99, v99, v32
	v_add_f32_e32 v20, v20, v99
	v_add_f32_e32 v99, v98, v100
	v_sub_f32_e32 v98, v98, v99
	v_mul_f32_e32 v117, v99, v115
	v_add_f32_e32 v116, v100, v98
	v_mul_f32_e32 v100, v32, v117
	v_fma_f32 v102, v117, v32, -v100
	v_fmac_f32_e32 v102, v117, v20
	v_add_f32_e32 v98, v100, v102
	v_sub_f32_e32 v101, v99, v98
	v_pk_add_f32 v[112:113], v[98:99], v[100:101] neg_lo:[0,1] neg_hi:[0,1]
	v_mov_b32_e32 v103, v98
	v_pk_add_f32 v[98:99], v[112:113], v[102:103] neg_lo:[0,1] neg_hi:[0,1]
	v_add_f32_e32 v99, v116, v99
	v_add_f32_e32 v98, v98, v99
	v_add_f32_e32 v99, v101, v98
	v_mul_f32_e32 v116, v115, v99
	v_mul_f32_e32 v100, v32, v116
	v_fma_f32 v102, v116, v32, -v100
	v_fmac_f32_e32 v102, v116, v20
	v_sub_f32_e32 v20, v101, v99
	v_add_f32_e32 v20, v98, v20
	v_add_f32_e32 v98, v100, v102
	v_sub_f32_e32 v101, v99, v98
	v_pk_add_f32 v[112:113], v[98:99], v[100:101] neg_lo:[0,1] neg_hi:[0,1]
	v_mov_b32_e32 v103, v98
	v_pk_add_f32 v[98:99], v[112:113], v[102:103] neg_lo:[0,1] neg_hi:[0,1]
	v_add_f32_e32 v20, v20, v99
	v_add_f32_e32 v20, v98, v20
	;; [unrolled: 1-line block ×4, first 2 shown]
	v_sub_f32_e32 v98, v32, v117
	v_mul_f32_e32 v20, v115, v20
	v_sub_f32_e32 v98, v116, v98
	v_add_f32_e32 v20, v98, v20
	v_add_f32_e32 v98, v32, v20
	v_mul_f32_e32 v101, v98, v98
	v_mov_b32_e32 v100, 0x3ecc95a3
	v_fmac_f32_e32 v100, 0x3e9b6dac, v101
	v_mov_b32_e32 v99, 0x3f2aaada
	v_fmac_f32_e32 v99, v101, v100
	v_cvt_f32_i32_e32 v100, v114
	v_sub_f32_e32 v32, v98, v32
	v_ldexp_f32 v103, v98, 1
	v_mul_f32_e32 v101, v98, v101
	v_mov_b32_e32 v98, 0x3f317218
	s_mov_b32 s8, 0x3f317218
	v_pk_mul_f32 v[98:99], v[100:101], v[98:99]
	v_fma_f32 v102, v100, s8, -v98
	v_fmac_f32_e32 v102, 0xb102e308, v100
	v_pk_add_f32 v[100:101], v[98:99], v[102:103]
	v_sub_f32_e32 v20, v20, v32
	v_sub_f32_e32 v32, v101, v103
	v_ldexp_f32 v20, v20, 1
	v_sub_f32_e32 v32, v99, v32
	v_add_f32_e32 v113, v20, v32
	v_mov_b32_e32 v112, v98
	v_pk_add_f32 v[98:99], v[100:101], v[98:99] neg_lo:[0,1] neg_hi:[0,1]
	v_pk_add_f32 v[114:115], v[100:101], v[112:113]
	v_mov_b32_e32 v99, v115
	v_mov_b32_e32 v103, v100
	v_pk_add_f32 v[116:117], v[102:103], v[98:99] neg_lo:[0,1] neg_hi:[0,1]
	v_pk_add_f32 v[98:99], v[102:103], v[98:99]
	v_mov_b32_e32 v20, v99
	v_pk_add_f32 v[102:103], v[20:21], v[100:101] neg_lo:[0,1] neg_hi:[0,1]
	v_mov_b32_e32 v103, v102
	v_pk_add_f32 v[118:119], v[114:115], v[102:103] neg_lo:[0,1] neg_hi:[0,1]
	v_mov_b32_e32 v98, v115
	v_mov_b32_e32 v114, v101
	;; [unrolled: 1-line block ×4, first 2 shown]
	v_pk_add_f32 v[98:99], v[98:99], v[114:115] neg_lo:[0,1] neg_hi:[0,1]
	v_mov_b32_e32 v102, v113
	v_mov_b32_e32 v103, v100
	v_pk_add_f32 v[98:99], v[102:103], v[98:99] neg_lo:[0,1] neg_hi:[0,1]
	v_mov_b32_e32 v118, v116
	v_pk_add_f32 v[100:101], v[118:119], v[98:99]
	v_mov_b32_e32 v32, v101
	v_pk_add_f32 v[102:103], v[100:101], v[32:33]
	v_pk_add_f32 v[112:113], v[20:21], v[102:103]
	v_mov_b32_e32 v101, v112
	v_pk_add_f32 v[114:115], v[100:101], v[116:117] neg_lo:[0,1] neg_hi:[0,1]
	v_mov_b32_e32 v99, v102
	v_sub_f32_e32 v20, v100, v114
	v_pk_add_f32 v[98:99], v[98:99], v[114:115] neg_lo:[0,1] neg_hi:[0,1]
	v_sub_f32_e32 v20, v116, v20
	s_mov_b32 s9, 0x7f800000
	v_add_f32_e32 v20, v98, v20
	s_mov_b32 s8, 0x33800000
	v_add_f32_e32 v20, v20, v99
	v_cmp_eq_f32_e32 vcc, s9, v128
	v_cmp_lt_f32_e64 s[8:9], |v128|, s8
	v_add_f32_e32 v20, v112, v20
	s_or_b64 vcc, vcc, s[8:9]
	v_cndmask_b32_e32 v20, v20, v128, vcc
	v_add_f32_e32 v32, v3, v20
.LBB512_336:
	s_or_b64 exec, exec, s[6:7]
	v_bfe_u32 v3, v32, 16, 1
	v_add3_u32 v3, v32, v3, s55
	v_lshrrev_b32_e32 v3, 16, v3
	v_cmp_o_f32_e32 vcc, v32, v32
	v_cndmask_b32_e32 v32, v2, v3, vcc
	v_lshlrev_b32_e32 v3, 16, v32
	v_max_f32_e32 v2, v3, v3
	v_min_f32_e32 v20, v2, v33
	v_cmp_u_f32_e32 vcc, v3, v3
	v_max_f32_e32 v2, v2, v33
	v_cndmask_b32_e32 v20, v20, v3, vcc
	v_cndmask_b32_e32 v2, v2, v3, vcc
	v_cndmask_b32_e64 v20, v20, v6, s[10:11]
	v_cndmask_b32_e64 v2, v2, v6, s[10:11]
	s_movk_i32 s8, 0x1f8
	v_cmp_neq_f32_e32 vcc, v20, v2
	v_cmp_class_f32_e64 s[6:7], v20, s8
	s_or_b64 s[10:11], vcc, s[6:7]
	s_and_saveexec_b64 s[6:7], s[10:11]
	s_cbranch_execz .LBB512_338
; %bb.337:
	v_sub_f32_e32 v3, v20, v2
	s_mov_b32 s9, 0x3fb8aa3b
	v_mul_f32_e32 v6, 0x3fb8aa3b, v3
	v_fma_f32 v20, v3, s9, -v6
	v_rndne_f32_e32 v33, v6
	v_fmac_f32_e32 v20, 0x32a5705f, v3
	v_sub_f32_e32 v6, v6, v33
	v_add_f32_e32 v6, v6, v20
	v_exp_f32_e32 v6, v6
	v_cvt_i32_f32_e32 v20, v33
	s_mov_b32 s9, 0xc2ce8ed0
	v_cmp_ngt_f32_e32 vcc, s9, v3
	s_mov_b32 s9, 0x42b17218
	v_ldexp_f32 v6, v6, v20
	v_cndmask_b32_e32 v6, 0, v6, vcc
	v_mov_b32_e32 v20, 0x7f800000
	v_cmp_nlt_f32_e32 vcc, s9, v3
	v_cndmask_b32_e32 v33, v20, v6, vcc
	v_add_f32_e32 v3, 1.0, v33
	v_add_f32_e32 v6, -1.0, v3
	v_sub_f32_e32 v20, v6, v3
	v_add_f32_e32 v20, 1.0, v20
	v_sub_f32_e32 v6, v33, v6
	v_add_f32_e32 v6, v6, v20
	v_frexp_mant_f32_e32 v20, v3
	s_mov_b32 s9, 0x3f2aaaab
	v_cvt_f64_f32_e32 v[98:99], v3
	v_frexp_exp_i32_f64_e32 v98, v[98:99]
	v_cmp_gt_f32_e32 vcc, s9, v20
	v_subbrev_co_u32_e32 v20, vcc, 0, v98, vcc
	v_sub_u32_e32 v98, 0, v20
	v_ldexp_f32 v3, v3, v98
	v_ldexp_f32 v6, v6, v98
	v_add_f32_e32 v98, -1.0, v3
	v_add_f32_e32 v99, 1.0, v98
	v_sub_f32_e32 v99, v3, v99
	v_add_f32_e32 v100, v6, v99
	v_add_f32_e32 v99, 1.0, v3
	v_add_f32_e32 v101, -1.0, v99
	v_sub_f32_e32 v3, v3, v101
	v_add_f32_e32 v3, v6, v3
	v_add_f32_e32 v6, v99, v3
	v_rcp_f32_e32 v114, v6
	v_sub_f32_e32 v99, v99, v6
	v_add_f32_e32 v3, v3, v99
	v_add_f32_e32 v99, v98, v100
	v_sub_f32_e32 v98, v98, v99
	v_mul_f32_e32 v116, v99, v114
	v_add_f32_e32 v115, v100, v98
	v_mul_f32_e32 v100, v6, v116
	v_fma_f32 v102, v116, v6, -v100
	v_fmac_f32_e32 v102, v116, v3
	v_add_f32_e32 v98, v100, v102
	v_sub_f32_e32 v101, v99, v98
	v_pk_add_f32 v[112:113], v[98:99], v[100:101] neg_lo:[0,1] neg_hi:[0,1]
	v_mov_b32_e32 v103, v98
	v_pk_add_f32 v[98:99], v[112:113], v[102:103] neg_lo:[0,1] neg_hi:[0,1]
	v_add_f32_e32 v99, v115, v99
	v_add_f32_e32 v98, v98, v99
	;; [unrolled: 1-line block ×3, first 2 shown]
	v_mul_f32_e32 v115, v114, v99
	v_mul_f32_e32 v100, v6, v115
	v_fma_f32 v102, v115, v6, -v100
	v_fmac_f32_e32 v102, v115, v3
	v_sub_f32_e32 v3, v101, v99
	v_add_f32_e32 v3, v98, v3
	v_add_f32_e32 v98, v100, v102
	v_sub_f32_e32 v101, v99, v98
	v_pk_add_f32 v[112:113], v[98:99], v[100:101] neg_lo:[0,1] neg_hi:[0,1]
	v_mov_b32_e32 v103, v98
	v_pk_add_f32 v[98:99], v[112:113], v[102:103] neg_lo:[0,1] neg_hi:[0,1]
	v_add_f32_e32 v3, v3, v99
	v_add_f32_e32 v3, v98, v3
	;; [unrolled: 1-line block ×4, first 2 shown]
	v_sub_f32_e32 v98, v6, v116
	v_mul_f32_e32 v3, v114, v3
	v_sub_f32_e32 v98, v115, v98
	v_add_f32_e32 v3, v98, v3
	v_add_f32_e32 v98, v6, v3
	v_mul_f32_e32 v101, v98, v98
	v_mov_b32_e32 v100, 0x3ecc95a3
	v_fmac_f32_e32 v100, 0x3e9b6dac, v101
	v_mov_b32_e32 v99, 0x3f2aaada
	v_fmac_f32_e32 v99, v101, v100
	v_cvt_f32_i32_e32 v100, v20
	v_sub_f32_e32 v6, v98, v6
	v_ldexp_f32 v103, v98, 1
	v_mul_f32_e32 v101, v98, v101
	v_mov_b32_e32 v98, 0x3f317218
	s_mov_b32 s9, 0x3f317218
	v_pk_mul_f32 v[98:99], v[100:101], v[98:99]
	v_fma_f32 v102, v100, s9, -v98
	v_fmac_f32_e32 v102, 0xb102e308, v100
	v_pk_add_f32 v[100:101], v[98:99], v[102:103]
	v_sub_f32_e32 v3, v3, v6
	v_sub_f32_e32 v6, v101, v103
	v_ldexp_f32 v3, v3, 1
	v_sub_f32_e32 v6, v99, v6
	v_add_f32_e32 v113, v3, v6
	v_mov_b32_e32 v112, v98
	v_pk_add_f32 v[98:99], v[100:101], v[98:99] neg_lo:[0,1] neg_hi:[0,1]
	v_pk_add_f32 v[114:115], v[100:101], v[112:113]
	v_mov_b32_e32 v99, v115
	v_mov_b32_e32 v103, v100
	v_pk_add_f32 v[116:117], v[102:103], v[98:99] neg_lo:[0,1] neg_hi:[0,1]
	v_pk_add_f32 v[98:99], v[102:103], v[98:99]
	v_mov_b32_e32 v6, v99
	v_pk_add_f32 v[102:103], v[6:7], v[100:101] neg_lo:[0,1] neg_hi:[0,1]
	v_mov_b32_e32 v3, v102
	v_pk_add_f32 v[118:119], v[114:115], v[2:3] neg_lo:[0,1] neg_hi:[0,1]
	v_mov_b32_e32 v98, v115
	v_mov_b32_e32 v114, v101
	;; [unrolled: 1-line block ×4, first 2 shown]
	v_pk_add_f32 v[98:99], v[98:99], v[114:115] neg_lo:[0,1] neg_hi:[0,1]
	v_mov_b32_e32 v102, v113
	v_mov_b32_e32 v103, v100
	v_pk_add_f32 v[98:99], v[102:103], v[98:99] neg_lo:[0,1] neg_hi:[0,1]
	v_mov_b32_e32 v118, v116
	v_pk_add_f32 v[100:101], v[118:119], v[98:99]
	v_mov_b32_e32 v20, v101
	v_pk_add_f32 v[102:103], v[100:101], v[20:21]
	v_pk_add_f32 v[112:113], v[6:7], v[102:103]
	v_mov_b32_e32 v101, v112
	v_pk_add_f32 v[114:115], v[100:101], v[116:117] neg_lo:[0,1] neg_hi:[0,1]
	v_mov_b32_e32 v99, v102
	v_sub_f32_e32 v3, v100, v114
	v_pk_add_f32 v[98:99], v[98:99], v[114:115] neg_lo:[0,1] neg_hi:[0,1]
	v_sub_f32_e32 v3, v116, v3
	s_mov_b32 s10, 0x7f800000
	v_add_f32_e32 v3, v98, v3
	s_mov_b32 s9, 0x33800000
	v_add_f32_e32 v3, v3, v99
	v_cmp_eq_f32_e32 vcc, s10, v33
	v_cmp_lt_f32_e64 s[10:11], |v33|, s9
	v_add_f32_e32 v3, v112, v3
	s_or_b64 vcc, vcc, s[10:11]
	v_cndmask_b32_e32 v3, v3, v33, vcc
	v_add_f32_e32 v3, v2, v3
.LBB512_338:
	s_or_b64 exec, exec, s[6:7]
	v_bfe_u32 v2, v3, 16, 1
	s_movk_i32 s9, 0x7fff
	v_add3_u32 v2, v3, v2, s9
	v_lshrrev_b32_e32 v6, 16, v2
	v_mov_b32_e32 v2, 0x7fc0
	v_cmp_o_f32_e32 vcc, v3, v3
	v_cndmask_b32_e32 v33, v2, v6, vcc
	v_lshlrev_b32_e32 v6, 16, v33
	v_max_f32_e32 v3, v6, v6
	v_min_f32_e32 v20, v3, v34
	v_cmp_u_f32_e32 vcc, v6, v6
	v_max_f32_e32 v3, v3, v34
	v_cndmask_b32_e32 v20, v20, v6, vcc
	v_cndmask_b32_e32 v3, v3, v6, vcc
	v_cndmask_b32_e64 v20, v20, v7, s[12:13]
	v_cndmask_b32_e64 v3, v3, v7, s[12:13]
	v_cmp_neq_f32_e32 vcc, v20, v3
	v_cmp_class_f32_e64 s[6:7], v20, s8
	s_or_b64 s[10:11], vcc, s[6:7]
	s_and_saveexec_b64 s[6:7], s[10:11]
	s_cbranch_execz .LBB512_340
; %bb.339:
	v_sub_f32_e32 v6, v20, v3
	s_mov_b32 s8, 0x3fb8aa3b
	v_mul_f32_e32 v7, 0x3fb8aa3b, v6
	v_fma_f32 v20, v6, s8, -v7
	v_rndne_f32_e32 v34, v7
	v_fmac_f32_e32 v20, 0x32a5705f, v6
	v_sub_f32_e32 v7, v7, v34
	v_add_f32_e32 v7, v7, v20
	v_exp_f32_e32 v7, v7
	v_cvt_i32_f32_e32 v20, v34
	s_mov_b32 s8, 0xc2ce8ed0
	v_cmp_ngt_f32_e32 vcc, s8, v6
	s_mov_b32 s8, 0x42b17218
	v_ldexp_f32 v7, v7, v20
	v_cndmask_b32_e32 v7, 0, v7, vcc
	v_mov_b32_e32 v20, 0x7f800000
	v_cmp_nlt_f32_e32 vcc, s8, v6
	v_cndmask_b32_e32 v118, v20, v7, vcc
	v_add_f32_e32 v20, 1.0, v118
	v_add_f32_e32 v6, -1.0, v20
	v_sub_f32_e32 v7, v6, v20
	v_add_f32_e32 v7, 1.0, v7
	v_sub_f32_e32 v6, v118, v6
	v_add_f32_e32 v34, v6, v7
	v_frexp_mant_f32_e32 v98, v20
	s_mov_b32 s8, 0x3f2aaaab
	v_cvt_f64_f32_e32 v[6:7], v20
	v_frexp_exp_i32_f64_e32 v6, v[6:7]
	v_cmp_gt_f32_e32 vcc, s8, v98
	v_subbrev_co_u32_e32 v112, vcc, 0, v6, vcc
	v_sub_u32_e32 v6, 0, v112
	v_ldexp_f32 v7, v20, v6
	v_add_f32_e32 v20, -1.0, v7
	v_add_f32_e32 v98, 1.0, v7
	v_ldexp_f32 v6, v34, v6
	v_add_f32_e32 v34, 1.0, v20
	v_add_f32_e32 v99, -1.0, v98
	v_sub_f32_e32 v34, v7, v34
	v_sub_f32_e32 v7, v7, v99
	v_add_f32_e32 v34, v6, v34
	v_add_f32_e32 v6, v6, v7
	;; [unrolled: 1-line block ×3, first 2 shown]
	v_rcp_f32_e32 v115, v113
	v_sub_f32_e32 v7, v98, v113
	v_add_f32_e32 v114, v6, v7
	v_add_f32_e32 v7, v20, v34
	v_sub_f32_e32 v6, v20, v7
	v_add_f32_e32 v20, v34, v6
	v_mul_f32_e32 v34, v7, v115
	v_mul_f32_e32 v98, v113, v34
	v_fma_f32 v100, v34, v113, -v98
	v_fmac_f32_e32 v100, v34, v114
	v_add_f32_e32 v6, v98, v100
	v_sub_f32_e32 v99, v7, v6
	v_pk_add_f32 v[102:103], v[6:7], v[98:99] neg_lo:[0,1] neg_hi:[0,1]
	v_mov_b32_e32 v101, v6
	v_pk_add_f32 v[6:7], v[102:103], v[100:101] neg_lo:[0,1] neg_hi:[0,1]
	v_add_f32_e32 v7, v20, v7
	v_add_f32_e32 v6, v6, v7
	v_add_f32_e32 v7, v99, v6
	v_mul_f32_e32 v20, v115, v7
	v_mul_f32_e32 v98, v113, v20
	v_fma_f32 v100, v20, v113, -v98
	v_fmac_f32_e32 v100, v20, v114
	v_sub_f32_e32 v99, v99, v7
	v_add_f32_e32 v113, v6, v99
	v_add_f32_e32 v6, v98, v100
	v_sub_f32_e32 v99, v7, v6
	v_pk_add_f32 v[102:103], v[6:7], v[98:99] neg_lo:[0,1] neg_hi:[0,1]
	v_mov_b32_e32 v101, v6
	v_pk_add_f32 v[6:7], v[102:103], v[100:101] neg_lo:[0,1] neg_hi:[0,1]
	v_add_f32_e32 v7, v113, v7
	v_add_f32_e32 v6, v6, v7
	;; [unrolled: 1-line block ×4, first 2 shown]
	v_sub_f32_e32 v7, v99, v34
	v_mul_f32_e32 v6, v115, v6
	v_sub_f32_e32 v7, v20, v7
	v_add_f32_e32 v6, v7, v6
	v_add_f32_e32 v20, v99, v6
	v_mul_f32_e32 v34, v20, v20
	v_mov_b32_e32 v98, 0x3ecc95a3
	v_fmac_f32_e32 v98, 0x3e9b6dac, v34
	v_mov_b32_e32 v7, 0x3f2aaada
	v_fmac_f32_e32 v7, v34, v98
	v_cvt_f32_i32_e32 v98, v112
	v_sub_f32_e32 v99, v20, v99
	v_sub_f32_e32 v6, v6, v99
	v_ldexp_f32 v102, v6, 1
	v_mul_f32_e32 v99, v20, v34
	v_mov_b32_e32 v6, 0x3f317218
	s_mov_b32 s8, 0x3f317218
	v_pk_mul_f32 v[6:7], v[98:99], v[6:7]
	v_fma_f32 v100, v98, s8, -v6
	v_ldexp_f32 v101, v20, 1
	v_fmac_f32_e32 v100, 0xb102e308, v98
	v_pk_add_f32 v[98:99], v[6:7], v[100:101]
	v_sub_f32_e32 v20, v99, v101
	v_sub_f32_e32 v20, v7, v20
	v_add_f32_e32 v103, v102, v20
	v_mov_b32_e32 v102, v6
	v_pk_add_f32 v[6:7], v[98:99], v[6:7] neg_lo:[0,1] neg_hi:[0,1]
	v_pk_add_f32 v[112:113], v[98:99], v[102:103]
	v_mov_b32_e32 v7, v113
	v_mov_b32_e32 v101, v98
	v_pk_add_f32 v[114:115], v[100:101], v[6:7] neg_lo:[0,1] neg_hi:[0,1]
	v_pk_add_f32 v[6:7], v[100:101], v[6:7]
	v_mov_b32_e32 v20, v7
	v_pk_add_f32 v[100:101], v[20:21], v[98:99] neg_lo:[0,1] neg_hi:[0,1]
	v_mov_b32_e32 v101, v100
	v_pk_add_f32 v[116:117], v[112:113], v[100:101] neg_lo:[0,1] neg_hi:[0,1]
	v_mov_b32_e32 v6, v113
	v_mov_b32_e32 v112, v99
	;; [unrolled: 1-line block ×4, first 2 shown]
	v_pk_add_f32 v[6:7], v[6:7], v[112:113] neg_lo:[0,1] neg_hi:[0,1]
	v_mov_b32_e32 v100, v103
	v_mov_b32_e32 v101, v98
	v_pk_add_f32 v[6:7], v[100:101], v[6:7] neg_lo:[0,1] neg_hi:[0,1]
	v_mov_b32_e32 v116, v114
	v_pk_add_f32 v[98:99], v[116:117], v[6:7]
	v_mov_b32_e32 v34, v99
	v_pk_add_f32 v[100:101], v[98:99], v[34:35]
	v_pk_add_f32 v[102:103], v[20:21], v[100:101]
	v_mov_b32_e32 v99, v102
	v_pk_add_f32 v[112:113], v[98:99], v[114:115] neg_lo:[0,1] neg_hi:[0,1]
	v_mov_b32_e32 v7, v100
	v_sub_f32_e32 v20, v98, v112
	v_pk_add_f32 v[6:7], v[6:7], v[112:113] neg_lo:[0,1] neg_hi:[0,1]
	v_sub_f32_e32 v20, v114, v20
	s_mov_b32 s10, 0x7f800000
	v_add_f32_e32 v6, v6, v20
	s_mov_b32 s8, 0x33800000
	v_add_f32_e32 v6, v6, v7
	v_cmp_eq_f32_e32 vcc, s10, v118
	v_cmp_lt_f32_e64 s[10:11], |v118|, s8
	v_add_f32_e32 v6, v102, v6
	s_or_b64 vcc, vcc, s[10:11]
	v_cndmask_b32_e32 v6, v6, v118, vcc
	v_add_f32_e32 v6, v3, v6
.LBB512_340:
	s_or_b64 exec, exec, s[6:7]
	v_bfe_u32 v3, v6, 16, 1
	v_add3_u32 v3, v6, v3, s9
	v_lshrrev_b32_e32 v3, 16, v3
	v_cmp_o_f32_e32 vcc, v6, v6
	v_cndmask_b32_e32 v34, v2, v3, vcc
	v_lshlrev_b32_e32 v3, 16, v34
	v_max_f32_e32 v2, v3, v3
	v_min_f32_e32 v6, v2, v35
	v_cmp_u_f32_e32 vcc, v3, v3
	v_max_f32_e32 v2, v2, v35
	v_cndmask_b32_e32 v6, v6, v3, vcc
	v_cndmask_b32_e32 v2, v2, v3, vcc
	v_cndmask_b32_e64 v6, v6, v21, s[14:15]
	v_cndmask_b32_e64 v2, v2, v21, s[14:15]
	s_movk_i32 s8, 0x1f8
	v_cmp_neq_f32_e32 vcc, v6, v2
	v_cmp_class_f32_e64 s[6:7], v6, s8
	s_or_b64 s[10:11], vcc, s[6:7]
	s_and_saveexec_b64 s[6:7], s[10:11]
	s_cbranch_execz .LBB512_342
; %bb.341:
	v_sub_f32_e32 v3, v6, v2
	s_mov_b32 s9, 0x3fb8aa3b
	v_mul_f32_e32 v6, 0x3fb8aa3b, v3
	v_fma_f32 v7, v3, s9, -v6
	v_rndne_f32_e32 v20, v6
	v_fmac_f32_e32 v7, 0x32a5705f, v3
	v_sub_f32_e32 v6, v6, v20
	v_add_f32_e32 v6, v6, v7
	v_exp_f32_e32 v6, v6
	v_cvt_i32_f32_e32 v7, v20
	s_mov_b32 s9, 0xc2ce8ed0
	v_cmp_ngt_f32_e32 vcc, s9, v3
	s_mov_b32 s9, 0x42b17218
	v_ldexp_f32 v6, v6, v7
	v_cndmask_b32_e32 v6, 0, v6, vcc
	v_mov_b32_e32 v7, 0x7f800000
	v_cmp_nlt_f32_e32 vcc, s9, v3
	v_cndmask_b32_e32 v35, v7, v6, vcc
	v_add_f32_e32 v3, 1.0, v35
	v_add_f32_e32 v6, -1.0, v3
	v_sub_f32_e32 v7, v6, v3
	v_add_f32_e32 v7, 1.0, v7
	v_sub_f32_e32 v6, v35, v6
	v_add_f32_e32 v20, v6, v7
	v_frexp_mant_f32_e32 v21, v3
	s_mov_b32 s9, 0x3f2aaaab
	v_cvt_f64_f32_e32 v[6:7], v3
	v_frexp_exp_i32_f64_e32 v6, v[6:7]
	v_cmp_gt_f32_e32 vcc, s9, v21
	v_subbrev_co_u32_e32 v102, vcc, 0, v6, vcc
	v_sub_u32_e32 v6, 0, v102
	v_ldexp_f32 v3, v3, v6
	v_ldexp_f32 v6, v20, v6
	v_add_f32_e32 v20, -1.0, v3
	v_add_f32_e32 v7, 1.0, v20
	v_sub_f32_e32 v7, v3, v7
	v_add_f32_e32 v21, v6, v7
	v_add_f32_e32 v7, 1.0, v3
	v_add_f32_e32 v98, -1.0, v7
	v_sub_f32_e32 v3, v3, v98
	v_add_f32_e32 v3, v6, v3
	v_add_f32_e32 v103, v7, v3
	v_rcp_f32_e32 v112, v103
	v_sub_f32_e32 v6, v7, v103
	v_add_f32_e32 v7, v20, v21
	v_add_f32_e32 v3, v3, v6
	v_mul_f32_e32 v114, v7, v112
	v_sub_f32_e32 v6, v20, v7
	v_mul_f32_e32 v20, v103, v114
	v_fma_f32 v98, v114, v103, -v20
	v_fmac_f32_e32 v98, v114, v3
	v_add_f32_e32 v113, v21, v6
	v_add_f32_e32 v6, v20, v98
	v_sub_f32_e32 v21, v7, v6
	v_pk_add_f32 v[100:101], v[6:7], v[20:21] neg_lo:[0,1] neg_hi:[0,1]
	v_mov_b32_e32 v99, v6
	v_pk_add_f32 v[6:7], v[100:101], v[98:99] neg_lo:[0,1] neg_hi:[0,1]
	v_add_f32_e32 v7, v113, v7
	v_add_f32_e32 v6, v6, v7
	;; [unrolled: 1-line block ×3, first 2 shown]
	v_mul_f32_e32 v113, v112, v7
	v_mul_f32_e32 v20, v103, v113
	v_fma_f32 v98, v113, v103, -v20
	v_fmac_f32_e32 v98, v113, v3
	v_sub_f32_e32 v3, v21, v7
	v_add_f32_e32 v3, v6, v3
	v_add_f32_e32 v6, v20, v98
	v_sub_f32_e32 v21, v7, v6
	v_pk_add_f32 v[100:101], v[6:7], v[20:21] neg_lo:[0,1] neg_hi:[0,1]
	v_mov_b32_e32 v99, v6
	v_pk_add_f32 v[6:7], v[100:101], v[98:99] neg_lo:[0,1] neg_hi:[0,1]
	v_add_f32_e32 v3, v3, v7
	v_add_f32_e32 v3, v6, v3
	;; [unrolled: 1-line block ×4, first 2 shown]
	v_sub_f32_e32 v7, v6, v114
	v_mul_f32_e32 v3, v112, v3
	v_sub_f32_e32 v7, v113, v7
	v_add_f32_e32 v3, v7, v3
	v_add_f32_e32 v21, v6, v3
	v_mul_f32_e32 v98, v21, v21
	v_mov_b32_e32 v20, 0x3ecc95a3
	v_fmac_f32_e32 v20, 0x3e9b6dac, v98
	v_mov_b32_e32 v7, 0x3f2aaada
	v_fmac_f32_e32 v7, v98, v20
	v_cvt_f32_i32_e32 v20, v102
	v_sub_f32_e32 v6, v21, v6
	v_sub_f32_e32 v3, v3, v6
	v_ldexp_f32 v99, v21, 1
	v_mul_f32_e32 v21, v21, v98
	v_mov_b32_e32 v6, 0x3f317218
	s_mov_b32 s9, 0x3f317218
	v_pk_mul_f32 v[6:7], v[20:21], v[6:7]
	v_fma_f32 v98, v20, s9, -v6
	v_fmac_f32_e32 v98, 0xb102e308, v20
	v_pk_add_f32 v[20:21], v[6:7], v[98:99]
	v_sub_f32_e32 v99, v21, v99
	v_ldexp_f32 v3, v3, 1
	v_sub_f32_e32 v99, v7, v99
	v_add_f32_e32 v101, v3, v99
	v_mov_b32_e32 v100, v6
	v_pk_add_f32 v[6:7], v[20:21], v[6:7] neg_lo:[0,1] neg_hi:[0,1]
	v_pk_add_f32 v[102:103], v[20:21], v[100:101]
	v_mov_b32_e32 v7, v103
	v_mov_b32_e32 v99, v20
	v_pk_add_f32 v[112:113], v[98:99], v[6:7] neg_lo:[0,1] neg_hi:[0,1]
	v_pk_add_f32 v[6:7], v[98:99], v[6:7]
	v_mov_b32_e32 v98, v7
	v_pk_add_f32 v[114:115], v[98:99], v[20:21] neg_lo:[0,1] neg_hi:[0,1]
	v_mov_b32_e32 v3, v114
	v_pk_add_f32 v[116:117], v[102:103], v[2:3] neg_lo:[0,1] neg_hi:[0,1]
	v_mov_b32_e32 v6, v103
	v_mov_b32_e32 v102, v21
	;; [unrolled: 1-line block ×4, first 2 shown]
	v_pk_add_f32 v[6:7], v[6:7], v[102:103] neg_lo:[0,1] neg_hi:[0,1]
	v_mov_b32_e32 v100, v101
	v_mov_b32_e32 v101, v20
	v_pk_add_f32 v[6:7], v[100:101], v[6:7] neg_lo:[0,1] neg_hi:[0,1]
	v_mov_b32_e32 v116, v112
	v_pk_add_f32 v[20:21], v[116:117], v[6:7]
	v_mov_b32_e32 v100, v21
	v_pk_add_f32 v[100:101], v[20:21], v[100:101]
	v_pk_add_f32 v[98:99], v[98:99], v[100:101]
	v_mov_b32_e32 v21, v98
	v_pk_add_f32 v[102:103], v[20:21], v[112:113] neg_lo:[0,1] neg_hi:[0,1]
	v_mov_b32_e32 v7, v100
	v_sub_f32_e32 v3, v20, v102
	v_pk_add_f32 v[6:7], v[6:7], v[102:103] neg_lo:[0,1] neg_hi:[0,1]
	v_sub_f32_e32 v3, v112, v3
	s_mov_b32 s10, 0x7f800000
	v_add_f32_e32 v3, v6, v3
	s_mov_b32 s9, 0x33800000
	v_add_f32_e32 v3, v3, v7
	v_cmp_eq_f32_e32 vcc, s10, v35
	v_cmp_lt_f32_e64 s[10:11], |v35|, s9
	v_add_f32_e32 v3, v98, v3
	s_or_b64 vcc, vcc, s[10:11]
	v_cndmask_b32_e32 v3, v3, v35, vcc
	v_add_f32_e32 v3, v2, v3
.LBB512_342:
	s_or_b64 exec, exec, s[6:7]
	v_bfe_u32 v2, v3, 16, 1
	s_movk_i32 s9, 0x7fff
	v_add3_u32 v2, v3, v2, s9
	v_lshrrev_b32_e32 v6, 16, v2
	v_mov_b32_e32 v2, 0x7fc0
	v_cmp_o_f32_e32 vcc, v3, v3
	v_cndmask_b32_e32 v35, v2, v6, vcc
	v_lshlrev_b32_e32 v6, 16, v35
	v_max_f32_e32 v3, v6, v6
	v_min_f32_e32 v7, v3, v36
	v_cmp_u_f32_e32 vcc, v6, v6
	v_max_f32_e32 v3, v3, v36
	v_cndmask_b32_e32 v7, v7, v6, vcc
	v_cndmask_b32_e32 v3, v3, v6, vcc
	v_cndmask_b32_e64 v7, v7, v22, s[16:17]
	v_cndmask_b32_e64 v3, v3, v22, s[16:17]
	v_cmp_neq_f32_e32 vcc, v7, v3
	v_cmp_class_f32_e64 s[6:7], v7, s8
	s_or_b64 s[10:11], vcc, s[6:7]
	s_and_saveexec_b64 s[6:7], s[10:11]
	s_cbranch_execz .LBB512_344
; %bb.343:
	v_sub_f32_e32 v6, v7, v3
	s_mov_b32 s8, 0x3fb8aa3b
	v_mul_f32_e32 v7, 0x3fb8aa3b, v6
	v_fma_f32 v20, v6, s8, -v7
	v_rndne_f32_e32 v21, v7
	v_fmac_f32_e32 v20, 0x32a5705f, v6
	v_sub_f32_e32 v7, v7, v21
	v_add_f32_e32 v7, v7, v20
	v_exp_f32_e32 v7, v7
	v_cvt_i32_f32_e32 v20, v21
	s_mov_b32 s8, 0xc2ce8ed0
	v_cmp_ngt_f32_e32 vcc, s8, v6
	s_mov_b32 s8, 0x42b17218
	v_ldexp_f32 v7, v7, v20
	v_cndmask_b32_e32 v7, 0, v7, vcc
	v_mov_b32_e32 v20, 0x7f800000
	v_cmp_nlt_f32_e32 vcc, s8, v6
	v_cndmask_b32_e32 v116, v20, v7, vcc
	v_add_f32_e32 v20, 1.0, v116
	v_add_f32_e32 v6, -1.0, v20
	v_sub_f32_e32 v7, v6, v20
	v_add_f32_e32 v7, 1.0, v7
	v_sub_f32_e32 v6, v116, v6
	v_add_f32_e32 v21, v6, v7
	v_frexp_mant_f32_e32 v22, v20
	s_mov_b32 s8, 0x3f2aaaab
	v_cvt_f64_f32_e32 v[6:7], v20
	v_frexp_exp_i32_f64_e32 v6, v[6:7]
	v_cmp_gt_f32_e32 vcc, s8, v22
	v_subbrev_co_u32_e32 v22, vcc, 0, v6, vcc
	v_sub_u32_e32 v6, 0, v22
	v_ldexp_f32 v7, v20, v6
	v_add_f32_e32 v20, -1.0, v7
	v_add_f32_e32 v36, 1.0, v7
	v_ldexp_f32 v6, v21, v6
	v_add_f32_e32 v21, 1.0, v20
	v_add_f32_e32 v98, -1.0, v36
	v_sub_f32_e32 v21, v7, v21
	v_sub_f32_e32 v7, v7, v98
	v_add_f32_e32 v21, v6, v21
	v_add_f32_e32 v6, v6, v7
	;; [unrolled: 1-line block ×3, first 2 shown]
	v_rcp_f32_e32 v103, v102
	v_sub_f32_e32 v7, v36, v102
	v_add_f32_e32 v36, v6, v7
	v_add_f32_e32 v7, v20, v21
	v_mul_f32_e32 v113, v7, v103
	v_sub_f32_e32 v6, v20, v7
	v_mul_f32_e32 v20, v102, v113
	v_fma_f32 v98, v113, v102, -v20
	v_fmac_f32_e32 v98, v113, v36
	v_add_f32_e32 v112, v21, v6
	v_add_f32_e32 v6, v20, v98
	v_sub_f32_e32 v21, v7, v6
	v_pk_add_f32 v[100:101], v[6:7], v[20:21] neg_lo:[0,1] neg_hi:[0,1]
	v_mov_b32_e32 v99, v6
	v_pk_add_f32 v[6:7], v[100:101], v[98:99] neg_lo:[0,1] neg_hi:[0,1]
	v_add_f32_e32 v7, v112, v7
	v_add_f32_e32 v6, v6, v7
	;; [unrolled: 1-line block ×3, first 2 shown]
	v_mul_f32_e32 v112, v103, v7
	v_mul_f32_e32 v20, v102, v112
	v_fma_f32 v98, v112, v102, -v20
	v_fmac_f32_e32 v98, v112, v36
	v_sub_f32_e32 v21, v21, v7
	v_add_f32_e32 v36, v6, v21
	v_add_f32_e32 v6, v20, v98
	v_sub_f32_e32 v21, v7, v6
	v_pk_add_f32 v[100:101], v[6:7], v[20:21] neg_lo:[0,1] neg_hi:[0,1]
	v_mov_b32_e32 v99, v6
	v_pk_add_f32 v[6:7], v[100:101], v[98:99] neg_lo:[0,1] neg_hi:[0,1]
	v_add_f32_e32 v7, v36, v7
	v_add_f32_e32 v6, v6, v7
	;; [unrolled: 1-line block ×4, first 2 shown]
	v_sub_f32_e32 v7, v21, v113
	v_mul_f32_e32 v6, v103, v6
	v_sub_f32_e32 v7, v112, v7
	v_add_f32_e32 v6, v7, v6
	v_add_f32_e32 v36, v21, v6
	v_mul_f32_e32 v98, v36, v36
	v_mov_b32_e32 v20, 0x3ecc95a3
	v_fmac_f32_e32 v20, 0x3e9b6dac, v98
	v_mov_b32_e32 v7, 0x3f2aaada
	v_fmac_f32_e32 v7, v98, v20
	v_cvt_f32_i32_e32 v20, v22
	v_sub_f32_e32 v21, v36, v21
	v_sub_f32_e32 v6, v6, v21
	v_ldexp_f32 v22, v6, 1
	v_mul_f32_e32 v21, v36, v98
	v_mov_b32_e32 v6, 0x3f317218
	s_mov_b32 s8, 0x3f317218
	v_pk_mul_f32 v[6:7], v[20:21], v[6:7]
	v_fma_f32 v98, v20, s8, -v6
	v_ldexp_f32 v99, v36, 1
	v_fmac_f32_e32 v98, 0xb102e308, v20
	v_pk_add_f32 v[20:21], v[6:7], v[98:99]
	v_sub_f32_e32 v36, v21, v99
	v_sub_f32_e32 v36, v7, v36
	v_add_f32_e32 v101, v22, v36
	v_mov_b32_e32 v100, v6
	v_pk_add_f32 v[6:7], v[20:21], v[6:7] neg_lo:[0,1] neg_hi:[0,1]
	v_pk_add_f32 v[102:103], v[20:21], v[100:101]
	v_mov_b32_e32 v7, v103
	v_mov_b32_e32 v99, v20
	v_pk_add_f32 v[112:113], v[98:99], v[6:7] neg_lo:[0,1] neg_hi:[0,1]
	v_pk_add_f32 v[6:7], v[98:99], v[6:7]
	v_mov_b32_e32 v22, v7
	v_pk_add_f32 v[98:99], v[22:23], v[20:21] neg_lo:[0,1] neg_hi:[0,1]
	v_mov_b32_e32 v99, v98
	v_pk_add_f32 v[114:115], v[102:103], v[98:99] neg_lo:[0,1] neg_hi:[0,1]
	v_mov_b32_e32 v6, v103
	v_mov_b32_e32 v102, v21
	;; [unrolled: 1-line block ×4, first 2 shown]
	v_pk_add_f32 v[6:7], v[6:7], v[102:103] neg_lo:[0,1] neg_hi:[0,1]
	v_mov_b32_e32 v98, v101
	v_mov_b32_e32 v99, v20
	v_pk_add_f32 v[6:7], v[98:99], v[6:7] neg_lo:[0,1] neg_hi:[0,1]
	v_mov_b32_e32 v114, v112
	v_pk_add_f32 v[20:21], v[114:115], v[6:7]
	v_mov_b32_e32 v36, v21
	v_pk_add_f32 v[98:99], v[20:21], v[36:37]
	v_pk_add_f32 v[100:101], v[22:23], v[98:99]
	v_mov_b32_e32 v21, v100
	v_pk_add_f32 v[102:103], v[20:21], v[112:113] neg_lo:[0,1] neg_hi:[0,1]
	v_mov_b32_e32 v7, v98
	v_sub_f32_e32 v20, v20, v102
	v_pk_add_f32 v[6:7], v[6:7], v[102:103] neg_lo:[0,1] neg_hi:[0,1]
	v_sub_f32_e32 v20, v112, v20
	s_mov_b32 s10, 0x7f800000
	v_add_f32_e32 v6, v6, v20
	s_mov_b32 s8, 0x33800000
	v_add_f32_e32 v6, v6, v7
	v_cmp_eq_f32_e32 vcc, s10, v116
	v_cmp_lt_f32_e64 s[10:11], |v116|, s8
	v_add_f32_e32 v6, v100, v6
	s_or_b64 vcc, vcc, s[10:11]
	v_cndmask_b32_e32 v6, v6, v116, vcc
	v_add_f32_e32 v6, v3, v6
.LBB512_344:
	s_or_b64 exec, exec, s[6:7]
	v_bfe_u32 v3, v6, 16, 1
	v_add3_u32 v3, v6, v3, s9
	v_lshrrev_b32_e32 v3, 16, v3
	v_cmp_o_f32_e32 vcc, v6, v6
	v_cndmask_b32_e32 v36, v2, v3, vcc
	v_lshlrev_b32_e32 v3, 16, v36
	v_max_f32_e32 v2, v3, v3
	v_min_f32_e32 v6, v2, v37
	v_cmp_u_f32_e32 vcc, v3, v3
	v_max_f32_e32 v2, v2, v37
	v_cndmask_b32_e32 v6, v6, v3, vcc
	v_cndmask_b32_e32 v2, v2, v3, vcc
	v_cndmask_b32_e64 v6, v6, v23, s[18:19]
	v_cndmask_b32_e64 v2, v2, v23, s[18:19]
	s_movk_i32 s8, 0x1f8
	v_cmp_neq_f32_e32 vcc, v6, v2
	v_cmp_class_f32_e64 s[6:7], v6, s8
	s_or_b64 s[10:11], vcc, s[6:7]
	s_and_saveexec_b64 s[6:7], s[10:11]
	s_cbranch_execz .LBB512_346
; %bb.345:
	v_sub_f32_e32 v3, v6, v2
	s_mov_b32 s9, 0x3fb8aa3b
	v_mul_f32_e32 v6, 0x3fb8aa3b, v3
	v_fma_f32 v7, v3, s9, -v6
	v_rndne_f32_e32 v20, v6
	v_fmac_f32_e32 v7, 0x32a5705f, v3
	v_sub_f32_e32 v6, v6, v20
	v_add_f32_e32 v6, v6, v7
	v_exp_f32_e32 v6, v6
	v_cvt_i32_f32_e32 v7, v20
	s_mov_b32 s9, 0xc2ce8ed0
	v_cmp_ngt_f32_e32 vcc, s9, v3
	s_mov_b32 s9, 0x42b17218
	v_ldexp_f32 v6, v6, v7
	v_cndmask_b32_e32 v6, 0, v6, vcc
	v_mov_b32_e32 v7, 0x7f800000
	v_cmp_nlt_f32_e32 vcc, s9, v3
	v_cndmask_b32_e32 v37, v7, v6, vcc
	v_add_f32_e32 v3, 1.0, v37
	v_add_f32_e32 v6, -1.0, v3
	v_sub_f32_e32 v7, v6, v3
	v_add_f32_e32 v7, 1.0, v7
	v_sub_f32_e32 v6, v37, v6
	v_add_f32_e32 v20, v6, v7
	v_frexp_mant_f32_e32 v21, v3
	s_mov_b32 s9, 0x3f2aaaab
	v_cvt_f64_f32_e32 v[6:7], v3
	v_frexp_exp_i32_f64_e32 v6, v[6:7]
	v_cmp_gt_f32_e32 vcc, s9, v21
	v_subbrev_co_u32_e32 v100, vcc, 0, v6, vcc
	v_sub_u32_e32 v6, 0, v100
	v_ldexp_f32 v3, v3, v6
	v_ldexp_f32 v6, v20, v6
	v_add_f32_e32 v20, -1.0, v3
	v_add_f32_e32 v7, 1.0, v20
	v_sub_f32_e32 v7, v3, v7
	v_add_f32_e32 v21, v6, v7
	v_add_f32_e32 v7, 1.0, v3
	v_add_f32_e32 v22, -1.0, v7
	v_sub_f32_e32 v3, v3, v22
	v_add_f32_e32 v3, v6, v3
	v_add_f32_e32 v101, v7, v3
	v_rcp_f32_e32 v102, v101
	v_sub_f32_e32 v6, v7, v101
	v_add_f32_e32 v7, v20, v21
	v_add_f32_e32 v3, v3, v6
	v_mul_f32_e32 v112, v7, v102
	v_sub_f32_e32 v6, v20, v7
	v_mul_f32_e32 v20, v101, v112
	v_fma_f32 v22, v112, v101, -v20
	v_fmac_f32_e32 v22, v112, v3
	v_add_f32_e32 v103, v21, v6
	v_add_f32_e32 v6, v20, v22
	v_sub_f32_e32 v21, v7, v6
	v_pk_add_f32 v[98:99], v[6:7], v[20:21] neg_lo:[0,1] neg_hi:[0,1]
	v_mov_b32_e32 v23, v6
	v_pk_add_f32 v[6:7], v[98:99], v[22:23] neg_lo:[0,1] neg_hi:[0,1]
	v_add_f32_e32 v7, v103, v7
	v_add_f32_e32 v6, v6, v7
	v_add_f32_e32 v7, v21, v6
	v_mul_f32_e32 v103, v102, v7
	v_mul_f32_e32 v20, v101, v103
	v_fma_f32 v22, v103, v101, -v20
	v_fmac_f32_e32 v22, v103, v3
	v_sub_f32_e32 v3, v21, v7
	v_add_f32_e32 v3, v6, v3
	v_add_f32_e32 v6, v20, v22
	v_sub_f32_e32 v21, v7, v6
	v_pk_add_f32 v[98:99], v[6:7], v[20:21] neg_lo:[0,1] neg_hi:[0,1]
	v_mov_b32_e32 v23, v6
	v_pk_add_f32 v[6:7], v[98:99], v[22:23] neg_lo:[0,1] neg_hi:[0,1]
	v_add_f32_e32 v3, v3, v7
	v_add_f32_e32 v3, v6, v3
	;; [unrolled: 1-line block ×4, first 2 shown]
	v_sub_f32_e32 v7, v6, v112
	v_mul_f32_e32 v3, v102, v3
	v_sub_f32_e32 v7, v103, v7
	v_add_f32_e32 v3, v7, v3
	v_add_f32_e32 v21, v6, v3
	v_mul_f32_e32 v22, v21, v21
	v_mov_b32_e32 v20, 0x3ecc95a3
	v_fmac_f32_e32 v20, 0x3e9b6dac, v22
	v_mov_b32_e32 v7, 0x3f2aaada
	v_fmac_f32_e32 v7, v22, v20
	v_cvt_f32_i32_e32 v20, v100
	v_sub_f32_e32 v6, v21, v6
	v_sub_f32_e32 v3, v3, v6
	v_ldexp_f32 v23, v21, 1
	v_mul_f32_e32 v21, v21, v22
	v_mov_b32_e32 v6, 0x3f317218
	s_mov_b32 s9, 0x3f317218
	v_pk_mul_f32 v[6:7], v[20:21], v[6:7]
	v_fma_f32 v22, v20, s9, -v6
	v_fmac_f32_e32 v22, 0xb102e308, v20
	v_pk_add_f32 v[20:21], v[6:7], v[22:23]
	v_sub_f32_e32 v23, v21, v23
	v_ldexp_f32 v3, v3, 1
	v_sub_f32_e32 v23, v7, v23
	v_add_f32_e32 v99, v3, v23
	v_mov_b32_e32 v98, v6
	v_pk_add_f32 v[6:7], v[20:21], v[6:7] neg_lo:[0,1] neg_hi:[0,1]
	v_pk_add_f32 v[100:101], v[20:21], v[98:99]
	v_mov_b32_e32 v7, v101
	v_mov_b32_e32 v23, v20
	v_pk_add_f32 v[102:103], v[22:23], v[6:7] neg_lo:[0,1] neg_hi:[0,1]
	v_pk_add_f32 v[6:7], v[22:23], v[6:7]
	v_mov_b32_e32 v22, v7
	v_pk_add_f32 v[112:113], v[22:23], v[20:21] neg_lo:[0,1] neg_hi:[0,1]
	v_mov_b32_e32 v3, v112
	v_pk_add_f32 v[114:115], v[100:101], v[2:3] neg_lo:[0,1] neg_hi:[0,1]
	v_mov_b32_e32 v6, v101
	v_mov_b32_e32 v100, v21
	;; [unrolled: 1-line block ×4, first 2 shown]
	v_pk_add_f32 v[6:7], v[6:7], v[100:101] neg_lo:[0,1] neg_hi:[0,1]
	v_mov_b32_e32 v98, v99
	v_mov_b32_e32 v99, v20
	v_pk_add_f32 v[6:7], v[98:99], v[6:7] neg_lo:[0,1] neg_hi:[0,1]
	v_mov_b32_e32 v114, v102
	v_pk_add_f32 v[20:21], v[114:115], v[6:7]
	v_mov_b32_e32 v98, v21
	v_pk_add_f32 v[98:99], v[20:21], v[98:99]
	v_pk_add_f32 v[22:23], v[22:23], v[98:99]
	v_mov_b32_e32 v21, v22
	v_pk_add_f32 v[100:101], v[20:21], v[102:103] neg_lo:[0,1] neg_hi:[0,1]
	v_mov_b32_e32 v7, v98
	v_sub_f32_e32 v3, v20, v100
	v_pk_add_f32 v[6:7], v[6:7], v[100:101] neg_lo:[0,1] neg_hi:[0,1]
	v_sub_f32_e32 v3, v102, v3
	s_mov_b32 s10, 0x7f800000
	v_add_f32_e32 v3, v6, v3
	s_mov_b32 s9, 0x33800000
	v_add_f32_e32 v3, v3, v7
	v_cmp_eq_f32_e32 vcc, s10, v37
	v_cmp_lt_f32_e64 s[10:11], |v37|, s9
	v_add_f32_e32 v3, v22, v3
	s_or_b64 vcc, vcc, s[10:11]
	v_cndmask_b32_e32 v3, v3, v37, vcc
	v_add_f32_e32 v3, v2, v3
.LBB512_346:
	s_or_b64 exec, exec, s[6:7]
	v_bfe_u32 v2, v3, 16, 1
	s_movk_i32 s9, 0x7fff
	v_add3_u32 v2, v3, v2, s9
	v_lshrrev_b32_e32 v6, 16, v2
	v_mov_b32_e32 v2, 0x7fc0
	v_cmp_o_f32_e32 vcc, v3, v3
	v_cndmask_b32_e32 v37, v2, v6, vcc
	v_lshlrev_b32_e32 v6, 16, v37
	v_max_f32_e32 v3, v6, v6
	v_min_f32_e32 v7, v3, v52
	v_cmp_u_f32_e32 vcc, v6, v6
	v_max_f32_e32 v3, v3, v52
	v_cndmask_b32_e32 v7, v7, v6, vcc
	v_cndmask_b32_e32 v3, v3, v6, vcc
	v_cndmask_b32_e64 v7, v7, v50, s[20:21]
	v_cndmask_b32_e64 v3, v3, v50, s[20:21]
	v_cmp_neq_f32_e32 vcc, v7, v3
	v_cmp_class_f32_e64 s[6:7], v7, s8
	s_or_b64 s[10:11], vcc, s[6:7]
	s_and_saveexec_b64 s[6:7], s[10:11]
	s_cbranch_execz .LBB512_348
; %bb.347:
	v_sub_f32_e32 v6, v7, v3
	s_mov_b32 s8, 0x3fb8aa3b
	v_mul_f32_e32 v7, 0x3fb8aa3b, v6
	v_fma_f32 v20, v6, s8, -v7
	v_rndne_f32_e32 v21, v7
	v_fmac_f32_e32 v20, 0x32a5705f, v6
	v_sub_f32_e32 v7, v7, v21
	v_add_f32_e32 v7, v7, v20
	v_exp_f32_e32 v7, v7
	v_cvt_i32_f32_e32 v20, v21
	s_mov_b32 s8, 0xc2ce8ed0
	v_cmp_ngt_f32_e32 vcc, s8, v6
	s_mov_b32 s8, 0x42b17218
	v_ldexp_f32 v7, v7, v20
	v_cndmask_b32_e32 v7, 0, v7, vcc
	v_mov_b32_e32 v20, 0x7f800000
	v_cmp_nlt_f32_e32 vcc, s8, v6
	v_cndmask_b32_e32 v52, v20, v7, vcc
	v_add_f32_e32 v20, 1.0, v52
	v_add_f32_e32 v6, -1.0, v20
	v_sub_f32_e32 v7, v6, v20
	v_add_f32_e32 v7, 1.0, v7
	v_sub_f32_e32 v6, v52, v6
	v_add_f32_e32 v21, v6, v7
	v_frexp_mant_f32_e32 v22, v20
	s_mov_b32 s8, 0x3f2aaaab
	v_cvt_f64_f32_e32 v[6:7], v20
	v_frexp_exp_i32_f64_e32 v6, v[6:7]
	v_cmp_gt_f32_e32 vcc, s8, v22
	v_subbrev_co_u32_e32 v50, vcc, 0, v6, vcc
	v_sub_u32_e32 v6, 0, v50
	v_ldexp_f32 v7, v20, v6
	v_add_f32_e32 v20, -1.0, v7
	v_add_f32_e32 v22, 1.0, v7
	v_ldexp_f32 v6, v21, v6
	v_add_f32_e32 v21, 1.0, v20
	v_add_f32_e32 v23, -1.0, v22
	v_sub_f32_e32 v21, v7, v21
	v_sub_f32_e32 v7, v7, v23
	v_add_f32_e32 v21, v6, v21
	v_add_f32_e32 v6, v6, v7
	;; [unrolled: 1-line block ×3, first 2 shown]
	v_rcp_f32_e32 v102, v100
	v_sub_f32_e32 v7, v22, v100
	v_add_f32_e32 v101, v6, v7
	v_add_f32_e32 v7, v20, v21
	v_mul_f32_e32 v112, v7, v102
	v_sub_f32_e32 v6, v20, v7
	v_mul_f32_e32 v20, v100, v112
	v_fma_f32 v22, v112, v100, -v20
	v_fmac_f32_e32 v22, v112, v101
	v_add_f32_e32 v103, v21, v6
	v_add_f32_e32 v6, v20, v22
	v_sub_f32_e32 v21, v7, v6
	v_pk_add_f32 v[98:99], v[6:7], v[20:21] neg_lo:[0,1] neg_hi:[0,1]
	v_mov_b32_e32 v23, v6
	v_pk_add_f32 v[6:7], v[98:99], v[22:23] neg_lo:[0,1] neg_hi:[0,1]
	v_add_f32_e32 v7, v103, v7
	v_add_f32_e32 v6, v6, v7
	v_add_f32_e32 v7, v21, v6
	v_mul_f32_e32 v103, v102, v7
	v_mul_f32_e32 v20, v100, v103
	v_fma_f32 v22, v103, v100, -v20
	v_fmac_f32_e32 v22, v103, v101
	v_sub_f32_e32 v21, v21, v7
	v_add_f32_e32 v100, v6, v21
	v_add_f32_e32 v6, v20, v22
	v_sub_f32_e32 v21, v7, v6
	v_pk_add_f32 v[98:99], v[6:7], v[20:21] neg_lo:[0,1] neg_hi:[0,1]
	v_mov_b32_e32 v23, v6
	v_pk_add_f32 v[6:7], v[98:99], v[22:23] neg_lo:[0,1] neg_hi:[0,1]
	v_add_f32_e32 v7, v100, v7
	v_add_f32_e32 v6, v6, v7
	;; [unrolled: 1-line block ×4, first 2 shown]
	v_sub_f32_e32 v7, v21, v112
	v_mul_f32_e32 v6, v102, v6
	v_sub_f32_e32 v7, v103, v7
	v_add_f32_e32 v6, v7, v6
	v_add_f32_e32 v22, v21, v6
	v_mul_f32_e32 v98, v22, v22
	v_mov_b32_e32 v20, 0x3ecc95a3
	v_fmac_f32_e32 v20, 0x3e9b6dac, v98
	v_mov_b32_e32 v7, 0x3f2aaada
	v_fmac_f32_e32 v7, v98, v20
	v_cvt_f32_i32_e32 v20, v50
	v_sub_f32_e32 v21, v22, v21
	v_sub_f32_e32 v6, v6, v21
	v_ldexp_f32 v50, v6, 1
	v_mul_f32_e32 v21, v22, v98
	v_mov_b32_e32 v6, 0x3f317218
	s_mov_b32 s8, 0x3f317218
	v_pk_mul_f32 v[6:7], v[20:21], v[6:7]
	v_ldexp_f32 v23, v22, 1
	v_fma_f32 v22, v20, s8, -v6
	v_fmac_f32_e32 v22, 0xb102e308, v20
	v_pk_add_f32 v[20:21], v[6:7], v[22:23]
	v_sub_f32_e32 v23, v21, v23
	v_sub_f32_e32 v23, v7, v23
	v_add_f32_e32 v99, v50, v23
	v_mov_b32_e32 v98, v6
	v_pk_add_f32 v[6:7], v[20:21], v[6:7] neg_lo:[0,1] neg_hi:[0,1]
	v_pk_add_f32 v[100:101], v[20:21], v[98:99]
	v_mov_b32_e32 v7, v101
	v_mov_b32_e32 v23, v20
	v_pk_add_f32 v[102:103], v[22:23], v[6:7] neg_lo:[0,1] neg_hi:[0,1]
	v_pk_add_f32 v[6:7], v[22:23], v[6:7]
	v_mov_b32_e32 v22, v7
	v_pk_add_f32 v[112:113], v[22:23], v[20:21] neg_lo:[0,1] neg_hi:[0,1]
	v_mov_b32_e32 v23, v112
	v_pk_add_f32 v[114:115], v[100:101], v[22:23] neg_lo:[0,1] neg_hi:[0,1]
	v_mov_b32_e32 v6, v101
	v_mov_b32_e32 v100, v21
	;; [unrolled: 1-line block ×4, first 2 shown]
	v_pk_add_f32 v[6:7], v[6:7], v[100:101] neg_lo:[0,1] neg_hi:[0,1]
	v_mov_b32_e32 v98, v99
	v_mov_b32_e32 v99, v20
	v_pk_add_f32 v[6:7], v[98:99], v[6:7] neg_lo:[0,1] neg_hi:[0,1]
	v_mov_b32_e32 v114, v102
	v_pk_add_f32 v[20:21], v[114:115], v[6:7]
	v_mov_b32_e32 v50, v21
	v_pk_add_f32 v[98:99], v[20:21], v[50:51]
	v_pk_add_f32 v[22:23], v[22:23], v[98:99]
	v_mov_b32_e32 v21, v22
	v_pk_add_f32 v[100:101], v[20:21], v[102:103] neg_lo:[0,1] neg_hi:[0,1]
	v_mov_b32_e32 v7, v98
	v_sub_f32_e32 v20, v20, v100
	v_pk_add_f32 v[6:7], v[6:7], v[100:101] neg_lo:[0,1] neg_hi:[0,1]
	v_sub_f32_e32 v20, v102, v20
	s_mov_b32 s10, 0x7f800000
	v_add_f32_e32 v6, v6, v20
	s_mov_b32 s8, 0x33800000
	v_add_f32_e32 v6, v6, v7
	v_cmp_eq_f32_e32 vcc, s10, v52
	v_cmp_lt_f32_e64 s[10:11], |v52|, s8
	v_add_f32_e32 v6, v22, v6
	s_or_b64 vcc, vcc, s[10:11]
	v_cndmask_b32_e32 v6, v6, v52, vcc
	v_add_f32_e32 v6, v3, v6
.LBB512_348:
	s_or_b64 exec, exec, s[6:7]
	v_bfe_u32 v3, v6, 16, 1
	v_add3_u32 v3, v6, v3, s9
	v_lshrrev_b32_e32 v3, 16, v3
	v_cmp_o_f32_e32 vcc, v6, v6
	v_cndmask_b32_e32 v50, v2, v3, vcc
	v_lshlrev_b32_e32 v3, 16, v50
	v_max_f32_e32 v2, v3, v3
	v_min_f32_e32 v6, v2, v53
	v_cmp_u_f32_e32 vcc, v3, v3
	v_max_f32_e32 v2, v2, v53
	v_cndmask_b32_e32 v6, v6, v3, vcc
	v_cndmask_b32_e32 v2, v2, v3, vcc
	v_cndmask_b32_e64 v6, v6, v16, s[22:23]
	v_cndmask_b32_e64 v2, v2, v16, s[22:23]
	s_movk_i32 s8, 0x1f8
	v_cmp_neq_f32_e32 vcc, v6, v2
	v_cmp_class_f32_e64 s[6:7], v6, s8
	s_or_b64 s[10:11], vcc, s[6:7]
	s_and_saveexec_b64 s[6:7], s[10:11]
	s_cbranch_execz .LBB512_350
; %bb.349:
	v_sub_f32_e32 v3, v6, v2
	s_mov_b32 s9, 0x3fb8aa3b
	v_mul_f32_e32 v6, 0x3fb8aa3b, v3
	v_fma_f32 v7, v3, s9, -v6
	v_rndne_f32_e32 v16, v6
	v_fmac_f32_e32 v7, 0x32a5705f, v3
	v_sub_f32_e32 v6, v6, v16
	v_add_f32_e32 v6, v6, v7
	v_exp_f32_e32 v6, v6
	v_cvt_i32_f32_e32 v7, v16
	s_mov_b32 s9, 0xc2ce8ed0
	v_cmp_ngt_f32_e32 vcc, s9, v3
	s_mov_b32 s9, 0x42b17218
	v_ldexp_f32 v6, v6, v7
	v_cndmask_b32_e32 v6, 0, v6, vcc
	v_mov_b32_e32 v7, 0x7f800000
	v_cmp_nlt_f32_e32 vcc, s9, v3
	v_cndmask_b32_e32 v112, v7, v6, vcc
	v_add_f32_e32 v3, 1.0, v112
	v_add_f32_e32 v6, -1.0, v3
	v_sub_f32_e32 v7, v6, v3
	v_add_f32_e32 v7, 1.0, v7
	v_sub_f32_e32 v6, v112, v6
	v_add_f32_e32 v16, v6, v7
	v_frexp_mant_f32_e32 v20, v3
	s_mov_b32 s9, 0x3f2aaaab
	v_cvt_f64_f32_e32 v[6:7], v3
	v_frexp_exp_i32_f64_e32 v6, v[6:7]
	v_cmp_gt_f32_e32 vcc, s9, v20
	v_subbrev_co_u32_e32 v98, vcc, 0, v6, vcc
	v_sub_u32_e32 v6, 0, v98
	v_ldexp_f32 v3, v3, v6
	v_ldexp_f32 v6, v16, v6
	v_add_f32_e32 v16, -1.0, v3
	v_add_f32_e32 v7, 1.0, v16
	v_sub_f32_e32 v7, v3, v7
	v_add_f32_e32 v20, v6, v7
	v_add_f32_e32 v7, 1.0, v3
	v_add_f32_e32 v21, -1.0, v7
	v_sub_f32_e32 v3, v3, v21
	v_add_f32_e32 v3, v6, v3
	v_add_f32_e32 v99, v7, v3
	v_rcp_f32_e32 v100, v99
	v_sub_f32_e32 v6, v7, v99
	v_add_f32_e32 v7, v16, v20
	v_add_f32_e32 v3, v3, v6
	v_sub_f32_e32 v6, v16, v7
	v_mul_f32_e32 v101, v7, v100
	v_add_f32_e32 v16, v20, v6
	v_mul_f32_e32 v20, v99, v101
	v_fma_f32 v22, v101, v99, -v20
	v_fmac_f32_e32 v22, v101, v3
	v_add_f32_e32 v6, v20, v22
	v_sub_f32_e32 v21, v7, v6
	v_pk_add_f32 v[52:53], v[6:7], v[20:21] neg_lo:[0,1] neg_hi:[0,1]
	v_mov_b32_e32 v23, v6
	v_pk_add_f32 v[6:7], v[52:53], v[22:23] neg_lo:[0,1] neg_hi:[0,1]
	v_add_f32_e32 v7, v16, v7
	v_add_f32_e32 v6, v6, v7
	;; [unrolled: 1-line block ×3, first 2 shown]
	v_mul_f32_e32 v16, v100, v7
	v_mul_f32_e32 v20, v99, v16
	v_fma_f32 v22, v16, v99, -v20
	v_fmac_f32_e32 v22, v16, v3
	v_sub_f32_e32 v3, v21, v7
	v_add_f32_e32 v3, v6, v3
	v_add_f32_e32 v6, v20, v22
	v_sub_f32_e32 v21, v7, v6
	v_pk_add_f32 v[52:53], v[6:7], v[20:21] neg_lo:[0,1] neg_hi:[0,1]
	v_mov_b32_e32 v23, v6
	v_pk_add_f32 v[6:7], v[52:53], v[22:23] neg_lo:[0,1] neg_hi:[0,1]
	v_add_f32_e32 v3, v3, v7
	v_add_f32_e32 v3, v6, v3
	;; [unrolled: 1-line block ×4, first 2 shown]
	v_sub_f32_e32 v7, v6, v101
	v_mul_f32_e32 v3, v100, v3
	v_sub_f32_e32 v7, v16, v7
	v_add_f32_e32 v3, v7, v3
	v_add_f32_e32 v16, v6, v3
	v_mul_f32_e32 v21, v16, v16
	v_mov_b32_e32 v20, 0x3ecc95a3
	v_fmac_f32_e32 v20, 0x3e9b6dac, v21
	v_mov_b32_e32 v7, 0x3f2aaada
	v_fmac_f32_e32 v7, v21, v20
	v_cvt_f32_i32_e32 v20, v98
	v_sub_f32_e32 v6, v16, v6
	v_sub_f32_e32 v3, v3, v6
	v_mul_f32_e32 v21, v16, v21
	v_mov_b32_e32 v6, 0x3f317218
	s_mov_b32 s9, 0x3f317218
	v_pk_mul_f32 v[6:7], v[20:21], v[6:7]
	v_fma_f32 v22, v20, s9, -v6
	v_ldexp_f32 v23, v16, 1
	v_fmac_f32_e32 v22, 0xb102e308, v20
	v_pk_add_f32 v[20:21], v[6:7], v[22:23]
	v_sub_f32_e32 v16, v21, v23
	v_ldexp_f32 v3, v3, 1
	v_sub_f32_e32 v16, v7, v16
	v_add_f32_e32 v53, v3, v16
	v_mov_b32_e32 v52, v6
	v_pk_add_f32 v[6:7], v[20:21], v[6:7] neg_lo:[0,1] neg_hi:[0,1]
	v_pk_add_f32 v[98:99], v[20:21], v[52:53]
	v_mov_b32_e32 v7, v99
	v_mov_b32_e32 v23, v20
	v_pk_add_f32 v[100:101], v[22:23], v[6:7] neg_lo:[0,1] neg_hi:[0,1]
	v_pk_add_f32 v[6:7], v[22:23], v[6:7]
	v_mov_b32_e32 v16, v7
	v_pk_add_f32 v[22:23], v[16:17], v[20:21] neg_lo:[0,1] neg_hi:[0,1]
	v_mov_b32_e32 v3, v22
	v_pk_add_f32 v[102:103], v[98:99], v[2:3] neg_lo:[0,1] neg_hi:[0,1]
	v_mov_b32_e32 v6, v99
	v_mov_b32_e32 v98, v21
	;; [unrolled: 1-line block ×4, first 2 shown]
	v_pk_add_f32 v[6:7], v[6:7], v[98:99] neg_lo:[0,1] neg_hi:[0,1]
	v_mov_b32_e32 v22, v53
	v_mov_b32_e32 v23, v20
	v_pk_add_f32 v[6:7], v[22:23], v[6:7] neg_lo:[0,1] neg_hi:[0,1]
	v_mov_b32_e32 v102, v100
	v_pk_add_f32 v[20:21], v[102:103], v[6:7]
	v_mov_b32_e32 v22, v21
	v_pk_add_f32 v[22:23], v[20:21], v[22:23]
	v_pk_add_f32 v[52:53], v[16:17], v[22:23]
	v_mov_b32_e32 v21, v52
	v_pk_add_f32 v[98:99], v[20:21], v[100:101] neg_lo:[0,1] neg_hi:[0,1]
	v_mov_b32_e32 v7, v22
	v_sub_f32_e32 v3, v20, v98
	v_pk_add_f32 v[6:7], v[6:7], v[98:99] neg_lo:[0,1] neg_hi:[0,1]
	v_sub_f32_e32 v3, v100, v3
	s_mov_b32 s10, 0x7f800000
	v_add_f32_e32 v3, v6, v3
	s_mov_b32 s9, 0x33800000
	v_add_f32_e32 v3, v3, v7
	v_cmp_eq_f32_e32 vcc, s10, v112
	v_cmp_lt_f32_e64 s[10:11], |v112|, s9
	v_add_f32_e32 v3, v52, v3
	s_or_b64 vcc, vcc, s[10:11]
	v_cndmask_b32_e32 v3, v3, v112, vcc
	v_add_f32_e32 v3, v2, v3
.LBB512_350:
	s_or_b64 exec, exec, s[6:7]
	v_bfe_u32 v2, v3, 16, 1
	s_movk_i32 s9, 0x7fff
	v_add3_u32 v2, v3, v2, s9
	v_lshrrev_b32_e32 v6, 16, v2
	v_mov_b32_e32 v2, 0x7fc0
	v_cmp_o_f32_e32 vcc, v3, v3
	v_cndmask_b32_e32 v52, v2, v6, vcc
	v_lshlrev_b32_e32 v6, 16, v52
	v_max_f32_e32 v3, v6, v6
	v_min_f32_e32 v7, v3, v55
	v_cmp_u_f32_e32 vcc, v6, v6
	v_max_f32_e32 v3, v3, v55
	v_cndmask_b32_e32 v7, v7, v6, vcc
	v_cndmask_b32_e32 v3, v3, v6, vcc
	v_cndmask_b32_e64 v7, v7, v51, s[24:25]
	v_cndmask_b32_e64 v3, v3, v51, s[24:25]
	v_cmp_neq_f32_e32 vcc, v7, v3
	v_cmp_class_f32_e64 s[6:7], v7, s8
	s_or_b64 s[10:11], vcc, s[6:7]
	s_and_saveexec_b64 s[6:7], s[10:11]
	s_cbranch_execz .LBB512_352
; %bb.351:
	v_sub_f32_e32 v6, v7, v3
	s_mov_b32 s8, 0x3fb8aa3b
	v_mul_f32_e32 v7, 0x3fb8aa3b, v6
	v_fma_f32 v16, v6, s8, -v7
	v_rndne_f32_e32 v20, v7
	v_fmac_f32_e32 v16, 0x32a5705f, v6
	v_sub_f32_e32 v7, v7, v20
	v_add_f32_e32 v7, v7, v16
	v_exp_f32_e32 v7, v7
	v_cvt_i32_f32_e32 v16, v20
	s_mov_b32 s8, 0xc2ce8ed0
	v_cmp_ngt_f32_e32 vcc, s8, v6
	s_mov_b32 s8, 0x42b17218
	v_ldexp_f32 v7, v7, v16
	v_cndmask_b32_e32 v7, 0, v7, vcc
	v_mov_b32_e32 v16, 0x7f800000
	v_cmp_nlt_f32_e32 vcc, s8, v6
	v_cndmask_b32_e32 v51, v16, v7, vcc
	v_add_f32_e32 v16, 1.0, v51
	v_add_f32_e32 v6, -1.0, v16
	v_sub_f32_e32 v7, v6, v16
	v_add_f32_e32 v7, 1.0, v7
	v_sub_f32_e32 v6, v51, v6
	v_add_f32_e32 v20, v6, v7
	v_frexp_mant_f32_e32 v21, v16
	s_mov_b32 s8, 0x3f2aaaab
	v_cvt_f64_f32_e32 v[6:7], v16
	v_frexp_exp_i32_f64_e32 v6, v[6:7]
	v_cmp_gt_f32_e32 vcc, s8, v21
	v_subbrev_co_u32_e32 v53, vcc, 0, v6, vcc
	v_sub_u32_e32 v6, 0, v53
	v_ldexp_f32 v7, v16, v6
	v_add_f32_e32 v16, -1.0, v7
	v_add_f32_e32 v21, 1.0, v7
	v_ldexp_f32 v6, v20, v6
	v_add_f32_e32 v20, 1.0, v16
	v_add_f32_e32 v22, -1.0, v21
	v_sub_f32_e32 v20, v7, v20
	v_sub_f32_e32 v7, v7, v22
	v_add_f32_e32 v20, v6, v20
	v_add_f32_e32 v6, v6, v7
	;; [unrolled: 1-line block ×3, first 2 shown]
	v_rcp_f32_e32 v101, v55
	v_sub_f32_e32 v7, v21, v55
	v_add_f32_e32 v100, v6, v7
	v_add_f32_e32 v7, v16, v20
	v_sub_f32_e32 v6, v16, v7
	v_mul_f32_e32 v102, v7, v101
	v_add_f32_e32 v16, v20, v6
	v_mul_f32_e32 v20, v55, v102
	v_fma_f32 v22, v102, v55, -v20
	v_fmac_f32_e32 v22, v102, v100
	v_add_f32_e32 v6, v20, v22
	v_sub_f32_e32 v21, v7, v6
	v_pk_add_f32 v[98:99], v[6:7], v[20:21] neg_lo:[0,1] neg_hi:[0,1]
	v_mov_b32_e32 v23, v6
	v_pk_add_f32 v[6:7], v[98:99], v[22:23] neg_lo:[0,1] neg_hi:[0,1]
	v_add_f32_e32 v7, v16, v7
	v_add_f32_e32 v6, v6, v7
	;; [unrolled: 1-line block ×3, first 2 shown]
	v_mul_f32_e32 v16, v101, v7
	v_mul_f32_e32 v20, v55, v16
	v_fma_f32 v22, v16, v55, -v20
	v_fmac_f32_e32 v22, v16, v100
	v_sub_f32_e32 v21, v21, v7
	v_add_f32_e32 v55, v6, v21
	v_add_f32_e32 v6, v20, v22
	v_sub_f32_e32 v21, v7, v6
	v_pk_add_f32 v[98:99], v[6:7], v[20:21] neg_lo:[0,1] neg_hi:[0,1]
	v_mov_b32_e32 v23, v6
	v_pk_add_f32 v[6:7], v[98:99], v[22:23] neg_lo:[0,1] neg_hi:[0,1]
	v_add_f32_e32 v7, v55, v7
	v_add_f32_e32 v6, v6, v7
	;; [unrolled: 1-line block ×4, first 2 shown]
	v_sub_f32_e32 v7, v21, v102
	v_mul_f32_e32 v6, v101, v6
	v_sub_f32_e32 v7, v16, v7
	v_add_f32_e32 v6, v7, v6
	v_add_f32_e32 v16, v21, v6
	v_mul_f32_e32 v22, v16, v16
	v_mov_b32_e32 v20, 0x3ecc95a3
	v_fmac_f32_e32 v20, 0x3e9b6dac, v22
	v_mov_b32_e32 v7, 0x3f2aaada
	v_fmac_f32_e32 v7, v22, v20
	v_cvt_f32_i32_e32 v20, v53
	v_sub_f32_e32 v21, v16, v21
	v_sub_f32_e32 v6, v6, v21
	v_ldexp_f32 v53, v6, 1
	v_mul_f32_e32 v21, v16, v22
	v_mov_b32_e32 v6, 0x3f317218
	s_mov_b32 s8, 0x3f317218
	v_pk_mul_f32 v[6:7], v[20:21], v[6:7]
	v_fma_f32 v22, v20, s8, -v6
	v_ldexp_f32 v23, v16, 1
	v_fmac_f32_e32 v22, 0xb102e308, v20
	v_pk_add_f32 v[20:21], v[6:7], v[22:23]
	v_sub_f32_e32 v16, v21, v23
	v_sub_f32_e32 v16, v7, v16
	v_add_f32_e32 v99, v53, v16
	v_mov_b32_e32 v98, v6
	v_pk_add_f32 v[6:7], v[20:21], v[6:7] neg_lo:[0,1] neg_hi:[0,1]
	v_pk_add_f32 v[100:101], v[20:21], v[98:99]
	v_mov_b32_e32 v7, v101
	v_mov_b32_e32 v23, v20
	v_pk_add_f32 v[102:103], v[22:23], v[6:7] neg_lo:[0,1] neg_hi:[0,1]
	v_pk_add_f32 v[6:7], v[22:23], v[6:7]
	v_mov_b32_e32 v16, v7
	v_pk_add_f32 v[22:23], v[16:17], v[20:21] neg_lo:[0,1] neg_hi:[0,1]
	v_mov_b32_e32 v23, v22
	v_pk_add_f32 v[112:113], v[100:101], v[22:23] neg_lo:[0,1] neg_hi:[0,1]
	v_mov_b32_e32 v6, v101
	v_mov_b32_e32 v100, v21
	;; [unrolled: 1-line block ×4, first 2 shown]
	v_pk_add_f32 v[6:7], v[6:7], v[100:101] neg_lo:[0,1] neg_hi:[0,1]
	v_mov_b32_e32 v22, v99
	v_mov_b32_e32 v23, v20
	v_pk_add_f32 v[6:7], v[22:23], v[6:7] neg_lo:[0,1] neg_hi:[0,1]
	v_mov_b32_e32 v112, v102
	v_pk_add_f32 v[20:21], v[112:113], v[6:7]
	v_mov_b32_e32 v22, v21
	v_pk_add_f32 v[22:23], v[20:21], v[22:23]
	v_pk_add_f32 v[98:99], v[16:17], v[22:23]
	v_mov_b32_e32 v21, v98
	v_pk_add_f32 v[100:101], v[20:21], v[102:103] neg_lo:[0,1] neg_hi:[0,1]
	v_mov_b32_e32 v7, v22
	v_sub_f32_e32 v16, v20, v100
	v_pk_add_f32 v[6:7], v[6:7], v[100:101] neg_lo:[0,1] neg_hi:[0,1]
	v_sub_f32_e32 v16, v102, v16
	s_mov_b32 s10, 0x7f800000
	v_add_f32_e32 v6, v6, v16
	s_mov_b32 s8, 0x33800000
	v_add_f32_e32 v6, v6, v7
	v_cmp_eq_f32_e32 vcc, s10, v51
	v_cmp_lt_f32_e64 s[10:11], |v51|, s8
	v_add_f32_e32 v6, v98, v6
	s_or_b64 vcc, vcc, s[10:11]
	v_cndmask_b32_e32 v6, v6, v51, vcc
	v_add_f32_e32 v6, v3, v6
.LBB512_352:
	s_or_b64 exec, exec, s[6:7]
	v_bfe_u32 v3, v6, 16, 1
	v_add3_u32 v3, v6, v3, s9
	v_lshrrev_b32_e32 v3, 16, v3
	v_cmp_o_f32_e32 vcc, v6, v6
	v_cndmask_b32_e32 v51, v2, v3, vcc
	v_lshlrev_b32_e32 v3, 16, v51
	v_max_f32_e32 v2, v3, v3
	v_min_f32_e32 v6, v2, v64
	v_cmp_u_f32_e32 vcc, v3, v3
	v_max_f32_e32 v2, v2, v64
	v_cndmask_b32_e32 v6, v6, v3, vcc
	v_cndmask_b32_e32 v2, v2, v3, vcc
	v_cndmask_b32_e64 v6, v6, v17, s[26:27]
	v_cndmask_b32_e64 v2, v2, v17, s[26:27]
	s_movk_i32 s8, 0x1f8
	v_cmp_neq_f32_e32 vcc, v6, v2
	v_cmp_class_f32_e64 s[6:7], v6, s8
	s_or_b64 s[10:11], vcc, s[6:7]
	s_and_saveexec_b64 s[6:7], s[10:11]
	s_cbranch_execz .LBB512_354
; %bb.353:
	v_sub_f32_e32 v3, v6, v2
	s_mov_b32 s9, 0x3fb8aa3b
	v_mul_f32_e32 v6, 0x3fb8aa3b, v3
	v_fma_f32 v7, v3, s9, -v6
	v_rndne_f32_e32 v16, v6
	v_fmac_f32_e32 v7, 0x32a5705f, v3
	v_sub_f32_e32 v6, v6, v16
	v_add_f32_e32 v6, v6, v7
	v_exp_f32_e32 v6, v6
	v_cvt_i32_f32_e32 v7, v16
	s_mov_b32 s9, 0xc2ce8ed0
	v_cmp_ngt_f32_e32 vcc, s9, v3
	s_mov_b32 s9, 0x42b17218
	v_ldexp_f32 v6, v6, v7
	v_cndmask_b32_e32 v6, 0, v6, vcc
	v_mov_b32_e32 v7, 0x7f800000
	v_cmp_nlt_f32_e32 vcc, s9, v3
	v_cndmask_b32_e32 v53, v7, v6, vcc
	v_add_f32_e32 v3, 1.0, v53
	v_add_f32_e32 v6, -1.0, v3
	v_sub_f32_e32 v7, v6, v3
	v_add_f32_e32 v7, 1.0, v7
	v_sub_f32_e32 v6, v53, v6
	v_add_f32_e32 v16, v6, v7
	v_frexp_mant_f32_e32 v17, v3
	s_mov_b32 s9, 0x3f2aaaab
	v_cvt_f64_f32_e32 v[6:7], v3
	v_frexp_exp_i32_f64_e32 v6, v[6:7]
	v_cmp_gt_f32_e32 vcc, s9, v17
	v_subbrev_co_u32_e32 v55, vcc, 0, v6, vcc
	v_sub_u32_e32 v6, 0, v55
	v_ldexp_f32 v3, v3, v6
	v_ldexp_f32 v6, v16, v6
	v_add_f32_e32 v16, -1.0, v3
	v_add_f32_e32 v7, 1.0, v16
	v_sub_f32_e32 v7, v3, v7
	v_add_f32_e32 v17, v6, v7
	v_add_f32_e32 v7, 1.0, v3
	v_add_f32_e32 v20, -1.0, v7
	v_sub_f32_e32 v3, v3, v20
	v_add_f32_e32 v3, v6, v3
	v_add_f32_e32 v64, v7, v3
	v_rcp_f32_e32 v98, v64
	v_sub_f32_e32 v6, v7, v64
	v_add_f32_e32 v7, v16, v17
	v_add_f32_e32 v3, v3, v6
	v_mul_f32_e32 v100, v7, v98
	v_sub_f32_e32 v6, v16, v7
	v_mul_f32_e32 v16, v64, v100
	v_fma_f32 v20, v100, v64, -v16
	v_fmac_f32_e32 v20, v100, v3
	v_add_f32_e32 v99, v17, v6
	v_add_f32_e32 v6, v16, v20
	v_sub_f32_e32 v17, v7, v6
	v_pk_add_f32 v[22:23], v[6:7], v[16:17] neg_lo:[0,1] neg_hi:[0,1]
	v_mov_b32_e32 v21, v6
	v_pk_add_f32 v[6:7], v[22:23], v[20:21] neg_lo:[0,1] neg_hi:[0,1]
	v_add_f32_e32 v7, v99, v7
	v_add_f32_e32 v6, v6, v7
	;; [unrolled: 1-line block ×3, first 2 shown]
	v_mul_f32_e32 v99, v98, v7
	v_mul_f32_e32 v16, v64, v99
	v_fma_f32 v20, v99, v64, -v16
	v_fmac_f32_e32 v20, v99, v3
	v_sub_f32_e32 v3, v17, v7
	v_add_f32_e32 v3, v6, v3
	v_add_f32_e32 v6, v16, v20
	v_sub_f32_e32 v17, v7, v6
	v_pk_add_f32 v[22:23], v[6:7], v[16:17] neg_lo:[0,1] neg_hi:[0,1]
	v_mov_b32_e32 v21, v6
	v_pk_add_f32 v[6:7], v[22:23], v[20:21] neg_lo:[0,1] neg_hi:[0,1]
	v_add_f32_e32 v3, v3, v7
	v_add_f32_e32 v3, v6, v3
	;; [unrolled: 1-line block ×4, first 2 shown]
	v_sub_f32_e32 v7, v6, v100
	v_mul_f32_e32 v3, v98, v3
	v_sub_f32_e32 v7, v99, v7
	v_add_f32_e32 v3, v7, v3
	v_add_f32_e32 v17, v6, v3
	v_mul_f32_e32 v20, v17, v17
	v_mov_b32_e32 v16, 0x3ecc95a3
	v_fmac_f32_e32 v16, 0x3e9b6dac, v20
	v_mov_b32_e32 v7, 0x3f2aaada
	v_fmac_f32_e32 v7, v20, v16
	v_cvt_f32_i32_e32 v16, v55
	v_sub_f32_e32 v6, v17, v6
	v_sub_f32_e32 v3, v3, v6
	v_ldexp_f32 v21, v17, 1
	v_mul_f32_e32 v17, v17, v20
	v_mov_b32_e32 v6, 0x3f317218
	s_mov_b32 s9, 0x3f317218
	v_pk_mul_f32 v[6:7], v[16:17], v[6:7]
	v_fma_f32 v20, v16, s9, -v6
	v_fmac_f32_e32 v20, 0xb102e308, v16
	v_pk_add_f32 v[16:17], v[6:7], v[20:21]
	v_sub_f32_e32 v21, v17, v21
	v_ldexp_f32 v3, v3, 1
	v_sub_f32_e32 v21, v7, v21
	v_add_f32_e32 v23, v3, v21
	v_mov_b32_e32 v22, v6
	v_pk_add_f32 v[6:7], v[16:17], v[6:7] neg_lo:[0,1] neg_hi:[0,1]
	v_pk_add_f32 v[98:99], v[16:17], v[22:23]
	v_mov_b32_e32 v7, v99
	v_mov_b32_e32 v21, v16
	v_pk_add_f32 v[100:101], v[20:21], v[6:7] neg_lo:[0,1] neg_hi:[0,1]
	v_pk_add_f32 v[6:7], v[20:21], v[6:7]
	v_mov_b32_e32 v20, v7
	v_pk_add_f32 v[102:103], v[20:21], v[16:17] neg_lo:[0,1] neg_hi:[0,1]
	v_mov_b32_e32 v3, v102
	v_pk_add_f32 v[112:113], v[98:99], v[2:3] neg_lo:[0,1] neg_hi:[0,1]
	v_mov_b32_e32 v6, v99
	v_mov_b32_e32 v98, v17
	;; [unrolled: 1-line block ×4, first 2 shown]
	v_pk_add_f32 v[6:7], v[6:7], v[98:99] neg_lo:[0,1] neg_hi:[0,1]
	v_mov_b32_e32 v22, v23
	v_mov_b32_e32 v23, v16
	v_pk_add_f32 v[6:7], v[22:23], v[6:7] neg_lo:[0,1] neg_hi:[0,1]
	v_mov_b32_e32 v112, v100
	v_pk_add_f32 v[16:17], v[112:113], v[6:7]
	v_mov_b32_e32 v22, v17
	v_pk_add_f32 v[22:23], v[16:17], v[22:23]
	v_pk_add_f32 v[20:21], v[20:21], v[22:23]
	v_mov_b32_e32 v17, v20
	v_pk_add_f32 v[98:99], v[16:17], v[100:101] neg_lo:[0,1] neg_hi:[0,1]
	v_mov_b32_e32 v7, v22
	v_sub_f32_e32 v3, v16, v98
	v_pk_add_f32 v[6:7], v[6:7], v[98:99] neg_lo:[0,1] neg_hi:[0,1]
	v_sub_f32_e32 v3, v100, v3
	s_mov_b32 s10, 0x7f800000
	v_add_f32_e32 v3, v6, v3
	s_mov_b32 s9, 0x33800000
	v_add_f32_e32 v3, v3, v7
	v_cmp_eq_f32_e32 vcc, s10, v53
	v_cmp_lt_f32_e64 s[10:11], |v53|, s9
	v_add_f32_e32 v3, v20, v3
	s_or_b64 vcc, vcc, s[10:11]
	v_cndmask_b32_e32 v3, v3, v53, vcc
	v_add_f32_e32 v3, v2, v3
.LBB512_354:
	s_or_b64 exec, exec, s[6:7]
	v_bfe_u32 v2, v3, 16, 1
	s_movk_i32 s9, 0x7fff
	v_add3_u32 v2, v3, v2, s9
	v_lshrrev_b32_e32 v6, 16, v2
	v_mov_b32_e32 v2, 0x7fc0
	v_cmp_o_f32_e32 vcc, v3, v3
	v_cndmask_b32_e32 v53, v2, v6, vcc
	v_lshlrev_b32_e32 v6, 16, v53
	v_max_f32_e32 v3, v6, v6
	v_min_f32_e32 v7, v3, v66
	v_cmp_u_f32_e32 vcc, v6, v6
	v_max_f32_e32 v3, v3, v66
	v_cndmask_b32_e32 v7, v7, v6, vcc
	v_cndmask_b32_e32 v3, v3, v6, vcc
	v_cndmask_b32_e64 v7, v7, v54, s[28:29]
	v_cndmask_b32_e64 v3, v3, v54, s[28:29]
	v_cmp_neq_f32_e32 vcc, v7, v3
	v_cmp_class_f32_e64 s[6:7], v7, s8
	s_or_b64 s[10:11], vcc, s[6:7]
	s_and_saveexec_b64 s[6:7], s[10:11]
	s_cbranch_execz .LBB512_356
; %bb.355:
	v_sub_f32_e32 v6, v7, v3
	s_mov_b32 s8, 0x3fb8aa3b
	v_mul_f32_e32 v7, 0x3fb8aa3b, v6
	v_fma_f32 v16, v6, s8, -v7
	v_rndne_f32_e32 v17, v7
	v_fmac_f32_e32 v16, 0x32a5705f, v6
	v_sub_f32_e32 v7, v7, v17
	v_add_f32_e32 v7, v7, v16
	v_exp_f32_e32 v7, v7
	v_cvt_i32_f32_e32 v16, v17
	s_mov_b32 s8, 0xc2ce8ed0
	v_cmp_ngt_f32_e32 vcc, s8, v6
	s_mov_b32 s8, 0x42b17218
	v_ldexp_f32 v7, v7, v16
	v_cndmask_b32_e32 v7, 0, v7, vcc
	v_mov_b32_e32 v16, 0x7f800000
	v_cmp_nlt_f32_e32 vcc, s8, v6
	v_cndmask_b32_e32 v64, v16, v7, vcc
	v_add_f32_e32 v16, 1.0, v64
	v_add_f32_e32 v6, -1.0, v16
	v_sub_f32_e32 v7, v6, v16
	v_add_f32_e32 v7, 1.0, v7
	v_sub_f32_e32 v6, v64, v6
	v_add_f32_e32 v17, v6, v7
	v_frexp_mant_f32_e32 v20, v16
	s_mov_b32 s8, 0x3f2aaaab
	v_cvt_f64_f32_e32 v[6:7], v16
	v_frexp_exp_i32_f64_e32 v6, v[6:7]
	v_cmp_gt_f32_e32 vcc, s8, v20
	v_subbrev_co_u32_e32 v54, vcc, 0, v6, vcc
	v_sub_u32_e32 v6, 0, v54
	v_ldexp_f32 v7, v16, v6
	v_add_f32_e32 v16, -1.0, v7
	v_add_f32_e32 v20, 1.0, v7
	v_ldexp_f32 v6, v17, v6
	v_add_f32_e32 v17, 1.0, v16
	v_add_f32_e32 v21, -1.0, v20
	v_sub_f32_e32 v17, v7, v17
	v_sub_f32_e32 v7, v7, v21
	v_add_f32_e32 v17, v6, v17
	v_add_f32_e32 v6, v6, v7
	;; [unrolled: 1-line block ×3, first 2 shown]
	v_rcp_f32_e32 v98, v55
	v_sub_f32_e32 v7, v20, v55
	v_add_f32_e32 v66, v6, v7
	v_add_f32_e32 v7, v16, v17
	v_mul_f32_e32 v100, v7, v98
	v_sub_f32_e32 v6, v16, v7
	v_mul_f32_e32 v16, v55, v100
	v_fma_f32 v20, v100, v55, -v16
	v_fmac_f32_e32 v20, v100, v66
	v_add_f32_e32 v99, v17, v6
	v_add_f32_e32 v6, v16, v20
	v_sub_f32_e32 v17, v7, v6
	v_pk_add_f32 v[22:23], v[6:7], v[16:17] neg_lo:[0,1] neg_hi:[0,1]
	v_mov_b32_e32 v21, v6
	v_pk_add_f32 v[6:7], v[22:23], v[20:21] neg_lo:[0,1] neg_hi:[0,1]
	v_add_f32_e32 v7, v99, v7
	v_add_f32_e32 v6, v6, v7
	;; [unrolled: 1-line block ×3, first 2 shown]
	v_mul_f32_e32 v99, v98, v7
	v_mul_f32_e32 v16, v55, v99
	v_fma_f32 v20, v99, v55, -v16
	v_fmac_f32_e32 v20, v99, v66
	v_sub_f32_e32 v17, v17, v7
	v_add_f32_e32 v55, v6, v17
	v_add_f32_e32 v6, v16, v20
	v_sub_f32_e32 v17, v7, v6
	v_pk_add_f32 v[22:23], v[6:7], v[16:17] neg_lo:[0,1] neg_hi:[0,1]
	v_mov_b32_e32 v21, v6
	v_pk_add_f32 v[6:7], v[22:23], v[20:21] neg_lo:[0,1] neg_hi:[0,1]
	v_add_f32_e32 v7, v55, v7
	v_add_f32_e32 v6, v6, v7
	;; [unrolled: 1-line block ×4, first 2 shown]
	v_sub_f32_e32 v7, v17, v100
	v_mul_f32_e32 v6, v98, v6
	v_sub_f32_e32 v7, v99, v7
	v_add_f32_e32 v6, v7, v6
	v_add_f32_e32 v20, v17, v6
	v_mul_f32_e32 v22, v20, v20
	v_mov_b32_e32 v16, 0x3ecc95a3
	v_fmac_f32_e32 v16, 0x3e9b6dac, v22
	v_mov_b32_e32 v7, 0x3f2aaada
	v_fmac_f32_e32 v7, v22, v16
	v_cvt_f32_i32_e32 v16, v54
	v_sub_f32_e32 v17, v20, v17
	v_sub_f32_e32 v6, v6, v17
	v_ldexp_f32 v23, v6, 1
	v_mul_f32_e32 v17, v20, v22
	v_mov_b32_e32 v6, 0x3f317218
	s_mov_b32 s8, 0x3f317218
	v_pk_mul_f32 v[6:7], v[16:17], v[6:7]
	v_ldexp_f32 v21, v20, 1
	v_fma_f32 v20, v16, s8, -v6
	v_fmac_f32_e32 v20, 0xb102e308, v16
	v_pk_add_f32 v[16:17], v[6:7], v[20:21]
	v_sub_f32_e32 v21, v17, v21
	v_sub_f32_e32 v21, v7, v21
	v_add_f32_e32 v23, v23, v21
	v_mov_b32_e32 v22, v6
	v_pk_add_f32 v[6:7], v[16:17], v[6:7] neg_lo:[0,1] neg_hi:[0,1]
	v_pk_add_f32 v[54:55], v[16:17], v[22:23]
	v_mov_b32_e32 v7, v55
	v_mov_b32_e32 v21, v16
	v_pk_add_f32 v[98:99], v[20:21], v[6:7] neg_lo:[0,1] neg_hi:[0,1]
	v_pk_add_f32 v[6:7], v[20:21], v[6:7]
	v_mov_b32_e32 v20, v7
	v_pk_add_f32 v[100:101], v[20:21], v[16:17] neg_lo:[0,1] neg_hi:[0,1]
	v_mov_b32_e32 v21, v100
	v_pk_add_f32 v[102:103], v[54:55], v[20:21] neg_lo:[0,1] neg_hi:[0,1]
	v_mov_b32_e32 v6, v55
	v_mov_b32_e32 v54, v17
	;; [unrolled: 1-line block ×4, first 2 shown]
	v_pk_add_f32 v[6:7], v[6:7], v[54:55] neg_lo:[0,1] neg_hi:[0,1]
	v_mov_b32_e32 v22, v23
	v_mov_b32_e32 v23, v16
	v_pk_add_f32 v[6:7], v[22:23], v[6:7] neg_lo:[0,1] neg_hi:[0,1]
	v_mov_b32_e32 v102, v98
	v_pk_add_f32 v[16:17], v[102:103], v[6:7]
	v_mov_b32_e32 v22, v17
	v_pk_add_f32 v[22:23], v[16:17], v[22:23]
	v_pk_add_f32 v[20:21], v[20:21], v[22:23]
	v_mov_b32_e32 v17, v20
	v_pk_add_f32 v[54:55], v[16:17], v[98:99] neg_lo:[0,1] neg_hi:[0,1]
	v_mov_b32_e32 v7, v22
	v_sub_f32_e32 v16, v16, v54
	v_pk_add_f32 v[6:7], v[6:7], v[54:55] neg_lo:[0,1] neg_hi:[0,1]
	v_sub_f32_e32 v16, v98, v16
	s_mov_b32 s10, 0x7f800000
	v_add_f32_e32 v6, v6, v16
	s_mov_b32 s8, 0x33800000
	v_add_f32_e32 v6, v6, v7
	v_cmp_eq_f32_e32 vcc, s10, v64
	v_cmp_lt_f32_e64 s[10:11], |v64|, s8
	v_add_f32_e32 v6, v20, v6
	s_or_b64 vcc, vcc, s[10:11]
	v_cndmask_b32_e32 v6, v6, v64, vcc
	v_add_f32_e32 v6, v3, v6
.LBB512_356:
	s_or_b64 exec, exec, s[6:7]
	v_bfe_u32 v3, v6, 16, 1
	v_add3_u32 v3, v6, v3, s9
	v_lshrrev_b32_e32 v3, 16, v3
	v_cmp_o_f32_e32 vcc, v6, v6
	v_cndmask_b32_e32 v54, v2, v3, vcc
	v_lshlrev_b32_e32 v3, 16, v54
	v_max_f32_e32 v2, v3, v3
	v_min_f32_e32 v6, v2, v67
	v_cmp_u_f32_e32 vcc, v3, v3
	v_max_f32_e32 v2, v2, v67
	v_cndmask_b32_e32 v6, v6, v3, vcc
	v_cndmask_b32_e32 v2, v2, v3, vcc
	v_cndmask_b32_e64 v6, v6, v18, s[30:31]
	v_cndmask_b32_e64 v2, v2, v18, s[30:31]
	s_movk_i32 s8, 0x1f8
	v_cmp_neq_f32_e32 vcc, v6, v2
	v_cmp_class_f32_e64 s[6:7], v6, s8
	s_or_b64 s[10:11], vcc, s[6:7]
	s_and_saveexec_b64 s[6:7], s[10:11]
	s_cbranch_execz .LBB512_358
; %bb.357:
	v_sub_f32_e32 v3, v6, v2
	s_mov_b32 s9, 0x3fb8aa3b
	v_mul_f32_e32 v6, 0x3fb8aa3b, v3
	v_fma_f32 v7, v3, s9, -v6
	v_rndne_f32_e32 v16, v6
	v_fmac_f32_e32 v7, 0x32a5705f, v3
	v_sub_f32_e32 v6, v6, v16
	v_add_f32_e32 v6, v6, v7
	v_exp_f32_e32 v6, v6
	v_cvt_i32_f32_e32 v7, v16
	s_mov_b32 s9, 0xc2ce8ed0
	v_cmp_ngt_f32_e32 vcc, s9, v3
	s_mov_b32 s9, 0x42b17218
	v_ldexp_f32 v6, v6, v7
	v_cndmask_b32_e32 v6, 0, v6, vcc
	v_mov_b32_e32 v7, 0x7f800000
	v_cmp_nlt_f32_e32 vcc, s9, v3
	v_cndmask_b32_e32 v55, v7, v6, vcc
	v_add_f32_e32 v3, 1.0, v55
	v_add_f32_e32 v6, -1.0, v3
	v_sub_f32_e32 v7, v6, v3
	v_add_f32_e32 v7, 1.0, v7
	v_sub_f32_e32 v6, v55, v6
	v_add_f32_e32 v16, v6, v7
	v_frexp_mant_f32_e32 v17, v3
	s_mov_b32 s9, 0x3f2aaaab
	v_cvt_f64_f32_e32 v[6:7], v3
	v_frexp_exp_i32_f64_e32 v6, v[6:7]
	v_cmp_gt_f32_e32 vcc, s9, v17
	v_subbrev_co_u32_e32 v18, vcc, 0, v6, vcc
	v_sub_u32_e32 v6, 0, v18
	v_ldexp_f32 v3, v3, v6
	v_ldexp_f32 v6, v16, v6
	v_add_f32_e32 v16, -1.0, v3
	v_add_f32_e32 v7, 1.0, v16
	v_sub_f32_e32 v7, v3, v7
	v_add_f32_e32 v17, v6, v7
	v_add_f32_e32 v7, 1.0, v3
	v_add_f32_e32 v20, -1.0, v7
	v_sub_f32_e32 v3, v3, v20
	v_add_f32_e32 v3, v6, v3
	v_add_f32_e32 v64, v7, v3
	v_rcp_f32_e32 v66, v64
	v_sub_f32_e32 v6, v7, v64
	v_add_f32_e32 v7, v16, v17
	v_add_f32_e32 v3, v3, v6
	v_mul_f32_e32 v98, v7, v66
	v_sub_f32_e32 v6, v16, v7
	v_mul_f32_e32 v16, v64, v98
	v_fma_f32 v20, v98, v64, -v16
	v_fmac_f32_e32 v20, v98, v3
	v_add_f32_e32 v67, v17, v6
	v_add_f32_e32 v6, v16, v20
	v_sub_f32_e32 v17, v7, v6
	v_pk_add_f32 v[22:23], v[6:7], v[16:17] neg_lo:[0,1] neg_hi:[0,1]
	v_mov_b32_e32 v21, v6
	v_pk_add_f32 v[6:7], v[22:23], v[20:21] neg_lo:[0,1] neg_hi:[0,1]
	v_add_f32_e32 v7, v67, v7
	v_add_f32_e32 v6, v6, v7
	;; [unrolled: 1-line block ×3, first 2 shown]
	v_mul_f32_e32 v67, v66, v7
	v_mul_f32_e32 v16, v64, v67
	v_fma_f32 v20, v67, v64, -v16
	v_fmac_f32_e32 v20, v67, v3
	v_sub_f32_e32 v3, v17, v7
	v_add_f32_e32 v3, v6, v3
	v_add_f32_e32 v6, v16, v20
	v_sub_f32_e32 v17, v7, v6
	v_pk_add_f32 v[22:23], v[6:7], v[16:17] neg_lo:[0,1] neg_hi:[0,1]
	v_mov_b32_e32 v21, v6
	v_pk_add_f32 v[6:7], v[22:23], v[20:21] neg_lo:[0,1] neg_hi:[0,1]
	v_add_f32_e32 v3, v3, v7
	v_add_f32_e32 v3, v6, v3
	;; [unrolled: 1-line block ×4, first 2 shown]
	v_sub_f32_e32 v7, v6, v98
	v_mul_f32_e32 v3, v66, v3
	v_sub_f32_e32 v7, v67, v7
	v_add_f32_e32 v3, v7, v3
	v_add_f32_e32 v17, v6, v3
	v_mul_f32_e32 v20, v17, v17
	v_mov_b32_e32 v16, 0x3ecc95a3
	v_fmac_f32_e32 v16, 0x3e9b6dac, v20
	v_mov_b32_e32 v7, 0x3f2aaada
	v_fmac_f32_e32 v7, v20, v16
	v_cvt_f32_i32_e32 v16, v18
	v_sub_f32_e32 v6, v17, v6
	v_sub_f32_e32 v3, v3, v6
	v_ldexp_f32 v21, v17, 1
	v_mul_f32_e32 v17, v17, v20
	v_mov_b32_e32 v6, 0x3f317218
	s_mov_b32 s9, 0x3f317218
	v_pk_mul_f32 v[6:7], v[16:17], v[6:7]
	v_fma_f32 v20, v16, s9, -v6
	v_fmac_f32_e32 v20, 0xb102e308, v16
	v_pk_add_f32 v[16:17], v[6:7], v[20:21]
	v_sub_f32_e32 v18, v17, v21
	v_ldexp_f32 v3, v3, 1
	v_sub_f32_e32 v18, v7, v18
	v_add_f32_e32 v23, v3, v18
	v_mov_b32_e32 v22, v6
	v_pk_add_f32 v[6:7], v[16:17], v[6:7] neg_lo:[0,1] neg_hi:[0,1]
	v_pk_add_f32 v[66:67], v[16:17], v[22:23]
	v_mov_b32_e32 v7, v67
	v_mov_b32_e32 v21, v16
	v_pk_add_f32 v[98:99], v[20:21], v[6:7] neg_lo:[0,1] neg_hi:[0,1]
	v_pk_add_f32 v[6:7], v[20:21], v[6:7]
	v_mov_b32_e32 v18, v7
	v_pk_add_f32 v[20:21], v[18:19], v[16:17] neg_lo:[0,1] neg_hi:[0,1]
	v_mov_b32_e32 v3, v20
	v_pk_add_f32 v[100:101], v[66:67], v[2:3] neg_lo:[0,1] neg_hi:[0,1]
	v_mov_b32_e32 v6, v67
	v_mov_b32_e32 v66, v17
	;; [unrolled: 1-line block ×4, first 2 shown]
	v_pk_add_f32 v[6:7], v[6:7], v[66:67] neg_lo:[0,1] neg_hi:[0,1]
	v_mov_b32_e32 v20, v23
	v_mov_b32_e32 v21, v16
	v_pk_add_f32 v[6:7], v[20:21], v[6:7] neg_lo:[0,1] neg_hi:[0,1]
	v_mov_b32_e32 v100, v98
	v_pk_add_f32 v[16:17], v[100:101], v[6:7]
	v_mov_b32_e32 v20, v17
	v_pk_add_f32 v[20:21], v[16:17], v[20:21]
	v_pk_add_f32 v[22:23], v[18:19], v[20:21]
	v_mov_b32_e32 v17, v22
	v_pk_add_f32 v[66:67], v[16:17], v[98:99] neg_lo:[0,1] neg_hi:[0,1]
	v_mov_b32_e32 v7, v20
	v_sub_f32_e32 v3, v16, v66
	v_pk_add_f32 v[6:7], v[6:7], v[66:67] neg_lo:[0,1] neg_hi:[0,1]
	v_sub_f32_e32 v3, v98, v3
	s_mov_b32 s10, 0x7f800000
	v_add_f32_e32 v3, v6, v3
	s_mov_b32 s9, 0x33800000
	v_add_f32_e32 v3, v3, v7
	v_cmp_eq_f32_e32 vcc, s10, v55
	v_cmp_lt_f32_e64 s[10:11], |v55|, s9
	v_add_f32_e32 v3, v22, v3
	s_or_b64 vcc, vcc, s[10:11]
	v_cndmask_b32_e32 v3, v3, v55, vcc
	v_add_f32_e32 v3, v2, v3
.LBB512_358:
	s_or_b64 exec, exec, s[6:7]
	v_bfe_u32 v2, v3, 16, 1
	s_movk_i32 s9, 0x7fff
	v_add3_u32 v2, v3, v2, s9
	v_lshrrev_b32_e32 v6, 16, v2
	v_mov_b32_e32 v2, 0x7fc0
	v_cmp_o_f32_e32 vcc, v3, v3
	v_cndmask_b32_e32 v55, v2, v6, vcc
	v_lshlrev_b32_e32 v6, 16, v55
	v_max_f32_e32 v3, v6, v6
	v_min_f32_e32 v7, v3, v69
	v_cmp_u_f32_e32 vcc, v6, v6
	v_max_f32_e32 v3, v3, v69
	v_cndmask_b32_e32 v7, v7, v6, vcc
	v_cndmask_b32_e32 v3, v3, v6, vcc
	v_cndmask_b32_e64 v7, v7, v65, s[34:35]
	v_cndmask_b32_e64 v3, v3, v65, s[34:35]
	v_cmp_neq_f32_e32 vcc, v7, v3
	v_cmp_class_f32_e64 s[6:7], v7, s8
	s_or_b64 s[10:11], vcc, s[6:7]
	s_and_saveexec_b64 s[6:7], s[10:11]
	s_cbranch_execz .LBB512_360
; %bb.359:
	v_sub_f32_e32 v6, v7, v3
	s_mov_b32 s8, 0x3fb8aa3b
	v_mul_f32_e32 v7, 0x3fb8aa3b, v6
	v_fma_f32 v16, v6, s8, -v7
	v_rndne_f32_e32 v17, v7
	v_fmac_f32_e32 v16, 0x32a5705f, v6
	v_sub_f32_e32 v7, v7, v17
	v_add_f32_e32 v7, v7, v16
	v_exp_f32_e32 v7, v7
	v_cvt_i32_f32_e32 v16, v17
	s_mov_b32 s8, 0xc2ce8ed0
	v_cmp_ngt_f32_e32 vcc, s8, v6
	s_mov_b32 s8, 0x42b17218
	v_ldexp_f32 v7, v7, v16
	v_cndmask_b32_e32 v7, 0, v7, vcc
	v_mov_b32_e32 v16, 0x7f800000
	v_cmp_nlt_f32_e32 vcc, s8, v6
	v_cndmask_b32_e32 v69, v16, v7, vcc
	v_add_f32_e32 v16, 1.0, v69
	v_add_f32_e32 v6, -1.0, v16
	v_sub_f32_e32 v7, v6, v16
	v_add_f32_e32 v7, 1.0, v7
	v_sub_f32_e32 v6, v69, v6
	v_add_f32_e32 v17, v6, v7
	v_frexp_mant_f32_e32 v18, v16
	s_mov_b32 s8, 0x3f2aaaab
	v_cvt_f64_f32_e32 v[6:7], v16
	v_frexp_exp_i32_f64_e32 v6, v[6:7]
	v_cmp_gt_f32_e32 vcc, s8, v18
	v_subbrev_co_u32_e32 v18, vcc, 0, v6, vcc
	v_sub_u32_e32 v6, 0, v18
	v_ldexp_f32 v7, v16, v6
	v_add_f32_e32 v16, -1.0, v7
	v_add_f32_e32 v20, 1.0, v7
	v_ldexp_f32 v6, v17, v6
	v_add_f32_e32 v17, 1.0, v16
	v_add_f32_e32 v21, -1.0, v20
	v_sub_f32_e32 v17, v7, v17
	v_sub_f32_e32 v7, v7, v21
	v_add_f32_e32 v17, v6, v17
	v_add_f32_e32 v6, v6, v7
	;; [unrolled: 1-line block ×3, first 2 shown]
	v_rcp_f32_e32 v66, v64
	v_sub_f32_e32 v7, v20, v64
	v_add_f32_e32 v65, v6, v7
	v_add_f32_e32 v7, v16, v17
	v_mul_f32_e32 v98, v7, v66
	v_sub_f32_e32 v6, v16, v7
	v_mul_f32_e32 v16, v64, v98
	v_fma_f32 v20, v98, v64, -v16
	v_fmac_f32_e32 v20, v98, v65
	v_add_f32_e32 v67, v17, v6
	v_add_f32_e32 v6, v16, v20
	v_sub_f32_e32 v17, v7, v6
	v_pk_add_f32 v[22:23], v[6:7], v[16:17] neg_lo:[0,1] neg_hi:[0,1]
	v_mov_b32_e32 v21, v6
	v_pk_add_f32 v[6:7], v[22:23], v[20:21] neg_lo:[0,1] neg_hi:[0,1]
	v_add_f32_e32 v7, v67, v7
	v_add_f32_e32 v6, v6, v7
	;; [unrolled: 1-line block ×3, first 2 shown]
	v_mul_f32_e32 v67, v66, v7
	v_mul_f32_e32 v16, v64, v67
	v_fma_f32 v20, v67, v64, -v16
	v_fmac_f32_e32 v20, v67, v65
	v_sub_f32_e32 v17, v17, v7
	v_add_f32_e32 v64, v6, v17
	v_add_f32_e32 v6, v16, v20
	v_sub_f32_e32 v17, v7, v6
	v_pk_add_f32 v[22:23], v[6:7], v[16:17] neg_lo:[0,1] neg_hi:[0,1]
	v_mov_b32_e32 v21, v6
	v_pk_add_f32 v[6:7], v[22:23], v[20:21] neg_lo:[0,1] neg_hi:[0,1]
	v_add_f32_e32 v7, v64, v7
	v_add_f32_e32 v6, v6, v7
	;; [unrolled: 1-line block ×4, first 2 shown]
	v_sub_f32_e32 v7, v17, v98
	v_mul_f32_e32 v6, v66, v6
	v_sub_f32_e32 v7, v67, v7
	v_add_f32_e32 v6, v7, v6
	v_add_f32_e32 v20, v17, v6
	v_mul_f32_e32 v22, v20, v20
	v_mov_b32_e32 v16, 0x3ecc95a3
	v_fmac_f32_e32 v16, 0x3e9b6dac, v22
	v_mov_b32_e32 v7, 0x3f2aaada
	v_fmac_f32_e32 v7, v22, v16
	v_cvt_f32_i32_e32 v16, v18
	v_sub_f32_e32 v17, v20, v17
	v_sub_f32_e32 v6, v6, v17
	v_ldexp_f32 v18, v6, 1
	v_mul_f32_e32 v17, v20, v22
	v_mov_b32_e32 v6, 0x3f317218
	s_mov_b32 s8, 0x3f317218
	v_pk_mul_f32 v[6:7], v[16:17], v[6:7]
	v_ldexp_f32 v21, v20, 1
	v_fma_f32 v20, v16, s8, -v6
	v_fmac_f32_e32 v20, 0xb102e308, v16
	v_pk_add_f32 v[16:17], v[6:7], v[20:21]
	v_sub_f32_e32 v21, v17, v21
	v_sub_f32_e32 v21, v7, v21
	v_add_f32_e32 v23, v18, v21
	v_mov_b32_e32 v22, v6
	v_pk_add_f32 v[6:7], v[16:17], v[6:7] neg_lo:[0,1] neg_hi:[0,1]
	v_pk_add_f32 v[64:65], v[16:17], v[22:23]
	v_mov_b32_e32 v7, v65
	v_mov_b32_e32 v21, v16
	v_pk_add_f32 v[66:67], v[20:21], v[6:7] neg_lo:[0,1] neg_hi:[0,1]
	v_pk_add_f32 v[6:7], v[20:21], v[6:7]
	v_mov_b32_e32 v18, v7
	v_pk_add_f32 v[20:21], v[18:19], v[16:17] neg_lo:[0,1] neg_hi:[0,1]
	v_mov_b32_e32 v21, v20
	v_pk_add_f32 v[98:99], v[64:65], v[20:21] neg_lo:[0,1] neg_hi:[0,1]
	v_mov_b32_e32 v6, v65
	v_mov_b32_e32 v64, v17
	;; [unrolled: 1-line block ×4, first 2 shown]
	v_pk_add_f32 v[6:7], v[6:7], v[64:65] neg_lo:[0,1] neg_hi:[0,1]
	v_mov_b32_e32 v20, v23
	v_mov_b32_e32 v21, v16
	v_pk_add_f32 v[6:7], v[20:21], v[6:7] neg_lo:[0,1] neg_hi:[0,1]
	v_mov_b32_e32 v98, v66
	v_pk_add_f32 v[16:17], v[98:99], v[6:7]
	v_mov_b32_e32 v20, v17
	v_pk_add_f32 v[20:21], v[16:17], v[20:21]
	v_pk_add_f32 v[22:23], v[18:19], v[20:21]
	v_mov_b32_e32 v17, v22
	v_pk_add_f32 v[64:65], v[16:17], v[66:67] neg_lo:[0,1] neg_hi:[0,1]
	v_mov_b32_e32 v7, v20
	v_sub_f32_e32 v16, v16, v64
	v_pk_add_f32 v[6:7], v[6:7], v[64:65] neg_lo:[0,1] neg_hi:[0,1]
	v_sub_f32_e32 v16, v66, v16
	s_mov_b32 s10, 0x7f800000
	v_add_f32_e32 v6, v6, v16
	s_mov_b32 s8, 0x33800000
	v_add_f32_e32 v6, v6, v7
	v_cmp_eq_f32_e32 vcc, s10, v69
	v_cmp_lt_f32_e64 s[10:11], |v69|, s8
	v_add_f32_e32 v6, v22, v6
	s_or_b64 vcc, vcc, s[10:11]
	v_cndmask_b32_e32 v6, v6, v69, vcc
	v_add_f32_e32 v6, v3, v6
.LBB512_360:
	s_or_b64 exec, exec, s[6:7]
	v_bfe_u32 v3, v6, 16, 1
	v_add3_u32 v3, v6, v3, s9
	v_lshrrev_b32_e32 v3, 16, v3
	v_cmp_o_f32_e32 vcc, v6, v6
	v_cndmask_b32_e32 v64, v2, v3, vcc
	v_lshlrev_b32_e32 v3, 16, v64
	v_max_f32_e32 v2, v3, v3
	v_min_f32_e32 v6, v2, v70
	v_cmp_u_f32_e32 vcc, v3, v3
	v_max_f32_e32 v2, v2, v70
	v_cndmask_b32_e32 v6, v6, v3, vcc
	v_cndmask_b32_e32 v2, v2, v3, vcc
	v_cndmask_b32_e64 v6, v6, v19, s[36:37]
	v_cndmask_b32_e64 v2, v2, v19, s[36:37]
	s_movk_i32 s8, 0x1f8
	v_cmp_neq_f32_e32 vcc, v6, v2
	v_cmp_class_f32_e64 s[6:7], v6, s8
	s_or_b64 s[10:11], vcc, s[6:7]
	s_and_saveexec_b64 s[6:7], s[10:11]
	s_cbranch_execz .LBB512_362
; %bb.361:
	v_sub_f32_e32 v3, v6, v2
	s_mov_b32 s9, 0x3fb8aa3b
	v_mul_f32_e32 v6, 0x3fb8aa3b, v3
	v_fma_f32 v7, v3, s9, -v6
	v_rndne_f32_e32 v16, v6
	v_fmac_f32_e32 v7, 0x32a5705f, v3
	v_sub_f32_e32 v6, v6, v16
	v_add_f32_e32 v6, v6, v7
	v_exp_f32_e32 v6, v6
	v_cvt_i32_f32_e32 v7, v16
	s_mov_b32 s9, 0xc2ce8ed0
	v_cmp_ngt_f32_e32 vcc, s9, v3
	s_mov_b32 s9, 0x42b17218
	v_ldexp_f32 v6, v6, v7
	v_cndmask_b32_e32 v6, 0, v6, vcc
	v_mov_b32_e32 v7, 0x7f800000
	v_cmp_nlt_f32_e32 vcc, s9, v3
	v_cndmask_b32_e32 v65, v7, v6, vcc
	v_add_f32_e32 v3, 1.0, v65
	v_add_f32_e32 v6, -1.0, v3
	v_sub_f32_e32 v7, v6, v3
	v_add_f32_e32 v7, 1.0, v7
	v_sub_f32_e32 v6, v65, v6
	v_add_f32_e32 v16, v6, v7
	v_frexp_mant_f32_e32 v17, v3
	s_mov_b32 s9, 0x3f2aaaab
	v_cvt_f64_f32_e32 v[6:7], v3
	v_frexp_exp_i32_f64_e32 v6, v[6:7]
	v_cmp_gt_f32_e32 vcc, s9, v17
	v_subbrev_co_u32_e32 v22, vcc, 0, v6, vcc
	v_sub_u32_e32 v6, 0, v22
	v_ldexp_f32 v3, v3, v6
	v_ldexp_f32 v6, v16, v6
	v_add_f32_e32 v16, -1.0, v3
	v_add_f32_e32 v7, 1.0, v16
	v_sub_f32_e32 v7, v3, v7
	v_add_f32_e32 v17, v6, v7
	v_add_f32_e32 v7, 1.0, v3
	v_add_f32_e32 v18, -1.0, v7
	v_sub_f32_e32 v3, v3, v18
	v_add_f32_e32 v3, v6, v3
	v_add_f32_e32 v23, v7, v3
	v_rcp_f32_e32 v66, v23
	v_sub_f32_e32 v6, v7, v23
	v_add_f32_e32 v7, v16, v17
	v_add_f32_e32 v3, v3, v6
	v_mul_f32_e32 v69, v7, v66
	v_sub_f32_e32 v6, v16, v7
	v_mul_f32_e32 v16, v23, v69
	v_fma_f32 v18, v69, v23, -v16
	v_fmac_f32_e32 v18, v69, v3
	v_add_f32_e32 v67, v17, v6
	v_add_f32_e32 v6, v16, v18
	v_sub_f32_e32 v17, v7, v6
	v_pk_add_f32 v[20:21], v[6:7], v[16:17] neg_lo:[0,1] neg_hi:[0,1]
	v_mov_b32_e32 v19, v6
	v_pk_add_f32 v[6:7], v[20:21], v[18:19] neg_lo:[0,1] neg_hi:[0,1]
	v_add_f32_e32 v7, v67, v7
	v_add_f32_e32 v6, v6, v7
	;; [unrolled: 1-line block ×3, first 2 shown]
	v_mul_f32_e32 v67, v66, v7
	v_mul_f32_e32 v16, v23, v67
	v_fma_f32 v18, v67, v23, -v16
	v_fmac_f32_e32 v18, v67, v3
	v_sub_f32_e32 v3, v17, v7
	v_add_f32_e32 v3, v6, v3
	v_add_f32_e32 v6, v16, v18
	v_sub_f32_e32 v17, v7, v6
	v_pk_add_f32 v[20:21], v[6:7], v[16:17] neg_lo:[0,1] neg_hi:[0,1]
	v_mov_b32_e32 v19, v6
	v_pk_add_f32 v[6:7], v[20:21], v[18:19] neg_lo:[0,1] neg_hi:[0,1]
	v_add_f32_e32 v3, v3, v7
	v_add_f32_e32 v3, v6, v3
	v_add_f32_e32 v6, v69, v67
	v_add_f32_e32 v3, v17, v3
	v_sub_f32_e32 v7, v6, v69
	v_mul_f32_e32 v3, v66, v3
	v_sub_f32_e32 v7, v67, v7
	v_add_f32_e32 v3, v7, v3
	v_add_f32_e32 v17, v6, v3
	v_mul_f32_e32 v18, v17, v17
	v_mov_b32_e32 v16, 0x3ecc95a3
	v_fmac_f32_e32 v16, 0x3e9b6dac, v18
	v_mov_b32_e32 v7, 0x3f2aaada
	v_fmac_f32_e32 v7, v18, v16
	v_cvt_f32_i32_e32 v16, v22
	v_sub_f32_e32 v6, v17, v6
	v_sub_f32_e32 v3, v3, v6
	v_ldexp_f32 v19, v17, 1
	v_mul_f32_e32 v17, v17, v18
	v_mov_b32_e32 v6, 0x3f317218
	s_mov_b32 s9, 0x3f317218
	v_pk_mul_f32 v[6:7], v[16:17], v[6:7]
	v_fma_f32 v18, v16, s9, -v6
	v_fmac_f32_e32 v18, 0xb102e308, v16
	v_pk_add_f32 v[16:17], v[6:7], v[18:19]
	v_sub_f32_e32 v19, v17, v19
	v_ldexp_f32 v3, v3, 1
	v_sub_f32_e32 v19, v7, v19
	v_add_f32_e32 v21, v3, v19
	v_mov_b32_e32 v20, v6
	v_pk_add_f32 v[6:7], v[16:17], v[6:7] neg_lo:[0,1] neg_hi:[0,1]
	v_pk_add_f32 v[22:23], v[16:17], v[20:21]
	v_mov_b32_e32 v7, v23
	v_mov_b32_e32 v19, v16
	v_pk_add_f32 v[66:67], v[18:19], v[6:7] neg_lo:[0,1] neg_hi:[0,1]
	v_pk_add_f32 v[6:7], v[18:19], v[6:7]
	v_mov_b32_e32 v18, v7
	v_pk_add_f32 v[98:99], v[18:19], v[16:17] neg_lo:[0,1] neg_hi:[0,1]
	v_mov_b32_e32 v3, v98
	v_pk_add_f32 v[100:101], v[22:23], v[2:3] neg_lo:[0,1] neg_hi:[0,1]
	v_mov_b32_e32 v6, v23
	v_mov_b32_e32 v22, v17
	;; [unrolled: 1-line block ×4, first 2 shown]
	v_pk_add_f32 v[6:7], v[6:7], v[22:23] neg_lo:[0,1] neg_hi:[0,1]
	v_mov_b32_e32 v20, v21
	v_mov_b32_e32 v21, v16
	v_pk_add_f32 v[6:7], v[20:21], v[6:7] neg_lo:[0,1] neg_hi:[0,1]
	v_mov_b32_e32 v100, v66
	v_pk_add_f32 v[16:17], v[100:101], v[6:7]
	v_mov_b32_e32 v20, v17
	v_pk_add_f32 v[20:21], v[16:17], v[20:21]
	v_pk_add_f32 v[18:19], v[18:19], v[20:21]
	v_mov_b32_e32 v17, v18
	v_pk_add_f32 v[22:23], v[16:17], v[66:67] neg_lo:[0,1] neg_hi:[0,1]
	v_mov_b32_e32 v7, v20
	v_sub_f32_e32 v3, v16, v22
	v_pk_add_f32 v[6:7], v[6:7], v[22:23] neg_lo:[0,1] neg_hi:[0,1]
	v_sub_f32_e32 v3, v66, v3
	s_mov_b32 s10, 0x7f800000
	v_add_f32_e32 v3, v6, v3
	s_mov_b32 s9, 0x33800000
	v_add_f32_e32 v3, v3, v7
	v_cmp_eq_f32_e32 vcc, s10, v65
	v_cmp_lt_f32_e64 s[10:11], |v65|, s9
	v_add_f32_e32 v3, v18, v3
	s_or_b64 vcc, vcc, s[10:11]
	v_cndmask_b32_e32 v3, v3, v65, vcc
	v_add_f32_e32 v3, v2, v3
.LBB512_362:
	s_or_b64 exec, exec, s[6:7]
	v_bfe_u32 v2, v3, 16, 1
	s_movk_i32 s9, 0x7fff
	v_add3_u32 v2, v3, v2, s9
	v_lshrrev_b32_e32 v6, 16, v2
	v_mov_b32_e32 v2, 0x7fc0
	v_cmp_o_f32_e32 vcc, v3, v3
	v_cndmask_b32_e32 v65, v2, v6, vcc
	v_lshlrev_b32_e32 v6, 16, v65
	v_max_f32_e32 v3, v6, v6
	v_min_f32_e32 v7, v3, v80
	v_cmp_u_f32_e32 vcc, v6, v6
	v_max_f32_e32 v3, v3, v80
	v_cndmask_b32_e32 v7, v7, v6, vcc
	v_cndmask_b32_e32 v3, v3, v6, vcc
	v_cndmask_b32_e64 v7, v7, v68, s[38:39]
	v_cndmask_b32_e64 v3, v3, v68, s[38:39]
	v_cmp_neq_f32_e32 vcc, v7, v3
	v_cmp_class_f32_e64 s[6:7], v7, s8
	s_or_b64 s[10:11], vcc, s[6:7]
	s_and_saveexec_b64 s[6:7], s[10:11]
	s_cbranch_execz .LBB512_364
; %bb.363:
	v_sub_f32_e32 v6, v7, v3
	s_mov_b32 s8, 0x3fb8aa3b
	v_mul_f32_e32 v7, 0x3fb8aa3b, v6
	v_fma_f32 v16, v6, s8, -v7
	v_rndne_f32_e32 v17, v7
	v_fmac_f32_e32 v16, 0x32a5705f, v6
	v_sub_f32_e32 v7, v7, v17
	v_add_f32_e32 v7, v7, v16
	v_exp_f32_e32 v7, v7
	v_cvt_i32_f32_e32 v16, v17
	s_mov_b32 s8, 0xc2ce8ed0
	v_cmp_ngt_f32_e32 vcc, s8, v6
	s_mov_b32 s8, 0x42b17218
	v_ldexp_f32 v7, v7, v16
	v_cndmask_b32_e32 v7, 0, v7, vcc
	v_mov_b32_e32 v16, 0x7f800000
	v_cmp_nlt_f32_e32 vcc, s8, v6
	v_cndmask_b32_e32 v70, v16, v7, vcc
	v_add_f32_e32 v16, 1.0, v70
	v_add_f32_e32 v6, -1.0, v16
	v_sub_f32_e32 v7, v6, v16
	v_add_f32_e32 v7, 1.0, v7
	v_sub_f32_e32 v6, v70, v6
	v_add_f32_e32 v17, v6, v7
	v_frexp_mant_f32_e32 v18, v16
	s_mov_b32 s8, 0x3f2aaaab
	v_cvt_f64_f32_e32 v[6:7], v16
	v_frexp_exp_i32_f64_e32 v6, v[6:7]
	v_cmp_gt_f32_e32 vcc, s8, v18
	v_subbrev_co_u32_e32 v22, vcc, 0, v6, vcc
	v_sub_u32_e32 v6, 0, v22
	v_ldexp_f32 v7, v16, v6
	v_add_f32_e32 v16, -1.0, v7
	v_add_f32_e32 v18, 1.0, v7
	v_ldexp_f32 v6, v17, v6
	v_add_f32_e32 v17, 1.0, v16
	v_add_f32_e32 v19, -1.0, v18
	v_sub_f32_e32 v17, v7, v17
	v_sub_f32_e32 v7, v7, v19
	v_add_f32_e32 v17, v6, v17
	v_add_f32_e32 v6, v6, v7
	v_add_f32_e32 v23, v18, v6
	v_rcp_f32_e32 v67, v23
	v_sub_f32_e32 v7, v18, v23
	v_add_f32_e32 v66, v6, v7
	v_add_f32_e32 v7, v16, v17
	v_mul_f32_e32 v69, v7, v67
	v_sub_f32_e32 v6, v16, v7
	v_mul_f32_e32 v16, v23, v69
	v_fma_f32 v18, v69, v23, -v16
	v_fmac_f32_e32 v18, v69, v66
	v_add_f32_e32 v68, v17, v6
	v_add_f32_e32 v6, v16, v18
	v_sub_f32_e32 v17, v7, v6
	v_pk_add_f32 v[20:21], v[6:7], v[16:17] neg_lo:[0,1] neg_hi:[0,1]
	v_mov_b32_e32 v19, v6
	v_pk_add_f32 v[6:7], v[20:21], v[18:19] neg_lo:[0,1] neg_hi:[0,1]
	v_add_f32_e32 v7, v68, v7
	v_add_f32_e32 v6, v6, v7
	;; [unrolled: 1-line block ×3, first 2 shown]
	v_mul_f32_e32 v68, v67, v7
	v_mul_f32_e32 v16, v23, v68
	v_fma_f32 v18, v68, v23, -v16
	v_fmac_f32_e32 v18, v68, v66
	v_sub_f32_e32 v17, v17, v7
	v_add_f32_e32 v23, v6, v17
	v_add_f32_e32 v6, v16, v18
	v_sub_f32_e32 v17, v7, v6
	v_pk_add_f32 v[20:21], v[6:7], v[16:17] neg_lo:[0,1] neg_hi:[0,1]
	v_mov_b32_e32 v19, v6
	v_pk_add_f32 v[6:7], v[20:21], v[18:19] neg_lo:[0,1] neg_hi:[0,1]
	v_add_f32_e32 v7, v23, v7
	v_add_f32_e32 v6, v6, v7
	;; [unrolled: 1-line block ×4, first 2 shown]
	v_sub_f32_e32 v7, v17, v69
	v_mul_f32_e32 v6, v67, v6
	v_sub_f32_e32 v7, v68, v7
	v_add_f32_e32 v6, v7, v6
	v_add_f32_e32 v18, v17, v6
	v_mul_f32_e32 v20, v18, v18
	v_mov_b32_e32 v16, 0x3ecc95a3
	v_fmac_f32_e32 v16, 0x3e9b6dac, v20
	v_mov_b32_e32 v7, 0x3f2aaada
	v_fmac_f32_e32 v7, v20, v16
	v_cvt_f32_i32_e32 v16, v22
	v_sub_f32_e32 v17, v18, v17
	v_sub_f32_e32 v6, v6, v17
	v_ldexp_f32 v21, v6, 1
	v_mul_f32_e32 v17, v18, v20
	v_mov_b32_e32 v6, 0x3f317218
	s_mov_b32 s8, 0x3f317218
	v_pk_mul_f32 v[6:7], v[16:17], v[6:7]
	v_ldexp_f32 v19, v18, 1
	v_fma_f32 v18, v16, s8, -v6
	v_fmac_f32_e32 v18, 0xb102e308, v16
	v_pk_add_f32 v[16:17], v[6:7], v[18:19]
	v_sub_f32_e32 v19, v17, v19
	v_sub_f32_e32 v19, v7, v19
	v_add_f32_e32 v21, v21, v19
	v_mov_b32_e32 v20, v6
	v_pk_add_f32 v[6:7], v[16:17], v[6:7] neg_lo:[0,1] neg_hi:[0,1]
	v_pk_add_f32 v[22:23], v[16:17], v[20:21]
	v_mov_b32_e32 v7, v23
	v_mov_b32_e32 v19, v16
	v_pk_add_f32 v[66:67], v[18:19], v[6:7] neg_lo:[0,1] neg_hi:[0,1]
	v_pk_add_f32 v[6:7], v[18:19], v[6:7]
	v_mov_b32_e32 v18, v7
	v_pk_add_f32 v[68:69], v[18:19], v[16:17] neg_lo:[0,1] neg_hi:[0,1]
	v_mov_b32_e32 v19, v68
	v_pk_add_f32 v[98:99], v[22:23], v[18:19] neg_lo:[0,1] neg_hi:[0,1]
	v_mov_b32_e32 v6, v23
	v_mov_b32_e32 v22, v17
	;; [unrolled: 1-line block ×4, first 2 shown]
	v_pk_add_f32 v[6:7], v[6:7], v[22:23] neg_lo:[0,1] neg_hi:[0,1]
	v_mov_b32_e32 v20, v21
	v_mov_b32_e32 v21, v16
	v_pk_add_f32 v[6:7], v[20:21], v[6:7] neg_lo:[0,1] neg_hi:[0,1]
	v_mov_b32_e32 v98, v66
	v_pk_add_f32 v[16:17], v[98:99], v[6:7]
	v_mov_b32_e32 v20, v17
	v_pk_add_f32 v[20:21], v[16:17], v[20:21]
	v_pk_add_f32 v[18:19], v[18:19], v[20:21]
	v_mov_b32_e32 v17, v18
	v_pk_add_f32 v[22:23], v[16:17], v[66:67] neg_lo:[0,1] neg_hi:[0,1]
	v_mov_b32_e32 v7, v20
	v_sub_f32_e32 v16, v16, v22
	v_pk_add_f32 v[6:7], v[6:7], v[22:23] neg_lo:[0,1] neg_hi:[0,1]
	v_sub_f32_e32 v16, v66, v16
	s_mov_b32 s10, 0x7f800000
	v_add_f32_e32 v6, v6, v16
	s_mov_b32 s8, 0x33800000
	v_add_f32_e32 v6, v6, v7
	v_cmp_eq_f32_e32 vcc, s10, v70
	v_cmp_lt_f32_e64 s[10:11], |v70|, s8
	v_add_f32_e32 v6, v18, v6
	s_or_b64 vcc, vcc, s[10:11]
	v_cndmask_b32_e32 v6, v6, v70, vcc
	v_add_f32_e32 v6, v3, v6
.LBB512_364:
	s_or_b64 exec, exec, s[6:7]
	v_bfe_u32 v3, v6, 16, 1
	v_add3_u32 v3, v6, v3, s9
	v_lshrrev_b32_e32 v3, 16, v3
	v_cmp_o_f32_e32 vcc, v6, v6
	v_cndmask_b32_e32 v66, v2, v3, vcc
	v_lshlrev_b32_e32 v3, 16, v66
	v_max_f32_e32 v2, v3, v3
	v_min_f32_e32 v6, v2, v81
	v_cmp_u_f32_e32 vcc, v3, v3
	v_max_f32_e32 v2, v2, v81
	v_cndmask_b32_e32 v6, v6, v3, vcc
	v_cndmask_b32_e32 v2, v2, v3, vcc
	v_cndmask_b32_e64 v6, v6, v12, s[40:41]
	v_cndmask_b32_e64 v2, v2, v12, s[40:41]
	s_movk_i32 s8, 0x1f8
	v_cmp_neq_f32_e32 vcc, v6, v2
	v_cmp_class_f32_e64 s[6:7], v6, s8
	s_or_b64 s[10:11], vcc, s[6:7]
	s_and_saveexec_b64 s[6:7], s[10:11]
	s_cbranch_execz .LBB512_366
; %bb.365:
	v_sub_f32_e32 v3, v6, v2
	s_mov_b32 s9, 0x3fb8aa3b
	v_mul_f32_e32 v6, 0x3fb8aa3b, v3
	v_fma_f32 v7, v3, s9, -v6
	v_rndne_f32_e32 v12, v6
	v_fmac_f32_e32 v7, 0x32a5705f, v3
	v_sub_f32_e32 v6, v6, v12
	v_add_f32_e32 v6, v6, v7
	v_exp_f32_e32 v6, v6
	v_cvt_i32_f32_e32 v7, v12
	s_mov_b32 s9, 0xc2ce8ed0
	v_cmp_ngt_f32_e32 vcc, s9, v3
	s_mov_b32 s9, 0x42b17218
	v_ldexp_f32 v6, v6, v7
	v_cndmask_b32_e32 v6, 0, v6, vcc
	v_mov_b32_e32 v7, 0x7f800000
	v_cmp_nlt_f32_e32 vcc, s9, v3
	v_cndmask_b32_e32 v67, v7, v6, vcc
	v_add_f32_e32 v3, 1.0, v67
	v_add_f32_e32 v6, -1.0, v3
	v_sub_f32_e32 v7, v6, v3
	v_add_f32_e32 v7, 1.0, v7
	v_sub_f32_e32 v6, v67, v6
	v_add_f32_e32 v12, v6, v7
	v_frexp_mant_f32_e32 v16, v3
	s_mov_b32 s9, 0x3f2aaaab
	v_cvt_f64_f32_e32 v[6:7], v3
	v_frexp_exp_i32_f64_e32 v6, v[6:7]
	v_cmp_gt_f32_e32 vcc, s9, v16
	v_subbrev_co_u32_e32 v22, vcc, 0, v6, vcc
	v_sub_u32_e32 v6, 0, v22
	v_ldexp_f32 v3, v3, v6
	v_ldexp_f32 v6, v12, v6
	v_add_f32_e32 v12, -1.0, v3
	v_add_f32_e32 v7, 1.0, v12
	v_sub_f32_e32 v7, v3, v7
	v_add_f32_e32 v16, v6, v7
	v_add_f32_e32 v7, 1.0, v3
	v_add_f32_e32 v17, -1.0, v7
	v_sub_f32_e32 v3, v3, v17
	v_add_f32_e32 v3, v6, v3
	v_add_f32_e32 v23, v7, v3
	v_rcp_f32_e32 v68, v23
	v_sub_f32_e32 v6, v7, v23
	v_add_f32_e32 v7, v12, v16
	v_add_f32_e32 v3, v3, v6
	v_sub_f32_e32 v6, v12, v7
	v_mul_f32_e32 v69, v7, v68
	v_add_f32_e32 v12, v16, v6
	v_mul_f32_e32 v16, v23, v69
	v_fma_f32 v18, v69, v23, -v16
	v_fmac_f32_e32 v18, v69, v3
	v_add_f32_e32 v6, v16, v18
	v_sub_f32_e32 v17, v7, v6
	v_pk_add_f32 v[20:21], v[6:7], v[16:17] neg_lo:[0,1] neg_hi:[0,1]
	v_mov_b32_e32 v19, v6
	v_pk_add_f32 v[6:7], v[20:21], v[18:19] neg_lo:[0,1] neg_hi:[0,1]
	v_add_f32_e32 v7, v12, v7
	v_add_f32_e32 v6, v6, v7
	;; [unrolled: 1-line block ×3, first 2 shown]
	v_mul_f32_e32 v12, v68, v7
	v_mul_f32_e32 v16, v23, v12
	v_fma_f32 v18, v12, v23, -v16
	v_fmac_f32_e32 v18, v12, v3
	v_sub_f32_e32 v3, v17, v7
	v_add_f32_e32 v3, v6, v3
	v_add_f32_e32 v6, v16, v18
	v_sub_f32_e32 v17, v7, v6
	v_pk_add_f32 v[20:21], v[6:7], v[16:17] neg_lo:[0,1] neg_hi:[0,1]
	v_mov_b32_e32 v19, v6
	v_pk_add_f32 v[6:7], v[20:21], v[18:19] neg_lo:[0,1] neg_hi:[0,1]
	v_add_f32_e32 v3, v3, v7
	v_add_f32_e32 v3, v6, v3
	;; [unrolled: 1-line block ×4, first 2 shown]
	v_sub_f32_e32 v7, v6, v69
	v_mul_f32_e32 v3, v68, v3
	v_sub_f32_e32 v7, v12, v7
	v_add_f32_e32 v3, v7, v3
	v_add_f32_e32 v12, v6, v3
	v_mul_f32_e32 v17, v12, v12
	v_mov_b32_e32 v16, 0x3ecc95a3
	v_fmac_f32_e32 v16, 0x3e9b6dac, v17
	v_mov_b32_e32 v7, 0x3f2aaada
	v_fmac_f32_e32 v7, v17, v16
	v_cvt_f32_i32_e32 v16, v22
	v_sub_f32_e32 v6, v12, v6
	v_sub_f32_e32 v3, v3, v6
	v_mul_f32_e32 v17, v12, v17
	v_mov_b32_e32 v6, 0x3f317218
	s_mov_b32 s9, 0x3f317218
	v_pk_mul_f32 v[6:7], v[16:17], v[6:7]
	v_fma_f32 v18, v16, s9, -v6
	v_ldexp_f32 v19, v12, 1
	v_fmac_f32_e32 v18, 0xb102e308, v16
	v_pk_add_f32 v[16:17], v[6:7], v[18:19]
	v_sub_f32_e32 v12, v17, v19
	v_ldexp_f32 v3, v3, 1
	v_sub_f32_e32 v12, v7, v12
	v_add_f32_e32 v21, v3, v12
	v_mov_b32_e32 v20, v6
	v_pk_add_f32 v[6:7], v[16:17], v[6:7] neg_lo:[0,1] neg_hi:[0,1]
	v_pk_add_f32 v[22:23], v[16:17], v[20:21]
	v_mov_b32_e32 v7, v23
	v_mov_b32_e32 v19, v16
	v_pk_add_f32 v[68:69], v[18:19], v[6:7] neg_lo:[0,1] neg_hi:[0,1]
	v_pk_add_f32 v[6:7], v[18:19], v[6:7]
	v_mov_b32_e32 v12, v7
	v_pk_add_f32 v[18:19], v[12:13], v[16:17] neg_lo:[0,1] neg_hi:[0,1]
	v_mov_b32_e32 v3, v18
	v_pk_add_f32 v[80:81], v[22:23], v[2:3] neg_lo:[0,1] neg_hi:[0,1]
	v_mov_b32_e32 v6, v23
	v_mov_b32_e32 v22, v17
	;; [unrolled: 1-line block ×4, first 2 shown]
	v_pk_add_f32 v[6:7], v[6:7], v[22:23] neg_lo:[0,1] neg_hi:[0,1]
	v_mov_b32_e32 v18, v21
	v_mov_b32_e32 v19, v16
	v_pk_add_f32 v[6:7], v[18:19], v[6:7] neg_lo:[0,1] neg_hi:[0,1]
	v_mov_b32_e32 v80, v68
	v_pk_add_f32 v[16:17], v[80:81], v[6:7]
	v_mov_b32_e32 v18, v17
	v_pk_add_f32 v[18:19], v[16:17], v[18:19]
	v_pk_add_f32 v[20:21], v[12:13], v[18:19]
	v_mov_b32_e32 v17, v20
	v_pk_add_f32 v[22:23], v[16:17], v[68:69] neg_lo:[0,1] neg_hi:[0,1]
	v_mov_b32_e32 v7, v18
	v_sub_f32_e32 v3, v16, v22
	v_pk_add_f32 v[6:7], v[6:7], v[22:23] neg_lo:[0,1] neg_hi:[0,1]
	v_sub_f32_e32 v3, v68, v3
	s_mov_b32 s10, 0x7f800000
	v_add_f32_e32 v3, v6, v3
	s_mov_b32 s9, 0x33800000
	v_add_f32_e32 v3, v3, v7
	v_cmp_eq_f32_e32 vcc, s10, v67
	v_cmp_lt_f32_e64 s[10:11], |v67|, s9
	v_add_f32_e32 v3, v20, v3
	s_or_b64 vcc, vcc, s[10:11]
	v_cndmask_b32_e32 v3, v3, v67, vcc
	v_add_f32_e32 v3, v2, v3
.LBB512_366:
	s_or_b64 exec, exec, s[6:7]
	v_bfe_u32 v2, v3, 16, 1
	s_movk_i32 s9, 0x7fff
	v_add3_u32 v2, v3, v2, s9
	v_lshrrev_b32_e32 v6, 16, v2
	v_mov_b32_e32 v2, 0x7fc0
	v_cmp_o_f32_e32 vcc, v3, v3
	v_cndmask_b32_e32 v67, v2, v6, vcc
	v_lshlrev_b32_e32 v6, 16, v67
	v_max_f32_e32 v3, v6, v6
	v_min_f32_e32 v7, v3, v83
	v_cmp_u_f32_e32 vcc, v6, v6
	v_max_f32_e32 v3, v3, v83
	v_cndmask_b32_e32 v7, v7, v6, vcc
	v_cndmask_b32_e32 v3, v3, v6, vcc
	v_cndmask_b32_e64 v7, v7, v71, s[42:43]
	v_cndmask_b32_e64 v3, v3, v71, s[42:43]
	v_cmp_neq_f32_e32 vcc, v7, v3
	v_cmp_class_f32_e64 s[6:7], v7, s8
	s_or_b64 s[10:11], vcc, s[6:7]
	s_and_saveexec_b64 s[6:7], s[10:11]
	s_cbranch_execz .LBB512_368
; %bb.367:
	v_sub_f32_e32 v6, v7, v3
	s_mov_b32 s8, 0x3fb8aa3b
	v_mul_f32_e32 v7, 0x3fb8aa3b, v6
	v_fma_f32 v12, v6, s8, -v7
	v_rndne_f32_e32 v16, v7
	v_fmac_f32_e32 v12, 0x32a5705f, v6
	v_sub_f32_e32 v7, v7, v16
	v_add_f32_e32 v7, v7, v12
	v_exp_f32_e32 v7, v7
	v_cvt_i32_f32_e32 v12, v16
	s_mov_b32 s8, 0xc2ce8ed0
	v_cmp_ngt_f32_e32 vcc, s8, v6
	s_mov_b32 s8, 0x42b17218
	v_ldexp_f32 v7, v7, v12
	v_cndmask_b32_e32 v7, 0, v7, vcc
	v_mov_b32_e32 v12, 0x7f800000
	v_cmp_nlt_f32_e32 vcc, s8, v6
	v_cndmask_b32_e32 v80, v12, v7, vcc
	v_add_f32_e32 v12, 1.0, v80
	v_add_f32_e32 v6, -1.0, v12
	v_sub_f32_e32 v7, v6, v12
	v_add_f32_e32 v7, 1.0, v7
	v_sub_f32_e32 v6, v80, v6
	v_add_f32_e32 v16, v6, v7
	v_frexp_mant_f32_e32 v17, v12
	s_mov_b32 s8, 0x3f2aaaab
	v_cvt_f64_f32_e32 v[6:7], v12
	v_frexp_exp_i32_f64_e32 v6, v[6:7]
	v_cmp_gt_f32_e32 vcc, s8, v17
	v_subbrev_co_u32_e32 v22, vcc, 0, v6, vcc
	v_sub_u32_e32 v6, 0, v22
	v_ldexp_f32 v7, v12, v6
	v_add_f32_e32 v12, -1.0, v7
	v_add_f32_e32 v17, 1.0, v7
	v_ldexp_f32 v6, v16, v6
	v_add_f32_e32 v16, 1.0, v12
	v_add_f32_e32 v18, -1.0, v17
	v_sub_f32_e32 v16, v7, v16
	v_sub_f32_e32 v7, v7, v18
	v_add_f32_e32 v16, v6, v16
	v_add_f32_e32 v6, v6, v7
	;; [unrolled: 1-line block ×3, first 2 shown]
	v_rcp_f32_e32 v69, v23
	v_sub_f32_e32 v7, v17, v23
	v_add_f32_e32 v68, v6, v7
	v_add_f32_e32 v7, v12, v16
	v_sub_f32_e32 v6, v12, v7
	v_mul_f32_e32 v70, v7, v69
	v_add_f32_e32 v12, v16, v6
	v_mul_f32_e32 v16, v23, v70
	v_fma_f32 v18, v70, v23, -v16
	v_fmac_f32_e32 v18, v70, v68
	v_add_f32_e32 v6, v16, v18
	v_sub_f32_e32 v17, v7, v6
	v_pk_add_f32 v[20:21], v[6:7], v[16:17] neg_lo:[0,1] neg_hi:[0,1]
	v_mov_b32_e32 v19, v6
	v_pk_add_f32 v[6:7], v[20:21], v[18:19] neg_lo:[0,1] neg_hi:[0,1]
	v_add_f32_e32 v7, v12, v7
	v_add_f32_e32 v6, v6, v7
	;; [unrolled: 1-line block ×3, first 2 shown]
	v_mul_f32_e32 v12, v69, v7
	v_mul_f32_e32 v16, v23, v12
	v_fma_f32 v18, v12, v23, -v16
	v_fmac_f32_e32 v18, v12, v68
	v_sub_f32_e32 v17, v17, v7
	v_add_f32_e32 v23, v6, v17
	v_add_f32_e32 v6, v16, v18
	v_sub_f32_e32 v17, v7, v6
	v_pk_add_f32 v[20:21], v[6:7], v[16:17] neg_lo:[0,1] neg_hi:[0,1]
	v_mov_b32_e32 v19, v6
	v_pk_add_f32 v[6:7], v[20:21], v[18:19] neg_lo:[0,1] neg_hi:[0,1]
	v_add_f32_e32 v7, v23, v7
	v_add_f32_e32 v6, v6, v7
	;; [unrolled: 1-line block ×4, first 2 shown]
	v_sub_f32_e32 v7, v17, v70
	v_mul_f32_e32 v6, v69, v6
	v_sub_f32_e32 v7, v12, v7
	v_add_f32_e32 v6, v7, v6
	v_add_f32_e32 v12, v17, v6
	v_mul_f32_e32 v18, v12, v12
	v_mov_b32_e32 v16, 0x3ecc95a3
	v_fmac_f32_e32 v16, 0x3e9b6dac, v18
	v_mov_b32_e32 v7, 0x3f2aaada
	v_fmac_f32_e32 v7, v18, v16
	v_cvt_f32_i32_e32 v16, v22
	v_sub_f32_e32 v17, v12, v17
	v_sub_f32_e32 v6, v6, v17
	v_ldexp_f32 v20, v6, 1
	v_mul_f32_e32 v17, v12, v18
	v_mov_b32_e32 v6, 0x3f317218
	s_mov_b32 s8, 0x3f317218
	v_pk_mul_f32 v[6:7], v[16:17], v[6:7]
	v_fma_f32 v18, v16, s8, -v6
	v_ldexp_f32 v19, v12, 1
	v_fmac_f32_e32 v18, 0xb102e308, v16
	v_pk_add_f32 v[16:17], v[6:7], v[18:19]
	v_sub_f32_e32 v12, v17, v19
	v_sub_f32_e32 v12, v7, v12
	v_add_f32_e32 v21, v20, v12
	v_mov_b32_e32 v20, v6
	v_pk_add_f32 v[6:7], v[16:17], v[6:7] neg_lo:[0,1] neg_hi:[0,1]
	v_pk_add_f32 v[22:23], v[16:17], v[20:21]
	v_mov_b32_e32 v7, v23
	v_mov_b32_e32 v19, v16
	v_pk_add_f32 v[68:69], v[18:19], v[6:7] neg_lo:[0,1] neg_hi:[0,1]
	v_pk_add_f32 v[6:7], v[18:19], v[6:7]
	v_mov_b32_e32 v12, v7
	v_pk_add_f32 v[18:19], v[12:13], v[16:17] neg_lo:[0,1] neg_hi:[0,1]
	v_mov_b32_e32 v19, v18
	v_pk_add_f32 v[70:71], v[22:23], v[18:19] neg_lo:[0,1] neg_hi:[0,1]
	v_mov_b32_e32 v6, v23
	v_mov_b32_e32 v22, v17
	;; [unrolled: 1-line block ×4, first 2 shown]
	v_pk_add_f32 v[6:7], v[6:7], v[22:23] neg_lo:[0,1] neg_hi:[0,1]
	v_mov_b32_e32 v18, v21
	v_mov_b32_e32 v19, v16
	v_pk_add_f32 v[6:7], v[18:19], v[6:7] neg_lo:[0,1] neg_hi:[0,1]
	v_mov_b32_e32 v70, v68
	v_pk_add_f32 v[16:17], v[70:71], v[6:7]
	v_mov_b32_e32 v18, v17
	v_pk_add_f32 v[18:19], v[16:17], v[18:19]
	v_pk_add_f32 v[20:21], v[12:13], v[18:19]
	v_mov_b32_e32 v17, v20
	v_pk_add_f32 v[22:23], v[16:17], v[68:69] neg_lo:[0,1] neg_hi:[0,1]
	v_mov_b32_e32 v7, v18
	v_sub_f32_e32 v12, v16, v22
	v_pk_add_f32 v[6:7], v[6:7], v[22:23] neg_lo:[0,1] neg_hi:[0,1]
	v_sub_f32_e32 v12, v68, v12
	s_mov_b32 s10, 0x7f800000
	v_add_f32_e32 v6, v6, v12
	s_mov_b32 s8, 0x33800000
	v_add_f32_e32 v6, v6, v7
	v_cmp_eq_f32_e32 vcc, s10, v80
	v_cmp_lt_f32_e64 s[10:11], |v80|, s8
	v_add_f32_e32 v6, v20, v6
	s_or_b64 vcc, vcc, s[10:11]
	v_cndmask_b32_e32 v6, v6, v80, vcc
	v_add_f32_e32 v6, v3, v6
.LBB512_368:
	s_or_b64 exec, exec, s[6:7]
	v_bfe_u32 v3, v6, 16, 1
	v_add3_u32 v3, v6, v3, s9
	v_lshrrev_b32_e32 v3, 16, v3
	v_cmp_o_f32_e32 vcc, v6, v6
	v_cndmask_b32_e32 v68, v2, v3, vcc
	v_lshlrev_b32_e32 v3, 16, v68
	v_max_f32_e32 v2, v3, v3
	v_min_f32_e32 v6, v2, v84
	v_cmp_u_f32_e32 vcc, v3, v3
	v_max_f32_e32 v2, v2, v84
	v_cndmask_b32_e32 v6, v6, v3, vcc
	v_cndmask_b32_e32 v2, v2, v3, vcc
	v_cndmask_b32_e64 v6, v6, v13, s[44:45]
	v_cndmask_b32_e64 v2, v2, v13, s[44:45]
	s_movk_i32 s8, 0x1f8
	v_cmp_neq_f32_e32 vcc, v6, v2
	v_cmp_class_f32_e64 s[6:7], v6, s8
	s_or_b64 s[10:11], vcc, s[6:7]
	s_and_saveexec_b64 s[6:7], s[10:11]
	s_cbranch_execz .LBB512_370
; %bb.369:
	v_sub_f32_e32 v3, v6, v2
	s_mov_b32 s9, 0x3fb8aa3b
	v_mul_f32_e32 v6, 0x3fb8aa3b, v3
	v_fma_f32 v7, v3, s9, -v6
	v_rndne_f32_e32 v12, v6
	v_fmac_f32_e32 v7, 0x32a5705f, v3
	v_sub_f32_e32 v6, v6, v12
	v_add_f32_e32 v6, v6, v7
	v_exp_f32_e32 v6, v6
	v_cvt_i32_f32_e32 v7, v12
	s_mov_b32 s9, 0xc2ce8ed0
	v_cmp_ngt_f32_e32 vcc, s9, v3
	s_mov_b32 s9, 0x42b17218
	v_ldexp_f32 v6, v6, v7
	v_cndmask_b32_e32 v6, 0, v6, vcc
	v_mov_b32_e32 v7, 0x7f800000
	v_cmp_nlt_f32_e32 vcc, s9, v3
	v_cndmask_b32_e32 v69, v7, v6, vcc
	v_add_f32_e32 v3, 1.0, v69
	v_add_f32_e32 v6, -1.0, v3
	v_sub_f32_e32 v7, v6, v3
	v_add_f32_e32 v7, 1.0, v7
	v_sub_f32_e32 v6, v69, v6
	v_add_f32_e32 v12, v6, v7
	v_frexp_mant_f32_e32 v13, v3
	s_mov_b32 s9, 0x3f2aaaab
	v_cvt_f64_f32_e32 v[6:7], v3
	v_frexp_exp_i32_f64_e32 v6, v[6:7]
	v_cmp_gt_f32_e32 vcc, s9, v13
	v_subbrev_co_u32_e32 v20, vcc, 0, v6, vcc
	v_sub_u32_e32 v6, 0, v20
	v_ldexp_f32 v3, v3, v6
	v_ldexp_f32 v6, v12, v6
	v_add_f32_e32 v12, -1.0, v3
	v_add_f32_e32 v7, 1.0, v12
	v_sub_f32_e32 v7, v3, v7
	v_add_f32_e32 v13, v6, v7
	v_add_f32_e32 v7, 1.0, v3
	v_add_f32_e32 v16, -1.0, v7
	v_sub_f32_e32 v3, v3, v16
	v_add_f32_e32 v3, v6, v3
	v_add_f32_e32 v21, v7, v3
	v_rcp_f32_e32 v22, v21
	v_sub_f32_e32 v6, v7, v21
	v_add_f32_e32 v7, v12, v13
	v_add_f32_e32 v3, v3, v6
	v_mul_f32_e32 v70, v7, v22
	v_sub_f32_e32 v6, v12, v7
	v_mul_f32_e32 v12, v21, v70
	v_fma_f32 v16, v70, v21, -v12
	v_fmac_f32_e32 v16, v70, v3
	v_add_f32_e32 v23, v13, v6
	v_add_f32_e32 v6, v12, v16
	v_sub_f32_e32 v13, v7, v6
	v_pk_add_f32 v[18:19], v[6:7], v[12:13] neg_lo:[0,1] neg_hi:[0,1]
	v_mov_b32_e32 v17, v6
	v_pk_add_f32 v[6:7], v[18:19], v[16:17] neg_lo:[0,1] neg_hi:[0,1]
	v_add_f32_e32 v7, v23, v7
	v_add_f32_e32 v6, v6, v7
	;; [unrolled: 1-line block ×3, first 2 shown]
	v_mul_f32_e32 v23, v22, v7
	v_mul_f32_e32 v12, v21, v23
	v_fma_f32 v16, v23, v21, -v12
	v_fmac_f32_e32 v16, v23, v3
	v_sub_f32_e32 v3, v13, v7
	v_add_f32_e32 v3, v6, v3
	v_add_f32_e32 v6, v12, v16
	v_sub_f32_e32 v13, v7, v6
	v_pk_add_f32 v[18:19], v[6:7], v[12:13] neg_lo:[0,1] neg_hi:[0,1]
	v_mov_b32_e32 v17, v6
	v_pk_add_f32 v[6:7], v[18:19], v[16:17] neg_lo:[0,1] neg_hi:[0,1]
	v_add_f32_e32 v3, v3, v7
	v_add_f32_e32 v3, v6, v3
	;; [unrolled: 1-line block ×4, first 2 shown]
	v_sub_f32_e32 v7, v6, v70
	v_mul_f32_e32 v3, v22, v3
	v_sub_f32_e32 v7, v23, v7
	v_add_f32_e32 v3, v7, v3
	v_add_f32_e32 v13, v6, v3
	v_mul_f32_e32 v16, v13, v13
	v_mov_b32_e32 v12, 0x3ecc95a3
	v_fmac_f32_e32 v12, 0x3e9b6dac, v16
	v_mov_b32_e32 v7, 0x3f2aaada
	v_fmac_f32_e32 v7, v16, v12
	v_cvt_f32_i32_e32 v12, v20
	v_sub_f32_e32 v6, v13, v6
	v_sub_f32_e32 v3, v3, v6
	v_ldexp_f32 v17, v13, 1
	v_mul_f32_e32 v13, v13, v16
	v_mov_b32_e32 v6, 0x3f317218
	s_mov_b32 s9, 0x3f317218
	v_pk_mul_f32 v[6:7], v[12:13], v[6:7]
	v_fma_f32 v16, v12, s9, -v6
	v_fmac_f32_e32 v16, 0xb102e308, v12
	v_pk_add_f32 v[12:13], v[6:7], v[16:17]
	v_sub_f32_e32 v17, v13, v17
	v_ldexp_f32 v3, v3, 1
	v_sub_f32_e32 v17, v7, v17
	v_add_f32_e32 v19, v3, v17
	v_mov_b32_e32 v18, v6
	v_pk_add_f32 v[6:7], v[12:13], v[6:7] neg_lo:[0,1] neg_hi:[0,1]
	v_pk_add_f32 v[20:21], v[12:13], v[18:19]
	v_mov_b32_e32 v7, v21
	v_mov_b32_e32 v17, v12
	v_pk_add_f32 v[22:23], v[16:17], v[6:7] neg_lo:[0,1] neg_hi:[0,1]
	v_pk_add_f32 v[6:7], v[16:17], v[6:7]
	v_mov_b32_e32 v16, v7
	v_pk_add_f32 v[70:71], v[16:17], v[12:13] neg_lo:[0,1] neg_hi:[0,1]
	v_mov_b32_e32 v3, v70
	v_pk_add_f32 v[80:81], v[20:21], v[2:3] neg_lo:[0,1] neg_hi:[0,1]
	v_mov_b32_e32 v6, v21
	v_mov_b32_e32 v20, v13
	;; [unrolled: 1-line block ×4, first 2 shown]
	v_pk_add_f32 v[6:7], v[6:7], v[20:21] neg_lo:[0,1] neg_hi:[0,1]
	v_mov_b32_e32 v18, v19
	v_mov_b32_e32 v19, v12
	v_pk_add_f32 v[6:7], v[18:19], v[6:7] neg_lo:[0,1] neg_hi:[0,1]
	v_mov_b32_e32 v80, v22
	v_pk_add_f32 v[12:13], v[80:81], v[6:7]
	v_mov_b32_e32 v18, v13
	v_pk_add_f32 v[18:19], v[12:13], v[18:19]
	v_pk_add_f32 v[16:17], v[16:17], v[18:19]
	v_mov_b32_e32 v13, v16
	v_pk_add_f32 v[20:21], v[12:13], v[22:23] neg_lo:[0,1] neg_hi:[0,1]
	v_mov_b32_e32 v7, v18
	v_sub_f32_e32 v3, v12, v20
	v_pk_add_f32 v[6:7], v[6:7], v[20:21] neg_lo:[0,1] neg_hi:[0,1]
	v_sub_f32_e32 v3, v22, v3
	s_mov_b32 s10, 0x7f800000
	v_add_f32_e32 v3, v6, v3
	s_mov_b32 s9, 0x33800000
	v_add_f32_e32 v3, v3, v7
	v_cmp_eq_f32_e32 vcc, s10, v69
	v_cmp_lt_f32_e64 s[10:11], |v69|, s9
	v_add_f32_e32 v3, v16, v3
	s_or_b64 vcc, vcc, s[10:11]
	v_cndmask_b32_e32 v3, v3, v69, vcc
	v_add_f32_e32 v3, v2, v3
.LBB512_370:
	s_or_b64 exec, exec, s[6:7]
	v_bfe_u32 v2, v3, 16, 1
	s_movk_i32 s9, 0x7fff
	v_add3_u32 v2, v3, v2, s9
	v_lshrrev_b32_e32 v6, 16, v2
	v_mov_b32_e32 v2, 0x7fc0
	v_cmp_o_f32_e32 vcc, v3, v3
	v_cndmask_b32_e32 v69, v2, v6, vcc
	v_lshlrev_b32_e32 v6, 16, v69
	v_max_f32_e32 v3, v6, v6
	v_min_f32_e32 v7, v3, v86
	v_cmp_u_f32_e32 vcc, v6, v6
	v_max_f32_e32 v3, v3, v86
	v_cndmask_b32_e32 v7, v7, v6, vcc
	v_cndmask_b32_e32 v3, v3, v6, vcc
	v_cndmask_b32_e64 v7, v7, v82, s[46:47]
	v_cndmask_b32_e64 v3, v3, v82, s[46:47]
	v_cmp_neq_f32_e32 vcc, v7, v3
	v_cmp_class_f32_e64 s[6:7], v7, s8
	s_or_b64 s[10:11], vcc, s[6:7]
	s_and_saveexec_b64 s[6:7], s[10:11]
	s_cbranch_execz .LBB512_372
; %bb.371:
	v_sub_f32_e32 v6, v7, v3
	s_mov_b32 s8, 0x3fb8aa3b
	v_mul_f32_e32 v7, 0x3fb8aa3b, v6
	v_fma_f32 v12, v6, s8, -v7
	v_rndne_f32_e32 v13, v7
	v_fmac_f32_e32 v12, 0x32a5705f, v6
	v_sub_f32_e32 v7, v7, v13
	v_add_f32_e32 v7, v7, v12
	v_exp_f32_e32 v7, v7
	v_cvt_i32_f32_e32 v12, v13
	s_mov_b32 s8, 0xc2ce8ed0
	v_cmp_ngt_f32_e32 vcc, s8, v6
	s_mov_b32 s8, 0x42b17218
	v_ldexp_f32 v7, v7, v12
	v_cndmask_b32_e32 v7, 0, v7, vcc
	v_mov_b32_e32 v12, 0x7f800000
	v_cmp_nlt_f32_e32 vcc, s8, v6
	v_cndmask_b32_e32 v82, v12, v7, vcc
	v_add_f32_e32 v12, 1.0, v82
	v_add_f32_e32 v6, -1.0, v12
	v_sub_f32_e32 v7, v6, v12
	v_add_f32_e32 v7, 1.0, v7
	v_sub_f32_e32 v6, v82, v6
	v_add_f32_e32 v13, v6, v7
	v_frexp_mant_f32_e32 v16, v12
	s_mov_b32 s8, 0x3f2aaaab
	v_cvt_f64_f32_e32 v[6:7], v12
	v_frexp_exp_i32_f64_e32 v6, v[6:7]
	v_cmp_gt_f32_e32 vcc, s8, v16
	v_subbrev_co_u32_e32 v20, vcc, 0, v6, vcc
	v_sub_u32_e32 v6, 0, v20
	v_ldexp_f32 v7, v12, v6
	v_add_f32_e32 v12, -1.0, v7
	v_add_f32_e32 v16, 1.0, v7
	v_ldexp_f32 v6, v13, v6
	v_add_f32_e32 v13, 1.0, v12
	v_add_f32_e32 v17, -1.0, v16
	v_sub_f32_e32 v13, v7, v13
	v_sub_f32_e32 v7, v7, v17
	v_add_f32_e32 v13, v6, v13
	v_add_f32_e32 v6, v6, v7
	;; [unrolled: 1-line block ×3, first 2 shown]
	v_rcp_f32_e32 v23, v21
	v_sub_f32_e32 v7, v16, v21
	v_add_f32_e32 v22, v6, v7
	v_add_f32_e32 v7, v12, v13
	v_mul_f32_e32 v71, v7, v23
	v_sub_f32_e32 v6, v12, v7
	v_mul_f32_e32 v12, v21, v71
	v_fma_f32 v16, v71, v21, -v12
	v_fmac_f32_e32 v16, v71, v22
	v_add_f32_e32 v70, v13, v6
	v_add_f32_e32 v6, v12, v16
	v_sub_f32_e32 v13, v7, v6
	v_pk_add_f32 v[18:19], v[6:7], v[12:13] neg_lo:[0,1] neg_hi:[0,1]
	v_mov_b32_e32 v17, v6
	v_pk_add_f32 v[6:7], v[18:19], v[16:17] neg_lo:[0,1] neg_hi:[0,1]
	v_add_f32_e32 v7, v70, v7
	v_add_f32_e32 v6, v6, v7
	;; [unrolled: 1-line block ×3, first 2 shown]
	v_mul_f32_e32 v70, v23, v7
	v_mul_f32_e32 v12, v21, v70
	v_fma_f32 v16, v70, v21, -v12
	v_fmac_f32_e32 v16, v70, v22
	v_sub_f32_e32 v13, v13, v7
	v_add_f32_e32 v21, v6, v13
	v_add_f32_e32 v6, v12, v16
	v_sub_f32_e32 v13, v7, v6
	v_pk_add_f32 v[18:19], v[6:7], v[12:13] neg_lo:[0,1] neg_hi:[0,1]
	v_mov_b32_e32 v17, v6
	v_pk_add_f32 v[6:7], v[18:19], v[16:17] neg_lo:[0,1] neg_hi:[0,1]
	v_add_f32_e32 v7, v21, v7
	v_add_f32_e32 v6, v6, v7
	;; [unrolled: 1-line block ×4, first 2 shown]
	v_sub_f32_e32 v7, v13, v71
	v_mul_f32_e32 v6, v23, v6
	v_sub_f32_e32 v7, v70, v7
	v_add_f32_e32 v6, v7, v6
	v_add_f32_e32 v16, v13, v6
	v_mul_f32_e32 v18, v16, v16
	v_mov_b32_e32 v12, 0x3ecc95a3
	v_fmac_f32_e32 v12, 0x3e9b6dac, v18
	v_mov_b32_e32 v7, 0x3f2aaada
	v_fmac_f32_e32 v7, v18, v12
	v_cvt_f32_i32_e32 v12, v20
	v_sub_f32_e32 v13, v16, v13
	v_sub_f32_e32 v6, v6, v13
	v_ldexp_f32 v19, v6, 1
	v_mul_f32_e32 v13, v16, v18
	v_mov_b32_e32 v6, 0x3f317218
	s_mov_b32 s8, 0x3f317218
	v_pk_mul_f32 v[6:7], v[12:13], v[6:7]
	v_ldexp_f32 v17, v16, 1
	v_fma_f32 v16, v12, s8, -v6
	v_fmac_f32_e32 v16, 0xb102e308, v12
	v_pk_add_f32 v[12:13], v[6:7], v[16:17]
	v_sub_f32_e32 v17, v13, v17
	v_sub_f32_e32 v17, v7, v17
	v_add_f32_e32 v19, v19, v17
	v_mov_b32_e32 v18, v6
	v_pk_add_f32 v[6:7], v[12:13], v[6:7] neg_lo:[0,1] neg_hi:[0,1]
	v_pk_add_f32 v[20:21], v[12:13], v[18:19]
	v_mov_b32_e32 v7, v21
	v_mov_b32_e32 v17, v12
	v_pk_add_f32 v[22:23], v[16:17], v[6:7] neg_lo:[0,1] neg_hi:[0,1]
	v_pk_add_f32 v[6:7], v[16:17], v[6:7]
	v_mov_b32_e32 v16, v7
	v_pk_add_f32 v[70:71], v[16:17], v[12:13] neg_lo:[0,1] neg_hi:[0,1]
	v_mov_b32_e32 v17, v70
	v_pk_add_f32 v[80:81], v[20:21], v[16:17] neg_lo:[0,1] neg_hi:[0,1]
	v_mov_b32_e32 v6, v21
	v_mov_b32_e32 v20, v13
	;; [unrolled: 1-line block ×4, first 2 shown]
	v_pk_add_f32 v[6:7], v[6:7], v[20:21] neg_lo:[0,1] neg_hi:[0,1]
	v_mov_b32_e32 v18, v19
	v_mov_b32_e32 v19, v12
	v_pk_add_f32 v[6:7], v[18:19], v[6:7] neg_lo:[0,1] neg_hi:[0,1]
	v_mov_b32_e32 v80, v22
	v_pk_add_f32 v[12:13], v[80:81], v[6:7]
	v_mov_b32_e32 v18, v13
	v_pk_add_f32 v[18:19], v[12:13], v[18:19]
	v_pk_add_f32 v[16:17], v[16:17], v[18:19]
	v_mov_b32_e32 v13, v16
	v_pk_add_f32 v[20:21], v[12:13], v[22:23] neg_lo:[0,1] neg_hi:[0,1]
	v_mov_b32_e32 v7, v18
	v_sub_f32_e32 v12, v12, v20
	v_pk_add_f32 v[6:7], v[6:7], v[20:21] neg_lo:[0,1] neg_hi:[0,1]
	v_sub_f32_e32 v12, v22, v12
	s_mov_b32 s10, 0x7f800000
	v_add_f32_e32 v6, v6, v12
	s_mov_b32 s8, 0x33800000
	v_add_f32_e32 v6, v6, v7
	v_cmp_eq_f32_e32 vcc, s10, v82
	v_cmp_lt_f32_e64 s[10:11], |v82|, s8
	v_add_f32_e32 v6, v16, v6
	s_or_b64 vcc, vcc, s[10:11]
	v_cndmask_b32_e32 v6, v6, v82, vcc
	v_add_f32_e32 v6, v3, v6
.LBB512_372:
	s_or_b64 exec, exec, s[6:7]
	v_bfe_u32 v3, v6, 16, 1
	v_add3_u32 v3, v6, v3, s9
	v_lshrrev_b32_e32 v3, 16, v3
	v_cmp_o_f32_e32 vcc, v6, v6
	v_cndmask_b32_e32 v70, v2, v3, vcc
	v_lshlrev_b32_e32 v3, 16, v70
	v_max_f32_e32 v2, v3, v3
	v_min_f32_e32 v6, v2, v87
	v_cmp_u_f32_e32 vcc, v3, v3
	v_max_f32_e32 v2, v2, v87
	v_cndmask_b32_e32 v6, v6, v3, vcc
	v_cndmask_b32_e32 v2, v2, v3, vcc
	v_cndmask_b32_e64 v6, v6, v14, s[48:49]
	v_cndmask_b32_e64 v2, v2, v14, s[48:49]
	s_movk_i32 s8, 0x1f8
	v_cmp_neq_f32_e32 vcc, v6, v2
	v_cmp_class_f32_e64 s[6:7], v6, s8
	s_or_b64 s[10:11], vcc, s[6:7]
	s_and_saveexec_b64 s[6:7], s[10:11]
	s_cbranch_execz .LBB512_374
; %bb.373:
	v_sub_f32_e32 v3, v6, v2
	s_mov_b32 s9, 0x3fb8aa3b
	v_mul_f32_e32 v6, 0x3fb8aa3b, v3
	v_fma_f32 v7, v3, s9, -v6
	v_rndne_f32_e32 v12, v6
	v_fmac_f32_e32 v7, 0x32a5705f, v3
	v_sub_f32_e32 v6, v6, v12
	v_add_f32_e32 v6, v6, v7
	v_exp_f32_e32 v6, v6
	v_cvt_i32_f32_e32 v7, v12
	s_mov_b32 s9, 0xc2ce8ed0
	v_cmp_ngt_f32_e32 vcc, s9, v3
	s_mov_b32 s9, 0x42b17218
	v_ldexp_f32 v6, v6, v7
	v_cndmask_b32_e32 v6, 0, v6, vcc
	v_mov_b32_e32 v7, 0x7f800000
	v_cmp_nlt_f32_e32 vcc, s9, v3
	v_cndmask_b32_e32 v71, v7, v6, vcc
	v_add_f32_e32 v3, 1.0, v71
	v_add_f32_e32 v6, -1.0, v3
	v_sub_f32_e32 v7, v6, v3
	v_add_f32_e32 v7, 1.0, v7
	v_sub_f32_e32 v6, v71, v6
	v_add_f32_e32 v12, v6, v7
	v_frexp_mant_f32_e32 v13, v3
	s_mov_b32 s9, 0x3f2aaaab
	v_cvt_f64_f32_e32 v[6:7], v3
	v_frexp_exp_i32_f64_e32 v6, v[6:7]
	v_cmp_gt_f32_e32 vcc, s9, v13
	v_subbrev_co_u32_e32 v14, vcc, 0, v6, vcc
	v_sub_u32_e32 v6, 0, v14
	v_ldexp_f32 v3, v3, v6
	v_ldexp_f32 v6, v12, v6
	v_add_f32_e32 v12, -1.0, v3
	v_add_f32_e32 v7, 1.0, v12
	v_sub_f32_e32 v7, v3, v7
	v_add_f32_e32 v13, v6, v7
	v_add_f32_e32 v7, 1.0, v3
	v_add_f32_e32 v16, -1.0, v7
	v_sub_f32_e32 v3, v3, v16
	v_add_f32_e32 v3, v6, v3
	v_add_f32_e32 v20, v7, v3
	v_rcp_f32_e32 v21, v20
	v_sub_f32_e32 v6, v7, v20
	v_add_f32_e32 v7, v12, v13
	v_add_f32_e32 v3, v3, v6
	v_mul_f32_e32 v23, v7, v21
	v_sub_f32_e32 v6, v12, v7
	v_mul_f32_e32 v12, v20, v23
	v_fma_f32 v16, v23, v20, -v12
	v_fmac_f32_e32 v16, v23, v3
	v_add_f32_e32 v22, v13, v6
	v_add_f32_e32 v6, v12, v16
	v_sub_f32_e32 v13, v7, v6
	v_pk_add_f32 v[18:19], v[6:7], v[12:13] neg_lo:[0,1] neg_hi:[0,1]
	v_mov_b32_e32 v17, v6
	v_pk_add_f32 v[6:7], v[18:19], v[16:17] neg_lo:[0,1] neg_hi:[0,1]
	v_add_f32_e32 v7, v22, v7
	v_add_f32_e32 v6, v6, v7
	;; [unrolled: 1-line block ×3, first 2 shown]
	v_mul_f32_e32 v22, v21, v7
	v_mul_f32_e32 v12, v20, v22
	v_fma_f32 v16, v22, v20, -v12
	v_fmac_f32_e32 v16, v22, v3
	v_sub_f32_e32 v3, v13, v7
	v_add_f32_e32 v3, v6, v3
	v_add_f32_e32 v6, v12, v16
	v_sub_f32_e32 v13, v7, v6
	v_pk_add_f32 v[18:19], v[6:7], v[12:13] neg_lo:[0,1] neg_hi:[0,1]
	v_mov_b32_e32 v17, v6
	v_pk_add_f32 v[6:7], v[18:19], v[16:17] neg_lo:[0,1] neg_hi:[0,1]
	v_add_f32_e32 v3, v3, v7
	v_add_f32_e32 v3, v6, v3
	;; [unrolled: 1-line block ×4, first 2 shown]
	v_sub_f32_e32 v7, v6, v23
	v_mul_f32_e32 v3, v21, v3
	v_sub_f32_e32 v7, v22, v7
	v_add_f32_e32 v3, v7, v3
	v_add_f32_e32 v13, v6, v3
	v_mul_f32_e32 v16, v13, v13
	v_mov_b32_e32 v12, 0x3ecc95a3
	v_fmac_f32_e32 v12, 0x3e9b6dac, v16
	v_mov_b32_e32 v7, 0x3f2aaada
	v_fmac_f32_e32 v7, v16, v12
	v_cvt_f32_i32_e32 v12, v14
	v_sub_f32_e32 v6, v13, v6
	v_sub_f32_e32 v3, v3, v6
	v_ldexp_f32 v17, v13, 1
	v_mul_f32_e32 v13, v13, v16
	v_mov_b32_e32 v6, 0x3f317218
	s_mov_b32 s9, 0x3f317218
	v_pk_mul_f32 v[6:7], v[12:13], v[6:7]
	v_fma_f32 v16, v12, s9, -v6
	v_fmac_f32_e32 v16, 0xb102e308, v12
	v_pk_add_f32 v[12:13], v[6:7], v[16:17]
	v_sub_f32_e32 v14, v13, v17
	v_ldexp_f32 v3, v3, 1
	v_sub_f32_e32 v14, v7, v14
	v_add_f32_e32 v19, v3, v14
	v_mov_b32_e32 v18, v6
	v_pk_add_f32 v[6:7], v[12:13], v[6:7] neg_lo:[0,1] neg_hi:[0,1]
	v_pk_add_f32 v[20:21], v[12:13], v[18:19]
	v_mov_b32_e32 v7, v21
	v_mov_b32_e32 v17, v12
	v_pk_add_f32 v[22:23], v[16:17], v[6:7] neg_lo:[0,1] neg_hi:[0,1]
	v_pk_add_f32 v[6:7], v[16:17], v[6:7]
	v_mov_b32_e32 v14, v7
	v_pk_add_f32 v[16:17], v[14:15], v[12:13] neg_lo:[0,1] neg_hi:[0,1]
	v_mov_b32_e32 v3, v16
	v_pk_add_f32 v[80:81], v[20:21], v[2:3] neg_lo:[0,1] neg_hi:[0,1]
	v_mov_b32_e32 v6, v21
	v_mov_b32_e32 v20, v13
	;; [unrolled: 1-line block ×4, first 2 shown]
	v_pk_add_f32 v[6:7], v[6:7], v[20:21] neg_lo:[0,1] neg_hi:[0,1]
	v_mov_b32_e32 v16, v19
	v_mov_b32_e32 v17, v12
	v_pk_add_f32 v[6:7], v[16:17], v[6:7] neg_lo:[0,1] neg_hi:[0,1]
	v_mov_b32_e32 v80, v22
	v_pk_add_f32 v[12:13], v[80:81], v[6:7]
	v_mov_b32_e32 v16, v13
	v_pk_add_f32 v[16:17], v[12:13], v[16:17]
	v_pk_add_f32 v[18:19], v[14:15], v[16:17]
	v_mov_b32_e32 v13, v18
	v_pk_add_f32 v[20:21], v[12:13], v[22:23] neg_lo:[0,1] neg_hi:[0,1]
	v_mov_b32_e32 v7, v16
	v_sub_f32_e32 v3, v12, v20
	v_pk_add_f32 v[6:7], v[6:7], v[20:21] neg_lo:[0,1] neg_hi:[0,1]
	v_sub_f32_e32 v3, v22, v3
	s_mov_b32 s10, 0x7f800000
	v_add_f32_e32 v3, v6, v3
	s_mov_b32 s9, 0x33800000
	v_add_f32_e32 v3, v3, v7
	v_cmp_eq_f32_e32 vcc, s10, v71
	v_cmp_lt_f32_e64 s[10:11], |v71|, s9
	v_add_f32_e32 v3, v18, v3
	s_or_b64 vcc, vcc, s[10:11]
	v_cndmask_b32_e32 v3, v3, v71, vcc
	v_add_f32_e32 v3, v2, v3
.LBB512_374:
	s_or_b64 exec, exec, s[6:7]
	v_bfe_u32 v2, v3, 16, 1
	s_movk_i32 s9, 0x7fff
	v_add3_u32 v2, v3, v2, s9
	v_lshrrev_b32_e32 v6, 16, v2
	v_mov_b32_e32 v2, 0x7fc0
	v_cmp_o_f32_e32 vcc, v3, v3
	v_cndmask_b32_e32 v71, v2, v6, vcc
	v_lshlrev_b32_e32 v6, 16, v71
	v_max_f32_e32 v3, v6, v6
	v_min_f32_e32 v7, v3, v96
	v_cmp_u_f32_e32 vcc, v6, v6
	v_max_f32_e32 v3, v3, v96
	v_cndmask_b32_e32 v7, v7, v6, vcc
	v_cndmask_b32_e32 v3, v3, v6, vcc
	v_cndmask_b32_e64 v7, v7, v85, s[50:51]
	v_cndmask_b32_e64 v3, v3, v85, s[50:51]
	v_cmp_neq_f32_e32 vcc, v7, v3
	v_cmp_class_f32_e64 s[6:7], v7, s8
	s_or_b64 s[10:11], vcc, s[6:7]
	s_and_saveexec_b64 s[6:7], s[10:11]
	s_cbranch_execz .LBB512_376
; %bb.375:
	v_sub_f32_e32 v6, v7, v3
	s_mov_b32 s8, 0x3fb8aa3b
	v_mul_f32_e32 v7, 0x3fb8aa3b, v6
	v_fma_f32 v12, v6, s8, -v7
	v_rndne_f32_e32 v13, v7
	v_fmac_f32_e32 v12, 0x32a5705f, v6
	v_sub_f32_e32 v7, v7, v13
	v_add_f32_e32 v7, v7, v12
	v_exp_f32_e32 v7, v7
	v_cvt_i32_f32_e32 v12, v13
	s_mov_b32 s8, 0xc2ce8ed0
	v_cmp_ngt_f32_e32 vcc, s8, v6
	s_mov_b32 s8, 0x42b17218
	v_ldexp_f32 v7, v7, v12
	v_cndmask_b32_e32 v7, 0, v7, vcc
	v_mov_b32_e32 v12, 0x7f800000
	v_cmp_nlt_f32_e32 vcc, s8, v6
	v_cndmask_b32_e32 v82, v12, v7, vcc
	v_add_f32_e32 v12, 1.0, v82
	v_add_f32_e32 v6, -1.0, v12
	v_sub_f32_e32 v7, v6, v12
	v_add_f32_e32 v7, 1.0, v7
	v_sub_f32_e32 v6, v82, v6
	v_add_f32_e32 v13, v6, v7
	v_frexp_mant_f32_e32 v14, v12
	s_mov_b32 s8, 0x3f2aaaab
	v_cvt_f64_f32_e32 v[6:7], v12
	v_frexp_exp_i32_f64_e32 v6, v[6:7]
	v_cmp_gt_f32_e32 vcc, s8, v14
	v_subbrev_co_u32_e32 v14, vcc, 0, v6, vcc
	v_sub_u32_e32 v6, 0, v14
	v_ldexp_f32 v7, v12, v6
	v_add_f32_e32 v12, -1.0, v7
	v_add_f32_e32 v16, 1.0, v7
	v_ldexp_f32 v6, v13, v6
	v_add_f32_e32 v13, 1.0, v12
	v_add_f32_e32 v17, -1.0, v16
	v_sub_f32_e32 v13, v7, v13
	v_sub_f32_e32 v7, v7, v17
	v_add_f32_e32 v13, v6, v13
	v_add_f32_e32 v6, v6, v7
	;; [unrolled: 1-line block ×3, first 2 shown]
	v_rcp_f32_e32 v22, v20
	v_sub_f32_e32 v7, v16, v20
	v_add_f32_e32 v21, v6, v7
	v_add_f32_e32 v7, v12, v13
	v_mul_f32_e32 v80, v7, v22
	v_sub_f32_e32 v6, v12, v7
	v_mul_f32_e32 v12, v20, v80
	v_fma_f32 v16, v80, v20, -v12
	v_fmac_f32_e32 v16, v80, v21
	v_add_f32_e32 v23, v13, v6
	v_add_f32_e32 v6, v12, v16
	v_sub_f32_e32 v13, v7, v6
	v_pk_add_f32 v[18:19], v[6:7], v[12:13] neg_lo:[0,1] neg_hi:[0,1]
	v_mov_b32_e32 v17, v6
	v_pk_add_f32 v[6:7], v[18:19], v[16:17] neg_lo:[0,1] neg_hi:[0,1]
	v_add_f32_e32 v7, v23, v7
	v_add_f32_e32 v6, v6, v7
	;; [unrolled: 1-line block ×3, first 2 shown]
	v_mul_f32_e32 v23, v22, v7
	v_mul_f32_e32 v12, v20, v23
	v_fma_f32 v16, v23, v20, -v12
	v_fmac_f32_e32 v16, v23, v21
	v_sub_f32_e32 v13, v13, v7
	v_add_f32_e32 v20, v6, v13
	v_add_f32_e32 v6, v12, v16
	v_sub_f32_e32 v13, v7, v6
	v_pk_add_f32 v[18:19], v[6:7], v[12:13] neg_lo:[0,1] neg_hi:[0,1]
	v_mov_b32_e32 v17, v6
	v_pk_add_f32 v[6:7], v[18:19], v[16:17] neg_lo:[0,1] neg_hi:[0,1]
	v_add_f32_e32 v7, v20, v7
	v_add_f32_e32 v6, v6, v7
	;; [unrolled: 1-line block ×4, first 2 shown]
	v_sub_f32_e32 v7, v13, v80
	v_mul_f32_e32 v6, v22, v6
	v_sub_f32_e32 v7, v23, v7
	v_add_f32_e32 v6, v7, v6
	v_add_f32_e32 v16, v13, v6
	v_mul_f32_e32 v18, v16, v16
	v_mov_b32_e32 v12, 0x3ecc95a3
	v_fmac_f32_e32 v12, 0x3e9b6dac, v18
	v_mov_b32_e32 v7, 0x3f2aaada
	v_fmac_f32_e32 v7, v18, v12
	v_cvt_f32_i32_e32 v12, v14
	v_sub_f32_e32 v13, v16, v13
	v_sub_f32_e32 v6, v6, v13
	v_ldexp_f32 v14, v6, 1
	v_mul_f32_e32 v13, v16, v18
	v_mov_b32_e32 v6, 0x3f317218
	s_mov_b32 s8, 0x3f317218
	v_pk_mul_f32 v[6:7], v[12:13], v[6:7]
	v_ldexp_f32 v17, v16, 1
	v_fma_f32 v16, v12, s8, -v6
	v_fmac_f32_e32 v16, 0xb102e308, v12
	v_pk_add_f32 v[12:13], v[6:7], v[16:17]
	v_sub_f32_e32 v17, v13, v17
	v_sub_f32_e32 v17, v7, v17
	v_add_f32_e32 v19, v14, v17
	v_mov_b32_e32 v18, v6
	v_pk_add_f32 v[6:7], v[12:13], v[6:7] neg_lo:[0,1] neg_hi:[0,1]
	v_pk_add_f32 v[20:21], v[12:13], v[18:19]
	v_mov_b32_e32 v7, v21
	v_mov_b32_e32 v17, v12
	v_pk_add_f32 v[22:23], v[16:17], v[6:7] neg_lo:[0,1] neg_hi:[0,1]
	v_pk_add_f32 v[6:7], v[16:17], v[6:7]
	v_mov_b32_e32 v14, v7
	v_pk_add_f32 v[16:17], v[14:15], v[12:13] neg_lo:[0,1] neg_hi:[0,1]
	v_mov_b32_e32 v17, v16
	v_pk_add_f32 v[80:81], v[20:21], v[16:17] neg_lo:[0,1] neg_hi:[0,1]
	v_mov_b32_e32 v6, v21
	v_mov_b32_e32 v20, v13
	;; [unrolled: 1-line block ×4, first 2 shown]
	v_pk_add_f32 v[6:7], v[6:7], v[20:21] neg_lo:[0,1] neg_hi:[0,1]
	v_mov_b32_e32 v16, v19
	v_mov_b32_e32 v17, v12
	v_pk_add_f32 v[6:7], v[16:17], v[6:7] neg_lo:[0,1] neg_hi:[0,1]
	v_mov_b32_e32 v80, v22
	v_pk_add_f32 v[12:13], v[80:81], v[6:7]
	v_mov_b32_e32 v16, v13
	v_pk_add_f32 v[16:17], v[12:13], v[16:17]
	v_pk_add_f32 v[18:19], v[14:15], v[16:17]
	v_mov_b32_e32 v13, v18
	v_pk_add_f32 v[20:21], v[12:13], v[22:23] neg_lo:[0,1] neg_hi:[0,1]
	v_mov_b32_e32 v7, v16
	v_sub_f32_e32 v12, v12, v20
	v_pk_add_f32 v[6:7], v[6:7], v[20:21] neg_lo:[0,1] neg_hi:[0,1]
	v_sub_f32_e32 v12, v22, v12
	s_mov_b32 s10, 0x7f800000
	v_add_f32_e32 v6, v6, v12
	s_mov_b32 s8, 0x33800000
	v_add_f32_e32 v6, v6, v7
	v_cmp_eq_f32_e32 vcc, s10, v82
	v_cmp_lt_f32_e64 s[10:11], |v82|, s8
	v_add_f32_e32 v6, v18, v6
	s_or_b64 vcc, vcc, s[10:11]
	v_cndmask_b32_e32 v6, v6, v82, vcc
	v_add_f32_e32 v6, v3, v6
.LBB512_376:
	s_or_b64 exec, exec, s[6:7]
	v_bfe_u32 v3, v6, 16, 1
	v_add3_u32 v3, v6, v3, s9
	v_lshrrev_b32_e32 v3, 16, v3
	v_cmp_o_f32_e32 vcc, v6, v6
	v_cndmask_b32_e32 v80, v2, v3, vcc
	v_lshlrev_b32_e32 v3, 16, v80
	v_max_f32_e32 v2, v3, v3
	v_min_f32_e32 v6, v2, v97
	v_cmp_u_f32_e32 vcc, v3, v3
	v_max_f32_e32 v2, v2, v97
	v_cndmask_b32_e32 v6, v6, v3, vcc
	v_cndmask_b32_e32 v2, v2, v3, vcc
	v_cndmask_b32_e64 v6, v6, v15, s[52:53]
	v_cndmask_b32_e64 v2, v2, v15, s[52:53]
	s_movk_i32 s6, 0x1f8
	v_cmp_neq_f32_e32 vcc, v6, v2
	v_cmp_class_f32_e64 s[6:7], v6, s6
	s_or_b64 s[8:9], vcc, s[6:7]
	s_and_saveexec_b64 s[6:7], s[8:9]
	s_cbranch_execz .LBB512_378
; %bb.377:
	v_sub_f32_e32 v3, v6, v2
	s_mov_b32 s8, 0x3fb8aa3b
	v_mul_f32_e32 v6, 0x3fb8aa3b, v3
	v_fma_f32 v7, v3, s8, -v6
	v_rndne_f32_e32 v12, v6
	v_fmac_f32_e32 v7, 0x32a5705f, v3
	v_sub_f32_e32 v6, v6, v12
	v_add_f32_e32 v6, v6, v7
	v_exp_f32_e32 v6, v6
	v_cvt_i32_f32_e32 v7, v12
	s_mov_b32 s8, 0xc2ce8ed0
	v_cmp_ngt_f32_e32 vcc, s8, v3
	s_mov_b32 s8, 0x42b17218
	v_ldexp_f32 v6, v6, v7
	v_cndmask_b32_e32 v6, 0, v6, vcc
	v_mov_b32_e32 v7, 0x7f800000
	v_cmp_nlt_f32_e32 vcc, s8, v3
	v_cndmask_b32_e32 v81, v7, v6, vcc
	v_add_f32_e32 v3, 1.0, v81
	v_add_f32_e32 v6, -1.0, v3
	v_sub_f32_e32 v7, v6, v3
	v_add_f32_e32 v7, 1.0, v7
	v_sub_f32_e32 v6, v81, v6
	v_add_f32_e32 v12, v6, v7
	v_frexp_mant_f32_e32 v13, v3
	s_mov_b32 s8, 0x3f2aaaab
	v_cvt_f64_f32_e32 v[6:7], v3
	v_frexp_exp_i32_f64_e32 v6, v[6:7]
	v_cmp_gt_f32_e32 vcc, s8, v13
	v_subbrev_co_u32_e32 v18, vcc, 0, v6, vcc
	v_sub_u32_e32 v6, 0, v18
	v_ldexp_f32 v3, v3, v6
	v_ldexp_f32 v6, v12, v6
	v_add_f32_e32 v12, -1.0, v3
	v_add_f32_e32 v7, 1.0, v12
	v_sub_f32_e32 v7, v3, v7
	v_add_f32_e32 v13, v6, v7
	v_add_f32_e32 v7, 1.0, v3
	v_add_f32_e32 v14, -1.0, v7
	v_sub_f32_e32 v3, v3, v14
	v_add_f32_e32 v3, v6, v3
	v_add_f32_e32 v19, v7, v3
	v_rcp_f32_e32 v20, v19
	v_sub_f32_e32 v6, v7, v19
	v_add_f32_e32 v7, v12, v13
	v_add_f32_e32 v3, v3, v6
	v_mul_f32_e32 v22, v7, v20
	v_sub_f32_e32 v6, v12, v7
	v_mul_f32_e32 v12, v19, v22
	v_fma_f32 v14, v22, v19, -v12
	v_fmac_f32_e32 v14, v22, v3
	v_add_f32_e32 v21, v13, v6
	v_add_f32_e32 v6, v12, v14
	v_sub_f32_e32 v13, v7, v6
	v_pk_add_f32 v[16:17], v[6:7], v[12:13] neg_lo:[0,1] neg_hi:[0,1]
	v_mov_b32_e32 v15, v6
	v_pk_add_f32 v[6:7], v[16:17], v[14:15] neg_lo:[0,1] neg_hi:[0,1]
	v_add_f32_e32 v7, v21, v7
	v_add_f32_e32 v6, v6, v7
	;; [unrolled: 1-line block ×3, first 2 shown]
	v_mul_f32_e32 v21, v20, v7
	v_mul_f32_e32 v12, v19, v21
	v_fma_f32 v14, v21, v19, -v12
	v_fmac_f32_e32 v14, v21, v3
	v_sub_f32_e32 v3, v13, v7
	v_add_f32_e32 v3, v6, v3
	v_add_f32_e32 v6, v12, v14
	v_sub_f32_e32 v13, v7, v6
	v_pk_add_f32 v[16:17], v[6:7], v[12:13] neg_lo:[0,1] neg_hi:[0,1]
	v_mov_b32_e32 v15, v6
	v_pk_add_f32 v[6:7], v[16:17], v[14:15] neg_lo:[0,1] neg_hi:[0,1]
	v_add_f32_e32 v3, v3, v7
	v_add_f32_e32 v3, v6, v3
	;; [unrolled: 1-line block ×4, first 2 shown]
	v_sub_f32_e32 v7, v6, v22
	v_mul_f32_e32 v3, v20, v3
	v_sub_f32_e32 v7, v21, v7
	v_add_f32_e32 v3, v7, v3
	v_add_f32_e32 v13, v6, v3
	v_mul_f32_e32 v14, v13, v13
	v_mov_b32_e32 v12, 0x3ecc95a3
	v_fmac_f32_e32 v12, 0x3e9b6dac, v14
	v_mov_b32_e32 v7, 0x3f2aaada
	v_fmac_f32_e32 v7, v14, v12
	v_cvt_f32_i32_e32 v12, v18
	v_sub_f32_e32 v6, v13, v6
	v_sub_f32_e32 v3, v3, v6
	v_ldexp_f32 v15, v13, 1
	v_mul_f32_e32 v13, v13, v14
	v_mov_b32_e32 v6, 0x3f317218
	s_mov_b32 s8, 0x3f317218
	v_pk_mul_f32 v[6:7], v[12:13], v[6:7]
	v_fma_f32 v14, v12, s8, -v6
	v_fmac_f32_e32 v14, 0xb102e308, v12
	v_pk_add_f32 v[12:13], v[6:7], v[14:15]
	v_sub_f32_e32 v15, v13, v15
	v_ldexp_f32 v3, v3, 1
	v_sub_f32_e32 v15, v7, v15
	v_add_f32_e32 v17, v3, v15
	v_mov_b32_e32 v16, v6
	v_pk_add_f32 v[6:7], v[12:13], v[6:7] neg_lo:[0,1] neg_hi:[0,1]
	v_pk_add_f32 v[18:19], v[12:13], v[16:17]
	v_mov_b32_e32 v7, v19
	v_mov_b32_e32 v15, v12
	v_pk_add_f32 v[20:21], v[14:15], v[6:7] neg_lo:[0,1] neg_hi:[0,1]
	v_pk_add_f32 v[6:7], v[14:15], v[6:7]
	v_mov_b32_e32 v14, v7
	v_pk_add_f32 v[22:23], v[14:15], v[12:13] neg_lo:[0,1] neg_hi:[0,1]
	v_mov_b32_e32 v3, v22
	v_pk_add_f32 v[82:83], v[18:19], v[2:3] neg_lo:[0,1] neg_hi:[0,1]
	v_mov_b32_e32 v6, v19
	v_mov_b32_e32 v18, v13
	;; [unrolled: 1-line block ×4, first 2 shown]
	v_pk_add_f32 v[6:7], v[6:7], v[18:19] neg_lo:[0,1] neg_hi:[0,1]
	v_mov_b32_e32 v16, v17
	v_mov_b32_e32 v17, v12
	v_pk_add_f32 v[6:7], v[16:17], v[6:7] neg_lo:[0,1] neg_hi:[0,1]
	v_mov_b32_e32 v82, v20
	v_pk_add_f32 v[12:13], v[82:83], v[6:7]
	v_mov_b32_e32 v16, v13
	v_pk_add_f32 v[16:17], v[12:13], v[16:17]
	v_pk_add_f32 v[14:15], v[14:15], v[16:17]
	v_mov_b32_e32 v13, v14
	v_pk_add_f32 v[18:19], v[12:13], v[20:21] neg_lo:[0,1] neg_hi:[0,1]
	v_mov_b32_e32 v7, v16
	v_sub_f32_e32 v3, v12, v18
	v_pk_add_f32 v[6:7], v[6:7], v[18:19] neg_lo:[0,1] neg_hi:[0,1]
	v_sub_f32_e32 v3, v20, v3
	s_mov_b32 s9, 0x7f800000
	v_add_f32_e32 v3, v6, v3
	s_mov_b32 s8, 0x33800000
	v_add_f32_e32 v3, v3, v7
	v_cmp_eq_f32_e32 vcc, s9, v81
	v_cmp_lt_f32_e64 s[8:9], |v81|, s8
	v_add_f32_e32 v3, v14, v3
	s_or_b64 vcc, vcc, s[8:9]
	v_cndmask_b32_e32 v3, v3, v81, vcc
	v_add_f32_e32 v3, v2, v3
.LBB512_378:
	s_or_b64 exec, exec, s[6:7]
	v_bfe_u32 v2, v3, 16, 1
	s_movk_i32 s6, 0x7fff
	v_add3_u32 v2, v3, v2, s6
	v_lshrrev_b32_e32 v2, 16, v2
	v_mov_b32_e32 v6, 0x7fc0
	v_cmp_o_f32_e32 vcc, v3, v3
	v_cndmask_b32_e32 v81, v6, v2, vcc
	s_and_saveexec_b64 s[6:7], s[56:57]
	s_cbranch_execz .LBB512_380
; %bb.379:
	s_mov_b32 s8, 0x20000
	v_or_b32_sdwa v2, v81, s8 dst_sel:DWORD dst_unused:UNUSED_PAD src0_sel:WORD_0 src1_sel:DWORD
	flat_store_dword v[24:25], v2 offset:256
.LBB512_380:
	s_or_b64 exec, exec, s[6:7]
.LBB512_381:
	v_add_co_u32_e32 v0, vcc, v10, v0
	v_addc_co_u32_e32 v1, vcc, v11, v1, vcc
	v_add_co_u32_e32 v0, vcc, v0, v26
	v_addc_co_u32_e32 v1, vcc, v1, v27, vcc
	s_waitcnt lgkmcnt(0)
	; wave barrier
	s_waitcnt lgkmcnt(0)
	s_and_saveexec_b64 s[6:7], s[4:5]
	s_xor_b64 s[4:5], exec, s[6:7]
	s_cbranch_execz .LBB512_383
; %bb.382:
	s_mov_b32 s6, 0x5040100
	v_perm_b32 v5, v37, v36, s6
	v_perm_b32 v4, v35, v34, s6
	;; [unrolled: 1-line block ×4, first 2 shown]
	ds_write_b128 v29, v[2:5]
	v_perm_b32 v5, v65, v64, s6
	v_perm_b32 v4, v55, v54, s6
	;; [unrolled: 1-line block ×4, first 2 shown]
	ds_write_b128 v29, v[2:5] offset:16
	v_perm_b32 v5, v81, v80, s6
	v_perm_b32 v4, v71, v70, s6
	;; [unrolled: 1-line block ×4, first 2 shown]
	ds_write_b128 v29, v[2:5] offset:32
	s_waitcnt lgkmcnt(0)
	; wave barrier
	s_waitcnt lgkmcnt(0)
	ds_read_u16 v2, v48
	ds_read_u16 v3, v48 offset:128
	ds_read_u16 v4, v48 offset:256
	;; [unrolled: 1-line block ×23, first 2 shown]
	v_add_co_u32_e32 v0, vcc, v0, v48
	v_addc_co_u32_e32 v1, vcc, 0, v1, vcc
	s_waitcnt lgkmcnt(0)
	flat_store_short v[0:1], v2
	flat_store_short v[0:1], v3 offset:128
	flat_store_short v[0:1], v4 offset:256
	;; [unrolled: 1-line block ×23, first 2 shown]
                                        ; implicit-def: $vgpr2_vgpr3_vgpr4_vgpr5
                                        ; implicit-def: $vgpr6_vgpr7_vgpr8_vgpr9
                                        ; implicit-def: $vgpr28
                                        ; implicit-def: $vgpr29
                                        ; implicit-def: $vgpr30
                                        ; implicit-def: $vgpr31
                                        ; implicit-def: $vgpr32
                                        ; implicit-def: $vgpr33
                                        ; implicit-def: $vgpr34
                                        ; implicit-def: $vgpr35
                                        ; implicit-def: $vgpr36
                                        ; implicit-def: $vgpr37
                                        ; implicit-def: $vgpr50
                                        ; implicit-def: $vgpr52
                                        ; implicit-def: $vgpr51
                                        ; implicit-def: $vgpr53
                                        ; implicit-def: $vgpr54
                                        ; implicit-def: $vgpr55
                                        ; implicit-def: $vgpr64
                                        ; implicit-def: $vgpr65
                                        ; implicit-def: $vgpr66
                                        ; implicit-def: $vgpr67
                                        ; implicit-def: $vgpr68
                                        ; implicit-def: $vgpr69
                                        ; implicit-def: $vgpr70
                                        ; implicit-def: $vgpr71
                                        ; implicit-def: $vgpr80
                                        ; implicit-def: $vgpr81
                                        ; implicit-def: $vgpr49
                                        ; implicit-def: $vgpr38
                                        ; implicit-def: $vgpr39
                                        ; implicit-def: $vgpr0
                                        ; implicit-def: $vgpr1
                                        ; implicit-def: $vgpr48
.LBB512_383:
	s_andn2_saveexec_b64 s[6:7], s[4:5]
	s_cbranch_execz .LBB512_524
; %bb.384:
	s_mov_b32 s4, 0x5040100
	v_perm_b32 v13, v37, v36, s4
	v_perm_b32 v12, v35, v34, s4
	;; [unrolled: 1-line block ×4, first 2 shown]
	ds_write_b128 v29, v[10:13]
	v_perm_b32 v13, v65, v64, s4
	v_perm_b32 v12, v55, v54, s4
	;; [unrolled: 1-line block ×4, first 2 shown]
	ds_write_b128 v29, v[10:13] offset:16
	v_perm_b32 v13, v81, v80, s4
	v_perm_b32 v12, v71, v70, s4
	v_perm_b32 v11, v69, v68, s4
	v_perm_b32 v10, v67, v66, s4
	ds_write_b128 v29, v[10:13] offset:32
	s_waitcnt lgkmcnt(0)
	; wave barrier
	s_waitcnt lgkmcnt(0)
	ds_read_u16 v3, v48
	ds_read_u16 v2, v48 offset:128
	ds_read_u16 v7, v48 offset:256
	ds_read_u16 v10, v48 offset:384
	ds_read_u16 v6, v48 offset:512
	ds_read_u16 v11, v48 offset:640
	ds_read_u16 v19, v48 offset:768
	ds_read_u16 v17, v48 offset:896
	ds_read_u16 v18, v48 offset:1024
	ds_read_u16 v25, v48 offset:1152
	ds_read_u16 v22, v48 offset:1280
	ds_read_u16 v21, v48 offset:1408
	ds_read_u16 v20, v48 offset:1536
	ds_read_u16 v15, v48 offset:1664
	ds_read_u16 v16, v48 offset:1792
	ds_read_u16 v12, v48 offset:1920
	ds_read_u16 v24, v48 offset:2048
	ds_read_u16 v30, v48 offset:2176
	ds_read_u16 v26, v48 offset:2304
	ds_read_u16 v23, v48 offset:2432
	ds_read_u16 v14, v48 offset:2560
	ds_read_u16 v13, v48 offset:2688
	ds_read_u16 v27, v48 offset:2816
	ds_read_u16 v31, v48 offset:2944
	v_add_co_u32_e32 v0, vcc, v0, v48
	v_addc_co_u32_e32 v1, vcc, 0, v1, vcc
	v_mov_b32_e32 v29, 0
	v_cmp_lt_u32_e32 vcc, v28, v38
	s_and_saveexec_b64 s[4:5], vcc
	s_cbranch_execz .LBB512_386
; %bb.385:
	s_waitcnt lgkmcnt(0)
	flat_store_short v[0:1], v3
.LBB512_386:
	s_or_b64 exec, exec, s[4:5]
	v_add_u32_e32 v32, 64, v28
	v_cmp_lt_u32_e32 vcc, v32, v38
	s_and_saveexec_b64 s[4:5], vcc
	s_cbranch_execz .LBB512_388
; %bb.387:
	s_waitcnt lgkmcnt(0)
	flat_store_short v[0:1], v2 offset:128
.LBB512_388:
	s_or_b64 exec, exec, s[4:5]
	v_add_u32_e32 v32, 0x80, v28
	v_cmp_lt_u32_e32 vcc, v32, v38
	s_and_saveexec_b64 s[4:5], vcc
	s_cbranch_execz .LBB512_390
; %bb.389:
	s_waitcnt lgkmcnt(0)
	flat_store_short v[0:1], v7 offset:256
.LBB512_390:
	;; [unrolled: 9-line block ×15, first 2 shown]
	s_or_b64 exec, exec, s[4:5]
	v_or_b32_e32 v32, 0x400, v28
	v_cmp_lt_u32_e32 vcc, v32, v38
	s_and_saveexec_b64 s[4:5], vcc
	s_cbranch_execz .LBB512_418
; %bb.417:
	s_waitcnt lgkmcnt(0)
	flat_store_short v[0:1], v24 offset:2048
.LBB512_418:
	s_or_b64 exec, exec, s[4:5]
	v_add_u32_e32 v32, 0x440, v28
	v_cmp_lt_u32_e32 vcc, v32, v38
	s_and_saveexec_b64 s[4:5], vcc
	s_cbranch_execz .LBB512_420
; %bb.419:
	s_waitcnt lgkmcnt(0)
	flat_store_short v[0:1], v30 offset:2176
.LBB512_420:
	s_or_b64 exec, exec, s[4:5]
	v_add_u32_e32 v32, 0x480, v28
	;; [unrolled: 9-line block ×7, first 2 shown]
	v_cmp_lt_u32_e32 vcc, v32, v38
	s_and_saveexec_b64 s[4:5], vcc
	s_cbranch_execz .LBB512_432
; %bb.431:
	s_waitcnt lgkmcnt(0)
	flat_store_short v[0:1], v31 offset:2944
.LBB512_432:
	s_or_b64 exec, exec, s[4:5]
	v_cmp_lt_u64_e32 vcc, 1, v[8:9]
	s_and_saveexec_b64 s[8:9], vcc
	s_cbranch_execz .LBB512_523
; %bb.433:
	s_add_u32 s4, 0, 0xaaaa0000
	s_addc_u32 s5, 0, 42
	s_add_i32 s5, s5, 0xaaaaa80
	s_mul_hi_u32 s13, s4, 0xffffffe8
	s_sub_i32 s13, s13, s4
	s_mul_i32 s14, s5, 0xffffffe8
	s_mul_i32 s10, s4, 0xffffffe8
	s_add_i32 s13, s13, s14
	s_mul_hi_u32 s11, s5, s10
	s_mul_i32 s12, s5, s10
	s_mul_i32 s15, s4, s13
	s_mul_hi_u32 s10, s4, s10
	s_mul_hi_u32 s14, s4, s13
	s_add_u32 s10, s10, s15
	s_addc_u32 s14, 0, s14
	s_add_u32 s10, s10, s12
	s_mul_hi_u32 s15, s5, s13
	s_addc_u32 s10, s14, s11
	s_addc_u32 s11, s15, 0
	s_mul_i32 s12, s5, s13
	v_add_co_u32_e32 v0, vcc, -1, v38
	s_add_u32 s10, s10, s12
	v_addc_co_u32_e32 v1, vcc, -1, v39, vcc
	v_mov_b32_e32 v8, s10
	s_addc_u32 s11, 0, s11
	v_add_co_u32_e32 v32, vcc, s4, v8
	s_cmp_lg_u64 vcc, 0
	s_addc_u32 s10, s5, s11
	v_mad_u64_u32 v[8:9], s[4:5], v0, s10, 0
	v_mul_hi_u32 v33, v0, v32
	v_add_co_u32_e32 v34, vcc, v33, v8
	v_addc_co_u32_e32 v35, vcc, 0, v9, vcc
	v_mad_u64_u32 v[32:33], s[4:5], v1, v32, 0
	v_add_co_u32_e32 v32, vcc, v34, v32
	v_mad_u64_u32 v[8:9], s[4:5], v1, s10, 0
	v_addc_co_u32_e32 v32, vcc, v35, v33, vcc
	v_addc_co_u32_e32 v9, vcc, 0, v9, vcc
	v_add_co_u32_e32 v34, vcc, v32, v8
	v_addc_co_u32_e32 v35, vcc, 0, v9, vcc
	v_mad_u64_u32 v[8:9], s[4:5], v34, 24, 0
	v_mov_b32_e32 v32, v9
	v_mad_u64_u32 v[32:33], s[4:5], v35, 24, v[32:33]
	v_sub_co_u32_e32 v8, vcc, v0, v8
	v_subb_co_u32_e32 v9, vcc, v1, v32, vcc
	v_subrev_co_u32_e32 v32, vcc, 24, v8
	v_subbrev_co_u32_e32 v33, vcc, 0, v9, vcc
	v_cmp_lt_u32_e32 vcc, 23, v32
	v_cndmask_b32_e64 v32, 0, -1, vcc
	v_cmp_eq_u32_e32 vcc, 0, v33
	v_cndmask_b32_e32 v32, -1, v32, vcc
	v_add_co_u32_e32 v33, vcc, 2, v34
	v_addc_co_u32_e32 v36, vcc, 0, v35, vcc
	v_add_co_u32_e32 v37, vcc, 1, v34
	v_cmp_lt_u32_e64 s[4:5], 23, v8
	v_addc_co_u32_e32 v38, vcc, 0, v35, vcc
	v_cndmask_b32_e64 v8, 0, -1, s[4:5]
	v_cmp_eq_u32_e64 s[4:5], 0, v9
	v_cmp_ne_u32_e32 vcc, 0, v32
	v_cndmask_b32_e64 v8, -1, v8, s[4:5]
	v_cndmask_b32_e32 v32, v38, v36, vcc
	v_cmp_ne_u32_e64 s[4:5], 0, v8
	v_cndmask_b32_e32 v8, v37, v33, vcc
	v_cndmask_b32_e64 v9, v35, v32, s[4:5]
	v_cndmask_b32_e64 v8, v34, v8, s[4:5]
	v_cmp_eq_u64_e32 vcc, v[8:9], v[28:29]
	s_and_b64 exec, exec, vcc
	s_cbranch_execz .LBB512_523
; %bb.434:
	v_mul_hi_u32_u24_e32 v8, 24, v28
	v_sub_co_u32_e32 v0, vcc, v0, v49
	v_subb_co_u32_e32 v1, vcc, v1, v8, vcc
	v_cmp_lt_i64_e32 vcc, 11, v[0:1]
	s_mov_b64 s[4:5], 0
	s_mov_b64 s[16:17], 0
	;; [unrolled: 1-line block ×4, first 2 shown]
	s_and_saveexec_b64 s[10:11], vcc
	s_xor_b64 s[10:11], exec, s[10:11]
	s_cbranch_execnz .LBB512_440
; %bb.435:
	s_andn2_saveexec_b64 s[10:11], s[10:11]
	s_cbranch_execnz .LBB512_485
.LBB512_436:
	s_or_b64 exec, exec, s[10:11]
	s_and_saveexec_b64 s[10:11], s[16:17]
	s_cbranch_execnz .LBB512_502
.LBB512_437:
	s_or_b64 exec, exec, s[10:11]
	s_and_saveexec_b64 s[10:11], s[14:15]
	s_cbranch_execnz .LBB512_503
.LBB512_438:
	s_or_b64 exec, exec, s[10:11]
	s_and_saveexec_b64 s[10:11], s[12:13]
	s_xor_b64 s[10:11], exec, s[10:11]
	s_cbranch_execnz .LBB512_504
.LBB512_439:
	s_or_b64 exec, exec, s[10:11]
	s_and_b64 exec, exec, s[4:5]
	s_cbranch_execnz .LBB512_505
	s_branch .LBB512_523
.LBB512_440:
	v_cmp_lt_i64_e32 vcc, 17, v[0:1]
	s_and_saveexec_b64 s[18:19], vcc
	s_xor_b64 s[18:19], exec, s[18:19]
	s_cbranch_execz .LBB512_462
; %bb.441:
	v_cmp_lt_i64_e32 vcc, 20, v[0:1]
                                        ; implicit-def: $vgpr12
	s_and_saveexec_b64 s[20:21], vcc
	s_xor_b64 s[20:21], exec, s[20:21]
	s_cbranch_execz .LBB512_451
; %bb.442:
	v_cmp_lt_i64_e32 vcc, 21, v[0:1]
	s_mov_b64 s[22:23], 0
                                        ; implicit-def: $vgpr12
	s_and_saveexec_b64 s[12:13], vcc
	s_xor_b64 s[12:13], exec, s[12:13]
	s_cbranch_execz .LBB512_448
; %bb.443:
	v_cmp_lt_i64_e32 vcc, 22, v[0:1]
	s_and_saveexec_b64 s[22:23], vcc
	s_xor_b64 s[22:23], exec, s[22:23]
	s_cbranch_execz .LBB512_445
; %bb.444:
	s_waitcnt lgkmcnt(0)
	flat_store_short v[4:5], v31
                                        ; implicit-def: $vgpr27
.LBB512_445:
	s_or_saveexec_b64 s[22:23], s[22:23]
	s_mov_b64 s[24:25], 0
	s_xor_b64 exec, exec, s[22:23]
; %bb.446:
	s_mov_b64 s[24:25], exec
; %bb.447:
	s_or_b64 exec, exec, s[22:23]
	s_and_b64 s[22:23], s[24:25], exec
	s_waitcnt lgkmcnt(0)
	v_mov_b32_e32 v12, v27
                                        ; implicit-def: $vgpr13
.LBB512_448:
	s_andn2_saveexec_b64 s[12:13], s[12:13]
; %bb.449:
	s_mov_b64 s[14:15], exec
                                        ; implicit-def: $vgpr12
; %bb.450:
	s_or_b64 exec, exec, s[12:13]
	s_and_b64 s[12:13], s[22:23], exec
	s_and_b64 s[14:15], s[14:15], exec
                                        ; implicit-def: $vgpr26
                                        ; implicit-def: $vgpr14
                                        ; implicit-def: $vgpr23
.LBB512_451:
	s_andn2_saveexec_b64 s[20:21], s[20:21]
	s_cbranch_execz .LBB512_461
; %bb.452:
	v_cmp_lt_i64_e32 vcc, 18, v[0:1]
	s_mov_b64 s[22:23], 0
	s_and_saveexec_b64 s[16:17], vcc
	s_xor_b64 s[16:17], exec, s[16:17]
	s_cbranch_execz .LBB512_458
; %bb.453:
	v_cmp_lt_i64_e32 vcc, 19, v[0:1]
	s_and_saveexec_b64 s[24:25], vcc
	s_xor_b64 s[24:25], exec, s[24:25]
; %bb.454:
	s_mov_b64 s[22:23], exec
                                        ; implicit-def: $vgpr23
; %bb.455:
	s_andn2_saveexec_b64 s[24:25], s[24:25]
	s_cbranch_execz .LBB512_457
; %bb.456:
	s_waitcnt lgkmcnt(0)
	flat_store_short v[4:5], v23
                                        ; implicit-def: $vgpr14
.LBB512_457:
	s_or_b64 exec, exec, s[24:25]
	s_and_b64 s[22:23], s[22:23], exec
                                        ; implicit-def: $vgpr26
.LBB512_458:
	s_andn2_saveexec_b64 s[16:17], s[16:17]
	s_cbranch_execz .LBB512_460
; %bb.459:
	s_waitcnt lgkmcnt(0)
	flat_store_short v[4:5], v26
                                        ; implicit-def: $vgpr14
.LBB512_460:
	s_or_b64 exec, exec, s[16:17]
	s_and_b64 s[16:17], s[22:23], exec
                                        ; implicit-def: $vgpr12
                                        ; implicit-def: $vgpr13
.LBB512_461:
	s_or_b64 exec, exec, s[20:21]
	s_and_b64 s[12:13], s[12:13], exec
	s_and_b64 s[14:15], s[14:15], exec
	;; [unrolled: 1-line block ×3, first 2 shown]
                                        ; implicit-def: $vgpr20
                                        ; implicit-def: $vgpr15
                                        ; implicit-def: $vgpr16
                                        ; implicit-def: $vgpr24
                                        ; implicit-def: $vgpr30
.LBB512_462:
	s_andn2_saveexec_b64 s[18:19], s[18:19]
	s_cbranch_execz .LBB512_484
; %bb.463:
	v_cmp_lt_i64_e32 vcc, 14, v[0:1]
	s_mov_b64 s[20:21], s[12:13]
	s_and_saveexec_b64 s[22:23], vcc
	s_xor_b64 s[22:23], exec, s[22:23]
	s_cbranch_execz .LBB512_473
; %bb.464:
	v_cmp_lt_i64_e32 vcc, 15, v[0:1]
	s_and_saveexec_b64 s[20:21], vcc
	s_xor_b64 s[20:21], exec, s[20:21]
	s_cbranch_execz .LBB512_470
; %bb.465:
	v_cmp_lt_i64_e32 vcc, 16, v[0:1]
	s_and_saveexec_b64 s[24:25], vcc
	s_xor_b64 s[24:25], exec, s[24:25]
	s_cbranch_execz .LBB512_467
; %bb.466:
	s_waitcnt lgkmcnt(0)
	flat_store_short v[4:5], v30
                                        ; implicit-def: $vgpr24
.LBB512_467:
	s_andn2_saveexec_b64 s[24:25], s[24:25]
	s_cbranch_execz .LBB512_469
; %bb.468:
	s_waitcnt lgkmcnt(0)
	flat_store_short v[4:5], v24
.LBB512_469:
	s_or_b64 exec, exec, s[24:25]
                                        ; implicit-def: $vgpr12
.LBB512_470:
	s_or_saveexec_b64 s[20:21], s[20:21]
	s_mov_b64 s[24:25], s[12:13]
	s_xor_b64 exec, exec, s[20:21]
; %bb.471:
	s_or_b64 s[24:25], s[12:13], exec
; %bb.472:
	s_or_b64 exec, exec, s[20:21]
	s_andn2_b64 s[20:21], s[12:13], exec
	s_and_b64 s[24:25], s[24:25], exec
	s_or_b64 s[20:21], s[20:21], s[24:25]
                                        ; implicit-def: $vgpr20
                                        ; implicit-def: $vgpr15
                                        ; implicit-def: $vgpr16
.LBB512_473:
	s_or_saveexec_b64 s[22:23], s[22:23]
	s_mov_b64 s[24:25], s[14:15]
                                        ; implicit-def: $vgpr13
	s_xor_b64 exec, exec, s[22:23]
	s_cbranch_execz .LBB512_483
; %bb.474:
	v_cmp_lt_i64_e32 vcc, 12, v[0:1]
	s_mov_b64 s[26:27], s[14:15]
	s_mov_b64 s[28:29], s[20:21]
                                        ; implicit-def: $vgpr12
                                        ; implicit-def: $vgpr13
	s_and_saveexec_b64 s[24:25], vcc
	s_xor_b64 s[24:25], exec, s[24:25]
	s_cbranch_execz .LBB512_480
; %bb.475:
	v_cmp_lt_i64_e32 vcc, 13, v[0:1]
	s_mov_b64 s[26:27], s[20:21]
	s_and_saveexec_b64 s[28:29], vcc
	s_xor_b64 s[28:29], exec, s[28:29]
; %bb.476:
	s_or_b64 s[26:27], s[20:21], exec
                                        ; implicit-def: $vgpr15
; %bb.477:
	s_or_saveexec_b64 s[28:29], s[28:29]
	s_mov_b64 vcc, s[14:15]
	s_xor_b64 exec, exec, s[28:29]
; %bb.478:
	s_or_b64 vcc, s[14:15], exec
                                        ; implicit-def: $vgpr16
; %bb.479:
	s_or_b64 exec, exec, s[28:29]
	s_andn2_b64 s[28:29], s[20:21], exec
	s_and_b64 s[26:27], s[26:27], exec
	s_or_b64 s[28:29], s[28:29], s[26:27]
	s_andn2_b64 s[26:27], s[14:15], exec
	s_and_b64 vcc, vcc, exec
	s_or_b64 s[26:27], s[26:27], vcc
	s_waitcnt lgkmcnt(0)
	v_mov_b32_e32 v12, v16
	v_mov_b32_e32 v13, v15
                                        ; implicit-def: $vgpr20
.LBB512_480:
	s_andn2_saveexec_b64 s[24:25], s[24:25]
	s_cbranch_execz .LBB512_482
; %bb.481:
	s_or_b64 s[26:27], s[26:27], exec
                                        ; implicit-def: $vgpr12
	s_waitcnt lgkmcnt(0)
	v_mov_b32_e32 v13, v20
.LBB512_482:
	s_or_b64 exec, exec, s[24:25]
	s_andn2_b64 s[20:21], s[20:21], exec
	s_and_b64 s[24:25], s[28:29], exec
	s_or_b64 s[20:21], s[20:21], s[24:25]
	s_andn2_b64 s[24:25], s[14:15], exec
	s_and_b64 s[26:27], s[26:27], exec
	s_or_b64 s[24:25], s[24:25], s[26:27]
.LBB512_483:
	s_or_b64 exec, exec, s[22:23]
	s_andn2_b64 s[12:13], s[12:13], exec
	s_and_b64 s[20:21], s[20:21], exec
	s_or_b64 s[12:13], s[12:13], s[20:21]
	s_andn2_b64 s[14:15], s[14:15], exec
	s_and_b64 s[20:21], s[24:25], exec
	s_or_b64 s[14:15], s[14:15], s[20:21]
                                        ; implicit-def: $vgpr14
.LBB512_484:
	s_or_b64 exec, exec, s[18:19]
	s_and_b64 s[12:13], s[12:13], exec
	s_and_b64 s[14:15], s[14:15], exec
	;; [unrolled: 1-line block ×3, first 2 shown]
                                        ; implicit-def: $vgpr19
                                        ; implicit-def: $vgpr17
                                        ; implicit-def: $vgpr18
                                        ; implicit-def: $vgpr25
                                        ; implicit-def: $vgpr22
                                        ; implicit-def: $vgpr21
	s_andn2_saveexec_b64 s[10:11], s[10:11]
	s_cbranch_execz .LBB512_436
.LBB512_485:
	v_cmp_lt_i64_e32 vcc, 5, v[0:1]
	s_mov_b64 s[20:21], -1
	s_mov_b64 s[18:19], s[16:17]
	s_mov_b64 s[22:23], s[14:15]
	;; [unrolled: 1-line block ×3, first 2 shown]
                                        ; implicit-def: $vgpr12
                                        ; implicit-def: $vgpr13
                                        ; implicit-def: $vgpr14
	s_and_saveexec_b64 s[4:5], vcc
	s_cbranch_execz .LBB512_501
; %bb.486:
	v_cmp_lt_i64_e32 vcc, 8, v[0:1]
	s_mov_b64 s[18:19], s[16:17]
                                        ; implicit-def: $vgpr14
	s_and_saveexec_b64 s[20:21], vcc
	s_xor_b64 s[20:21], exec, s[20:21]
	s_cbranch_execz .LBB512_496
; %bb.487:
	v_cmp_lt_i64_e32 vcc, 9, v[0:1]
	s_and_saveexec_b64 s[18:19], vcc
	s_xor_b64 s[18:19], exec, s[18:19]
	s_cbranch_execz .LBB512_493
; %bb.488:
	v_cmp_lt_i64_e32 vcc, 10, v[0:1]
	s_and_saveexec_b64 s[22:23], vcc
	s_xor_b64 s[22:23], exec, s[22:23]
; %bb.489:
                                        ; implicit-def: $vgpr22
; %bb.490:
	s_andn2_saveexec_b64 s[22:23], s[22:23]
	s_cbranch_execz .LBB512_492
; %bb.491:
	s_waitcnt lgkmcnt(0)
	v_mov_b32_e32 v21, v22
.LBB512_492:
	s_or_b64 exec, exec, s[22:23]
                                        ; implicit-def: $vgpr25
.LBB512_493:
	s_andn2_saveexec_b64 s[18:19], s[18:19]
	s_cbranch_execz .LBB512_495
; %bb.494:
	s_waitcnt lgkmcnt(0)
	v_mov_b32_e32 v21, v25
.LBB512_495:
	s_or_b64 exec, exec, s[18:19]
	s_or_b64 s[18:19], s[16:17], exec
	s_waitcnt lgkmcnt(0)
	v_mov_b32_e32 v14, v21
                                        ; implicit-def: $vgpr19
                                        ; implicit-def: $vgpr17
                                        ; implicit-def: $vgpr18
.LBB512_496:
	s_or_saveexec_b64 s[20:21], s[20:21]
	s_mov_b64 s[22:23], s[14:15]
	s_mov_b64 s[26:27], s[12:13]
                                        ; implicit-def: $vgpr12
                                        ; implicit-def: $vgpr13
	s_xor_b64 exec, exec, s[20:21]
	s_cbranch_execz .LBB512_500
; %bb.497:
	v_cmp_lt_i64_e32 vcc, 6, v[0:1]
	s_mov_b64 s[26:27], -1
	s_mov_b64 s[24:25], s[18:19]
	s_mov_b64 s[22:23], s[14:15]
	s_and_saveexec_b64 s[28:29], vcc
; %bb.498:
	v_cmp_lt_i64_e32 vcc, 7, v[0:1]
	s_andn2_b64 s[24:25], s[18:19], exec
	s_and_b64 vcc, vcc, exec
	s_xor_b64 s[26:27], exec, -1
	s_or_b64 s[22:23], s[14:15], exec
	s_or_b64 s[24:25], s[24:25], vcc
                                        ; implicit-def: $vgpr19
; %bb.499:
	s_or_b64 exec, exec, s[28:29]
	s_andn2_b64 s[28:29], s[12:13], exec
	s_and_b64 s[26:27], s[26:27], exec
	s_or_b64 s[26:27], s[28:29], s[26:27]
	s_andn2_b64 s[28:29], s[14:15], exec
	s_and_b64 s[22:23], s[22:23], exec
	s_andn2_b64 s[18:19], s[18:19], exec
	s_and_b64 s[24:25], s[24:25], exec
	s_or_b64 s[22:23], s[28:29], s[22:23]
	s_or_b64 s[18:19], s[18:19], s[24:25]
	s_waitcnt lgkmcnt(0)
	v_mov_b32_e32 v12, v19
	v_mov_b32_e32 v13, v17
	;; [unrolled: 1-line block ×3, first 2 shown]
.LBB512_500:
	s_or_b64 exec, exec, s[20:21]
	s_andn2_b64 s[24:25], s[12:13], exec
	s_and_b64 s[26:27], s[26:27], exec
	s_or_b64 s[24:25], s[24:25], s[26:27]
	s_andn2_b64 s[26:27], s[14:15], exec
	s_and_b64 s[22:23], s[22:23], exec
	s_or_b64 s[22:23], s[26:27], s[22:23]
	s_andn2_b64 s[26:27], s[16:17], exec
	s_and_b64 s[18:19], s[18:19], exec
	s_xor_b64 s[20:21], exec, -1
	s_or_b64 s[18:19], s[26:27], s[18:19]
.LBB512_501:
	s_or_b64 exec, exec, s[4:5]
	s_and_b64 s[4:5], s[20:21], exec
	s_andn2_b64 s[12:13], s[12:13], exec
	s_and_b64 s[20:21], s[24:25], exec
	s_or_b64 s[12:13], s[12:13], s[20:21]
	s_andn2_b64 s[14:15], s[14:15], exec
	s_and_b64 s[20:21], s[22:23], exec
	s_andn2_b64 s[16:17], s[16:17], exec
	s_and_b64 s[18:19], s[18:19], exec
	s_or_b64 s[14:15], s[14:15], s[20:21]
	s_or_b64 s[16:17], s[16:17], s[18:19]
	s_or_b64 exec, exec, s[10:11]
	s_and_saveexec_b64 s[10:11], s[16:17]
	s_cbranch_execz .LBB512_437
.LBB512_502:
	s_andn2_b64 s[14:15], s[14:15], exec
	s_waitcnt lgkmcnt(0)
	flat_store_short v[4:5], v14
                                        ; implicit-def: $vgpr12
                                        ; implicit-def: $vgpr13
	s_or_b64 exec, exec, s[10:11]
	s_and_saveexec_b64 s[10:11], s[14:15]
	s_cbranch_execz .LBB512_438
.LBB512_503:
	s_waitcnt lgkmcnt(0)
	flat_store_short v[4:5], v13
                                        ; implicit-def: $vgpr12
	s_or_b64 exec, exec, s[10:11]
	s_and_saveexec_b64 s[10:11], s[12:13]
	s_xor_b64 s[10:11], exec, s[10:11]
	s_cbranch_execz .LBB512_439
.LBB512_504:
	s_waitcnt lgkmcnt(0)
	flat_store_short v[4:5], v12
	s_or_b64 exec, exec, s[10:11]
	s_and_b64 exec, exec, s[4:5]
	s_cbranch_execz .LBB512_523
.LBB512_505:
	v_cmp_lt_i64_e32 vcc, 2, v[0:1]
	s_and_saveexec_b64 s[4:5], vcc
	s_xor_b64 s[4:5], exec, s[4:5]
	s_cbranch_execz .LBB512_515
; %bb.506:
	v_cmp_lt_i64_e32 vcc, 3, v[0:1]
	s_and_saveexec_b64 s[10:11], vcc
	s_xor_b64 s[10:11], exec, s[10:11]
	s_cbranch_execz .LBB512_512
; %bb.507:
	;; [unrolled: 5-line block ×3, first 2 shown]
	s_waitcnt lgkmcnt(0)
	flat_store_short v[4:5], v11
                                        ; implicit-def: $vgpr4_vgpr5
                                        ; implicit-def: $vgpr6
.LBB512_509:
	s_andn2_saveexec_b64 s[12:13], s[12:13]
	s_cbranch_execz .LBB512_511
; %bb.510:
	s_waitcnt lgkmcnt(0)
	flat_store_short v[4:5], v6
.LBB512_511:
	s_or_b64 exec, exec, s[12:13]
                                        ; implicit-def: $vgpr4_vgpr5
                                        ; implicit-def: $vgpr10
.LBB512_512:
	s_andn2_saveexec_b64 s[10:11], s[10:11]
	s_cbranch_execz .LBB512_514
; %bb.513:
	s_waitcnt lgkmcnt(0)
	flat_store_short v[4:5], v10
.LBB512_514:
	s_or_b64 exec, exec, s[10:11]
                                        ; implicit-def: $vgpr0_vgpr1
                                        ; implicit-def: $vgpr4_vgpr5
                                        ; implicit-def: $vgpr7
                                        ; implicit-def: $vgpr2
                                        ; implicit-def: $vgpr3
.LBB512_515:
	s_andn2_saveexec_b64 s[4:5], s[4:5]
	s_cbranch_execz .LBB512_523
; %bb.516:
	v_cmp_lt_i64_e32 vcc, 1, v[0:1]
	s_and_saveexec_b64 s[4:5], vcc
	s_xor_b64 s[4:5], exec, s[4:5]
	s_cbranch_execz .LBB512_518
; %bb.517:
	s_waitcnt lgkmcnt(0)
	flat_store_short v[4:5], v7
                                        ; implicit-def: $vgpr4_vgpr5
                                        ; implicit-def: $vgpr2
                                        ; implicit-def: $vgpr0_vgpr1
                                        ; implicit-def: $vgpr3
.LBB512_518:
	s_andn2_saveexec_b64 s[4:5], s[4:5]
	s_cbranch_execz .LBB512_523
; %bb.519:
	v_cmp_ne_u64_e32 vcc, 1, v[0:1]
	s_and_saveexec_b64 s[4:5], vcc
	s_xor_b64 s[4:5], exec, s[4:5]
	s_cbranch_execz .LBB512_521
; %bb.520:
	s_waitcnt lgkmcnt(0)
	flat_store_short v[4:5], v3
                                        ; implicit-def: $vgpr4_vgpr5
                                        ; implicit-def: $vgpr2
.LBB512_521:
	s_andn2_saveexec_b64 s[4:5], s[4:5]
	s_cbranch_execz .LBB512_523
; %bb.522:
	s_waitcnt lgkmcnt(0)
	flat_store_short v[4:5], v2
.LBB512_523:
	s_or_b64 exec, exec, s[8:9]
.LBB512_524:
	s_or_b64 exec, exec, s[6:7]
	v_readlane_b32 s30, v40, 0
	v_readlane_b32 s31, v40, 1
	s_or_saveexec_b64 s[4:5], -1
	buffer_load_dword v40, off, s[0:3], s32 ; 4-byte Folded Reload
	s_mov_b64 exec, s[4:5]
	s_waitcnt vmcnt(0) lgkmcnt(0)
	s_setpc_b64 s[30:31]
.Lfunc_end512:
	.size	_ZZZN7rocprim17ROCPRIM_400000_NS6detail9scan_implILNS1_25lookback_scan_determinismE0ELb0ELb0ENS0_14default_configEPKN3c108BFloat16EPS6_S6_ZZZN2at6native31launch_logcumsumexp_cuda_kernelERKNSA_10TensorBaseESE_lENKUlvE_clEvENKUlvE4_clEvEUlS6_S6_E_S6_EEDaPvRmT3_T4_T5_mT6_P12ihipStream_tbENKUlT_T0_E_clISt17integral_constantIbLb0EESU_IbLb1EEEEDaSQ_SR_ENKUlSQ_E_clINS1_13target_configIS4_NS1_20scan_config_selectorIS6_EENS1_11comp_targetILNS1_3genE4ELNS1_11target_archE910ELNS1_3gpuE8ELNS1_3repE0EEELNS0_4arch9wavefront6targetE1EEEEEDaSQ_, .Lfunc_end512-_ZZZN7rocprim17ROCPRIM_400000_NS6detail9scan_implILNS1_25lookback_scan_determinismE0ELb0ELb0ENS0_14default_configEPKN3c108BFloat16EPS6_S6_ZZZN2at6native31launch_logcumsumexp_cuda_kernelERKNSA_10TensorBaseESE_lENKUlvE_clEvENKUlvE4_clEvEUlS6_S6_E_S6_EEDaPvRmT3_T4_T5_mT6_P12ihipStream_tbENKUlT_T0_E_clISt17integral_constantIbLb0EESU_IbLb1EEEEDaSQ_SR_ENKUlSQ_E_clINS1_13target_configIS4_NS1_20scan_config_selectorIS6_EENS1_11comp_targetILNS1_3genE4ELNS1_11target_archE910ELNS1_3gpuE8ELNS1_3repE0EEELNS0_4arch9wavefront6targetE1EEEEEDaSQ_
                                        ; -- End function
	.section	.AMDGPU.csdata,"",@progbits
; Function info:
; codeLenInByte = 113248
; NumSgprs: 84
; NumVgprs: 215
; NumAgprs: 0
; TotalNumVgprs: 215
; ScratchSize: 8
; MemoryBound: 0
	.section	.text._ZN7rocprim17ROCPRIM_400000_NS6detail17trampoline_kernelINS0_14default_configENS1_20scan_config_selectorIN3c108BFloat16EEEZZNS1_9scan_implILNS1_25lookback_scan_determinismE0ELb0ELb0ES3_PKS6_PS6_S6_ZZZN2at6native31launch_logcumsumexp_cuda_kernelERKNSD_10TensorBaseESH_lENKUlvE_clEvENKUlvE4_clEvEUlS6_S6_E_S6_EEDaPvRmT3_T4_T5_mT6_P12ihipStream_tbENKUlT_T0_E_clISt17integral_constantIbLb0EESX_IbLb1EEEEDaST_SU_EUlST_E_NS1_11comp_targetILNS1_3genE4ELNS1_11target_archE910ELNS1_3gpuE8ELNS1_3repE0EEENS1_30default_config_static_selectorELNS0_4arch9wavefront6targetE1EEEvT1_,"axG",@progbits,_ZN7rocprim17ROCPRIM_400000_NS6detail17trampoline_kernelINS0_14default_configENS1_20scan_config_selectorIN3c108BFloat16EEEZZNS1_9scan_implILNS1_25lookback_scan_determinismE0ELb0ELb0ES3_PKS6_PS6_S6_ZZZN2at6native31launch_logcumsumexp_cuda_kernelERKNSD_10TensorBaseESH_lENKUlvE_clEvENKUlvE4_clEvEUlS6_S6_E_S6_EEDaPvRmT3_T4_T5_mT6_P12ihipStream_tbENKUlT_T0_E_clISt17integral_constantIbLb0EESX_IbLb1EEEEDaST_SU_EUlST_E_NS1_11comp_targetILNS1_3genE4ELNS1_11target_archE910ELNS1_3gpuE8ELNS1_3repE0EEENS1_30default_config_static_selectorELNS0_4arch9wavefront6targetE1EEEvT1_,comdat
	.globl	_ZN7rocprim17ROCPRIM_400000_NS6detail17trampoline_kernelINS0_14default_configENS1_20scan_config_selectorIN3c108BFloat16EEEZZNS1_9scan_implILNS1_25lookback_scan_determinismE0ELb0ELb0ES3_PKS6_PS6_S6_ZZZN2at6native31launch_logcumsumexp_cuda_kernelERKNSD_10TensorBaseESH_lENKUlvE_clEvENKUlvE4_clEvEUlS6_S6_E_S6_EEDaPvRmT3_T4_T5_mT6_P12ihipStream_tbENKUlT_T0_E_clISt17integral_constantIbLb0EESX_IbLb1EEEEDaST_SU_EUlST_E_NS1_11comp_targetILNS1_3genE4ELNS1_11target_archE910ELNS1_3gpuE8ELNS1_3repE0EEENS1_30default_config_static_selectorELNS0_4arch9wavefront6targetE1EEEvT1_ ; -- Begin function _ZN7rocprim17ROCPRIM_400000_NS6detail17trampoline_kernelINS0_14default_configENS1_20scan_config_selectorIN3c108BFloat16EEEZZNS1_9scan_implILNS1_25lookback_scan_determinismE0ELb0ELb0ES3_PKS6_PS6_S6_ZZZN2at6native31launch_logcumsumexp_cuda_kernelERKNSD_10TensorBaseESH_lENKUlvE_clEvENKUlvE4_clEvEUlS6_S6_E_S6_EEDaPvRmT3_T4_T5_mT6_P12ihipStream_tbENKUlT_T0_E_clISt17integral_constantIbLb0EESX_IbLb1EEEEDaST_SU_EUlST_E_NS1_11comp_targetILNS1_3genE4ELNS1_11target_archE910ELNS1_3gpuE8ELNS1_3repE0EEENS1_30default_config_static_selectorELNS0_4arch9wavefront6targetE1EEEvT1_
	.p2align	8
	.type	_ZN7rocprim17ROCPRIM_400000_NS6detail17trampoline_kernelINS0_14default_configENS1_20scan_config_selectorIN3c108BFloat16EEEZZNS1_9scan_implILNS1_25lookback_scan_determinismE0ELb0ELb0ES3_PKS6_PS6_S6_ZZZN2at6native31launch_logcumsumexp_cuda_kernelERKNSD_10TensorBaseESH_lENKUlvE_clEvENKUlvE4_clEvEUlS6_S6_E_S6_EEDaPvRmT3_T4_T5_mT6_P12ihipStream_tbENKUlT_T0_E_clISt17integral_constantIbLb0EESX_IbLb1EEEEDaST_SU_EUlST_E_NS1_11comp_targetILNS1_3genE4ELNS1_11target_archE910ELNS1_3gpuE8ELNS1_3repE0EEENS1_30default_config_static_selectorELNS0_4arch9wavefront6targetE1EEEvT1_,@function
_ZN7rocprim17ROCPRIM_400000_NS6detail17trampoline_kernelINS0_14default_configENS1_20scan_config_selectorIN3c108BFloat16EEEZZNS1_9scan_implILNS1_25lookback_scan_determinismE0ELb0ELb0ES3_PKS6_PS6_S6_ZZZN2at6native31launch_logcumsumexp_cuda_kernelERKNSD_10TensorBaseESH_lENKUlvE_clEvENKUlvE4_clEvEUlS6_S6_E_S6_EEDaPvRmT3_T4_T5_mT6_P12ihipStream_tbENKUlT_T0_E_clISt17integral_constantIbLb0EESX_IbLb1EEEEDaST_SU_EUlST_E_NS1_11comp_targetILNS1_3genE4ELNS1_11target_archE910ELNS1_3gpuE8ELNS1_3repE0EEENS1_30default_config_static_selectorELNS0_4arch9wavefront6targetE1EEEvT1_: ; @_ZN7rocprim17ROCPRIM_400000_NS6detail17trampoline_kernelINS0_14default_configENS1_20scan_config_selectorIN3c108BFloat16EEEZZNS1_9scan_implILNS1_25lookback_scan_determinismE0ELb0ELb0ES3_PKS6_PS6_S6_ZZZN2at6native31launch_logcumsumexp_cuda_kernelERKNSD_10TensorBaseESH_lENKUlvE_clEvENKUlvE4_clEvEUlS6_S6_E_S6_EEDaPvRmT3_T4_T5_mT6_P12ihipStream_tbENKUlT_T0_E_clISt17integral_constantIbLb0EESX_IbLb1EEEEDaST_SU_EUlST_E_NS1_11comp_targetILNS1_3genE4ELNS1_11target_archE910ELNS1_3gpuE8ELNS1_3repE0EEENS1_30default_config_static_selectorELNS0_4arch9wavefront6targetE1EEEvT1_
; %bb.0:
	s_add_u32 flat_scratch_lo, s6, s9
	s_addc_u32 flat_scratch_hi, s7, 0
	s_add_u32 s0, s0, s9
	s_load_dwordx8 s[8:15], s[4:5], 0x0
	s_addc_u32 s1, s1, 0
	s_load_dwordx8 s[16:23], s[4:5], 0x20
	s_mov_b64 s[6:7], src_private_base
	v_mov_b32_e32 v31, v0
	s_waitcnt lgkmcnt(0)
	v_mov_b32_e32 v1, s11
	v_mov_b32_e32 v2, s10
	buffer_store_dword v1, off, s[0:3], 0 offset:12
	buffer_store_dword v2, off, s[0:3], 0 offset:8
	v_mov_b32_e32 v1, s9
	buffer_store_dword v1, off, s[0:3], 0 offset:4
	v_mov_b32_e32 v1, s8
	buffer_store_dword v1, off, s[0:3], 0
	v_mov_b32_e32 v1, s15
	buffer_store_dword v1, off, s[0:3], 0 offset:28
	v_mov_b32_e32 v1, s14
	buffer_store_dword v1, off, s[0:3], 0 offset:24
	;; [unrolled: 2-line block ×7, first 2 shown]
	v_mov_b32_e32 v1, s16
	s_load_dwordx8 s[8:15], s[4:5], 0x40
	buffer_store_dword v1, off, s[0:3], 0 offset:32
	v_mov_b32_e32 v1, s23
	buffer_store_dword v1, off, s[0:3], 0 offset:60
	v_mov_b32_e32 v1, s22
	;; [unrolled: 2-line block ×4, first 2 shown]
	buffer_store_dword v1, off, s[0:3], 0 offset:48
	s_waitcnt lgkmcnt(0)
	v_mov_b32_e32 v1, s11
	buffer_store_dword v1, off, s[0:3], 0 offset:76
	v_mov_b32_e32 v1, s10
	buffer_store_dword v1, off, s[0:3], 0 offset:72
	v_mov_b32_e32 v1, s9
	buffer_store_dword v1, off, s[0:3], 0 offset:68
	v_mov_b32_e32 v1, s8
	buffer_store_dword v1, off, s[0:3], 0 offset:64
	v_mov_b32_e32 v1, s15
	buffer_store_dword v1, off, s[0:3], 0 offset:92
	v_mov_b32_e32 v1, s14
	buffer_store_dword v1, off, s[0:3], 0 offset:88
	v_mov_b32_e32 v1, s13
	buffer_store_dword v1, off, s[0:3], 0 offset:84
	v_mov_b32_e32 v1, s12
	s_add_u32 s8, s4, 0x60
	buffer_store_dword v1, off, s[0:3], 0 offset:80
	s_addc_u32 s9, s5, 0
	v_mov_b32_e32 v0, 0
	v_mov_b32_e32 v1, s7
	s_movk_i32 s32, 0x1c00
	s_getpc_b64 s[4:5]
	s_add_u32 s4, s4, _ZZZN7rocprim17ROCPRIM_400000_NS6detail9scan_implILNS1_25lookback_scan_determinismE0ELb0ELb0ENS0_14default_configEPKN3c108BFloat16EPS6_S6_ZZZN2at6native31launch_logcumsumexp_cuda_kernelERKNSA_10TensorBaseESE_lENKUlvE_clEvENKUlvE4_clEvEUlS6_S6_E_S6_EEDaPvRmT3_T4_T5_mT6_P12ihipStream_tbENKUlT_T0_E_clISt17integral_constantIbLb0EESU_IbLb1EEEEDaSQ_SR_ENKUlSQ_E_clINS1_13target_configIS4_NS1_20scan_config_selectorIS6_EENS1_11comp_targetILNS1_3genE4ELNS1_11target_archE910ELNS1_3gpuE8ELNS1_3repE0EEELNS0_4arch9wavefront6targetE1EEEEEDaSQ_@rel32@lo+4
	s_addc_u32 s5, s5, _ZZZN7rocprim17ROCPRIM_400000_NS6detail9scan_implILNS1_25lookback_scan_determinismE0ELb0ELb0ENS0_14default_configEPKN3c108BFloat16EPS6_S6_ZZZN2at6native31launch_logcumsumexp_cuda_kernelERKNSA_10TensorBaseESE_lENKUlvE_clEvENKUlvE4_clEvEUlS6_S6_E_S6_EEDaPvRmT3_T4_T5_mT6_P12ihipStream_tbENKUlT_T0_E_clISt17integral_constantIbLb0EESU_IbLb1EEEEDaSQ_SR_ENKUlSQ_E_clINS1_13target_configIS4_NS1_20scan_config_selectorIS6_EENS1_11comp_targetILNS1_3genE4ELNS1_11target_archE910ELNS1_3gpuE8ELNS1_3repE0EEELNS0_4arch9wavefront6targetE1EEEEEDaSQ_@rel32@hi+12
	s_swappc_b64 s[30:31], s[4:5]
	s_endpgm
	.section	.rodata,"a",@progbits
	.p2align	6, 0x0
	.amdhsa_kernel _ZN7rocprim17ROCPRIM_400000_NS6detail17trampoline_kernelINS0_14default_configENS1_20scan_config_selectorIN3c108BFloat16EEEZZNS1_9scan_implILNS1_25lookback_scan_determinismE0ELb0ELb0ES3_PKS6_PS6_S6_ZZZN2at6native31launch_logcumsumexp_cuda_kernelERKNSD_10TensorBaseESH_lENKUlvE_clEvENKUlvE4_clEvEUlS6_S6_E_S6_EEDaPvRmT3_T4_T5_mT6_P12ihipStream_tbENKUlT_T0_E_clISt17integral_constantIbLb0EESX_IbLb1EEEEDaST_SU_EUlST_E_NS1_11comp_targetILNS1_3genE4ELNS1_11target_archE910ELNS1_3gpuE8ELNS1_3repE0EEENS1_30default_config_static_selectorELNS0_4arch9wavefront6targetE1EEEvT1_
		.amdhsa_group_segment_fixed_size 3072
		.amdhsa_private_segment_fixed_size 120
		.amdhsa_kernarg_size 352
		.amdhsa_user_sgpr_count 8
		.amdhsa_user_sgpr_private_segment_buffer 1
		.amdhsa_user_sgpr_dispatch_ptr 0
		.amdhsa_user_sgpr_queue_ptr 0
		.amdhsa_user_sgpr_kernarg_segment_ptr 1
		.amdhsa_user_sgpr_dispatch_id 0
		.amdhsa_user_sgpr_flat_scratch_init 1
		.amdhsa_user_sgpr_kernarg_preload_length 0
		.amdhsa_user_sgpr_kernarg_preload_offset 0
		.amdhsa_user_sgpr_private_segment_size 0
		.amdhsa_uses_dynamic_stack 0
		.amdhsa_system_sgpr_private_segment_wavefront_offset 1
		.amdhsa_system_sgpr_workgroup_id_x 1
		.amdhsa_system_sgpr_workgroup_id_y 0
		.amdhsa_system_sgpr_workgroup_id_z 0
		.amdhsa_system_sgpr_workgroup_info 0
		.amdhsa_system_vgpr_workitem_id 0
		.amdhsa_next_free_vgpr 215
		.amdhsa_next_free_sgpr 80
		.amdhsa_accum_offset 216
		.amdhsa_reserve_vcc 1
		.amdhsa_reserve_flat_scratch 1
		.amdhsa_float_round_mode_32 0
		.amdhsa_float_round_mode_16_64 0
		.amdhsa_float_denorm_mode_32 3
		.amdhsa_float_denorm_mode_16_64 3
		.amdhsa_dx10_clamp 1
		.amdhsa_ieee_mode 1
		.amdhsa_fp16_overflow 0
		.amdhsa_tg_split 0
		.amdhsa_exception_fp_ieee_invalid_op 0
		.amdhsa_exception_fp_denorm_src 0
		.amdhsa_exception_fp_ieee_div_zero 0
		.amdhsa_exception_fp_ieee_overflow 0
		.amdhsa_exception_fp_ieee_underflow 0
		.amdhsa_exception_fp_ieee_inexact 0
		.amdhsa_exception_int_div_zero 0
	.end_amdhsa_kernel
	.section	.text._ZN7rocprim17ROCPRIM_400000_NS6detail17trampoline_kernelINS0_14default_configENS1_20scan_config_selectorIN3c108BFloat16EEEZZNS1_9scan_implILNS1_25lookback_scan_determinismE0ELb0ELb0ES3_PKS6_PS6_S6_ZZZN2at6native31launch_logcumsumexp_cuda_kernelERKNSD_10TensorBaseESH_lENKUlvE_clEvENKUlvE4_clEvEUlS6_S6_E_S6_EEDaPvRmT3_T4_T5_mT6_P12ihipStream_tbENKUlT_T0_E_clISt17integral_constantIbLb0EESX_IbLb1EEEEDaST_SU_EUlST_E_NS1_11comp_targetILNS1_3genE4ELNS1_11target_archE910ELNS1_3gpuE8ELNS1_3repE0EEENS1_30default_config_static_selectorELNS0_4arch9wavefront6targetE1EEEvT1_,"axG",@progbits,_ZN7rocprim17ROCPRIM_400000_NS6detail17trampoline_kernelINS0_14default_configENS1_20scan_config_selectorIN3c108BFloat16EEEZZNS1_9scan_implILNS1_25lookback_scan_determinismE0ELb0ELb0ES3_PKS6_PS6_S6_ZZZN2at6native31launch_logcumsumexp_cuda_kernelERKNSD_10TensorBaseESH_lENKUlvE_clEvENKUlvE4_clEvEUlS6_S6_E_S6_EEDaPvRmT3_T4_T5_mT6_P12ihipStream_tbENKUlT_T0_E_clISt17integral_constantIbLb0EESX_IbLb1EEEEDaST_SU_EUlST_E_NS1_11comp_targetILNS1_3genE4ELNS1_11target_archE910ELNS1_3gpuE8ELNS1_3repE0EEENS1_30default_config_static_selectorELNS0_4arch9wavefront6targetE1EEEvT1_,comdat
.Lfunc_end513:
	.size	_ZN7rocprim17ROCPRIM_400000_NS6detail17trampoline_kernelINS0_14default_configENS1_20scan_config_selectorIN3c108BFloat16EEEZZNS1_9scan_implILNS1_25lookback_scan_determinismE0ELb0ELb0ES3_PKS6_PS6_S6_ZZZN2at6native31launch_logcumsumexp_cuda_kernelERKNSD_10TensorBaseESH_lENKUlvE_clEvENKUlvE4_clEvEUlS6_S6_E_S6_EEDaPvRmT3_T4_T5_mT6_P12ihipStream_tbENKUlT_T0_E_clISt17integral_constantIbLb0EESX_IbLb1EEEEDaST_SU_EUlST_E_NS1_11comp_targetILNS1_3genE4ELNS1_11target_archE910ELNS1_3gpuE8ELNS1_3repE0EEENS1_30default_config_static_selectorELNS0_4arch9wavefront6targetE1EEEvT1_, .Lfunc_end513-_ZN7rocprim17ROCPRIM_400000_NS6detail17trampoline_kernelINS0_14default_configENS1_20scan_config_selectorIN3c108BFloat16EEEZZNS1_9scan_implILNS1_25lookback_scan_determinismE0ELb0ELb0ES3_PKS6_PS6_S6_ZZZN2at6native31launch_logcumsumexp_cuda_kernelERKNSD_10TensorBaseESH_lENKUlvE_clEvENKUlvE4_clEvEUlS6_S6_E_S6_EEDaPvRmT3_T4_T5_mT6_P12ihipStream_tbENKUlT_T0_E_clISt17integral_constantIbLb0EESX_IbLb1EEEEDaST_SU_EUlST_E_NS1_11comp_targetILNS1_3genE4ELNS1_11target_archE910ELNS1_3gpuE8ELNS1_3repE0EEENS1_30default_config_static_selectorELNS0_4arch9wavefront6targetE1EEEvT1_
                                        ; -- End function
	.section	.AMDGPU.csdata,"",@progbits
; Kernel info:
; codeLenInByte = 396
; NumSgprs: 86
; NumVgprs: 215
; NumAgprs: 0
; TotalNumVgprs: 215
; ScratchSize: 120
; MemoryBound: 0
; FloatMode: 240
; IeeeMode: 1
; LDSByteSize: 3072 bytes/workgroup (compile time only)
; SGPRBlocks: 10
; VGPRBlocks: 26
; NumSGPRsForWavesPerEU: 86
; NumVGPRsForWavesPerEU: 215
; AccumOffset: 216
; Occupancy: 2
; WaveLimiterHint : 1
; COMPUTE_PGM_RSRC2:SCRATCH_EN: 1
; COMPUTE_PGM_RSRC2:USER_SGPR: 8
; COMPUTE_PGM_RSRC2:TRAP_HANDLER: 0
; COMPUTE_PGM_RSRC2:TGID_X_EN: 1
; COMPUTE_PGM_RSRC2:TGID_Y_EN: 0
; COMPUTE_PGM_RSRC2:TGID_Z_EN: 0
; COMPUTE_PGM_RSRC2:TIDIG_COMP_CNT: 0
; COMPUTE_PGM_RSRC3_GFX90A:ACCUM_OFFSET: 53
; COMPUTE_PGM_RSRC3_GFX90A:TG_SPLIT: 0
	.section	.text._ZN7rocprim17ROCPRIM_400000_NS6detail17trampoline_kernelINS0_14default_configENS1_20scan_config_selectorIN3c108BFloat16EEEZZNS1_9scan_implILNS1_25lookback_scan_determinismE0ELb0ELb0ES3_PKS6_PS6_S6_ZZZN2at6native31launch_logcumsumexp_cuda_kernelERKNSD_10TensorBaseESH_lENKUlvE_clEvENKUlvE4_clEvEUlS6_S6_E_S6_EEDaPvRmT3_T4_T5_mT6_P12ihipStream_tbENKUlT_T0_E_clISt17integral_constantIbLb0EESX_IbLb1EEEEDaST_SU_EUlST_E_NS1_11comp_targetILNS1_3genE3ELNS1_11target_archE908ELNS1_3gpuE7ELNS1_3repE0EEENS1_30default_config_static_selectorELNS0_4arch9wavefront6targetE1EEEvT1_,"axG",@progbits,_ZN7rocprim17ROCPRIM_400000_NS6detail17trampoline_kernelINS0_14default_configENS1_20scan_config_selectorIN3c108BFloat16EEEZZNS1_9scan_implILNS1_25lookback_scan_determinismE0ELb0ELb0ES3_PKS6_PS6_S6_ZZZN2at6native31launch_logcumsumexp_cuda_kernelERKNSD_10TensorBaseESH_lENKUlvE_clEvENKUlvE4_clEvEUlS6_S6_E_S6_EEDaPvRmT3_T4_T5_mT6_P12ihipStream_tbENKUlT_T0_E_clISt17integral_constantIbLb0EESX_IbLb1EEEEDaST_SU_EUlST_E_NS1_11comp_targetILNS1_3genE3ELNS1_11target_archE908ELNS1_3gpuE7ELNS1_3repE0EEENS1_30default_config_static_selectorELNS0_4arch9wavefront6targetE1EEEvT1_,comdat
	.globl	_ZN7rocprim17ROCPRIM_400000_NS6detail17trampoline_kernelINS0_14default_configENS1_20scan_config_selectorIN3c108BFloat16EEEZZNS1_9scan_implILNS1_25lookback_scan_determinismE0ELb0ELb0ES3_PKS6_PS6_S6_ZZZN2at6native31launch_logcumsumexp_cuda_kernelERKNSD_10TensorBaseESH_lENKUlvE_clEvENKUlvE4_clEvEUlS6_S6_E_S6_EEDaPvRmT3_T4_T5_mT6_P12ihipStream_tbENKUlT_T0_E_clISt17integral_constantIbLb0EESX_IbLb1EEEEDaST_SU_EUlST_E_NS1_11comp_targetILNS1_3genE3ELNS1_11target_archE908ELNS1_3gpuE7ELNS1_3repE0EEENS1_30default_config_static_selectorELNS0_4arch9wavefront6targetE1EEEvT1_ ; -- Begin function _ZN7rocprim17ROCPRIM_400000_NS6detail17trampoline_kernelINS0_14default_configENS1_20scan_config_selectorIN3c108BFloat16EEEZZNS1_9scan_implILNS1_25lookback_scan_determinismE0ELb0ELb0ES3_PKS6_PS6_S6_ZZZN2at6native31launch_logcumsumexp_cuda_kernelERKNSD_10TensorBaseESH_lENKUlvE_clEvENKUlvE4_clEvEUlS6_S6_E_S6_EEDaPvRmT3_T4_T5_mT6_P12ihipStream_tbENKUlT_T0_E_clISt17integral_constantIbLb0EESX_IbLb1EEEEDaST_SU_EUlST_E_NS1_11comp_targetILNS1_3genE3ELNS1_11target_archE908ELNS1_3gpuE7ELNS1_3repE0EEENS1_30default_config_static_selectorELNS0_4arch9wavefront6targetE1EEEvT1_
	.p2align	8
	.type	_ZN7rocprim17ROCPRIM_400000_NS6detail17trampoline_kernelINS0_14default_configENS1_20scan_config_selectorIN3c108BFloat16EEEZZNS1_9scan_implILNS1_25lookback_scan_determinismE0ELb0ELb0ES3_PKS6_PS6_S6_ZZZN2at6native31launch_logcumsumexp_cuda_kernelERKNSD_10TensorBaseESH_lENKUlvE_clEvENKUlvE4_clEvEUlS6_S6_E_S6_EEDaPvRmT3_T4_T5_mT6_P12ihipStream_tbENKUlT_T0_E_clISt17integral_constantIbLb0EESX_IbLb1EEEEDaST_SU_EUlST_E_NS1_11comp_targetILNS1_3genE3ELNS1_11target_archE908ELNS1_3gpuE7ELNS1_3repE0EEENS1_30default_config_static_selectorELNS0_4arch9wavefront6targetE1EEEvT1_,@function
_ZN7rocprim17ROCPRIM_400000_NS6detail17trampoline_kernelINS0_14default_configENS1_20scan_config_selectorIN3c108BFloat16EEEZZNS1_9scan_implILNS1_25lookback_scan_determinismE0ELb0ELb0ES3_PKS6_PS6_S6_ZZZN2at6native31launch_logcumsumexp_cuda_kernelERKNSD_10TensorBaseESH_lENKUlvE_clEvENKUlvE4_clEvEUlS6_S6_E_S6_EEDaPvRmT3_T4_T5_mT6_P12ihipStream_tbENKUlT_T0_E_clISt17integral_constantIbLb0EESX_IbLb1EEEEDaST_SU_EUlST_E_NS1_11comp_targetILNS1_3genE3ELNS1_11target_archE908ELNS1_3gpuE7ELNS1_3repE0EEENS1_30default_config_static_selectorELNS0_4arch9wavefront6targetE1EEEvT1_: ; @_ZN7rocprim17ROCPRIM_400000_NS6detail17trampoline_kernelINS0_14default_configENS1_20scan_config_selectorIN3c108BFloat16EEEZZNS1_9scan_implILNS1_25lookback_scan_determinismE0ELb0ELb0ES3_PKS6_PS6_S6_ZZZN2at6native31launch_logcumsumexp_cuda_kernelERKNSD_10TensorBaseESH_lENKUlvE_clEvENKUlvE4_clEvEUlS6_S6_E_S6_EEDaPvRmT3_T4_T5_mT6_P12ihipStream_tbENKUlT_T0_E_clISt17integral_constantIbLb0EESX_IbLb1EEEEDaST_SU_EUlST_E_NS1_11comp_targetILNS1_3genE3ELNS1_11target_archE908ELNS1_3gpuE7ELNS1_3repE0EEENS1_30default_config_static_selectorELNS0_4arch9wavefront6targetE1EEEvT1_
; %bb.0:
	.section	.rodata,"a",@progbits
	.p2align	6, 0x0
	.amdhsa_kernel _ZN7rocprim17ROCPRIM_400000_NS6detail17trampoline_kernelINS0_14default_configENS1_20scan_config_selectorIN3c108BFloat16EEEZZNS1_9scan_implILNS1_25lookback_scan_determinismE0ELb0ELb0ES3_PKS6_PS6_S6_ZZZN2at6native31launch_logcumsumexp_cuda_kernelERKNSD_10TensorBaseESH_lENKUlvE_clEvENKUlvE4_clEvEUlS6_S6_E_S6_EEDaPvRmT3_T4_T5_mT6_P12ihipStream_tbENKUlT_T0_E_clISt17integral_constantIbLb0EESX_IbLb1EEEEDaST_SU_EUlST_E_NS1_11comp_targetILNS1_3genE3ELNS1_11target_archE908ELNS1_3gpuE7ELNS1_3repE0EEENS1_30default_config_static_selectorELNS0_4arch9wavefront6targetE1EEEvT1_
		.amdhsa_group_segment_fixed_size 0
		.amdhsa_private_segment_fixed_size 0
		.amdhsa_kernarg_size 96
		.amdhsa_user_sgpr_count 6
		.amdhsa_user_sgpr_private_segment_buffer 1
		.amdhsa_user_sgpr_dispatch_ptr 0
		.amdhsa_user_sgpr_queue_ptr 0
		.amdhsa_user_sgpr_kernarg_segment_ptr 1
		.amdhsa_user_sgpr_dispatch_id 0
		.amdhsa_user_sgpr_flat_scratch_init 0
		.amdhsa_user_sgpr_kernarg_preload_length 0
		.amdhsa_user_sgpr_kernarg_preload_offset 0
		.amdhsa_user_sgpr_private_segment_size 0
		.amdhsa_uses_dynamic_stack 0
		.amdhsa_system_sgpr_private_segment_wavefront_offset 0
		.amdhsa_system_sgpr_workgroup_id_x 1
		.amdhsa_system_sgpr_workgroup_id_y 0
		.amdhsa_system_sgpr_workgroup_id_z 0
		.amdhsa_system_sgpr_workgroup_info 0
		.amdhsa_system_vgpr_workitem_id 0
		.amdhsa_next_free_vgpr 1
		.amdhsa_next_free_sgpr 0
		.amdhsa_accum_offset 4
		.amdhsa_reserve_vcc 0
		.amdhsa_reserve_flat_scratch 0
		.amdhsa_float_round_mode_32 0
		.amdhsa_float_round_mode_16_64 0
		.amdhsa_float_denorm_mode_32 3
		.amdhsa_float_denorm_mode_16_64 3
		.amdhsa_dx10_clamp 1
		.amdhsa_ieee_mode 1
		.amdhsa_fp16_overflow 0
		.amdhsa_tg_split 0
		.amdhsa_exception_fp_ieee_invalid_op 0
		.amdhsa_exception_fp_denorm_src 0
		.amdhsa_exception_fp_ieee_div_zero 0
		.amdhsa_exception_fp_ieee_overflow 0
		.amdhsa_exception_fp_ieee_underflow 0
		.amdhsa_exception_fp_ieee_inexact 0
		.amdhsa_exception_int_div_zero 0
	.end_amdhsa_kernel
	.section	.text._ZN7rocprim17ROCPRIM_400000_NS6detail17trampoline_kernelINS0_14default_configENS1_20scan_config_selectorIN3c108BFloat16EEEZZNS1_9scan_implILNS1_25lookback_scan_determinismE0ELb0ELb0ES3_PKS6_PS6_S6_ZZZN2at6native31launch_logcumsumexp_cuda_kernelERKNSD_10TensorBaseESH_lENKUlvE_clEvENKUlvE4_clEvEUlS6_S6_E_S6_EEDaPvRmT3_T4_T5_mT6_P12ihipStream_tbENKUlT_T0_E_clISt17integral_constantIbLb0EESX_IbLb1EEEEDaST_SU_EUlST_E_NS1_11comp_targetILNS1_3genE3ELNS1_11target_archE908ELNS1_3gpuE7ELNS1_3repE0EEENS1_30default_config_static_selectorELNS0_4arch9wavefront6targetE1EEEvT1_,"axG",@progbits,_ZN7rocprim17ROCPRIM_400000_NS6detail17trampoline_kernelINS0_14default_configENS1_20scan_config_selectorIN3c108BFloat16EEEZZNS1_9scan_implILNS1_25lookback_scan_determinismE0ELb0ELb0ES3_PKS6_PS6_S6_ZZZN2at6native31launch_logcumsumexp_cuda_kernelERKNSD_10TensorBaseESH_lENKUlvE_clEvENKUlvE4_clEvEUlS6_S6_E_S6_EEDaPvRmT3_T4_T5_mT6_P12ihipStream_tbENKUlT_T0_E_clISt17integral_constantIbLb0EESX_IbLb1EEEEDaST_SU_EUlST_E_NS1_11comp_targetILNS1_3genE3ELNS1_11target_archE908ELNS1_3gpuE7ELNS1_3repE0EEENS1_30default_config_static_selectorELNS0_4arch9wavefront6targetE1EEEvT1_,comdat
.Lfunc_end514:
	.size	_ZN7rocprim17ROCPRIM_400000_NS6detail17trampoline_kernelINS0_14default_configENS1_20scan_config_selectorIN3c108BFloat16EEEZZNS1_9scan_implILNS1_25lookback_scan_determinismE0ELb0ELb0ES3_PKS6_PS6_S6_ZZZN2at6native31launch_logcumsumexp_cuda_kernelERKNSD_10TensorBaseESH_lENKUlvE_clEvENKUlvE4_clEvEUlS6_S6_E_S6_EEDaPvRmT3_T4_T5_mT6_P12ihipStream_tbENKUlT_T0_E_clISt17integral_constantIbLb0EESX_IbLb1EEEEDaST_SU_EUlST_E_NS1_11comp_targetILNS1_3genE3ELNS1_11target_archE908ELNS1_3gpuE7ELNS1_3repE0EEENS1_30default_config_static_selectorELNS0_4arch9wavefront6targetE1EEEvT1_, .Lfunc_end514-_ZN7rocprim17ROCPRIM_400000_NS6detail17trampoline_kernelINS0_14default_configENS1_20scan_config_selectorIN3c108BFloat16EEEZZNS1_9scan_implILNS1_25lookback_scan_determinismE0ELb0ELb0ES3_PKS6_PS6_S6_ZZZN2at6native31launch_logcumsumexp_cuda_kernelERKNSD_10TensorBaseESH_lENKUlvE_clEvENKUlvE4_clEvEUlS6_S6_E_S6_EEDaPvRmT3_T4_T5_mT6_P12ihipStream_tbENKUlT_T0_E_clISt17integral_constantIbLb0EESX_IbLb1EEEEDaST_SU_EUlST_E_NS1_11comp_targetILNS1_3genE3ELNS1_11target_archE908ELNS1_3gpuE7ELNS1_3repE0EEENS1_30default_config_static_selectorELNS0_4arch9wavefront6targetE1EEEvT1_
                                        ; -- End function
	.section	.AMDGPU.csdata,"",@progbits
; Kernel info:
; codeLenInByte = 0
; NumSgprs: 4
; NumVgprs: 0
; NumAgprs: 0
; TotalNumVgprs: 0
; ScratchSize: 0
; MemoryBound: 0
; FloatMode: 240
; IeeeMode: 1
; LDSByteSize: 0 bytes/workgroup (compile time only)
; SGPRBlocks: 0
; VGPRBlocks: 0
; NumSGPRsForWavesPerEU: 4
; NumVGPRsForWavesPerEU: 1
; AccumOffset: 4
; Occupancy: 8
; WaveLimiterHint : 0
; COMPUTE_PGM_RSRC2:SCRATCH_EN: 0
; COMPUTE_PGM_RSRC2:USER_SGPR: 6
; COMPUTE_PGM_RSRC2:TRAP_HANDLER: 0
; COMPUTE_PGM_RSRC2:TGID_X_EN: 1
; COMPUTE_PGM_RSRC2:TGID_Y_EN: 0
; COMPUTE_PGM_RSRC2:TGID_Z_EN: 0
; COMPUTE_PGM_RSRC2:TIDIG_COMP_CNT: 0
; COMPUTE_PGM_RSRC3_GFX90A:ACCUM_OFFSET: 0
; COMPUTE_PGM_RSRC3_GFX90A:TG_SPLIT: 0
	.section	.text._ZN7rocprim17ROCPRIM_400000_NS6detail17trampoline_kernelINS0_14default_configENS1_20scan_config_selectorIN3c108BFloat16EEEZZNS1_9scan_implILNS1_25lookback_scan_determinismE0ELb0ELb0ES3_PKS6_PS6_S6_ZZZN2at6native31launch_logcumsumexp_cuda_kernelERKNSD_10TensorBaseESH_lENKUlvE_clEvENKUlvE4_clEvEUlS6_S6_E_S6_EEDaPvRmT3_T4_T5_mT6_P12ihipStream_tbENKUlT_T0_E_clISt17integral_constantIbLb0EESX_IbLb1EEEEDaST_SU_EUlST_E_NS1_11comp_targetILNS1_3genE2ELNS1_11target_archE906ELNS1_3gpuE6ELNS1_3repE0EEENS1_30default_config_static_selectorELNS0_4arch9wavefront6targetE1EEEvT1_,"axG",@progbits,_ZN7rocprim17ROCPRIM_400000_NS6detail17trampoline_kernelINS0_14default_configENS1_20scan_config_selectorIN3c108BFloat16EEEZZNS1_9scan_implILNS1_25lookback_scan_determinismE0ELb0ELb0ES3_PKS6_PS6_S6_ZZZN2at6native31launch_logcumsumexp_cuda_kernelERKNSD_10TensorBaseESH_lENKUlvE_clEvENKUlvE4_clEvEUlS6_S6_E_S6_EEDaPvRmT3_T4_T5_mT6_P12ihipStream_tbENKUlT_T0_E_clISt17integral_constantIbLb0EESX_IbLb1EEEEDaST_SU_EUlST_E_NS1_11comp_targetILNS1_3genE2ELNS1_11target_archE906ELNS1_3gpuE6ELNS1_3repE0EEENS1_30default_config_static_selectorELNS0_4arch9wavefront6targetE1EEEvT1_,comdat
	.globl	_ZN7rocprim17ROCPRIM_400000_NS6detail17trampoline_kernelINS0_14default_configENS1_20scan_config_selectorIN3c108BFloat16EEEZZNS1_9scan_implILNS1_25lookback_scan_determinismE0ELb0ELb0ES3_PKS6_PS6_S6_ZZZN2at6native31launch_logcumsumexp_cuda_kernelERKNSD_10TensorBaseESH_lENKUlvE_clEvENKUlvE4_clEvEUlS6_S6_E_S6_EEDaPvRmT3_T4_T5_mT6_P12ihipStream_tbENKUlT_T0_E_clISt17integral_constantIbLb0EESX_IbLb1EEEEDaST_SU_EUlST_E_NS1_11comp_targetILNS1_3genE2ELNS1_11target_archE906ELNS1_3gpuE6ELNS1_3repE0EEENS1_30default_config_static_selectorELNS0_4arch9wavefront6targetE1EEEvT1_ ; -- Begin function _ZN7rocprim17ROCPRIM_400000_NS6detail17trampoline_kernelINS0_14default_configENS1_20scan_config_selectorIN3c108BFloat16EEEZZNS1_9scan_implILNS1_25lookback_scan_determinismE0ELb0ELb0ES3_PKS6_PS6_S6_ZZZN2at6native31launch_logcumsumexp_cuda_kernelERKNSD_10TensorBaseESH_lENKUlvE_clEvENKUlvE4_clEvEUlS6_S6_E_S6_EEDaPvRmT3_T4_T5_mT6_P12ihipStream_tbENKUlT_T0_E_clISt17integral_constantIbLb0EESX_IbLb1EEEEDaST_SU_EUlST_E_NS1_11comp_targetILNS1_3genE2ELNS1_11target_archE906ELNS1_3gpuE6ELNS1_3repE0EEENS1_30default_config_static_selectorELNS0_4arch9wavefront6targetE1EEEvT1_
	.p2align	8
	.type	_ZN7rocprim17ROCPRIM_400000_NS6detail17trampoline_kernelINS0_14default_configENS1_20scan_config_selectorIN3c108BFloat16EEEZZNS1_9scan_implILNS1_25lookback_scan_determinismE0ELb0ELb0ES3_PKS6_PS6_S6_ZZZN2at6native31launch_logcumsumexp_cuda_kernelERKNSD_10TensorBaseESH_lENKUlvE_clEvENKUlvE4_clEvEUlS6_S6_E_S6_EEDaPvRmT3_T4_T5_mT6_P12ihipStream_tbENKUlT_T0_E_clISt17integral_constantIbLb0EESX_IbLb1EEEEDaST_SU_EUlST_E_NS1_11comp_targetILNS1_3genE2ELNS1_11target_archE906ELNS1_3gpuE6ELNS1_3repE0EEENS1_30default_config_static_selectorELNS0_4arch9wavefront6targetE1EEEvT1_,@function
_ZN7rocprim17ROCPRIM_400000_NS6detail17trampoline_kernelINS0_14default_configENS1_20scan_config_selectorIN3c108BFloat16EEEZZNS1_9scan_implILNS1_25lookback_scan_determinismE0ELb0ELb0ES3_PKS6_PS6_S6_ZZZN2at6native31launch_logcumsumexp_cuda_kernelERKNSD_10TensorBaseESH_lENKUlvE_clEvENKUlvE4_clEvEUlS6_S6_E_S6_EEDaPvRmT3_T4_T5_mT6_P12ihipStream_tbENKUlT_T0_E_clISt17integral_constantIbLb0EESX_IbLb1EEEEDaST_SU_EUlST_E_NS1_11comp_targetILNS1_3genE2ELNS1_11target_archE906ELNS1_3gpuE6ELNS1_3repE0EEENS1_30default_config_static_selectorELNS0_4arch9wavefront6targetE1EEEvT1_: ; @_ZN7rocprim17ROCPRIM_400000_NS6detail17trampoline_kernelINS0_14default_configENS1_20scan_config_selectorIN3c108BFloat16EEEZZNS1_9scan_implILNS1_25lookback_scan_determinismE0ELb0ELb0ES3_PKS6_PS6_S6_ZZZN2at6native31launch_logcumsumexp_cuda_kernelERKNSD_10TensorBaseESH_lENKUlvE_clEvENKUlvE4_clEvEUlS6_S6_E_S6_EEDaPvRmT3_T4_T5_mT6_P12ihipStream_tbENKUlT_T0_E_clISt17integral_constantIbLb0EESX_IbLb1EEEEDaST_SU_EUlST_E_NS1_11comp_targetILNS1_3genE2ELNS1_11target_archE906ELNS1_3gpuE6ELNS1_3repE0EEENS1_30default_config_static_selectorELNS0_4arch9wavefront6targetE1EEEvT1_
; %bb.0:
	.section	.rodata,"a",@progbits
	.p2align	6, 0x0
	.amdhsa_kernel _ZN7rocprim17ROCPRIM_400000_NS6detail17trampoline_kernelINS0_14default_configENS1_20scan_config_selectorIN3c108BFloat16EEEZZNS1_9scan_implILNS1_25lookback_scan_determinismE0ELb0ELb0ES3_PKS6_PS6_S6_ZZZN2at6native31launch_logcumsumexp_cuda_kernelERKNSD_10TensorBaseESH_lENKUlvE_clEvENKUlvE4_clEvEUlS6_S6_E_S6_EEDaPvRmT3_T4_T5_mT6_P12ihipStream_tbENKUlT_T0_E_clISt17integral_constantIbLb0EESX_IbLb1EEEEDaST_SU_EUlST_E_NS1_11comp_targetILNS1_3genE2ELNS1_11target_archE906ELNS1_3gpuE6ELNS1_3repE0EEENS1_30default_config_static_selectorELNS0_4arch9wavefront6targetE1EEEvT1_
		.amdhsa_group_segment_fixed_size 0
		.amdhsa_private_segment_fixed_size 0
		.amdhsa_kernarg_size 96
		.amdhsa_user_sgpr_count 6
		.amdhsa_user_sgpr_private_segment_buffer 1
		.amdhsa_user_sgpr_dispatch_ptr 0
		.amdhsa_user_sgpr_queue_ptr 0
		.amdhsa_user_sgpr_kernarg_segment_ptr 1
		.amdhsa_user_sgpr_dispatch_id 0
		.amdhsa_user_sgpr_flat_scratch_init 0
		.amdhsa_user_sgpr_kernarg_preload_length 0
		.amdhsa_user_sgpr_kernarg_preload_offset 0
		.amdhsa_user_sgpr_private_segment_size 0
		.amdhsa_uses_dynamic_stack 0
		.amdhsa_system_sgpr_private_segment_wavefront_offset 0
		.amdhsa_system_sgpr_workgroup_id_x 1
		.amdhsa_system_sgpr_workgroup_id_y 0
		.amdhsa_system_sgpr_workgroup_id_z 0
		.amdhsa_system_sgpr_workgroup_info 0
		.amdhsa_system_vgpr_workitem_id 0
		.amdhsa_next_free_vgpr 1
		.amdhsa_next_free_sgpr 0
		.amdhsa_accum_offset 4
		.amdhsa_reserve_vcc 0
		.amdhsa_reserve_flat_scratch 0
		.amdhsa_float_round_mode_32 0
		.amdhsa_float_round_mode_16_64 0
		.amdhsa_float_denorm_mode_32 3
		.amdhsa_float_denorm_mode_16_64 3
		.amdhsa_dx10_clamp 1
		.amdhsa_ieee_mode 1
		.amdhsa_fp16_overflow 0
		.amdhsa_tg_split 0
		.amdhsa_exception_fp_ieee_invalid_op 0
		.amdhsa_exception_fp_denorm_src 0
		.amdhsa_exception_fp_ieee_div_zero 0
		.amdhsa_exception_fp_ieee_overflow 0
		.amdhsa_exception_fp_ieee_underflow 0
		.amdhsa_exception_fp_ieee_inexact 0
		.amdhsa_exception_int_div_zero 0
	.end_amdhsa_kernel
	.section	.text._ZN7rocprim17ROCPRIM_400000_NS6detail17trampoline_kernelINS0_14default_configENS1_20scan_config_selectorIN3c108BFloat16EEEZZNS1_9scan_implILNS1_25lookback_scan_determinismE0ELb0ELb0ES3_PKS6_PS6_S6_ZZZN2at6native31launch_logcumsumexp_cuda_kernelERKNSD_10TensorBaseESH_lENKUlvE_clEvENKUlvE4_clEvEUlS6_S6_E_S6_EEDaPvRmT3_T4_T5_mT6_P12ihipStream_tbENKUlT_T0_E_clISt17integral_constantIbLb0EESX_IbLb1EEEEDaST_SU_EUlST_E_NS1_11comp_targetILNS1_3genE2ELNS1_11target_archE906ELNS1_3gpuE6ELNS1_3repE0EEENS1_30default_config_static_selectorELNS0_4arch9wavefront6targetE1EEEvT1_,"axG",@progbits,_ZN7rocprim17ROCPRIM_400000_NS6detail17trampoline_kernelINS0_14default_configENS1_20scan_config_selectorIN3c108BFloat16EEEZZNS1_9scan_implILNS1_25lookback_scan_determinismE0ELb0ELb0ES3_PKS6_PS6_S6_ZZZN2at6native31launch_logcumsumexp_cuda_kernelERKNSD_10TensorBaseESH_lENKUlvE_clEvENKUlvE4_clEvEUlS6_S6_E_S6_EEDaPvRmT3_T4_T5_mT6_P12ihipStream_tbENKUlT_T0_E_clISt17integral_constantIbLb0EESX_IbLb1EEEEDaST_SU_EUlST_E_NS1_11comp_targetILNS1_3genE2ELNS1_11target_archE906ELNS1_3gpuE6ELNS1_3repE0EEENS1_30default_config_static_selectorELNS0_4arch9wavefront6targetE1EEEvT1_,comdat
.Lfunc_end515:
	.size	_ZN7rocprim17ROCPRIM_400000_NS6detail17trampoline_kernelINS0_14default_configENS1_20scan_config_selectorIN3c108BFloat16EEEZZNS1_9scan_implILNS1_25lookback_scan_determinismE0ELb0ELb0ES3_PKS6_PS6_S6_ZZZN2at6native31launch_logcumsumexp_cuda_kernelERKNSD_10TensorBaseESH_lENKUlvE_clEvENKUlvE4_clEvEUlS6_S6_E_S6_EEDaPvRmT3_T4_T5_mT6_P12ihipStream_tbENKUlT_T0_E_clISt17integral_constantIbLb0EESX_IbLb1EEEEDaST_SU_EUlST_E_NS1_11comp_targetILNS1_3genE2ELNS1_11target_archE906ELNS1_3gpuE6ELNS1_3repE0EEENS1_30default_config_static_selectorELNS0_4arch9wavefront6targetE1EEEvT1_, .Lfunc_end515-_ZN7rocprim17ROCPRIM_400000_NS6detail17trampoline_kernelINS0_14default_configENS1_20scan_config_selectorIN3c108BFloat16EEEZZNS1_9scan_implILNS1_25lookback_scan_determinismE0ELb0ELb0ES3_PKS6_PS6_S6_ZZZN2at6native31launch_logcumsumexp_cuda_kernelERKNSD_10TensorBaseESH_lENKUlvE_clEvENKUlvE4_clEvEUlS6_S6_E_S6_EEDaPvRmT3_T4_T5_mT6_P12ihipStream_tbENKUlT_T0_E_clISt17integral_constantIbLb0EESX_IbLb1EEEEDaST_SU_EUlST_E_NS1_11comp_targetILNS1_3genE2ELNS1_11target_archE906ELNS1_3gpuE6ELNS1_3repE0EEENS1_30default_config_static_selectorELNS0_4arch9wavefront6targetE1EEEvT1_
                                        ; -- End function
	.section	.AMDGPU.csdata,"",@progbits
; Kernel info:
; codeLenInByte = 0
; NumSgprs: 4
; NumVgprs: 0
; NumAgprs: 0
; TotalNumVgprs: 0
; ScratchSize: 0
; MemoryBound: 0
; FloatMode: 240
; IeeeMode: 1
; LDSByteSize: 0 bytes/workgroup (compile time only)
; SGPRBlocks: 0
; VGPRBlocks: 0
; NumSGPRsForWavesPerEU: 4
; NumVGPRsForWavesPerEU: 1
; AccumOffset: 4
; Occupancy: 8
; WaveLimiterHint : 0
; COMPUTE_PGM_RSRC2:SCRATCH_EN: 0
; COMPUTE_PGM_RSRC2:USER_SGPR: 6
; COMPUTE_PGM_RSRC2:TRAP_HANDLER: 0
; COMPUTE_PGM_RSRC2:TGID_X_EN: 1
; COMPUTE_PGM_RSRC2:TGID_Y_EN: 0
; COMPUTE_PGM_RSRC2:TGID_Z_EN: 0
; COMPUTE_PGM_RSRC2:TIDIG_COMP_CNT: 0
; COMPUTE_PGM_RSRC3_GFX90A:ACCUM_OFFSET: 0
; COMPUTE_PGM_RSRC3_GFX90A:TG_SPLIT: 0
	.section	.text._ZN7rocprim17ROCPRIM_400000_NS6detail17trampoline_kernelINS0_14default_configENS1_20scan_config_selectorIN3c108BFloat16EEEZZNS1_9scan_implILNS1_25lookback_scan_determinismE0ELb0ELb0ES3_PKS6_PS6_S6_ZZZN2at6native31launch_logcumsumexp_cuda_kernelERKNSD_10TensorBaseESH_lENKUlvE_clEvENKUlvE4_clEvEUlS6_S6_E_S6_EEDaPvRmT3_T4_T5_mT6_P12ihipStream_tbENKUlT_T0_E_clISt17integral_constantIbLb0EESX_IbLb1EEEEDaST_SU_EUlST_E_NS1_11comp_targetILNS1_3genE10ELNS1_11target_archE1201ELNS1_3gpuE5ELNS1_3repE0EEENS1_30default_config_static_selectorELNS0_4arch9wavefront6targetE1EEEvT1_,"axG",@progbits,_ZN7rocprim17ROCPRIM_400000_NS6detail17trampoline_kernelINS0_14default_configENS1_20scan_config_selectorIN3c108BFloat16EEEZZNS1_9scan_implILNS1_25lookback_scan_determinismE0ELb0ELb0ES3_PKS6_PS6_S6_ZZZN2at6native31launch_logcumsumexp_cuda_kernelERKNSD_10TensorBaseESH_lENKUlvE_clEvENKUlvE4_clEvEUlS6_S6_E_S6_EEDaPvRmT3_T4_T5_mT6_P12ihipStream_tbENKUlT_T0_E_clISt17integral_constantIbLb0EESX_IbLb1EEEEDaST_SU_EUlST_E_NS1_11comp_targetILNS1_3genE10ELNS1_11target_archE1201ELNS1_3gpuE5ELNS1_3repE0EEENS1_30default_config_static_selectorELNS0_4arch9wavefront6targetE1EEEvT1_,comdat
	.globl	_ZN7rocprim17ROCPRIM_400000_NS6detail17trampoline_kernelINS0_14default_configENS1_20scan_config_selectorIN3c108BFloat16EEEZZNS1_9scan_implILNS1_25lookback_scan_determinismE0ELb0ELb0ES3_PKS6_PS6_S6_ZZZN2at6native31launch_logcumsumexp_cuda_kernelERKNSD_10TensorBaseESH_lENKUlvE_clEvENKUlvE4_clEvEUlS6_S6_E_S6_EEDaPvRmT3_T4_T5_mT6_P12ihipStream_tbENKUlT_T0_E_clISt17integral_constantIbLb0EESX_IbLb1EEEEDaST_SU_EUlST_E_NS1_11comp_targetILNS1_3genE10ELNS1_11target_archE1201ELNS1_3gpuE5ELNS1_3repE0EEENS1_30default_config_static_selectorELNS0_4arch9wavefront6targetE1EEEvT1_ ; -- Begin function _ZN7rocprim17ROCPRIM_400000_NS6detail17trampoline_kernelINS0_14default_configENS1_20scan_config_selectorIN3c108BFloat16EEEZZNS1_9scan_implILNS1_25lookback_scan_determinismE0ELb0ELb0ES3_PKS6_PS6_S6_ZZZN2at6native31launch_logcumsumexp_cuda_kernelERKNSD_10TensorBaseESH_lENKUlvE_clEvENKUlvE4_clEvEUlS6_S6_E_S6_EEDaPvRmT3_T4_T5_mT6_P12ihipStream_tbENKUlT_T0_E_clISt17integral_constantIbLb0EESX_IbLb1EEEEDaST_SU_EUlST_E_NS1_11comp_targetILNS1_3genE10ELNS1_11target_archE1201ELNS1_3gpuE5ELNS1_3repE0EEENS1_30default_config_static_selectorELNS0_4arch9wavefront6targetE1EEEvT1_
	.p2align	8
	.type	_ZN7rocprim17ROCPRIM_400000_NS6detail17trampoline_kernelINS0_14default_configENS1_20scan_config_selectorIN3c108BFloat16EEEZZNS1_9scan_implILNS1_25lookback_scan_determinismE0ELb0ELb0ES3_PKS6_PS6_S6_ZZZN2at6native31launch_logcumsumexp_cuda_kernelERKNSD_10TensorBaseESH_lENKUlvE_clEvENKUlvE4_clEvEUlS6_S6_E_S6_EEDaPvRmT3_T4_T5_mT6_P12ihipStream_tbENKUlT_T0_E_clISt17integral_constantIbLb0EESX_IbLb1EEEEDaST_SU_EUlST_E_NS1_11comp_targetILNS1_3genE10ELNS1_11target_archE1201ELNS1_3gpuE5ELNS1_3repE0EEENS1_30default_config_static_selectorELNS0_4arch9wavefront6targetE1EEEvT1_,@function
_ZN7rocprim17ROCPRIM_400000_NS6detail17trampoline_kernelINS0_14default_configENS1_20scan_config_selectorIN3c108BFloat16EEEZZNS1_9scan_implILNS1_25lookback_scan_determinismE0ELb0ELb0ES3_PKS6_PS6_S6_ZZZN2at6native31launch_logcumsumexp_cuda_kernelERKNSD_10TensorBaseESH_lENKUlvE_clEvENKUlvE4_clEvEUlS6_S6_E_S6_EEDaPvRmT3_T4_T5_mT6_P12ihipStream_tbENKUlT_T0_E_clISt17integral_constantIbLb0EESX_IbLb1EEEEDaST_SU_EUlST_E_NS1_11comp_targetILNS1_3genE10ELNS1_11target_archE1201ELNS1_3gpuE5ELNS1_3repE0EEENS1_30default_config_static_selectorELNS0_4arch9wavefront6targetE1EEEvT1_: ; @_ZN7rocprim17ROCPRIM_400000_NS6detail17trampoline_kernelINS0_14default_configENS1_20scan_config_selectorIN3c108BFloat16EEEZZNS1_9scan_implILNS1_25lookback_scan_determinismE0ELb0ELb0ES3_PKS6_PS6_S6_ZZZN2at6native31launch_logcumsumexp_cuda_kernelERKNSD_10TensorBaseESH_lENKUlvE_clEvENKUlvE4_clEvEUlS6_S6_E_S6_EEDaPvRmT3_T4_T5_mT6_P12ihipStream_tbENKUlT_T0_E_clISt17integral_constantIbLb0EESX_IbLb1EEEEDaST_SU_EUlST_E_NS1_11comp_targetILNS1_3genE10ELNS1_11target_archE1201ELNS1_3gpuE5ELNS1_3repE0EEENS1_30default_config_static_selectorELNS0_4arch9wavefront6targetE1EEEvT1_
; %bb.0:
	.section	.rodata,"a",@progbits
	.p2align	6, 0x0
	.amdhsa_kernel _ZN7rocprim17ROCPRIM_400000_NS6detail17trampoline_kernelINS0_14default_configENS1_20scan_config_selectorIN3c108BFloat16EEEZZNS1_9scan_implILNS1_25lookback_scan_determinismE0ELb0ELb0ES3_PKS6_PS6_S6_ZZZN2at6native31launch_logcumsumexp_cuda_kernelERKNSD_10TensorBaseESH_lENKUlvE_clEvENKUlvE4_clEvEUlS6_S6_E_S6_EEDaPvRmT3_T4_T5_mT6_P12ihipStream_tbENKUlT_T0_E_clISt17integral_constantIbLb0EESX_IbLb1EEEEDaST_SU_EUlST_E_NS1_11comp_targetILNS1_3genE10ELNS1_11target_archE1201ELNS1_3gpuE5ELNS1_3repE0EEENS1_30default_config_static_selectorELNS0_4arch9wavefront6targetE1EEEvT1_
		.amdhsa_group_segment_fixed_size 0
		.amdhsa_private_segment_fixed_size 0
		.amdhsa_kernarg_size 96
		.amdhsa_user_sgpr_count 6
		.amdhsa_user_sgpr_private_segment_buffer 1
		.amdhsa_user_sgpr_dispatch_ptr 0
		.amdhsa_user_sgpr_queue_ptr 0
		.amdhsa_user_sgpr_kernarg_segment_ptr 1
		.amdhsa_user_sgpr_dispatch_id 0
		.amdhsa_user_sgpr_flat_scratch_init 0
		.amdhsa_user_sgpr_kernarg_preload_length 0
		.amdhsa_user_sgpr_kernarg_preload_offset 0
		.amdhsa_user_sgpr_private_segment_size 0
		.amdhsa_uses_dynamic_stack 0
		.amdhsa_system_sgpr_private_segment_wavefront_offset 0
		.amdhsa_system_sgpr_workgroup_id_x 1
		.amdhsa_system_sgpr_workgroup_id_y 0
		.amdhsa_system_sgpr_workgroup_id_z 0
		.amdhsa_system_sgpr_workgroup_info 0
		.amdhsa_system_vgpr_workitem_id 0
		.amdhsa_next_free_vgpr 1
		.amdhsa_next_free_sgpr 0
		.amdhsa_accum_offset 4
		.amdhsa_reserve_vcc 0
		.amdhsa_reserve_flat_scratch 0
		.amdhsa_float_round_mode_32 0
		.amdhsa_float_round_mode_16_64 0
		.amdhsa_float_denorm_mode_32 3
		.amdhsa_float_denorm_mode_16_64 3
		.amdhsa_dx10_clamp 1
		.amdhsa_ieee_mode 1
		.amdhsa_fp16_overflow 0
		.amdhsa_tg_split 0
		.amdhsa_exception_fp_ieee_invalid_op 0
		.amdhsa_exception_fp_denorm_src 0
		.amdhsa_exception_fp_ieee_div_zero 0
		.amdhsa_exception_fp_ieee_overflow 0
		.amdhsa_exception_fp_ieee_underflow 0
		.amdhsa_exception_fp_ieee_inexact 0
		.amdhsa_exception_int_div_zero 0
	.end_amdhsa_kernel
	.section	.text._ZN7rocprim17ROCPRIM_400000_NS6detail17trampoline_kernelINS0_14default_configENS1_20scan_config_selectorIN3c108BFloat16EEEZZNS1_9scan_implILNS1_25lookback_scan_determinismE0ELb0ELb0ES3_PKS6_PS6_S6_ZZZN2at6native31launch_logcumsumexp_cuda_kernelERKNSD_10TensorBaseESH_lENKUlvE_clEvENKUlvE4_clEvEUlS6_S6_E_S6_EEDaPvRmT3_T4_T5_mT6_P12ihipStream_tbENKUlT_T0_E_clISt17integral_constantIbLb0EESX_IbLb1EEEEDaST_SU_EUlST_E_NS1_11comp_targetILNS1_3genE10ELNS1_11target_archE1201ELNS1_3gpuE5ELNS1_3repE0EEENS1_30default_config_static_selectorELNS0_4arch9wavefront6targetE1EEEvT1_,"axG",@progbits,_ZN7rocprim17ROCPRIM_400000_NS6detail17trampoline_kernelINS0_14default_configENS1_20scan_config_selectorIN3c108BFloat16EEEZZNS1_9scan_implILNS1_25lookback_scan_determinismE0ELb0ELb0ES3_PKS6_PS6_S6_ZZZN2at6native31launch_logcumsumexp_cuda_kernelERKNSD_10TensorBaseESH_lENKUlvE_clEvENKUlvE4_clEvEUlS6_S6_E_S6_EEDaPvRmT3_T4_T5_mT6_P12ihipStream_tbENKUlT_T0_E_clISt17integral_constantIbLb0EESX_IbLb1EEEEDaST_SU_EUlST_E_NS1_11comp_targetILNS1_3genE10ELNS1_11target_archE1201ELNS1_3gpuE5ELNS1_3repE0EEENS1_30default_config_static_selectorELNS0_4arch9wavefront6targetE1EEEvT1_,comdat
.Lfunc_end516:
	.size	_ZN7rocprim17ROCPRIM_400000_NS6detail17trampoline_kernelINS0_14default_configENS1_20scan_config_selectorIN3c108BFloat16EEEZZNS1_9scan_implILNS1_25lookback_scan_determinismE0ELb0ELb0ES3_PKS6_PS6_S6_ZZZN2at6native31launch_logcumsumexp_cuda_kernelERKNSD_10TensorBaseESH_lENKUlvE_clEvENKUlvE4_clEvEUlS6_S6_E_S6_EEDaPvRmT3_T4_T5_mT6_P12ihipStream_tbENKUlT_T0_E_clISt17integral_constantIbLb0EESX_IbLb1EEEEDaST_SU_EUlST_E_NS1_11comp_targetILNS1_3genE10ELNS1_11target_archE1201ELNS1_3gpuE5ELNS1_3repE0EEENS1_30default_config_static_selectorELNS0_4arch9wavefront6targetE1EEEvT1_, .Lfunc_end516-_ZN7rocprim17ROCPRIM_400000_NS6detail17trampoline_kernelINS0_14default_configENS1_20scan_config_selectorIN3c108BFloat16EEEZZNS1_9scan_implILNS1_25lookback_scan_determinismE0ELb0ELb0ES3_PKS6_PS6_S6_ZZZN2at6native31launch_logcumsumexp_cuda_kernelERKNSD_10TensorBaseESH_lENKUlvE_clEvENKUlvE4_clEvEUlS6_S6_E_S6_EEDaPvRmT3_T4_T5_mT6_P12ihipStream_tbENKUlT_T0_E_clISt17integral_constantIbLb0EESX_IbLb1EEEEDaST_SU_EUlST_E_NS1_11comp_targetILNS1_3genE10ELNS1_11target_archE1201ELNS1_3gpuE5ELNS1_3repE0EEENS1_30default_config_static_selectorELNS0_4arch9wavefront6targetE1EEEvT1_
                                        ; -- End function
	.section	.AMDGPU.csdata,"",@progbits
; Kernel info:
; codeLenInByte = 0
; NumSgprs: 4
; NumVgprs: 0
; NumAgprs: 0
; TotalNumVgprs: 0
; ScratchSize: 0
; MemoryBound: 0
; FloatMode: 240
; IeeeMode: 1
; LDSByteSize: 0 bytes/workgroup (compile time only)
; SGPRBlocks: 0
; VGPRBlocks: 0
; NumSGPRsForWavesPerEU: 4
; NumVGPRsForWavesPerEU: 1
; AccumOffset: 4
; Occupancy: 8
; WaveLimiterHint : 0
; COMPUTE_PGM_RSRC2:SCRATCH_EN: 0
; COMPUTE_PGM_RSRC2:USER_SGPR: 6
; COMPUTE_PGM_RSRC2:TRAP_HANDLER: 0
; COMPUTE_PGM_RSRC2:TGID_X_EN: 1
; COMPUTE_PGM_RSRC2:TGID_Y_EN: 0
; COMPUTE_PGM_RSRC2:TGID_Z_EN: 0
; COMPUTE_PGM_RSRC2:TIDIG_COMP_CNT: 0
; COMPUTE_PGM_RSRC3_GFX90A:ACCUM_OFFSET: 0
; COMPUTE_PGM_RSRC3_GFX90A:TG_SPLIT: 0
	.section	.text._ZN7rocprim17ROCPRIM_400000_NS6detail17trampoline_kernelINS0_14default_configENS1_20scan_config_selectorIN3c108BFloat16EEEZZNS1_9scan_implILNS1_25lookback_scan_determinismE0ELb0ELb0ES3_PKS6_PS6_S6_ZZZN2at6native31launch_logcumsumexp_cuda_kernelERKNSD_10TensorBaseESH_lENKUlvE_clEvENKUlvE4_clEvEUlS6_S6_E_S6_EEDaPvRmT3_T4_T5_mT6_P12ihipStream_tbENKUlT_T0_E_clISt17integral_constantIbLb0EESX_IbLb1EEEEDaST_SU_EUlST_E_NS1_11comp_targetILNS1_3genE10ELNS1_11target_archE1200ELNS1_3gpuE4ELNS1_3repE0EEENS1_30default_config_static_selectorELNS0_4arch9wavefront6targetE1EEEvT1_,"axG",@progbits,_ZN7rocprim17ROCPRIM_400000_NS6detail17trampoline_kernelINS0_14default_configENS1_20scan_config_selectorIN3c108BFloat16EEEZZNS1_9scan_implILNS1_25lookback_scan_determinismE0ELb0ELb0ES3_PKS6_PS6_S6_ZZZN2at6native31launch_logcumsumexp_cuda_kernelERKNSD_10TensorBaseESH_lENKUlvE_clEvENKUlvE4_clEvEUlS6_S6_E_S6_EEDaPvRmT3_T4_T5_mT6_P12ihipStream_tbENKUlT_T0_E_clISt17integral_constantIbLb0EESX_IbLb1EEEEDaST_SU_EUlST_E_NS1_11comp_targetILNS1_3genE10ELNS1_11target_archE1200ELNS1_3gpuE4ELNS1_3repE0EEENS1_30default_config_static_selectorELNS0_4arch9wavefront6targetE1EEEvT1_,comdat
	.globl	_ZN7rocprim17ROCPRIM_400000_NS6detail17trampoline_kernelINS0_14default_configENS1_20scan_config_selectorIN3c108BFloat16EEEZZNS1_9scan_implILNS1_25lookback_scan_determinismE0ELb0ELb0ES3_PKS6_PS6_S6_ZZZN2at6native31launch_logcumsumexp_cuda_kernelERKNSD_10TensorBaseESH_lENKUlvE_clEvENKUlvE4_clEvEUlS6_S6_E_S6_EEDaPvRmT3_T4_T5_mT6_P12ihipStream_tbENKUlT_T0_E_clISt17integral_constantIbLb0EESX_IbLb1EEEEDaST_SU_EUlST_E_NS1_11comp_targetILNS1_3genE10ELNS1_11target_archE1200ELNS1_3gpuE4ELNS1_3repE0EEENS1_30default_config_static_selectorELNS0_4arch9wavefront6targetE1EEEvT1_ ; -- Begin function _ZN7rocprim17ROCPRIM_400000_NS6detail17trampoline_kernelINS0_14default_configENS1_20scan_config_selectorIN3c108BFloat16EEEZZNS1_9scan_implILNS1_25lookback_scan_determinismE0ELb0ELb0ES3_PKS6_PS6_S6_ZZZN2at6native31launch_logcumsumexp_cuda_kernelERKNSD_10TensorBaseESH_lENKUlvE_clEvENKUlvE4_clEvEUlS6_S6_E_S6_EEDaPvRmT3_T4_T5_mT6_P12ihipStream_tbENKUlT_T0_E_clISt17integral_constantIbLb0EESX_IbLb1EEEEDaST_SU_EUlST_E_NS1_11comp_targetILNS1_3genE10ELNS1_11target_archE1200ELNS1_3gpuE4ELNS1_3repE0EEENS1_30default_config_static_selectorELNS0_4arch9wavefront6targetE1EEEvT1_
	.p2align	8
	.type	_ZN7rocprim17ROCPRIM_400000_NS6detail17trampoline_kernelINS0_14default_configENS1_20scan_config_selectorIN3c108BFloat16EEEZZNS1_9scan_implILNS1_25lookback_scan_determinismE0ELb0ELb0ES3_PKS6_PS6_S6_ZZZN2at6native31launch_logcumsumexp_cuda_kernelERKNSD_10TensorBaseESH_lENKUlvE_clEvENKUlvE4_clEvEUlS6_S6_E_S6_EEDaPvRmT3_T4_T5_mT6_P12ihipStream_tbENKUlT_T0_E_clISt17integral_constantIbLb0EESX_IbLb1EEEEDaST_SU_EUlST_E_NS1_11comp_targetILNS1_3genE10ELNS1_11target_archE1200ELNS1_3gpuE4ELNS1_3repE0EEENS1_30default_config_static_selectorELNS0_4arch9wavefront6targetE1EEEvT1_,@function
_ZN7rocprim17ROCPRIM_400000_NS6detail17trampoline_kernelINS0_14default_configENS1_20scan_config_selectorIN3c108BFloat16EEEZZNS1_9scan_implILNS1_25lookback_scan_determinismE0ELb0ELb0ES3_PKS6_PS6_S6_ZZZN2at6native31launch_logcumsumexp_cuda_kernelERKNSD_10TensorBaseESH_lENKUlvE_clEvENKUlvE4_clEvEUlS6_S6_E_S6_EEDaPvRmT3_T4_T5_mT6_P12ihipStream_tbENKUlT_T0_E_clISt17integral_constantIbLb0EESX_IbLb1EEEEDaST_SU_EUlST_E_NS1_11comp_targetILNS1_3genE10ELNS1_11target_archE1200ELNS1_3gpuE4ELNS1_3repE0EEENS1_30default_config_static_selectorELNS0_4arch9wavefront6targetE1EEEvT1_: ; @_ZN7rocprim17ROCPRIM_400000_NS6detail17trampoline_kernelINS0_14default_configENS1_20scan_config_selectorIN3c108BFloat16EEEZZNS1_9scan_implILNS1_25lookback_scan_determinismE0ELb0ELb0ES3_PKS6_PS6_S6_ZZZN2at6native31launch_logcumsumexp_cuda_kernelERKNSD_10TensorBaseESH_lENKUlvE_clEvENKUlvE4_clEvEUlS6_S6_E_S6_EEDaPvRmT3_T4_T5_mT6_P12ihipStream_tbENKUlT_T0_E_clISt17integral_constantIbLb0EESX_IbLb1EEEEDaST_SU_EUlST_E_NS1_11comp_targetILNS1_3genE10ELNS1_11target_archE1200ELNS1_3gpuE4ELNS1_3repE0EEENS1_30default_config_static_selectorELNS0_4arch9wavefront6targetE1EEEvT1_
; %bb.0:
	.section	.rodata,"a",@progbits
	.p2align	6, 0x0
	.amdhsa_kernel _ZN7rocprim17ROCPRIM_400000_NS6detail17trampoline_kernelINS0_14default_configENS1_20scan_config_selectorIN3c108BFloat16EEEZZNS1_9scan_implILNS1_25lookback_scan_determinismE0ELb0ELb0ES3_PKS6_PS6_S6_ZZZN2at6native31launch_logcumsumexp_cuda_kernelERKNSD_10TensorBaseESH_lENKUlvE_clEvENKUlvE4_clEvEUlS6_S6_E_S6_EEDaPvRmT3_T4_T5_mT6_P12ihipStream_tbENKUlT_T0_E_clISt17integral_constantIbLb0EESX_IbLb1EEEEDaST_SU_EUlST_E_NS1_11comp_targetILNS1_3genE10ELNS1_11target_archE1200ELNS1_3gpuE4ELNS1_3repE0EEENS1_30default_config_static_selectorELNS0_4arch9wavefront6targetE1EEEvT1_
		.amdhsa_group_segment_fixed_size 0
		.amdhsa_private_segment_fixed_size 0
		.amdhsa_kernarg_size 96
		.amdhsa_user_sgpr_count 6
		.amdhsa_user_sgpr_private_segment_buffer 1
		.amdhsa_user_sgpr_dispatch_ptr 0
		.amdhsa_user_sgpr_queue_ptr 0
		.amdhsa_user_sgpr_kernarg_segment_ptr 1
		.amdhsa_user_sgpr_dispatch_id 0
		.amdhsa_user_sgpr_flat_scratch_init 0
		.amdhsa_user_sgpr_kernarg_preload_length 0
		.amdhsa_user_sgpr_kernarg_preload_offset 0
		.amdhsa_user_sgpr_private_segment_size 0
		.amdhsa_uses_dynamic_stack 0
		.amdhsa_system_sgpr_private_segment_wavefront_offset 0
		.amdhsa_system_sgpr_workgroup_id_x 1
		.amdhsa_system_sgpr_workgroup_id_y 0
		.amdhsa_system_sgpr_workgroup_id_z 0
		.amdhsa_system_sgpr_workgroup_info 0
		.amdhsa_system_vgpr_workitem_id 0
		.amdhsa_next_free_vgpr 1
		.amdhsa_next_free_sgpr 0
		.amdhsa_accum_offset 4
		.amdhsa_reserve_vcc 0
		.amdhsa_reserve_flat_scratch 0
		.amdhsa_float_round_mode_32 0
		.amdhsa_float_round_mode_16_64 0
		.amdhsa_float_denorm_mode_32 3
		.amdhsa_float_denorm_mode_16_64 3
		.amdhsa_dx10_clamp 1
		.amdhsa_ieee_mode 1
		.amdhsa_fp16_overflow 0
		.amdhsa_tg_split 0
		.amdhsa_exception_fp_ieee_invalid_op 0
		.amdhsa_exception_fp_denorm_src 0
		.amdhsa_exception_fp_ieee_div_zero 0
		.amdhsa_exception_fp_ieee_overflow 0
		.amdhsa_exception_fp_ieee_underflow 0
		.amdhsa_exception_fp_ieee_inexact 0
		.amdhsa_exception_int_div_zero 0
	.end_amdhsa_kernel
	.section	.text._ZN7rocprim17ROCPRIM_400000_NS6detail17trampoline_kernelINS0_14default_configENS1_20scan_config_selectorIN3c108BFloat16EEEZZNS1_9scan_implILNS1_25lookback_scan_determinismE0ELb0ELb0ES3_PKS6_PS6_S6_ZZZN2at6native31launch_logcumsumexp_cuda_kernelERKNSD_10TensorBaseESH_lENKUlvE_clEvENKUlvE4_clEvEUlS6_S6_E_S6_EEDaPvRmT3_T4_T5_mT6_P12ihipStream_tbENKUlT_T0_E_clISt17integral_constantIbLb0EESX_IbLb1EEEEDaST_SU_EUlST_E_NS1_11comp_targetILNS1_3genE10ELNS1_11target_archE1200ELNS1_3gpuE4ELNS1_3repE0EEENS1_30default_config_static_selectorELNS0_4arch9wavefront6targetE1EEEvT1_,"axG",@progbits,_ZN7rocprim17ROCPRIM_400000_NS6detail17trampoline_kernelINS0_14default_configENS1_20scan_config_selectorIN3c108BFloat16EEEZZNS1_9scan_implILNS1_25lookback_scan_determinismE0ELb0ELb0ES3_PKS6_PS6_S6_ZZZN2at6native31launch_logcumsumexp_cuda_kernelERKNSD_10TensorBaseESH_lENKUlvE_clEvENKUlvE4_clEvEUlS6_S6_E_S6_EEDaPvRmT3_T4_T5_mT6_P12ihipStream_tbENKUlT_T0_E_clISt17integral_constantIbLb0EESX_IbLb1EEEEDaST_SU_EUlST_E_NS1_11comp_targetILNS1_3genE10ELNS1_11target_archE1200ELNS1_3gpuE4ELNS1_3repE0EEENS1_30default_config_static_selectorELNS0_4arch9wavefront6targetE1EEEvT1_,comdat
.Lfunc_end517:
	.size	_ZN7rocprim17ROCPRIM_400000_NS6detail17trampoline_kernelINS0_14default_configENS1_20scan_config_selectorIN3c108BFloat16EEEZZNS1_9scan_implILNS1_25lookback_scan_determinismE0ELb0ELb0ES3_PKS6_PS6_S6_ZZZN2at6native31launch_logcumsumexp_cuda_kernelERKNSD_10TensorBaseESH_lENKUlvE_clEvENKUlvE4_clEvEUlS6_S6_E_S6_EEDaPvRmT3_T4_T5_mT6_P12ihipStream_tbENKUlT_T0_E_clISt17integral_constantIbLb0EESX_IbLb1EEEEDaST_SU_EUlST_E_NS1_11comp_targetILNS1_3genE10ELNS1_11target_archE1200ELNS1_3gpuE4ELNS1_3repE0EEENS1_30default_config_static_selectorELNS0_4arch9wavefront6targetE1EEEvT1_, .Lfunc_end517-_ZN7rocprim17ROCPRIM_400000_NS6detail17trampoline_kernelINS0_14default_configENS1_20scan_config_selectorIN3c108BFloat16EEEZZNS1_9scan_implILNS1_25lookback_scan_determinismE0ELb0ELb0ES3_PKS6_PS6_S6_ZZZN2at6native31launch_logcumsumexp_cuda_kernelERKNSD_10TensorBaseESH_lENKUlvE_clEvENKUlvE4_clEvEUlS6_S6_E_S6_EEDaPvRmT3_T4_T5_mT6_P12ihipStream_tbENKUlT_T0_E_clISt17integral_constantIbLb0EESX_IbLb1EEEEDaST_SU_EUlST_E_NS1_11comp_targetILNS1_3genE10ELNS1_11target_archE1200ELNS1_3gpuE4ELNS1_3repE0EEENS1_30default_config_static_selectorELNS0_4arch9wavefront6targetE1EEEvT1_
                                        ; -- End function
	.section	.AMDGPU.csdata,"",@progbits
; Kernel info:
; codeLenInByte = 0
; NumSgprs: 4
; NumVgprs: 0
; NumAgprs: 0
; TotalNumVgprs: 0
; ScratchSize: 0
; MemoryBound: 0
; FloatMode: 240
; IeeeMode: 1
; LDSByteSize: 0 bytes/workgroup (compile time only)
; SGPRBlocks: 0
; VGPRBlocks: 0
; NumSGPRsForWavesPerEU: 4
; NumVGPRsForWavesPerEU: 1
; AccumOffset: 4
; Occupancy: 8
; WaveLimiterHint : 0
; COMPUTE_PGM_RSRC2:SCRATCH_EN: 0
; COMPUTE_PGM_RSRC2:USER_SGPR: 6
; COMPUTE_PGM_RSRC2:TRAP_HANDLER: 0
; COMPUTE_PGM_RSRC2:TGID_X_EN: 1
; COMPUTE_PGM_RSRC2:TGID_Y_EN: 0
; COMPUTE_PGM_RSRC2:TGID_Z_EN: 0
; COMPUTE_PGM_RSRC2:TIDIG_COMP_CNT: 0
; COMPUTE_PGM_RSRC3_GFX90A:ACCUM_OFFSET: 0
; COMPUTE_PGM_RSRC3_GFX90A:TG_SPLIT: 0
	.section	.text._ZN7rocprim17ROCPRIM_400000_NS6detail17trampoline_kernelINS0_14default_configENS1_20scan_config_selectorIN3c108BFloat16EEEZZNS1_9scan_implILNS1_25lookback_scan_determinismE0ELb0ELb0ES3_PKS6_PS6_S6_ZZZN2at6native31launch_logcumsumexp_cuda_kernelERKNSD_10TensorBaseESH_lENKUlvE_clEvENKUlvE4_clEvEUlS6_S6_E_S6_EEDaPvRmT3_T4_T5_mT6_P12ihipStream_tbENKUlT_T0_E_clISt17integral_constantIbLb0EESX_IbLb1EEEEDaST_SU_EUlST_E_NS1_11comp_targetILNS1_3genE9ELNS1_11target_archE1100ELNS1_3gpuE3ELNS1_3repE0EEENS1_30default_config_static_selectorELNS0_4arch9wavefront6targetE1EEEvT1_,"axG",@progbits,_ZN7rocprim17ROCPRIM_400000_NS6detail17trampoline_kernelINS0_14default_configENS1_20scan_config_selectorIN3c108BFloat16EEEZZNS1_9scan_implILNS1_25lookback_scan_determinismE0ELb0ELb0ES3_PKS6_PS6_S6_ZZZN2at6native31launch_logcumsumexp_cuda_kernelERKNSD_10TensorBaseESH_lENKUlvE_clEvENKUlvE4_clEvEUlS6_S6_E_S6_EEDaPvRmT3_T4_T5_mT6_P12ihipStream_tbENKUlT_T0_E_clISt17integral_constantIbLb0EESX_IbLb1EEEEDaST_SU_EUlST_E_NS1_11comp_targetILNS1_3genE9ELNS1_11target_archE1100ELNS1_3gpuE3ELNS1_3repE0EEENS1_30default_config_static_selectorELNS0_4arch9wavefront6targetE1EEEvT1_,comdat
	.globl	_ZN7rocprim17ROCPRIM_400000_NS6detail17trampoline_kernelINS0_14default_configENS1_20scan_config_selectorIN3c108BFloat16EEEZZNS1_9scan_implILNS1_25lookback_scan_determinismE0ELb0ELb0ES3_PKS6_PS6_S6_ZZZN2at6native31launch_logcumsumexp_cuda_kernelERKNSD_10TensorBaseESH_lENKUlvE_clEvENKUlvE4_clEvEUlS6_S6_E_S6_EEDaPvRmT3_T4_T5_mT6_P12ihipStream_tbENKUlT_T0_E_clISt17integral_constantIbLb0EESX_IbLb1EEEEDaST_SU_EUlST_E_NS1_11comp_targetILNS1_3genE9ELNS1_11target_archE1100ELNS1_3gpuE3ELNS1_3repE0EEENS1_30default_config_static_selectorELNS0_4arch9wavefront6targetE1EEEvT1_ ; -- Begin function _ZN7rocprim17ROCPRIM_400000_NS6detail17trampoline_kernelINS0_14default_configENS1_20scan_config_selectorIN3c108BFloat16EEEZZNS1_9scan_implILNS1_25lookback_scan_determinismE0ELb0ELb0ES3_PKS6_PS6_S6_ZZZN2at6native31launch_logcumsumexp_cuda_kernelERKNSD_10TensorBaseESH_lENKUlvE_clEvENKUlvE4_clEvEUlS6_S6_E_S6_EEDaPvRmT3_T4_T5_mT6_P12ihipStream_tbENKUlT_T0_E_clISt17integral_constantIbLb0EESX_IbLb1EEEEDaST_SU_EUlST_E_NS1_11comp_targetILNS1_3genE9ELNS1_11target_archE1100ELNS1_3gpuE3ELNS1_3repE0EEENS1_30default_config_static_selectorELNS0_4arch9wavefront6targetE1EEEvT1_
	.p2align	8
	.type	_ZN7rocprim17ROCPRIM_400000_NS6detail17trampoline_kernelINS0_14default_configENS1_20scan_config_selectorIN3c108BFloat16EEEZZNS1_9scan_implILNS1_25lookback_scan_determinismE0ELb0ELb0ES3_PKS6_PS6_S6_ZZZN2at6native31launch_logcumsumexp_cuda_kernelERKNSD_10TensorBaseESH_lENKUlvE_clEvENKUlvE4_clEvEUlS6_S6_E_S6_EEDaPvRmT3_T4_T5_mT6_P12ihipStream_tbENKUlT_T0_E_clISt17integral_constantIbLb0EESX_IbLb1EEEEDaST_SU_EUlST_E_NS1_11comp_targetILNS1_3genE9ELNS1_11target_archE1100ELNS1_3gpuE3ELNS1_3repE0EEENS1_30default_config_static_selectorELNS0_4arch9wavefront6targetE1EEEvT1_,@function
_ZN7rocprim17ROCPRIM_400000_NS6detail17trampoline_kernelINS0_14default_configENS1_20scan_config_selectorIN3c108BFloat16EEEZZNS1_9scan_implILNS1_25lookback_scan_determinismE0ELb0ELb0ES3_PKS6_PS6_S6_ZZZN2at6native31launch_logcumsumexp_cuda_kernelERKNSD_10TensorBaseESH_lENKUlvE_clEvENKUlvE4_clEvEUlS6_S6_E_S6_EEDaPvRmT3_T4_T5_mT6_P12ihipStream_tbENKUlT_T0_E_clISt17integral_constantIbLb0EESX_IbLb1EEEEDaST_SU_EUlST_E_NS1_11comp_targetILNS1_3genE9ELNS1_11target_archE1100ELNS1_3gpuE3ELNS1_3repE0EEENS1_30default_config_static_selectorELNS0_4arch9wavefront6targetE1EEEvT1_: ; @_ZN7rocprim17ROCPRIM_400000_NS6detail17trampoline_kernelINS0_14default_configENS1_20scan_config_selectorIN3c108BFloat16EEEZZNS1_9scan_implILNS1_25lookback_scan_determinismE0ELb0ELb0ES3_PKS6_PS6_S6_ZZZN2at6native31launch_logcumsumexp_cuda_kernelERKNSD_10TensorBaseESH_lENKUlvE_clEvENKUlvE4_clEvEUlS6_S6_E_S6_EEDaPvRmT3_T4_T5_mT6_P12ihipStream_tbENKUlT_T0_E_clISt17integral_constantIbLb0EESX_IbLb1EEEEDaST_SU_EUlST_E_NS1_11comp_targetILNS1_3genE9ELNS1_11target_archE1100ELNS1_3gpuE3ELNS1_3repE0EEENS1_30default_config_static_selectorELNS0_4arch9wavefront6targetE1EEEvT1_
; %bb.0:
	.section	.rodata,"a",@progbits
	.p2align	6, 0x0
	.amdhsa_kernel _ZN7rocprim17ROCPRIM_400000_NS6detail17trampoline_kernelINS0_14default_configENS1_20scan_config_selectorIN3c108BFloat16EEEZZNS1_9scan_implILNS1_25lookback_scan_determinismE0ELb0ELb0ES3_PKS6_PS6_S6_ZZZN2at6native31launch_logcumsumexp_cuda_kernelERKNSD_10TensorBaseESH_lENKUlvE_clEvENKUlvE4_clEvEUlS6_S6_E_S6_EEDaPvRmT3_T4_T5_mT6_P12ihipStream_tbENKUlT_T0_E_clISt17integral_constantIbLb0EESX_IbLb1EEEEDaST_SU_EUlST_E_NS1_11comp_targetILNS1_3genE9ELNS1_11target_archE1100ELNS1_3gpuE3ELNS1_3repE0EEENS1_30default_config_static_selectorELNS0_4arch9wavefront6targetE1EEEvT1_
		.amdhsa_group_segment_fixed_size 0
		.amdhsa_private_segment_fixed_size 0
		.amdhsa_kernarg_size 96
		.amdhsa_user_sgpr_count 6
		.amdhsa_user_sgpr_private_segment_buffer 1
		.amdhsa_user_sgpr_dispatch_ptr 0
		.amdhsa_user_sgpr_queue_ptr 0
		.amdhsa_user_sgpr_kernarg_segment_ptr 1
		.amdhsa_user_sgpr_dispatch_id 0
		.amdhsa_user_sgpr_flat_scratch_init 0
		.amdhsa_user_sgpr_kernarg_preload_length 0
		.amdhsa_user_sgpr_kernarg_preload_offset 0
		.amdhsa_user_sgpr_private_segment_size 0
		.amdhsa_uses_dynamic_stack 0
		.amdhsa_system_sgpr_private_segment_wavefront_offset 0
		.amdhsa_system_sgpr_workgroup_id_x 1
		.amdhsa_system_sgpr_workgroup_id_y 0
		.amdhsa_system_sgpr_workgroup_id_z 0
		.amdhsa_system_sgpr_workgroup_info 0
		.amdhsa_system_vgpr_workitem_id 0
		.amdhsa_next_free_vgpr 1
		.amdhsa_next_free_sgpr 0
		.amdhsa_accum_offset 4
		.amdhsa_reserve_vcc 0
		.amdhsa_reserve_flat_scratch 0
		.amdhsa_float_round_mode_32 0
		.amdhsa_float_round_mode_16_64 0
		.amdhsa_float_denorm_mode_32 3
		.amdhsa_float_denorm_mode_16_64 3
		.amdhsa_dx10_clamp 1
		.amdhsa_ieee_mode 1
		.amdhsa_fp16_overflow 0
		.amdhsa_tg_split 0
		.amdhsa_exception_fp_ieee_invalid_op 0
		.amdhsa_exception_fp_denorm_src 0
		.amdhsa_exception_fp_ieee_div_zero 0
		.amdhsa_exception_fp_ieee_overflow 0
		.amdhsa_exception_fp_ieee_underflow 0
		.amdhsa_exception_fp_ieee_inexact 0
		.amdhsa_exception_int_div_zero 0
	.end_amdhsa_kernel
	.section	.text._ZN7rocprim17ROCPRIM_400000_NS6detail17trampoline_kernelINS0_14default_configENS1_20scan_config_selectorIN3c108BFloat16EEEZZNS1_9scan_implILNS1_25lookback_scan_determinismE0ELb0ELb0ES3_PKS6_PS6_S6_ZZZN2at6native31launch_logcumsumexp_cuda_kernelERKNSD_10TensorBaseESH_lENKUlvE_clEvENKUlvE4_clEvEUlS6_S6_E_S6_EEDaPvRmT3_T4_T5_mT6_P12ihipStream_tbENKUlT_T0_E_clISt17integral_constantIbLb0EESX_IbLb1EEEEDaST_SU_EUlST_E_NS1_11comp_targetILNS1_3genE9ELNS1_11target_archE1100ELNS1_3gpuE3ELNS1_3repE0EEENS1_30default_config_static_selectorELNS0_4arch9wavefront6targetE1EEEvT1_,"axG",@progbits,_ZN7rocprim17ROCPRIM_400000_NS6detail17trampoline_kernelINS0_14default_configENS1_20scan_config_selectorIN3c108BFloat16EEEZZNS1_9scan_implILNS1_25lookback_scan_determinismE0ELb0ELb0ES3_PKS6_PS6_S6_ZZZN2at6native31launch_logcumsumexp_cuda_kernelERKNSD_10TensorBaseESH_lENKUlvE_clEvENKUlvE4_clEvEUlS6_S6_E_S6_EEDaPvRmT3_T4_T5_mT6_P12ihipStream_tbENKUlT_T0_E_clISt17integral_constantIbLb0EESX_IbLb1EEEEDaST_SU_EUlST_E_NS1_11comp_targetILNS1_3genE9ELNS1_11target_archE1100ELNS1_3gpuE3ELNS1_3repE0EEENS1_30default_config_static_selectorELNS0_4arch9wavefront6targetE1EEEvT1_,comdat
.Lfunc_end518:
	.size	_ZN7rocprim17ROCPRIM_400000_NS6detail17trampoline_kernelINS0_14default_configENS1_20scan_config_selectorIN3c108BFloat16EEEZZNS1_9scan_implILNS1_25lookback_scan_determinismE0ELb0ELb0ES3_PKS6_PS6_S6_ZZZN2at6native31launch_logcumsumexp_cuda_kernelERKNSD_10TensorBaseESH_lENKUlvE_clEvENKUlvE4_clEvEUlS6_S6_E_S6_EEDaPvRmT3_T4_T5_mT6_P12ihipStream_tbENKUlT_T0_E_clISt17integral_constantIbLb0EESX_IbLb1EEEEDaST_SU_EUlST_E_NS1_11comp_targetILNS1_3genE9ELNS1_11target_archE1100ELNS1_3gpuE3ELNS1_3repE0EEENS1_30default_config_static_selectorELNS0_4arch9wavefront6targetE1EEEvT1_, .Lfunc_end518-_ZN7rocprim17ROCPRIM_400000_NS6detail17trampoline_kernelINS0_14default_configENS1_20scan_config_selectorIN3c108BFloat16EEEZZNS1_9scan_implILNS1_25lookback_scan_determinismE0ELb0ELb0ES3_PKS6_PS6_S6_ZZZN2at6native31launch_logcumsumexp_cuda_kernelERKNSD_10TensorBaseESH_lENKUlvE_clEvENKUlvE4_clEvEUlS6_S6_E_S6_EEDaPvRmT3_T4_T5_mT6_P12ihipStream_tbENKUlT_T0_E_clISt17integral_constantIbLb0EESX_IbLb1EEEEDaST_SU_EUlST_E_NS1_11comp_targetILNS1_3genE9ELNS1_11target_archE1100ELNS1_3gpuE3ELNS1_3repE0EEENS1_30default_config_static_selectorELNS0_4arch9wavefront6targetE1EEEvT1_
                                        ; -- End function
	.section	.AMDGPU.csdata,"",@progbits
; Kernel info:
; codeLenInByte = 0
; NumSgprs: 4
; NumVgprs: 0
; NumAgprs: 0
; TotalNumVgprs: 0
; ScratchSize: 0
; MemoryBound: 0
; FloatMode: 240
; IeeeMode: 1
; LDSByteSize: 0 bytes/workgroup (compile time only)
; SGPRBlocks: 0
; VGPRBlocks: 0
; NumSGPRsForWavesPerEU: 4
; NumVGPRsForWavesPerEU: 1
; AccumOffset: 4
; Occupancy: 8
; WaveLimiterHint : 0
; COMPUTE_PGM_RSRC2:SCRATCH_EN: 0
; COMPUTE_PGM_RSRC2:USER_SGPR: 6
; COMPUTE_PGM_RSRC2:TRAP_HANDLER: 0
; COMPUTE_PGM_RSRC2:TGID_X_EN: 1
; COMPUTE_PGM_RSRC2:TGID_Y_EN: 0
; COMPUTE_PGM_RSRC2:TGID_Z_EN: 0
; COMPUTE_PGM_RSRC2:TIDIG_COMP_CNT: 0
; COMPUTE_PGM_RSRC3_GFX90A:ACCUM_OFFSET: 0
; COMPUTE_PGM_RSRC3_GFX90A:TG_SPLIT: 0
	.section	.text._ZN7rocprim17ROCPRIM_400000_NS6detail17trampoline_kernelINS0_14default_configENS1_20scan_config_selectorIN3c108BFloat16EEEZZNS1_9scan_implILNS1_25lookback_scan_determinismE0ELb0ELb0ES3_PKS6_PS6_S6_ZZZN2at6native31launch_logcumsumexp_cuda_kernelERKNSD_10TensorBaseESH_lENKUlvE_clEvENKUlvE4_clEvEUlS6_S6_E_S6_EEDaPvRmT3_T4_T5_mT6_P12ihipStream_tbENKUlT_T0_E_clISt17integral_constantIbLb0EESX_IbLb1EEEEDaST_SU_EUlST_E_NS1_11comp_targetILNS1_3genE8ELNS1_11target_archE1030ELNS1_3gpuE2ELNS1_3repE0EEENS1_30default_config_static_selectorELNS0_4arch9wavefront6targetE1EEEvT1_,"axG",@progbits,_ZN7rocprim17ROCPRIM_400000_NS6detail17trampoline_kernelINS0_14default_configENS1_20scan_config_selectorIN3c108BFloat16EEEZZNS1_9scan_implILNS1_25lookback_scan_determinismE0ELb0ELb0ES3_PKS6_PS6_S6_ZZZN2at6native31launch_logcumsumexp_cuda_kernelERKNSD_10TensorBaseESH_lENKUlvE_clEvENKUlvE4_clEvEUlS6_S6_E_S6_EEDaPvRmT3_T4_T5_mT6_P12ihipStream_tbENKUlT_T0_E_clISt17integral_constantIbLb0EESX_IbLb1EEEEDaST_SU_EUlST_E_NS1_11comp_targetILNS1_3genE8ELNS1_11target_archE1030ELNS1_3gpuE2ELNS1_3repE0EEENS1_30default_config_static_selectorELNS0_4arch9wavefront6targetE1EEEvT1_,comdat
	.globl	_ZN7rocprim17ROCPRIM_400000_NS6detail17trampoline_kernelINS0_14default_configENS1_20scan_config_selectorIN3c108BFloat16EEEZZNS1_9scan_implILNS1_25lookback_scan_determinismE0ELb0ELb0ES3_PKS6_PS6_S6_ZZZN2at6native31launch_logcumsumexp_cuda_kernelERKNSD_10TensorBaseESH_lENKUlvE_clEvENKUlvE4_clEvEUlS6_S6_E_S6_EEDaPvRmT3_T4_T5_mT6_P12ihipStream_tbENKUlT_T0_E_clISt17integral_constantIbLb0EESX_IbLb1EEEEDaST_SU_EUlST_E_NS1_11comp_targetILNS1_3genE8ELNS1_11target_archE1030ELNS1_3gpuE2ELNS1_3repE0EEENS1_30default_config_static_selectorELNS0_4arch9wavefront6targetE1EEEvT1_ ; -- Begin function _ZN7rocprim17ROCPRIM_400000_NS6detail17trampoline_kernelINS0_14default_configENS1_20scan_config_selectorIN3c108BFloat16EEEZZNS1_9scan_implILNS1_25lookback_scan_determinismE0ELb0ELb0ES3_PKS6_PS6_S6_ZZZN2at6native31launch_logcumsumexp_cuda_kernelERKNSD_10TensorBaseESH_lENKUlvE_clEvENKUlvE4_clEvEUlS6_S6_E_S6_EEDaPvRmT3_T4_T5_mT6_P12ihipStream_tbENKUlT_T0_E_clISt17integral_constantIbLb0EESX_IbLb1EEEEDaST_SU_EUlST_E_NS1_11comp_targetILNS1_3genE8ELNS1_11target_archE1030ELNS1_3gpuE2ELNS1_3repE0EEENS1_30default_config_static_selectorELNS0_4arch9wavefront6targetE1EEEvT1_
	.p2align	8
	.type	_ZN7rocprim17ROCPRIM_400000_NS6detail17trampoline_kernelINS0_14default_configENS1_20scan_config_selectorIN3c108BFloat16EEEZZNS1_9scan_implILNS1_25lookback_scan_determinismE0ELb0ELb0ES3_PKS6_PS6_S6_ZZZN2at6native31launch_logcumsumexp_cuda_kernelERKNSD_10TensorBaseESH_lENKUlvE_clEvENKUlvE4_clEvEUlS6_S6_E_S6_EEDaPvRmT3_T4_T5_mT6_P12ihipStream_tbENKUlT_T0_E_clISt17integral_constantIbLb0EESX_IbLb1EEEEDaST_SU_EUlST_E_NS1_11comp_targetILNS1_3genE8ELNS1_11target_archE1030ELNS1_3gpuE2ELNS1_3repE0EEENS1_30default_config_static_selectorELNS0_4arch9wavefront6targetE1EEEvT1_,@function
_ZN7rocprim17ROCPRIM_400000_NS6detail17trampoline_kernelINS0_14default_configENS1_20scan_config_selectorIN3c108BFloat16EEEZZNS1_9scan_implILNS1_25lookback_scan_determinismE0ELb0ELb0ES3_PKS6_PS6_S6_ZZZN2at6native31launch_logcumsumexp_cuda_kernelERKNSD_10TensorBaseESH_lENKUlvE_clEvENKUlvE4_clEvEUlS6_S6_E_S6_EEDaPvRmT3_T4_T5_mT6_P12ihipStream_tbENKUlT_T0_E_clISt17integral_constantIbLb0EESX_IbLb1EEEEDaST_SU_EUlST_E_NS1_11comp_targetILNS1_3genE8ELNS1_11target_archE1030ELNS1_3gpuE2ELNS1_3repE0EEENS1_30default_config_static_selectorELNS0_4arch9wavefront6targetE1EEEvT1_: ; @_ZN7rocprim17ROCPRIM_400000_NS6detail17trampoline_kernelINS0_14default_configENS1_20scan_config_selectorIN3c108BFloat16EEEZZNS1_9scan_implILNS1_25lookback_scan_determinismE0ELb0ELb0ES3_PKS6_PS6_S6_ZZZN2at6native31launch_logcumsumexp_cuda_kernelERKNSD_10TensorBaseESH_lENKUlvE_clEvENKUlvE4_clEvEUlS6_S6_E_S6_EEDaPvRmT3_T4_T5_mT6_P12ihipStream_tbENKUlT_T0_E_clISt17integral_constantIbLb0EESX_IbLb1EEEEDaST_SU_EUlST_E_NS1_11comp_targetILNS1_3genE8ELNS1_11target_archE1030ELNS1_3gpuE2ELNS1_3repE0EEENS1_30default_config_static_selectorELNS0_4arch9wavefront6targetE1EEEvT1_
; %bb.0:
	.section	.rodata,"a",@progbits
	.p2align	6, 0x0
	.amdhsa_kernel _ZN7rocprim17ROCPRIM_400000_NS6detail17trampoline_kernelINS0_14default_configENS1_20scan_config_selectorIN3c108BFloat16EEEZZNS1_9scan_implILNS1_25lookback_scan_determinismE0ELb0ELb0ES3_PKS6_PS6_S6_ZZZN2at6native31launch_logcumsumexp_cuda_kernelERKNSD_10TensorBaseESH_lENKUlvE_clEvENKUlvE4_clEvEUlS6_S6_E_S6_EEDaPvRmT3_T4_T5_mT6_P12ihipStream_tbENKUlT_T0_E_clISt17integral_constantIbLb0EESX_IbLb1EEEEDaST_SU_EUlST_E_NS1_11comp_targetILNS1_3genE8ELNS1_11target_archE1030ELNS1_3gpuE2ELNS1_3repE0EEENS1_30default_config_static_selectorELNS0_4arch9wavefront6targetE1EEEvT1_
		.amdhsa_group_segment_fixed_size 0
		.amdhsa_private_segment_fixed_size 0
		.amdhsa_kernarg_size 96
		.amdhsa_user_sgpr_count 6
		.amdhsa_user_sgpr_private_segment_buffer 1
		.amdhsa_user_sgpr_dispatch_ptr 0
		.amdhsa_user_sgpr_queue_ptr 0
		.amdhsa_user_sgpr_kernarg_segment_ptr 1
		.amdhsa_user_sgpr_dispatch_id 0
		.amdhsa_user_sgpr_flat_scratch_init 0
		.amdhsa_user_sgpr_kernarg_preload_length 0
		.amdhsa_user_sgpr_kernarg_preload_offset 0
		.amdhsa_user_sgpr_private_segment_size 0
		.amdhsa_uses_dynamic_stack 0
		.amdhsa_system_sgpr_private_segment_wavefront_offset 0
		.amdhsa_system_sgpr_workgroup_id_x 1
		.amdhsa_system_sgpr_workgroup_id_y 0
		.amdhsa_system_sgpr_workgroup_id_z 0
		.amdhsa_system_sgpr_workgroup_info 0
		.amdhsa_system_vgpr_workitem_id 0
		.amdhsa_next_free_vgpr 1
		.amdhsa_next_free_sgpr 0
		.amdhsa_accum_offset 4
		.amdhsa_reserve_vcc 0
		.amdhsa_reserve_flat_scratch 0
		.amdhsa_float_round_mode_32 0
		.amdhsa_float_round_mode_16_64 0
		.amdhsa_float_denorm_mode_32 3
		.amdhsa_float_denorm_mode_16_64 3
		.amdhsa_dx10_clamp 1
		.amdhsa_ieee_mode 1
		.amdhsa_fp16_overflow 0
		.amdhsa_tg_split 0
		.amdhsa_exception_fp_ieee_invalid_op 0
		.amdhsa_exception_fp_denorm_src 0
		.amdhsa_exception_fp_ieee_div_zero 0
		.amdhsa_exception_fp_ieee_overflow 0
		.amdhsa_exception_fp_ieee_underflow 0
		.amdhsa_exception_fp_ieee_inexact 0
		.amdhsa_exception_int_div_zero 0
	.end_amdhsa_kernel
	.section	.text._ZN7rocprim17ROCPRIM_400000_NS6detail17trampoline_kernelINS0_14default_configENS1_20scan_config_selectorIN3c108BFloat16EEEZZNS1_9scan_implILNS1_25lookback_scan_determinismE0ELb0ELb0ES3_PKS6_PS6_S6_ZZZN2at6native31launch_logcumsumexp_cuda_kernelERKNSD_10TensorBaseESH_lENKUlvE_clEvENKUlvE4_clEvEUlS6_S6_E_S6_EEDaPvRmT3_T4_T5_mT6_P12ihipStream_tbENKUlT_T0_E_clISt17integral_constantIbLb0EESX_IbLb1EEEEDaST_SU_EUlST_E_NS1_11comp_targetILNS1_3genE8ELNS1_11target_archE1030ELNS1_3gpuE2ELNS1_3repE0EEENS1_30default_config_static_selectorELNS0_4arch9wavefront6targetE1EEEvT1_,"axG",@progbits,_ZN7rocprim17ROCPRIM_400000_NS6detail17trampoline_kernelINS0_14default_configENS1_20scan_config_selectorIN3c108BFloat16EEEZZNS1_9scan_implILNS1_25lookback_scan_determinismE0ELb0ELb0ES3_PKS6_PS6_S6_ZZZN2at6native31launch_logcumsumexp_cuda_kernelERKNSD_10TensorBaseESH_lENKUlvE_clEvENKUlvE4_clEvEUlS6_S6_E_S6_EEDaPvRmT3_T4_T5_mT6_P12ihipStream_tbENKUlT_T0_E_clISt17integral_constantIbLb0EESX_IbLb1EEEEDaST_SU_EUlST_E_NS1_11comp_targetILNS1_3genE8ELNS1_11target_archE1030ELNS1_3gpuE2ELNS1_3repE0EEENS1_30default_config_static_selectorELNS0_4arch9wavefront6targetE1EEEvT1_,comdat
.Lfunc_end519:
	.size	_ZN7rocprim17ROCPRIM_400000_NS6detail17trampoline_kernelINS0_14default_configENS1_20scan_config_selectorIN3c108BFloat16EEEZZNS1_9scan_implILNS1_25lookback_scan_determinismE0ELb0ELb0ES3_PKS6_PS6_S6_ZZZN2at6native31launch_logcumsumexp_cuda_kernelERKNSD_10TensorBaseESH_lENKUlvE_clEvENKUlvE4_clEvEUlS6_S6_E_S6_EEDaPvRmT3_T4_T5_mT6_P12ihipStream_tbENKUlT_T0_E_clISt17integral_constantIbLb0EESX_IbLb1EEEEDaST_SU_EUlST_E_NS1_11comp_targetILNS1_3genE8ELNS1_11target_archE1030ELNS1_3gpuE2ELNS1_3repE0EEENS1_30default_config_static_selectorELNS0_4arch9wavefront6targetE1EEEvT1_, .Lfunc_end519-_ZN7rocprim17ROCPRIM_400000_NS6detail17trampoline_kernelINS0_14default_configENS1_20scan_config_selectorIN3c108BFloat16EEEZZNS1_9scan_implILNS1_25lookback_scan_determinismE0ELb0ELb0ES3_PKS6_PS6_S6_ZZZN2at6native31launch_logcumsumexp_cuda_kernelERKNSD_10TensorBaseESH_lENKUlvE_clEvENKUlvE4_clEvEUlS6_S6_E_S6_EEDaPvRmT3_T4_T5_mT6_P12ihipStream_tbENKUlT_T0_E_clISt17integral_constantIbLb0EESX_IbLb1EEEEDaST_SU_EUlST_E_NS1_11comp_targetILNS1_3genE8ELNS1_11target_archE1030ELNS1_3gpuE2ELNS1_3repE0EEENS1_30default_config_static_selectorELNS0_4arch9wavefront6targetE1EEEvT1_
                                        ; -- End function
	.section	.AMDGPU.csdata,"",@progbits
; Kernel info:
; codeLenInByte = 0
; NumSgprs: 4
; NumVgprs: 0
; NumAgprs: 0
; TotalNumVgprs: 0
; ScratchSize: 0
; MemoryBound: 0
; FloatMode: 240
; IeeeMode: 1
; LDSByteSize: 0 bytes/workgroup (compile time only)
; SGPRBlocks: 0
; VGPRBlocks: 0
; NumSGPRsForWavesPerEU: 4
; NumVGPRsForWavesPerEU: 1
; AccumOffset: 4
; Occupancy: 8
; WaveLimiterHint : 0
; COMPUTE_PGM_RSRC2:SCRATCH_EN: 0
; COMPUTE_PGM_RSRC2:USER_SGPR: 6
; COMPUTE_PGM_RSRC2:TRAP_HANDLER: 0
; COMPUTE_PGM_RSRC2:TGID_X_EN: 1
; COMPUTE_PGM_RSRC2:TGID_Y_EN: 0
; COMPUTE_PGM_RSRC2:TGID_Z_EN: 0
; COMPUTE_PGM_RSRC2:TIDIG_COMP_CNT: 0
; COMPUTE_PGM_RSRC3_GFX90A:ACCUM_OFFSET: 0
; COMPUTE_PGM_RSRC3_GFX90A:TG_SPLIT: 0
	.section	.text._ZN7rocprim17ROCPRIM_400000_NS6detail17trampoline_kernelINS0_14default_configENS1_20scan_config_selectorIN3c108BFloat16EEEZZNS1_9scan_implILNS1_25lookback_scan_determinismE0ELb0ELb0ES3_PKS6_PS6_S6_ZZZN2at6native31launch_logcumsumexp_cuda_kernelERKNSD_10TensorBaseESH_lENKUlvE_clEvENKUlvE4_clEvEUlS6_S6_E_S6_EEDaPvRmT3_T4_T5_mT6_P12ihipStream_tbENKUlT_T0_E_clISt17integral_constantIbLb0EESX_IbLb1EEEEDaST_SU_EUlST_E0_NS1_11comp_targetILNS1_3genE0ELNS1_11target_archE4294967295ELNS1_3gpuE0ELNS1_3repE0EEENS1_30default_config_static_selectorELNS0_4arch9wavefront6targetE1EEEvT1_,"axG",@progbits,_ZN7rocprim17ROCPRIM_400000_NS6detail17trampoline_kernelINS0_14default_configENS1_20scan_config_selectorIN3c108BFloat16EEEZZNS1_9scan_implILNS1_25lookback_scan_determinismE0ELb0ELb0ES3_PKS6_PS6_S6_ZZZN2at6native31launch_logcumsumexp_cuda_kernelERKNSD_10TensorBaseESH_lENKUlvE_clEvENKUlvE4_clEvEUlS6_S6_E_S6_EEDaPvRmT3_T4_T5_mT6_P12ihipStream_tbENKUlT_T0_E_clISt17integral_constantIbLb0EESX_IbLb1EEEEDaST_SU_EUlST_E0_NS1_11comp_targetILNS1_3genE0ELNS1_11target_archE4294967295ELNS1_3gpuE0ELNS1_3repE0EEENS1_30default_config_static_selectorELNS0_4arch9wavefront6targetE1EEEvT1_,comdat
	.globl	_ZN7rocprim17ROCPRIM_400000_NS6detail17trampoline_kernelINS0_14default_configENS1_20scan_config_selectorIN3c108BFloat16EEEZZNS1_9scan_implILNS1_25lookback_scan_determinismE0ELb0ELb0ES3_PKS6_PS6_S6_ZZZN2at6native31launch_logcumsumexp_cuda_kernelERKNSD_10TensorBaseESH_lENKUlvE_clEvENKUlvE4_clEvEUlS6_S6_E_S6_EEDaPvRmT3_T4_T5_mT6_P12ihipStream_tbENKUlT_T0_E_clISt17integral_constantIbLb0EESX_IbLb1EEEEDaST_SU_EUlST_E0_NS1_11comp_targetILNS1_3genE0ELNS1_11target_archE4294967295ELNS1_3gpuE0ELNS1_3repE0EEENS1_30default_config_static_selectorELNS0_4arch9wavefront6targetE1EEEvT1_ ; -- Begin function _ZN7rocprim17ROCPRIM_400000_NS6detail17trampoline_kernelINS0_14default_configENS1_20scan_config_selectorIN3c108BFloat16EEEZZNS1_9scan_implILNS1_25lookback_scan_determinismE0ELb0ELb0ES3_PKS6_PS6_S6_ZZZN2at6native31launch_logcumsumexp_cuda_kernelERKNSD_10TensorBaseESH_lENKUlvE_clEvENKUlvE4_clEvEUlS6_S6_E_S6_EEDaPvRmT3_T4_T5_mT6_P12ihipStream_tbENKUlT_T0_E_clISt17integral_constantIbLb0EESX_IbLb1EEEEDaST_SU_EUlST_E0_NS1_11comp_targetILNS1_3genE0ELNS1_11target_archE4294967295ELNS1_3gpuE0ELNS1_3repE0EEENS1_30default_config_static_selectorELNS0_4arch9wavefront6targetE1EEEvT1_
	.p2align	8
	.type	_ZN7rocprim17ROCPRIM_400000_NS6detail17trampoline_kernelINS0_14default_configENS1_20scan_config_selectorIN3c108BFloat16EEEZZNS1_9scan_implILNS1_25lookback_scan_determinismE0ELb0ELb0ES3_PKS6_PS6_S6_ZZZN2at6native31launch_logcumsumexp_cuda_kernelERKNSD_10TensorBaseESH_lENKUlvE_clEvENKUlvE4_clEvEUlS6_S6_E_S6_EEDaPvRmT3_T4_T5_mT6_P12ihipStream_tbENKUlT_T0_E_clISt17integral_constantIbLb0EESX_IbLb1EEEEDaST_SU_EUlST_E0_NS1_11comp_targetILNS1_3genE0ELNS1_11target_archE4294967295ELNS1_3gpuE0ELNS1_3repE0EEENS1_30default_config_static_selectorELNS0_4arch9wavefront6targetE1EEEvT1_,@function
_ZN7rocprim17ROCPRIM_400000_NS6detail17trampoline_kernelINS0_14default_configENS1_20scan_config_selectorIN3c108BFloat16EEEZZNS1_9scan_implILNS1_25lookback_scan_determinismE0ELb0ELb0ES3_PKS6_PS6_S6_ZZZN2at6native31launch_logcumsumexp_cuda_kernelERKNSD_10TensorBaseESH_lENKUlvE_clEvENKUlvE4_clEvEUlS6_S6_E_S6_EEDaPvRmT3_T4_T5_mT6_P12ihipStream_tbENKUlT_T0_E_clISt17integral_constantIbLb0EESX_IbLb1EEEEDaST_SU_EUlST_E0_NS1_11comp_targetILNS1_3genE0ELNS1_11target_archE4294967295ELNS1_3gpuE0ELNS1_3repE0EEENS1_30default_config_static_selectorELNS0_4arch9wavefront6targetE1EEEvT1_: ; @_ZN7rocprim17ROCPRIM_400000_NS6detail17trampoline_kernelINS0_14default_configENS1_20scan_config_selectorIN3c108BFloat16EEEZZNS1_9scan_implILNS1_25lookback_scan_determinismE0ELb0ELb0ES3_PKS6_PS6_S6_ZZZN2at6native31launch_logcumsumexp_cuda_kernelERKNSD_10TensorBaseESH_lENKUlvE_clEvENKUlvE4_clEvEUlS6_S6_E_S6_EEDaPvRmT3_T4_T5_mT6_P12ihipStream_tbENKUlT_T0_E_clISt17integral_constantIbLb0EESX_IbLb1EEEEDaST_SU_EUlST_E0_NS1_11comp_targetILNS1_3genE0ELNS1_11target_archE4294967295ELNS1_3gpuE0ELNS1_3repE0EEENS1_30default_config_static_selectorELNS0_4arch9wavefront6targetE1EEEvT1_
; %bb.0:
	.section	.rodata,"a",@progbits
	.p2align	6, 0x0
	.amdhsa_kernel _ZN7rocprim17ROCPRIM_400000_NS6detail17trampoline_kernelINS0_14default_configENS1_20scan_config_selectorIN3c108BFloat16EEEZZNS1_9scan_implILNS1_25lookback_scan_determinismE0ELb0ELb0ES3_PKS6_PS6_S6_ZZZN2at6native31launch_logcumsumexp_cuda_kernelERKNSD_10TensorBaseESH_lENKUlvE_clEvENKUlvE4_clEvEUlS6_S6_E_S6_EEDaPvRmT3_T4_T5_mT6_P12ihipStream_tbENKUlT_T0_E_clISt17integral_constantIbLb0EESX_IbLb1EEEEDaST_SU_EUlST_E0_NS1_11comp_targetILNS1_3genE0ELNS1_11target_archE4294967295ELNS1_3gpuE0ELNS1_3repE0EEENS1_30default_config_static_selectorELNS0_4arch9wavefront6targetE1EEEvT1_
		.amdhsa_group_segment_fixed_size 0
		.amdhsa_private_segment_fixed_size 0
		.amdhsa_kernarg_size 32
		.amdhsa_user_sgpr_count 6
		.amdhsa_user_sgpr_private_segment_buffer 1
		.amdhsa_user_sgpr_dispatch_ptr 0
		.amdhsa_user_sgpr_queue_ptr 0
		.amdhsa_user_sgpr_kernarg_segment_ptr 1
		.amdhsa_user_sgpr_dispatch_id 0
		.amdhsa_user_sgpr_flat_scratch_init 0
		.amdhsa_user_sgpr_kernarg_preload_length 0
		.amdhsa_user_sgpr_kernarg_preload_offset 0
		.amdhsa_user_sgpr_private_segment_size 0
		.amdhsa_uses_dynamic_stack 0
		.amdhsa_system_sgpr_private_segment_wavefront_offset 0
		.amdhsa_system_sgpr_workgroup_id_x 1
		.amdhsa_system_sgpr_workgroup_id_y 0
		.amdhsa_system_sgpr_workgroup_id_z 0
		.amdhsa_system_sgpr_workgroup_info 0
		.amdhsa_system_vgpr_workitem_id 0
		.amdhsa_next_free_vgpr 1
		.amdhsa_next_free_sgpr 0
		.amdhsa_accum_offset 4
		.amdhsa_reserve_vcc 0
		.amdhsa_reserve_flat_scratch 0
		.amdhsa_float_round_mode_32 0
		.amdhsa_float_round_mode_16_64 0
		.amdhsa_float_denorm_mode_32 3
		.amdhsa_float_denorm_mode_16_64 3
		.amdhsa_dx10_clamp 1
		.amdhsa_ieee_mode 1
		.amdhsa_fp16_overflow 0
		.amdhsa_tg_split 0
		.amdhsa_exception_fp_ieee_invalid_op 0
		.amdhsa_exception_fp_denorm_src 0
		.amdhsa_exception_fp_ieee_div_zero 0
		.amdhsa_exception_fp_ieee_overflow 0
		.amdhsa_exception_fp_ieee_underflow 0
		.amdhsa_exception_fp_ieee_inexact 0
		.amdhsa_exception_int_div_zero 0
	.end_amdhsa_kernel
	.section	.text._ZN7rocprim17ROCPRIM_400000_NS6detail17trampoline_kernelINS0_14default_configENS1_20scan_config_selectorIN3c108BFloat16EEEZZNS1_9scan_implILNS1_25lookback_scan_determinismE0ELb0ELb0ES3_PKS6_PS6_S6_ZZZN2at6native31launch_logcumsumexp_cuda_kernelERKNSD_10TensorBaseESH_lENKUlvE_clEvENKUlvE4_clEvEUlS6_S6_E_S6_EEDaPvRmT3_T4_T5_mT6_P12ihipStream_tbENKUlT_T0_E_clISt17integral_constantIbLb0EESX_IbLb1EEEEDaST_SU_EUlST_E0_NS1_11comp_targetILNS1_3genE0ELNS1_11target_archE4294967295ELNS1_3gpuE0ELNS1_3repE0EEENS1_30default_config_static_selectorELNS0_4arch9wavefront6targetE1EEEvT1_,"axG",@progbits,_ZN7rocprim17ROCPRIM_400000_NS6detail17trampoline_kernelINS0_14default_configENS1_20scan_config_selectorIN3c108BFloat16EEEZZNS1_9scan_implILNS1_25lookback_scan_determinismE0ELb0ELb0ES3_PKS6_PS6_S6_ZZZN2at6native31launch_logcumsumexp_cuda_kernelERKNSD_10TensorBaseESH_lENKUlvE_clEvENKUlvE4_clEvEUlS6_S6_E_S6_EEDaPvRmT3_T4_T5_mT6_P12ihipStream_tbENKUlT_T0_E_clISt17integral_constantIbLb0EESX_IbLb1EEEEDaST_SU_EUlST_E0_NS1_11comp_targetILNS1_3genE0ELNS1_11target_archE4294967295ELNS1_3gpuE0ELNS1_3repE0EEENS1_30default_config_static_selectorELNS0_4arch9wavefront6targetE1EEEvT1_,comdat
.Lfunc_end520:
	.size	_ZN7rocprim17ROCPRIM_400000_NS6detail17trampoline_kernelINS0_14default_configENS1_20scan_config_selectorIN3c108BFloat16EEEZZNS1_9scan_implILNS1_25lookback_scan_determinismE0ELb0ELb0ES3_PKS6_PS6_S6_ZZZN2at6native31launch_logcumsumexp_cuda_kernelERKNSD_10TensorBaseESH_lENKUlvE_clEvENKUlvE4_clEvEUlS6_S6_E_S6_EEDaPvRmT3_T4_T5_mT6_P12ihipStream_tbENKUlT_T0_E_clISt17integral_constantIbLb0EESX_IbLb1EEEEDaST_SU_EUlST_E0_NS1_11comp_targetILNS1_3genE0ELNS1_11target_archE4294967295ELNS1_3gpuE0ELNS1_3repE0EEENS1_30default_config_static_selectorELNS0_4arch9wavefront6targetE1EEEvT1_, .Lfunc_end520-_ZN7rocprim17ROCPRIM_400000_NS6detail17trampoline_kernelINS0_14default_configENS1_20scan_config_selectorIN3c108BFloat16EEEZZNS1_9scan_implILNS1_25lookback_scan_determinismE0ELb0ELb0ES3_PKS6_PS6_S6_ZZZN2at6native31launch_logcumsumexp_cuda_kernelERKNSD_10TensorBaseESH_lENKUlvE_clEvENKUlvE4_clEvEUlS6_S6_E_S6_EEDaPvRmT3_T4_T5_mT6_P12ihipStream_tbENKUlT_T0_E_clISt17integral_constantIbLb0EESX_IbLb1EEEEDaST_SU_EUlST_E0_NS1_11comp_targetILNS1_3genE0ELNS1_11target_archE4294967295ELNS1_3gpuE0ELNS1_3repE0EEENS1_30default_config_static_selectorELNS0_4arch9wavefront6targetE1EEEvT1_
                                        ; -- End function
	.section	.AMDGPU.csdata,"",@progbits
; Kernel info:
; codeLenInByte = 0
; NumSgprs: 4
; NumVgprs: 0
; NumAgprs: 0
; TotalNumVgprs: 0
; ScratchSize: 0
; MemoryBound: 0
; FloatMode: 240
; IeeeMode: 1
; LDSByteSize: 0 bytes/workgroup (compile time only)
; SGPRBlocks: 0
; VGPRBlocks: 0
; NumSGPRsForWavesPerEU: 4
; NumVGPRsForWavesPerEU: 1
; AccumOffset: 4
; Occupancy: 8
; WaveLimiterHint : 0
; COMPUTE_PGM_RSRC2:SCRATCH_EN: 0
; COMPUTE_PGM_RSRC2:USER_SGPR: 6
; COMPUTE_PGM_RSRC2:TRAP_HANDLER: 0
; COMPUTE_PGM_RSRC2:TGID_X_EN: 1
; COMPUTE_PGM_RSRC2:TGID_Y_EN: 0
; COMPUTE_PGM_RSRC2:TGID_Z_EN: 0
; COMPUTE_PGM_RSRC2:TIDIG_COMP_CNT: 0
; COMPUTE_PGM_RSRC3_GFX90A:ACCUM_OFFSET: 0
; COMPUTE_PGM_RSRC3_GFX90A:TG_SPLIT: 0
	.section	.text._ZN7rocprim17ROCPRIM_400000_NS6detail17trampoline_kernelINS0_14default_configENS1_20scan_config_selectorIN3c108BFloat16EEEZZNS1_9scan_implILNS1_25lookback_scan_determinismE0ELb0ELb0ES3_PKS6_PS6_S6_ZZZN2at6native31launch_logcumsumexp_cuda_kernelERKNSD_10TensorBaseESH_lENKUlvE_clEvENKUlvE4_clEvEUlS6_S6_E_S6_EEDaPvRmT3_T4_T5_mT6_P12ihipStream_tbENKUlT_T0_E_clISt17integral_constantIbLb0EESX_IbLb1EEEEDaST_SU_EUlST_E0_NS1_11comp_targetILNS1_3genE5ELNS1_11target_archE942ELNS1_3gpuE9ELNS1_3repE0EEENS1_30default_config_static_selectorELNS0_4arch9wavefront6targetE1EEEvT1_,"axG",@progbits,_ZN7rocprim17ROCPRIM_400000_NS6detail17trampoline_kernelINS0_14default_configENS1_20scan_config_selectorIN3c108BFloat16EEEZZNS1_9scan_implILNS1_25lookback_scan_determinismE0ELb0ELb0ES3_PKS6_PS6_S6_ZZZN2at6native31launch_logcumsumexp_cuda_kernelERKNSD_10TensorBaseESH_lENKUlvE_clEvENKUlvE4_clEvEUlS6_S6_E_S6_EEDaPvRmT3_T4_T5_mT6_P12ihipStream_tbENKUlT_T0_E_clISt17integral_constantIbLb0EESX_IbLb1EEEEDaST_SU_EUlST_E0_NS1_11comp_targetILNS1_3genE5ELNS1_11target_archE942ELNS1_3gpuE9ELNS1_3repE0EEENS1_30default_config_static_selectorELNS0_4arch9wavefront6targetE1EEEvT1_,comdat
	.globl	_ZN7rocprim17ROCPRIM_400000_NS6detail17trampoline_kernelINS0_14default_configENS1_20scan_config_selectorIN3c108BFloat16EEEZZNS1_9scan_implILNS1_25lookback_scan_determinismE0ELb0ELb0ES3_PKS6_PS6_S6_ZZZN2at6native31launch_logcumsumexp_cuda_kernelERKNSD_10TensorBaseESH_lENKUlvE_clEvENKUlvE4_clEvEUlS6_S6_E_S6_EEDaPvRmT3_T4_T5_mT6_P12ihipStream_tbENKUlT_T0_E_clISt17integral_constantIbLb0EESX_IbLb1EEEEDaST_SU_EUlST_E0_NS1_11comp_targetILNS1_3genE5ELNS1_11target_archE942ELNS1_3gpuE9ELNS1_3repE0EEENS1_30default_config_static_selectorELNS0_4arch9wavefront6targetE1EEEvT1_ ; -- Begin function _ZN7rocprim17ROCPRIM_400000_NS6detail17trampoline_kernelINS0_14default_configENS1_20scan_config_selectorIN3c108BFloat16EEEZZNS1_9scan_implILNS1_25lookback_scan_determinismE0ELb0ELb0ES3_PKS6_PS6_S6_ZZZN2at6native31launch_logcumsumexp_cuda_kernelERKNSD_10TensorBaseESH_lENKUlvE_clEvENKUlvE4_clEvEUlS6_S6_E_S6_EEDaPvRmT3_T4_T5_mT6_P12ihipStream_tbENKUlT_T0_E_clISt17integral_constantIbLb0EESX_IbLb1EEEEDaST_SU_EUlST_E0_NS1_11comp_targetILNS1_3genE5ELNS1_11target_archE942ELNS1_3gpuE9ELNS1_3repE0EEENS1_30default_config_static_selectorELNS0_4arch9wavefront6targetE1EEEvT1_
	.p2align	8
	.type	_ZN7rocprim17ROCPRIM_400000_NS6detail17trampoline_kernelINS0_14default_configENS1_20scan_config_selectorIN3c108BFloat16EEEZZNS1_9scan_implILNS1_25lookback_scan_determinismE0ELb0ELb0ES3_PKS6_PS6_S6_ZZZN2at6native31launch_logcumsumexp_cuda_kernelERKNSD_10TensorBaseESH_lENKUlvE_clEvENKUlvE4_clEvEUlS6_S6_E_S6_EEDaPvRmT3_T4_T5_mT6_P12ihipStream_tbENKUlT_T0_E_clISt17integral_constantIbLb0EESX_IbLb1EEEEDaST_SU_EUlST_E0_NS1_11comp_targetILNS1_3genE5ELNS1_11target_archE942ELNS1_3gpuE9ELNS1_3repE0EEENS1_30default_config_static_selectorELNS0_4arch9wavefront6targetE1EEEvT1_,@function
_ZN7rocprim17ROCPRIM_400000_NS6detail17trampoline_kernelINS0_14default_configENS1_20scan_config_selectorIN3c108BFloat16EEEZZNS1_9scan_implILNS1_25lookback_scan_determinismE0ELb0ELb0ES3_PKS6_PS6_S6_ZZZN2at6native31launch_logcumsumexp_cuda_kernelERKNSD_10TensorBaseESH_lENKUlvE_clEvENKUlvE4_clEvEUlS6_S6_E_S6_EEDaPvRmT3_T4_T5_mT6_P12ihipStream_tbENKUlT_T0_E_clISt17integral_constantIbLb0EESX_IbLb1EEEEDaST_SU_EUlST_E0_NS1_11comp_targetILNS1_3genE5ELNS1_11target_archE942ELNS1_3gpuE9ELNS1_3repE0EEENS1_30default_config_static_selectorELNS0_4arch9wavefront6targetE1EEEvT1_: ; @_ZN7rocprim17ROCPRIM_400000_NS6detail17trampoline_kernelINS0_14default_configENS1_20scan_config_selectorIN3c108BFloat16EEEZZNS1_9scan_implILNS1_25lookback_scan_determinismE0ELb0ELb0ES3_PKS6_PS6_S6_ZZZN2at6native31launch_logcumsumexp_cuda_kernelERKNSD_10TensorBaseESH_lENKUlvE_clEvENKUlvE4_clEvEUlS6_S6_E_S6_EEDaPvRmT3_T4_T5_mT6_P12ihipStream_tbENKUlT_T0_E_clISt17integral_constantIbLb0EESX_IbLb1EEEEDaST_SU_EUlST_E0_NS1_11comp_targetILNS1_3genE5ELNS1_11target_archE942ELNS1_3gpuE9ELNS1_3repE0EEENS1_30default_config_static_selectorELNS0_4arch9wavefront6targetE1EEEvT1_
; %bb.0:
	.section	.rodata,"a",@progbits
	.p2align	6, 0x0
	.amdhsa_kernel _ZN7rocprim17ROCPRIM_400000_NS6detail17trampoline_kernelINS0_14default_configENS1_20scan_config_selectorIN3c108BFloat16EEEZZNS1_9scan_implILNS1_25lookback_scan_determinismE0ELb0ELb0ES3_PKS6_PS6_S6_ZZZN2at6native31launch_logcumsumexp_cuda_kernelERKNSD_10TensorBaseESH_lENKUlvE_clEvENKUlvE4_clEvEUlS6_S6_E_S6_EEDaPvRmT3_T4_T5_mT6_P12ihipStream_tbENKUlT_T0_E_clISt17integral_constantIbLb0EESX_IbLb1EEEEDaST_SU_EUlST_E0_NS1_11comp_targetILNS1_3genE5ELNS1_11target_archE942ELNS1_3gpuE9ELNS1_3repE0EEENS1_30default_config_static_selectorELNS0_4arch9wavefront6targetE1EEEvT1_
		.amdhsa_group_segment_fixed_size 0
		.amdhsa_private_segment_fixed_size 0
		.amdhsa_kernarg_size 32
		.amdhsa_user_sgpr_count 6
		.amdhsa_user_sgpr_private_segment_buffer 1
		.amdhsa_user_sgpr_dispatch_ptr 0
		.amdhsa_user_sgpr_queue_ptr 0
		.amdhsa_user_sgpr_kernarg_segment_ptr 1
		.amdhsa_user_sgpr_dispatch_id 0
		.amdhsa_user_sgpr_flat_scratch_init 0
		.amdhsa_user_sgpr_kernarg_preload_length 0
		.amdhsa_user_sgpr_kernarg_preload_offset 0
		.amdhsa_user_sgpr_private_segment_size 0
		.amdhsa_uses_dynamic_stack 0
		.amdhsa_system_sgpr_private_segment_wavefront_offset 0
		.amdhsa_system_sgpr_workgroup_id_x 1
		.amdhsa_system_sgpr_workgroup_id_y 0
		.amdhsa_system_sgpr_workgroup_id_z 0
		.amdhsa_system_sgpr_workgroup_info 0
		.amdhsa_system_vgpr_workitem_id 0
		.amdhsa_next_free_vgpr 1
		.amdhsa_next_free_sgpr 0
		.amdhsa_accum_offset 4
		.amdhsa_reserve_vcc 0
		.amdhsa_reserve_flat_scratch 0
		.amdhsa_float_round_mode_32 0
		.amdhsa_float_round_mode_16_64 0
		.amdhsa_float_denorm_mode_32 3
		.amdhsa_float_denorm_mode_16_64 3
		.amdhsa_dx10_clamp 1
		.amdhsa_ieee_mode 1
		.amdhsa_fp16_overflow 0
		.amdhsa_tg_split 0
		.amdhsa_exception_fp_ieee_invalid_op 0
		.amdhsa_exception_fp_denorm_src 0
		.amdhsa_exception_fp_ieee_div_zero 0
		.amdhsa_exception_fp_ieee_overflow 0
		.amdhsa_exception_fp_ieee_underflow 0
		.amdhsa_exception_fp_ieee_inexact 0
		.amdhsa_exception_int_div_zero 0
	.end_amdhsa_kernel
	.section	.text._ZN7rocprim17ROCPRIM_400000_NS6detail17trampoline_kernelINS0_14default_configENS1_20scan_config_selectorIN3c108BFloat16EEEZZNS1_9scan_implILNS1_25lookback_scan_determinismE0ELb0ELb0ES3_PKS6_PS6_S6_ZZZN2at6native31launch_logcumsumexp_cuda_kernelERKNSD_10TensorBaseESH_lENKUlvE_clEvENKUlvE4_clEvEUlS6_S6_E_S6_EEDaPvRmT3_T4_T5_mT6_P12ihipStream_tbENKUlT_T0_E_clISt17integral_constantIbLb0EESX_IbLb1EEEEDaST_SU_EUlST_E0_NS1_11comp_targetILNS1_3genE5ELNS1_11target_archE942ELNS1_3gpuE9ELNS1_3repE0EEENS1_30default_config_static_selectorELNS0_4arch9wavefront6targetE1EEEvT1_,"axG",@progbits,_ZN7rocprim17ROCPRIM_400000_NS6detail17trampoline_kernelINS0_14default_configENS1_20scan_config_selectorIN3c108BFloat16EEEZZNS1_9scan_implILNS1_25lookback_scan_determinismE0ELb0ELb0ES3_PKS6_PS6_S6_ZZZN2at6native31launch_logcumsumexp_cuda_kernelERKNSD_10TensorBaseESH_lENKUlvE_clEvENKUlvE4_clEvEUlS6_S6_E_S6_EEDaPvRmT3_T4_T5_mT6_P12ihipStream_tbENKUlT_T0_E_clISt17integral_constantIbLb0EESX_IbLb1EEEEDaST_SU_EUlST_E0_NS1_11comp_targetILNS1_3genE5ELNS1_11target_archE942ELNS1_3gpuE9ELNS1_3repE0EEENS1_30default_config_static_selectorELNS0_4arch9wavefront6targetE1EEEvT1_,comdat
.Lfunc_end521:
	.size	_ZN7rocprim17ROCPRIM_400000_NS6detail17trampoline_kernelINS0_14default_configENS1_20scan_config_selectorIN3c108BFloat16EEEZZNS1_9scan_implILNS1_25lookback_scan_determinismE0ELb0ELb0ES3_PKS6_PS6_S6_ZZZN2at6native31launch_logcumsumexp_cuda_kernelERKNSD_10TensorBaseESH_lENKUlvE_clEvENKUlvE4_clEvEUlS6_S6_E_S6_EEDaPvRmT3_T4_T5_mT6_P12ihipStream_tbENKUlT_T0_E_clISt17integral_constantIbLb0EESX_IbLb1EEEEDaST_SU_EUlST_E0_NS1_11comp_targetILNS1_3genE5ELNS1_11target_archE942ELNS1_3gpuE9ELNS1_3repE0EEENS1_30default_config_static_selectorELNS0_4arch9wavefront6targetE1EEEvT1_, .Lfunc_end521-_ZN7rocprim17ROCPRIM_400000_NS6detail17trampoline_kernelINS0_14default_configENS1_20scan_config_selectorIN3c108BFloat16EEEZZNS1_9scan_implILNS1_25lookback_scan_determinismE0ELb0ELb0ES3_PKS6_PS6_S6_ZZZN2at6native31launch_logcumsumexp_cuda_kernelERKNSD_10TensorBaseESH_lENKUlvE_clEvENKUlvE4_clEvEUlS6_S6_E_S6_EEDaPvRmT3_T4_T5_mT6_P12ihipStream_tbENKUlT_T0_E_clISt17integral_constantIbLb0EESX_IbLb1EEEEDaST_SU_EUlST_E0_NS1_11comp_targetILNS1_3genE5ELNS1_11target_archE942ELNS1_3gpuE9ELNS1_3repE0EEENS1_30default_config_static_selectorELNS0_4arch9wavefront6targetE1EEEvT1_
                                        ; -- End function
	.section	.AMDGPU.csdata,"",@progbits
; Kernel info:
; codeLenInByte = 0
; NumSgprs: 4
; NumVgprs: 0
; NumAgprs: 0
; TotalNumVgprs: 0
; ScratchSize: 0
; MemoryBound: 0
; FloatMode: 240
; IeeeMode: 1
; LDSByteSize: 0 bytes/workgroup (compile time only)
; SGPRBlocks: 0
; VGPRBlocks: 0
; NumSGPRsForWavesPerEU: 4
; NumVGPRsForWavesPerEU: 1
; AccumOffset: 4
; Occupancy: 8
; WaveLimiterHint : 0
; COMPUTE_PGM_RSRC2:SCRATCH_EN: 0
; COMPUTE_PGM_RSRC2:USER_SGPR: 6
; COMPUTE_PGM_RSRC2:TRAP_HANDLER: 0
; COMPUTE_PGM_RSRC2:TGID_X_EN: 1
; COMPUTE_PGM_RSRC2:TGID_Y_EN: 0
; COMPUTE_PGM_RSRC2:TGID_Z_EN: 0
; COMPUTE_PGM_RSRC2:TIDIG_COMP_CNT: 0
; COMPUTE_PGM_RSRC3_GFX90A:ACCUM_OFFSET: 0
; COMPUTE_PGM_RSRC3_GFX90A:TG_SPLIT: 0
	.section	.text._ZN7rocprim17ROCPRIM_400000_NS6detail17trampoline_kernelINS0_14default_configENS1_20scan_config_selectorIN3c108BFloat16EEEZZNS1_9scan_implILNS1_25lookback_scan_determinismE0ELb0ELb0ES3_PKS6_PS6_S6_ZZZN2at6native31launch_logcumsumexp_cuda_kernelERKNSD_10TensorBaseESH_lENKUlvE_clEvENKUlvE4_clEvEUlS6_S6_E_S6_EEDaPvRmT3_T4_T5_mT6_P12ihipStream_tbENKUlT_T0_E_clISt17integral_constantIbLb0EESX_IbLb1EEEEDaST_SU_EUlST_E0_NS1_11comp_targetILNS1_3genE4ELNS1_11target_archE910ELNS1_3gpuE8ELNS1_3repE0EEENS1_30default_config_static_selectorELNS0_4arch9wavefront6targetE1EEEvT1_,"axG",@progbits,_ZN7rocprim17ROCPRIM_400000_NS6detail17trampoline_kernelINS0_14default_configENS1_20scan_config_selectorIN3c108BFloat16EEEZZNS1_9scan_implILNS1_25lookback_scan_determinismE0ELb0ELb0ES3_PKS6_PS6_S6_ZZZN2at6native31launch_logcumsumexp_cuda_kernelERKNSD_10TensorBaseESH_lENKUlvE_clEvENKUlvE4_clEvEUlS6_S6_E_S6_EEDaPvRmT3_T4_T5_mT6_P12ihipStream_tbENKUlT_T0_E_clISt17integral_constantIbLb0EESX_IbLb1EEEEDaST_SU_EUlST_E0_NS1_11comp_targetILNS1_3genE4ELNS1_11target_archE910ELNS1_3gpuE8ELNS1_3repE0EEENS1_30default_config_static_selectorELNS0_4arch9wavefront6targetE1EEEvT1_,comdat
	.globl	_ZN7rocprim17ROCPRIM_400000_NS6detail17trampoline_kernelINS0_14default_configENS1_20scan_config_selectorIN3c108BFloat16EEEZZNS1_9scan_implILNS1_25lookback_scan_determinismE0ELb0ELb0ES3_PKS6_PS6_S6_ZZZN2at6native31launch_logcumsumexp_cuda_kernelERKNSD_10TensorBaseESH_lENKUlvE_clEvENKUlvE4_clEvEUlS6_S6_E_S6_EEDaPvRmT3_T4_T5_mT6_P12ihipStream_tbENKUlT_T0_E_clISt17integral_constantIbLb0EESX_IbLb1EEEEDaST_SU_EUlST_E0_NS1_11comp_targetILNS1_3genE4ELNS1_11target_archE910ELNS1_3gpuE8ELNS1_3repE0EEENS1_30default_config_static_selectorELNS0_4arch9wavefront6targetE1EEEvT1_ ; -- Begin function _ZN7rocprim17ROCPRIM_400000_NS6detail17trampoline_kernelINS0_14default_configENS1_20scan_config_selectorIN3c108BFloat16EEEZZNS1_9scan_implILNS1_25lookback_scan_determinismE0ELb0ELb0ES3_PKS6_PS6_S6_ZZZN2at6native31launch_logcumsumexp_cuda_kernelERKNSD_10TensorBaseESH_lENKUlvE_clEvENKUlvE4_clEvEUlS6_S6_E_S6_EEDaPvRmT3_T4_T5_mT6_P12ihipStream_tbENKUlT_T0_E_clISt17integral_constantIbLb0EESX_IbLb1EEEEDaST_SU_EUlST_E0_NS1_11comp_targetILNS1_3genE4ELNS1_11target_archE910ELNS1_3gpuE8ELNS1_3repE0EEENS1_30default_config_static_selectorELNS0_4arch9wavefront6targetE1EEEvT1_
	.p2align	8
	.type	_ZN7rocprim17ROCPRIM_400000_NS6detail17trampoline_kernelINS0_14default_configENS1_20scan_config_selectorIN3c108BFloat16EEEZZNS1_9scan_implILNS1_25lookback_scan_determinismE0ELb0ELb0ES3_PKS6_PS6_S6_ZZZN2at6native31launch_logcumsumexp_cuda_kernelERKNSD_10TensorBaseESH_lENKUlvE_clEvENKUlvE4_clEvEUlS6_S6_E_S6_EEDaPvRmT3_T4_T5_mT6_P12ihipStream_tbENKUlT_T0_E_clISt17integral_constantIbLb0EESX_IbLb1EEEEDaST_SU_EUlST_E0_NS1_11comp_targetILNS1_3genE4ELNS1_11target_archE910ELNS1_3gpuE8ELNS1_3repE0EEENS1_30default_config_static_selectorELNS0_4arch9wavefront6targetE1EEEvT1_,@function
_ZN7rocprim17ROCPRIM_400000_NS6detail17trampoline_kernelINS0_14default_configENS1_20scan_config_selectorIN3c108BFloat16EEEZZNS1_9scan_implILNS1_25lookback_scan_determinismE0ELb0ELb0ES3_PKS6_PS6_S6_ZZZN2at6native31launch_logcumsumexp_cuda_kernelERKNSD_10TensorBaseESH_lENKUlvE_clEvENKUlvE4_clEvEUlS6_S6_E_S6_EEDaPvRmT3_T4_T5_mT6_P12ihipStream_tbENKUlT_T0_E_clISt17integral_constantIbLb0EESX_IbLb1EEEEDaST_SU_EUlST_E0_NS1_11comp_targetILNS1_3genE4ELNS1_11target_archE910ELNS1_3gpuE8ELNS1_3repE0EEENS1_30default_config_static_selectorELNS0_4arch9wavefront6targetE1EEEvT1_: ; @_ZN7rocprim17ROCPRIM_400000_NS6detail17trampoline_kernelINS0_14default_configENS1_20scan_config_selectorIN3c108BFloat16EEEZZNS1_9scan_implILNS1_25lookback_scan_determinismE0ELb0ELb0ES3_PKS6_PS6_S6_ZZZN2at6native31launch_logcumsumexp_cuda_kernelERKNSD_10TensorBaseESH_lENKUlvE_clEvENKUlvE4_clEvEUlS6_S6_E_S6_EEDaPvRmT3_T4_T5_mT6_P12ihipStream_tbENKUlT_T0_E_clISt17integral_constantIbLb0EESX_IbLb1EEEEDaST_SU_EUlST_E0_NS1_11comp_targetILNS1_3genE4ELNS1_11target_archE910ELNS1_3gpuE8ELNS1_3repE0EEENS1_30default_config_static_selectorELNS0_4arch9wavefront6targetE1EEEvT1_
; %bb.0:
	s_load_dwordx4 s[52:55], s[4:5], 0x0
	v_mov_b32_e32 v1, 0
	v_lshlrev_b32_e32 v14, 1, v0
	s_waitcnt lgkmcnt(0)
	global_load_ushort v2, v1, s[52:53]
	v_cmp_gt_u32_e64 s[2:3], s54, v0
	s_waitcnt vmcnt(0)
	v_mov_b32_e32 v3, v2
	s_mov_b64 s[0:1], exec
                                        ; implicit-def: $vgpr75 : SGPR spill to VGPR lane
	v_writelane_b32 v75, s2, 0
	v_writelane_b32 v75, s3, 1
	s_and_b64 s[2:3], s[0:1], s[2:3]
	s_mov_b64 exec, s[2:3]
	s_cbranch_execz .LBB522_2
; %bb.1:
	global_load_ushort v3, v14, s[52:53]
.LBB522_2:
	s_or_b64 exec, exec, s[0:1]
	v_or_b32_e32 v1, 64, v0
	v_mov_b32_e32 v4, v2
	v_cmp_gt_u32_e64 s[2:3], s54, v1
	s_mov_b64 s[0:1], exec
	v_writelane_b32 v75, s2, 2
	v_writelane_b32 v75, s3, 3
	s_and_b64 s[2:3], s[0:1], s[2:3]
	s_mov_b64 exec, s[2:3]
	s_cbranch_execz .LBB522_4
; %bb.3:
	global_load_ushort v4, v14, s[52:53] offset:128
.LBB522_4:
	s_or_b64 exec, exec, s[0:1]
	v_or_b32_e32 v1, 0x80, v0
	v_cmp_gt_u32_e64 s[2:3], s54, v1
	v_mov_b32_e32 v5, v2
	v_writelane_b32 v75, s2, 4
	v_writelane_b32 v75, s3, 5
	s_and_saveexec_b64 s[0:1], s[2:3]
	s_cbranch_execz .LBB522_6
; %bb.5:
	global_load_ushort v5, v14, s[52:53] offset:256
.LBB522_6:
	s_or_b64 exec, exec, s[0:1]
	v_or_b32_e32 v1, 0xc0, v0
	v_cmp_gt_u32_e64 s[46:47], s54, v1
	v_mov_b32_e32 v6, v2
	s_and_saveexec_b64 s[0:1], s[46:47]
	s_cbranch_execz .LBB522_8
; %bb.7:
	global_load_ushort v6, v14, s[52:53] offset:384
.LBB522_8:
	s_or_b64 exec, exec, s[0:1]
	v_or_b32_e32 v1, 0x100, v0
	v_cmp_gt_u32_e64 s[6:7], s54, v1
	v_mov_b32_e32 v7, v2
	s_and_saveexec_b64 s[0:1], s[6:7]
	s_cbranch_execz .LBB522_10
; %bb.9:
	global_load_ushort v7, v14, s[52:53] offset:512
.LBB522_10:
	s_or_b64 exec, exec, s[0:1]
	v_or_b32_e32 v1, 0x140, v0
	v_cmp_gt_u32_e64 s[8:9], s54, v1
	v_mov_b32_e32 v8, v2
	s_and_saveexec_b64 s[0:1], s[8:9]
	s_cbranch_execz .LBB522_12
; %bb.11:
	global_load_ushort v8, v14, s[52:53] offset:640
.LBB522_12:
	s_or_b64 exec, exec, s[0:1]
	v_or_b32_e32 v1, 0x180, v0
	v_cmp_gt_u32_e64 s[10:11], s54, v1
	v_mov_b32_e32 v9, v2
	s_and_saveexec_b64 s[0:1], s[10:11]
	s_cbranch_execz .LBB522_14
; %bb.13:
	global_load_ushort v9, v14, s[52:53] offset:768
.LBB522_14:
	s_or_b64 exec, exec, s[0:1]
	v_or_b32_e32 v1, 0x1c0, v0
	v_cmp_gt_u32_e64 s[12:13], s54, v1
	v_mov_b32_e32 v10, v2
	s_and_saveexec_b64 s[0:1], s[12:13]
	s_cbranch_execz .LBB522_16
; %bb.15:
	global_load_ushort v10, v14, s[52:53] offset:896
.LBB522_16:
	s_or_b64 exec, exec, s[0:1]
	v_or_b32_e32 v1, 0x200, v0
	v_cmp_gt_u32_e64 s[14:15], s54, v1
	v_mov_b32_e32 v11, v2
	s_and_saveexec_b64 s[0:1], s[14:15]
	s_cbranch_execz .LBB522_18
; %bb.17:
	global_load_ushort v11, v14, s[52:53] offset:1024
.LBB522_18:
	s_or_b64 exec, exec, s[0:1]
	v_or_b32_e32 v1, 0x240, v0
	v_cmp_gt_u32_e64 s[16:17], s54, v1
	v_mov_b32_e32 v12, v2
	s_and_saveexec_b64 s[0:1], s[16:17]
	s_cbranch_execz .LBB522_20
; %bb.19:
	global_load_ushort v12, v14, s[52:53] offset:1152
.LBB522_20:
	s_or_b64 exec, exec, s[0:1]
	v_or_b32_e32 v1, 0x280, v0
	v_cmp_gt_u32_e64 s[18:19], s54, v1
	v_mov_b32_e32 v13, v2
	s_and_saveexec_b64 s[0:1], s[18:19]
	s_cbranch_execz .LBB522_22
; %bb.21:
	global_load_ushort v13, v14, s[52:53] offset:1280
.LBB522_22:
	s_or_b64 exec, exec, s[0:1]
	v_or_b32_e32 v1, 0x2c0, v0
	v_cmp_gt_u32_e64 s[20:21], s54, v1
	v_mov_b32_e32 v15, v2
	s_and_saveexec_b64 s[0:1], s[20:21]
	s_cbranch_execz .LBB522_24
; %bb.23:
	global_load_ushort v15, v14, s[52:53] offset:1408
.LBB522_24:
	s_or_b64 exec, exec, s[0:1]
	v_or_b32_e32 v1, 0x300, v0
	v_cmp_gt_u32_e64 s[22:23], s54, v1
	v_mov_b32_e32 v16, v2
	s_and_saveexec_b64 s[0:1], s[22:23]
	s_cbranch_execz .LBB522_26
; %bb.25:
	global_load_ushort v16, v14, s[52:53] offset:1536
.LBB522_26:
	s_or_b64 exec, exec, s[0:1]
	v_or_b32_e32 v1, 0x340, v0
	v_cmp_gt_u32_e64 s[24:25], s54, v1
	v_mov_b32_e32 v17, v2
	s_and_saveexec_b64 s[0:1], s[24:25]
	s_cbranch_execz .LBB522_28
; %bb.27:
	global_load_ushort v17, v14, s[52:53] offset:1664
.LBB522_28:
	s_or_b64 exec, exec, s[0:1]
	v_or_b32_e32 v1, 0x380, v0
	v_cmp_gt_u32_e64 s[26:27], s54, v1
	v_mov_b32_e32 v18, v2
	s_and_saveexec_b64 s[0:1], s[26:27]
	s_cbranch_execz .LBB522_30
; %bb.29:
	global_load_ushort v18, v14, s[52:53] offset:1792
.LBB522_30:
	s_or_b64 exec, exec, s[0:1]
	v_or_b32_e32 v1, 0x3c0, v0
	v_cmp_gt_u32_e64 s[28:29], s54, v1
	v_mov_b32_e32 v19, v2
	s_and_saveexec_b64 s[0:1], s[28:29]
	s_cbranch_execz .LBB522_32
; %bb.31:
	global_load_ushort v19, v14, s[52:53] offset:1920
.LBB522_32:
	s_or_b64 exec, exec, s[0:1]
	v_or_b32_e32 v1, 0x400, v0
	v_cmp_gt_u32_e64 s[30:31], s54, v1
	v_mov_b32_e32 v20, v2
	s_and_saveexec_b64 s[0:1], s[30:31]
	s_cbranch_execz .LBB522_34
; %bb.33:
	global_load_ushort v20, v14, s[52:53] offset:2048
.LBB522_34:
	s_or_b64 exec, exec, s[0:1]
	v_or_b32_e32 v1, 0x440, v0
	v_cmp_gt_u32_e64 s[34:35], s54, v1
	v_mov_b32_e32 v21, v2
	s_and_saveexec_b64 s[0:1], s[34:35]
	s_cbranch_execz .LBB522_36
; %bb.35:
	global_load_ushort v21, v14, s[52:53] offset:2176
.LBB522_36:
	s_or_b64 exec, exec, s[0:1]
	v_or_b32_e32 v1, 0x480, v0
	v_cmp_gt_u32_e64 s[36:37], s54, v1
	v_mov_b32_e32 v22, v2
	s_and_saveexec_b64 s[0:1], s[36:37]
	s_cbranch_execz .LBB522_38
; %bb.37:
	global_load_ushort v22, v14, s[52:53] offset:2304
.LBB522_38:
	s_or_b64 exec, exec, s[0:1]
	v_or_b32_e32 v1, 0x4c0, v0
	v_cmp_gt_u32_e64 s[38:39], s54, v1
	v_mov_b32_e32 v23, v2
	s_and_saveexec_b64 s[0:1], s[38:39]
	s_cbranch_execz .LBB522_40
; %bb.39:
	global_load_ushort v23, v14, s[52:53] offset:2432
.LBB522_40:
	s_or_b64 exec, exec, s[0:1]
	v_or_b32_e32 v1, 0x500, v0
	v_cmp_gt_u32_e64 s[40:41], s54, v1
	v_mov_b32_e32 v24, v2
	s_and_saveexec_b64 s[0:1], s[40:41]
	s_cbranch_execz .LBB522_42
; %bb.41:
	global_load_ushort v24, v14, s[52:53] offset:2560
.LBB522_42:
	s_or_b64 exec, exec, s[0:1]
	v_or_b32_e32 v1, 0x540, v0
	v_cmp_gt_u32_e64 s[42:43], s54, v1
	v_mov_b32_e32 v25, v2
	s_and_saveexec_b64 s[0:1], s[42:43]
	s_cbranch_execz .LBB522_44
; %bb.43:
	global_load_ushort v25, v14, s[52:53] offset:2688
.LBB522_44:
	s_or_b64 exec, exec, s[0:1]
	v_or_b32_e32 v1, 0x580, v0
	v_cmp_gt_u32_e64 s[44:45], s54, v1
	v_mov_b32_e32 v26, v2
	s_and_saveexec_b64 s[0:1], s[44:45]
	s_cbranch_execz .LBB522_46
; %bb.45:
	global_load_ushort v26, v14, s[52:53] offset:2816
.LBB522_46:
	s_or_b64 exec, exec, s[0:1]
	v_or_b32_e32 v1, 0x5c0, v0
	v_cmp_gt_u32_e64 s[0:1], s54, v1
	v_writelane_b32 v75, s0, 6
	v_cmp_le_u32_e64 s[48:49], s54, v1
	v_writelane_b32 v75, s1, 7
	s_and_saveexec_b64 s[0:1], s[48:49]
	s_xor_b64 s[0:1], exec, s[0:1]
; %bb.47:
	v_mov_b32_e32 v1, 0
; %bb.48:
	s_andn2_saveexec_b64 s[0:1], s[0:1]
	s_cbranch_execz .LBB522_50
; %bb.49:
	global_load_ushort v2, v14, s[52:53] offset:2944
	v_mov_b32_e32 v1, 0
.LBB522_50:
	s_or_b64 exec, exec, s[0:1]
	s_waitcnt vmcnt(0)
	ds_write_b16 v14, v3
	ds_write_b16 v14, v4 offset:128
	ds_write_b16 v14, v5 offset:256
	;; [unrolled: 1-line block ×23, first 2 shown]
	v_mad_u32_u24 v6, v0, 46, v14
	s_waitcnt lgkmcnt(0)
	; wave barrier
	s_waitcnt lgkmcnt(0)
	ds_read_b128 v[2:5], v6
	ds_read_b128 v[10:13], v6 offset:16
	ds_read_b128 v[6:9], v6 offset:32
	s_movk_i32 s33, 0x1f8
	s_waitcnt lgkmcnt(0)
	v_lshlrev_b32_e32 v50, 16, v2
	v_and_b32_e32 v15, 0xffff0000, v2
	v_max_f32_e32 v25, v15, v15
	v_max_f32_e32 v53, v50, v50
	v_min_f32_e32 v51, v53, v25
	v_cmp_u_f32_e64 s[94:95], v50, v50
	v_cndmask_b32_e64 v16, v51, v50, s[94:95]
	v_cmp_u_f32_e64 s[48:49], v15, v15
	v_max_f32_e32 v52, v53, v25
	v_cndmask_b32_e64 v17, v16, v15, s[48:49]
	v_cndmask_b32_e64 v16, v52, v50, s[94:95]
	;; [unrolled: 1-line block ×3, first 2 shown]
	v_cmp_neq_f32_e64 s[50:51], v17, v16
	v_cmp_class_f32_e64 s[0:1], v17, s33
	s_or_b64 s[50:51], s[50:51], s[0:1]
	v_mov_b32_e32 v18, v50
	; wave barrier
	s_and_saveexec_b64 s[0:1], s[50:51]
	s_cbranch_execz .LBB522_52
; %bb.51:
	v_sub_f32_e32 v17, v17, v16
	s_mov_b32 s2, 0x3fb8aa3b
	v_mul_f32_e32 v18, 0x3fb8aa3b, v17
	v_fma_f32 v19, v17, s2, -v18
	v_rndne_f32_e32 v20, v18
	v_fmac_f32_e32 v19, 0x32a5705f, v17
	v_sub_f32_e32 v18, v18, v20
	v_add_f32_e32 v18, v18, v19
	v_exp_f32_e32 v18, v18
	v_cvt_i32_f32_e32 v19, v20
	s_mov_b32 s2, 0xc2ce8ed0
	v_cmp_ngt_f32_e64 s[50:51], s2, v17
	s_mov_b32 s2, 0x42b17218
	v_ldexp_f32 v18, v18, v19
	v_cndmask_b32_e64 v18, 0, v18, s[50:51]
	v_mov_b32_e32 v19, 0x7f800000
	v_cmp_nlt_f32_e64 s[50:51], s2, v17
	v_cndmask_b32_e64 v36, v19, v18, s[50:51]
	v_add_f32_e32 v17, 1.0, v36
	v_add_f32_e32 v18, -1.0, v17
	v_sub_f32_e32 v19, v18, v17
	v_add_f32_e32 v19, 1.0, v19
	v_sub_f32_e32 v18, v36, v18
	v_add_f32_e32 v20, v18, v19
	v_frexp_mant_f32_e32 v21, v17
	s_mov_b32 s2, 0x3f2aaaab
	v_cvt_f64_f32_e32 v[18:19], v17
	v_frexp_exp_i32_f64_e32 v18, v[18:19]
	v_cmp_gt_f32_e64 s[50:51], s2, v21
	v_subbrev_co_u32_e64 v24, s[50:51], 0, v18, s[50:51]
	v_sub_u32_e32 v18, 0, v24
	v_ldexp_f32 v17, v17, v18
	v_ldexp_f32 v18, v20, v18
	v_add_f32_e32 v20, -1.0, v17
	v_add_f32_e32 v19, 1.0, v20
	v_sub_f32_e32 v19, v17, v19
	v_add_f32_e32 v21, v18, v19
	v_add_f32_e32 v19, 1.0, v17
	v_add_f32_e32 v22, -1.0, v19
	v_sub_f32_e32 v17, v17, v22
	v_add_f32_e32 v17, v18, v17
	v_add_f32_e32 v28, v19, v17
	v_rcp_f32_e32 v29, v28
	v_sub_f32_e32 v18, v19, v28
	v_add_f32_e32 v19, v20, v21
	v_add_f32_e32 v17, v17, v18
	v_mul_f32_e32 v31, v19, v29
	v_sub_f32_e32 v18, v20, v19
	v_mul_f32_e32 v20, v28, v31
	v_fma_f32 v22, v31, v28, -v20
	v_fmac_f32_e32 v22, v31, v17
	v_add_f32_e32 v30, v21, v18
	v_add_f32_e32 v18, v20, v22
	v_sub_f32_e32 v21, v19, v18
	v_pk_add_f32 v[26:27], v[18:19], v[20:21] neg_lo:[0,1] neg_hi:[0,1]
	v_mov_b32_e32 v23, v18
	v_pk_add_f32 v[18:19], v[26:27], v[22:23] neg_lo:[0,1] neg_hi:[0,1]
	v_add_f32_e32 v19, v30, v19
	v_add_f32_e32 v18, v18, v19
	;; [unrolled: 1-line block ×3, first 2 shown]
	v_mul_f32_e32 v30, v29, v19
	v_mul_f32_e32 v20, v28, v30
	v_fma_f32 v22, v30, v28, -v20
	v_fmac_f32_e32 v22, v30, v17
	v_sub_f32_e32 v17, v21, v19
	v_add_f32_e32 v17, v18, v17
	v_add_f32_e32 v18, v20, v22
	v_sub_f32_e32 v21, v19, v18
	v_pk_add_f32 v[26:27], v[18:19], v[20:21] neg_lo:[0,1] neg_hi:[0,1]
	v_mov_b32_e32 v23, v18
	v_pk_add_f32 v[18:19], v[26:27], v[22:23] neg_lo:[0,1] neg_hi:[0,1]
	v_add_f32_e32 v17, v17, v19
	v_add_f32_e32 v17, v18, v17
	;; [unrolled: 1-line block ×4, first 2 shown]
	v_sub_f32_e32 v19, v18, v31
	v_mul_f32_e32 v17, v29, v17
	v_sub_f32_e32 v19, v30, v19
	v_add_f32_e32 v17, v19, v17
	v_add_f32_e32 v21, v18, v17
	v_mul_f32_e32 v22, v21, v21
	v_mov_b32_e32 v20, 0x3ecc95a3
	v_fmac_f32_e32 v20, 0x3e9b6dac, v22
	v_mov_b32_e32 v19, 0x3f2aaada
	v_fmac_f32_e32 v19, v22, v20
	v_cvt_f32_i32_e32 v20, v24
	v_sub_f32_e32 v18, v21, v18
	v_sub_f32_e32 v17, v17, v18
	v_ldexp_f32 v23, v21, 1
	v_mul_f32_e32 v21, v21, v22
	v_mov_b32_e32 v18, 0x3f317218
	s_mov_b32 s2, 0x3f317218
	v_pk_mul_f32 v[18:19], v[20:21], v[18:19]
	v_fma_f32 v22, v20, s2, -v18
	v_fmac_f32_e32 v22, 0xb102e308, v20
	v_pk_add_f32 v[20:21], v[18:19], v[22:23]
	v_sub_f32_e32 v23, v21, v23
	v_ldexp_f32 v17, v17, 1
	v_sub_f32_e32 v23, v19, v23
	v_add_f32_e32 v27, v17, v23
	v_mov_b32_e32 v26, v18
	v_pk_add_f32 v[18:19], v[20:21], v[18:19] neg_lo:[0,1] neg_hi:[0,1]
	v_pk_add_f32 v[28:29], v[20:21], v[26:27]
	v_mov_b32_e32 v19, v29
	v_mov_b32_e32 v23, v20
	v_pk_add_f32 v[30:31], v[22:23], v[18:19] neg_lo:[0,1] neg_hi:[0,1]
	v_pk_add_f32 v[18:19], v[22:23], v[18:19]
	v_mov_b32_e32 v22, v19
	v_pk_add_f32 v[32:33], v[22:23], v[20:21] neg_lo:[0,1] neg_hi:[0,1]
	v_mov_b32_e32 v17, v32
	v_pk_add_f32 v[34:35], v[28:29], v[16:17] neg_lo:[0,1] neg_hi:[0,1]
	v_mov_b32_e32 v18, v29
	v_mov_b32_e32 v28, v21
	;; [unrolled: 1-line block ×4, first 2 shown]
	v_pk_add_f32 v[18:19], v[18:19], v[28:29] neg_lo:[0,1] neg_hi:[0,1]
	v_mov_b32_e32 v26, v27
	v_mov_b32_e32 v27, v20
	v_pk_add_f32 v[18:19], v[26:27], v[18:19] neg_lo:[0,1] neg_hi:[0,1]
	v_mov_b32_e32 v34, v30
	v_pk_add_f32 v[20:21], v[34:35], v[18:19]
	v_mov_b32_e32 v24, v21
	v_pk_add_f32 v[26:27], v[20:21], v[24:25]
	v_pk_add_f32 v[22:23], v[22:23], v[26:27]
	v_mov_b32_e32 v21, v22
	v_pk_add_f32 v[28:29], v[20:21], v[30:31] neg_lo:[0,1] neg_hi:[0,1]
	v_mov_b32_e32 v19, v26
	v_sub_f32_e32 v17, v20, v28
	v_pk_add_f32 v[18:19], v[18:19], v[28:29] neg_lo:[0,1] neg_hi:[0,1]
	v_sub_f32_e32 v17, v30, v17
	s_mov_b32 s3, 0x7f800000
	v_add_f32_e32 v17, v18, v17
	s_mov_b32 s2, 0x33800000
	v_add_f32_e32 v17, v17, v19
	v_cmp_eq_f32_e64 s[50:51], s3, v36
	v_cmp_lt_f32_e64 s[52:53], |v36|, s2
	v_add_f32_e32 v17, v22, v17
	s_or_b64 s[50:51], s[50:51], s[52:53]
	v_cndmask_b32_e64 v17, v17, v36, s[50:51]
	v_add_f32_e32 v18, v16, v17
.LBB522_52:
	s_or_b64 exec, exec, s[0:1]
	v_bfe_u32 v16, v18, 16, 1
	s_movk_i32 s54, 0x7fff
	v_add3_u32 v16, v18, v16, s54
	v_and_b32_e32 v16, 0xffff0000, v16
	v_mov_b32_e32 v17, 0x7fc00000
	v_cmp_o_f32_e64 s[50:51], v18, v18
	v_cndmask_b32_e64 v20, v17, v16, s[50:51]
	v_lshlrev_b32_e32 v16, 16, v3
	v_max_f32_e32 v19, v20, v20
	v_max_f32_e32 v18, v16, v16
	v_min_f32_e32 v21, v19, v18
	v_cmp_u_f32_e64 s[52:53], v20, v20
	v_max_f32_e32 v19, v19, v18
	v_cndmask_b32_e64 v21, v21, v20, s[52:53]
	v_cmp_u_f32_e64 s[50:51], v16, v16
	v_cndmask_b32_e64 v19, v19, v20, s[52:53]
	v_cndmask_b32_e64 v21, v21, v16, s[50:51]
	v_cndmask_b32_e64 v19, v19, v16, s[50:51]
	v_cmp_neq_f32_e64 s[52:53], v21, v19
	v_cmp_class_f32_e64 s[0:1], v21, s33
	s_or_b64 s[52:53], s[52:53], s[0:1]
	s_and_saveexec_b64 s[0:1], s[52:53]
	s_cbranch_execz .LBB522_54
; %bb.53:
	v_sub_f32_e32 v20, v21, v19
	s_mov_b32 s2, 0x3fb8aa3b
	v_mul_f32_e32 v21, 0x3fb8aa3b, v20
	v_fma_f32 v22, v20, s2, -v21
	v_rndne_f32_e32 v23, v21
	v_fmac_f32_e32 v22, 0x32a5705f, v20
	v_sub_f32_e32 v21, v21, v23
	v_add_f32_e32 v21, v21, v22
	v_exp_f32_e32 v21, v21
	v_cvt_i32_f32_e32 v22, v23
	s_mov_b32 s2, 0xc2ce8ed0
	v_cmp_ngt_f32_e64 s[52:53], s2, v20
	s_mov_b32 s2, 0x42b17218
	v_ldexp_f32 v21, v21, v22
	v_cndmask_b32_e64 v21, 0, v21, s[52:53]
	v_mov_b32_e32 v22, 0x7f800000
	v_cmp_nlt_f32_e64 s[52:53], s2, v20
	v_cndmask_b32_e64 v36, v22, v21, s[52:53]
	v_add_f32_e32 v22, 1.0, v36
	v_add_f32_e32 v20, -1.0, v22
	v_sub_f32_e32 v21, v20, v22
	v_add_f32_e32 v21, 1.0, v21
	v_sub_f32_e32 v20, v36, v20
	v_add_f32_e32 v23, v20, v21
	v_frexp_mant_f32_e32 v24, v22
	s_mov_b32 s2, 0x3f2aaaab
	v_cvt_f64_f32_e32 v[20:21], v22
	v_frexp_exp_i32_f64_e32 v20, v[20:21]
	v_cmp_gt_f32_e64 s[52:53], s2, v24
	v_subbrev_co_u32_e64 v24, s[52:53], 0, v20, s[52:53]
	v_sub_u32_e32 v20, 0, v24
	v_ldexp_f32 v21, v22, v20
	v_add_f32_e32 v22, -1.0, v21
	v_add_f32_e32 v26, 1.0, v21
	v_ldexp_f32 v20, v23, v20
	v_add_f32_e32 v23, 1.0, v22
	v_add_f32_e32 v27, -1.0, v26
	v_sub_f32_e32 v23, v21, v23
	v_sub_f32_e32 v21, v21, v27
	v_add_f32_e32 v23, v20, v23
	v_add_f32_e32 v20, v20, v21
	;; [unrolled: 1-line block ×3, first 2 shown]
	v_rcp_f32_e32 v32, v30
	v_sub_f32_e32 v21, v26, v30
	v_add_f32_e32 v31, v20, v21
	v_add_f32_e32 v21, v22, v23
	v_mul_f32_e32 v34, v21, v32
	v_sub_f32_e32 v20, v22, v21
	v_mul_f32_e32 v22, v30, v34
	v_fma_f32 v26, v34, v30, -v22
	v_fmac_f32_e32 v26, v34, v31
	v_add_f32_e32 v33, v23, v20
	v_add_f32_e32 v20, v22, v26
	v_sub_f32_e32 v23, v21, v20
	v_pk_add_f32 v[28:29], v[20:21], v[22:23] neg_lo:[0,1] neg_hi:[0,1]
	v_mov_b32_e32 v27, v20
	v_pk_add_f32 v[20:21], v[28:29], v[26:27] neg_lo:[0,1] neg_hi:[0,1]
	v_add_f32_e32 v21, v33, v21
	v_add_f32_e32 v20, v20, v21
	;; [unrolled: 1-line block ×3, first 2 shown]
	v_mul_f32_e32 v33, v32, v21
	v_mul_f32_e32 v22, v30, v33
	v_fma_f32 v26, v33, v30, -v22
	v_fmac_f32_e32 v26, v33, v31
	v_sub_f32_e32 v23, v23, v21
	v_add_f32_e32 v30, v20, v23
	v_add_f32_e32 v20, v22, v26
	v_sub_f32_e32 v23, v21, v20
	v_pk_add_f32 v[28:29], v[20:21], v[22:23] neg_lo:[0,1] neg_hi:[0,1]
	v_mov_b32_e32 v27, v20
	v_pk_add_f32 v[20:21], v[28:29], v[26:27] neg_lo:[0,1] neg_hi:[0,1]
	v_add_f32_e32 v21, v30, v21
	v_add_f32_e32 v20, v20, v21
	;; [unrolled: 1-line block ×4, first 2 shown]
	v_sub_f32_e32 v21, v23, v34
	v_mul_f32_e32 v20, v32, v20
	v_sub_f32_e32 v21, v33, v21
	v_add_f32_e32 v20, v21, v20
	v_add_f32_e32 v26, v23, v20
	v_mul_f32_e32 v28, v26, v26
	v_mov_b32_e32 v22, 0x3ecc95a3
	v_fmac_f32_e32 v22, 0x3e9b6dac, v28
	v_mov_b32_e32 v21, 0x3f2aaada
	v_fmac_f32_e32 v21, v28, v22
	v_cvt_f32_i32_e32 v22, v24
	v_sub_f32_e32 v23, v26, v23
	v_sub_f32_e32 v20, v20, v23
	v_ldexp_f32 v24, v20, 1
	v_mul_f32_e32 v23, v26, v28
	v_mov_b32_e32 v20, 0x3f317218
	s_mov_b32 s2, 0x3f317218
	v_pk_mul_f32 v[20:21], v[22:23], v[20:21]
	v_ldexp_f32 v27, v26, 1
	v_fma_f32 v26, v22, s2, -v20
	v_fmac_f32_e32 v26, 0xb102e308, v22
	v_pk_add_f32 v[22:23], v[20:21], v[26:27]
	v_sub_f32_e32 v27, v23, v27
	v_sub_f32_e32 v27, v21, v27
	v_add_f32_e32 v29, v24, v27
	v_mov_b32_e32 v28, v20
	v_pk_add_f32 v[20:21], v[22:23], v[20:21] neg_lo:[0,1] neg_hi:[0,1]
	v_pk_add_f32 v[30:31], v[22:23], v[28:29]
	v_mov_b32_e32 v21, v31
	v_mov_b32_e32 v27, v22
	v_pk_add_f32 v[32:33], v[26:27], v[20:21] neg_lo:[0,1] neg_hi:[0,1]
	v_pk_add_f32 v[20:21], v[26:27], v[20:21]
	v_mov_b32_e32 v24, v21
	v_pk_add_f32 v[26:27], v[24:25], v[22:23] neg_lo:[0,1] neg_hi:[0,1]
	v_mov_b32_e32 v27, v26
	v_pk_add_f32 v[34:35], v[30:31], v[26:27] neg_lo:[0,1] neg_hi:[0,1]
	v_mov_b32_e32 v20, v31
	v_mov_b32_e32 v30, v23
	;; [unrolled: 1-line block ×4, first 2 shown]
	v_pk_add_f32 v[20:21], v[20:21], v[30:31] neg_lo:[0,1] neg_hi:[0,1]
	v_mov_b32_e32 v26, v29
	v_mov_b32_e32 v27, v22
	v_pk_add_f32 v[20:21], v[26:27], v[20:21] neg_lo:[0,1] neg_hi:[0,1]
	v_mov_b32_e32 v34, v32
	v_pk_add_f32 v[22:23], v[34:35], v[20:21]
	v_mov_b32_e32 v26, v23
	v_pk_add_f32 v[26:27], v[22:23], v[26:27]
	v_pk_add_f32 v[28:29], v[24:25], v[26:27]
	v_mov_b32_e32 v23, v28
	v_pk_add_f32 v[30:31], v[22:23], v[32:33] neg_lo:[0,1] neg_hi:[0,1]
	v_mov_b32_e32 v21, v26
	v_sub_f32_e32 v22, v22, v30
	v_pk_add_f32 v[20:21], v[20:21], v[30:31] neg_lo:[0,1] neg_hi:[0,1]
	v_sub_f32_e32 v22, v32, v22
	s_mov_b32 s3, 0x7f800000
	v_add_f32_e32 v20, v20, v22
	s_mov_b32 s2, 0x33800000
	v_add_f32_e32 v20, v20, v21
	v_cmp_eq_f32_e64 s[52:53], s3, v36
	v_cmp_lt_f32_e64 s[56:57], |v36|, s2
	v_add_f32_e32 v20, v28, v20
	s_or_b64 s[52:53], s[52:53], s[56:57]
	v_cndmask_b32_e64 v20, v20, v36, s[52:53]
	v_add_f32_e32 v20, v19, v20
.LBB522_54:
	s_or_b64 exec, exec, s[0:1]
	v_bfe_u32 v19, v20, 16, 1
	v_add3_u32 v19, v20, v19, s54
	v_and_b32_e32 v19, 0xffff0000, v19
	v_cmp_o_f32_e64 s[52:53], v20, v20
	v_cndmask_b32_e64 v21, v17, v19, s[52:53]
	v_and_b32_e32 v3, 0xffff0000, v3
	v_max_f32_e32 v17, v21, v21
	v_max_f32_e32 v19, v3, v3
	v_min_f32_e32 v20, v17, v19
	v_cmp_u_f32_e64 s[54:55], v21, v21
	v_max_f32_e32 v17, v17, v19
	v_cndmask_b32_e64 v20, v20, v21, s[54:55]
	v_cmp_u_f32_e64 s[52:53], v3, v3
	v_cndmask_b32_e64 v17, v17, v21, s[54:55]
	v_cndmask_b32_e64 v20, v20, v3, s[52:53]
	;; [unrolled: 1-line block ×3, first 2 shown]
	v_cmp_neq_f32_e64 s[54:55], v20, v17
	v_cmp_class_f32_e64 s[0:1], v20, s33
	s_or_b64 s[54:55], s[54:55], s[0:1]
	s_and_saveexec_b64 s[0:1], s[54:55]
	s_cbranch_execz .LBB522_56
; %bb.55:
	v_sub_f32_e32 v20, v20, v17
	s_mov_b32 s2, 0x3fb8aa3b
	v_mul_f32_e32 v21, 0x3fb8aa3b, v20
	v_fma_f32 v22, v20, s2, -v21
	v_rndne_f32_e32 v23, v21
	v_fmac_f32_e32 v22, 0x32a5705f, v20
	v_sub_f32_e32 v21, v21, v23
	v_add_f32_e32 v21, v21, v22
	v_exp_f32_e32 v21, v21
	v_cvt_i32_f32_e32 v22, v23
	s_mov_b32 s2, 0xc2ce8ed0
	v_cmp_ngt_f32_e64 s[54:55], s2, v20
	s_mov_b32 s2, 0x42b17218
	v_ldexp_f32 v21, v21, v22
	v_cndmask_b32_e64 v21, 0, v21, s[54:55]
	v_mov_b32_e32 v22, 0x7f800000
	v_cmp_nlt_f32_e64 s[54:55], s2, v20
	v_cndmask_b32_e64 v36, v22, v21, s[54:55]
	v_add_f32_e32 v22, 1.0, v36
	v_add_f32_e32 v20, -1.0, v22
	v_sub_f32_e32 v21, v20, v22
	v_add_f32_e32 v21, 1.0, v21
	v_sub_f32_e32 v20, v36, v20
	v_add_f32_e32 v23, v20, v21
	v_frexp_mant_f32_e32 v24, v22
	s_mov_b32 s2, 0x3f2aaaab
	v_cvt_f64_f32_e32 v[20:21], v22
	v_frexp_exp_i32_f64_e32 v20, v[20:21]
	v_cmp_gt_f32_e64 s[54:55], s2, v24
	v_subbrev_co_u32_e64 v24, s[54:55], 0, v20, s[54:55]
	v_sub_u32_e32 v20, 0, v24
	v_ldexp_f32 v21, v22, v20
	v_add_f32_e32 v22, -1.0, v21
	v_add_f32_e32 v26, 1.0, v21
	v_ldexp_f32 v20, v23, v20
	v_add_f32_e32 v23, 1.0, v22
	v_add_f32_e32 v27, -1.0, v26
	v_sub_f32_e32 v23, v21, v23
	v_sub_f32_e32 v21, v21, v27
	v_add_f32_e32 v23, v20, v23
	v_add_f32_e32 v20, v20, v21
	;; [unrolled: 1-line block ×3, first 2 shown]
	v_rcp_f32_e32 v32, v30
	v_sub_f32_e32 v21, v26, v30
	v_add_f32_e32 v31, v20, v21
	v_add_f32_e32 v21, v22, v23
	v_mul_f32_e32 v34, v21, v32
	v_sub_f32_e32 v20, v22, v21
	v_mul_f32_e32 v22, v30, v34
	v_fma_f32 v26, v34, v30, -v22
	v_fmac_f32_e32 v26, v34, v31
	v_add_f32_e32 v33, v23, v20
	v_add_f32_e32 v20, v22, v26
	v_sub_f32_e32 v23, v21, v20
	v_pk_add_f32 v[28:29], v[20:21], v[22:23] neg_lo:[0,1] neg_hi:[0,1]
	v_mov_b32_e32 v27, v20
	v_pk_add_f32 v[20:21], v[28:29], v[26:27] neg_lo:[0,1] neg_hi:[0,1]
	v_add_f32_e32 v21, v33, v21
	v_add_f32_e32 v20, v20, v21
	;; [unrolled: 1-line block ×3, first 2 shown]
	v_mul_f32_e32 v33, v32, v21
	v_mul_f32_e32 v22, v30, v33
	v_fma_f32 v26, v33, v30, -v22
	v_fmac_f32_e32 v26, v33, v31
	v_sub_f32_e32 v23, v23, v21
	v_add_f32_e32 v30, v20, v23
	v_add_f32_e32 v20, v22, v26
	v_sub_f32_e32 v23, v21, v20
	v_pk_add_f32 v[28:29], v[20:21], v[22:23] neg_lo:[0,1] neg_hi:[0,1]
	v_mov_b32_e32 v27, v20
	v_pk_add_f32 v[20:21], v[28:29], v[26:27] neg_lo:[0,1] neg_hi:[0,1]
	v_add_f32_e32 v21, v30, v21
	v_add_f32_e32 v20, v20, v21
	;; [unrolled: 1-line block ×4, first 2 shown]
	v_sub_f32_e32 v21, v23, v34
	v_mul_f32_e32 v20, v32, v20
	v_sub_f32_e32 v21, v33, v21
	v_add_f32_e32 v20, v21, v20
	v_add_f32_e32 v26, v23, v20
	v_mul_f32_e32 v28, v26, v26
	v_mov_b32_e32 v22, 0x3ecc95a3
	v_fmac_f32_e32 v22, 0x3e9b6dac, v28
	v_mov_b32_e32 v21, 0x3f2aaada
	v_fmac_f32_e32 v21, v28, v22
	v_cvt_f32_i32_e32 v22, v24
	v_sub_f32_e32 v23, v26, v23
	v_sub_f32_e32 v20, v20, v23
	v_ldexp_f32 v24, v20, 1
	v_mul_f32_e32 v23, v26, v28
	v_mov_b32_e32 v20, 0x3f317218
	s_mov_b32 s2, 0x3f317218
	v_pk_mul_f32 v[20:21], v[22:23], v[20:21]
	v_ldexp_f32 v27, v26, 1
	v_fma_f32 v26, v22, s2, -v20
	v_fmac_f32_e32 v26, 0xb102e308, v22
	v_pk_add_f32 v[22:23], v[20:21], v[26:27]
	v_sub_f32_e32 v27, v23, v27
	v_sub_f32_e32 v27, v21, v27
	v_add_f32_e32 v29, v24, v27
	v_mov_b32_e32 v28, v20
	v_pk_add_f32 v[20:21], v[22:23], v[20:21] neg_lo:[0,1] neg_hi:[0,1]
	v_pk_add_f32 v[30:31], v[22:23], v[28:29]
	v_mov_b32_e32 v21, v31
	v_mov_b32_e32 v27, v22
	v_pk_add_f32 v[32:33], v[26:27], v[20:21] neg_lo:[0,1] neg_hi:[0,1]
	v_pk_add_f32 v[20:21], v[26:27], v[20:21]
	v_mov_b32_e32 v24, v21
	v_pk_add_f32 v[26:27], v[24:25], v[22:23] neg_lo:[0,1] neg_hi:[0,1]
	v_mov_b32_e32 v27, v26
	v_pk_add_f32 v[34:35], v[30:31], v[26:27] neg_lo:[0,1] neg_hi:[0,1]
	v_mov_b32_e32 v20, v31
	v_mov_b32_e32 v30, v23
	;; [unrolled: 1-line block ×4, first 2 shown]
	v_pk_add_f32 v[20:21], v[20:21], v[30:31] neg_lo:[0,1] neg_hi:[0,1]
	v_mov_b32_e32 v26, v29
	v_mov_b32_e32 v27, v22
	v_pk_add_f32 v[20:21], v[26:27], v[20:21] neg_lo:[0,1] neg_hi:[0,1]
	v_mov_b32_e32 v34, v32
	v_pk_add_f32 v[22:23], v[34:35], v[20:21]
	v_mov_b32_e32 v26, v23
	v_pk_add_f32 v[26:27], v[22:23], v[26:27]
	v_pk_add_f32 v[28:29], v[24:25], v[26:27]
	v_mov_b32_e32 v23, v28
	v_pk_add_f32 v[30:31], v[22:23], v[32:33] neg_lo:[0,1] neg_hi:[0,1]
	v_mov_b32_e32 v21, v26
	v_sub_f32_e32 v22, v22, v30
	v_pk_add_f32 v[20:21], v[20:21], v[30:31] neg_lo:[0,1] neg_hi:[0,1]
	v_sub_f32_e32 v22, v32, v22
	s_mov_b32 s3, 0x7f800000
	v_add_f32_e32 v20, v20, v22
	s_mov_b32 s2, 0x33800000
	v_add_f32_e32 v20, v20, v21
	v_cmp_eq_f32_e64 s[54:55], s3, v36
	v_cmp_lt_f32_e64 s[56:57], |v36|, s2
	v_add_f32_e32 v20, v28, v20
	s_or_b64 s[54:55], s[54:55], s[56:57]
	v_cndmask_b32_e64 v20, v20, v36, s[54:55]
	v_add_f32_e32 v21, v17, v20
.LBB522_56:
	s_or_b64 exec, exec, s[0:1]
	v_bfe_u32 v17, v21, 16, 1
	s_movk_i32 s58, 0x7fff
	v_add3_u32 v17, v21, v17, s58
	v_and_b32_e32 v17, 0xffff0000, v17
	v_mov_b32_e32 v20, 0x7fc00000
	v_cmp_o_f32_e64 s[54:55], v21, v21
	v_cndmask_b32_e64 v23, v20, v17, s[54:55]
	v_lshlrev_b32_e32 v17, 16, v4
	v_max_f32_e32 v22, v23, v23
	v_max_f32_e32 v21, v17, v17
	v_min_f32_e32 v24, v22, v21
	v_cmp_u_f32_e64 s[56:57], v23, v23
	v_max_f32_e32 v22, v22, v21
	v_cndmask_b32_e64 v24, v24, v23, s[56:57]
	v_cmp_u_f32_e64 s[54:55], v17, v17
	v_cndmask_b32_e64 v22, v22, v23, s[56:57]
	v_cndmask_b32_e64 v24, v24, v17, s[54:55]
	;; [unrolled: 1-line block ×3, first 2 shown]
	v_cmp_neq_f32_e64 s[56:57], v24, v22
	v_cmp_class_f32_e64 s[0:1], v24, s33
	s_or_b64 s[56:57], s[56:57], s[0:1]
	s_and_saveexec_b64 s[0:1], s[56:57]
	s_cbranch_execz .LBB522_58
; %bb.57:
	v_sub_f32_e32 v23, v24, v22
	s_mov_b32 s2, 0x3fb8aa3b
	v_mul_f32_e32 v24, 0x3fb8aa3b, v23
	v_fma_f32 v26, v23, s2, -v24
	v_rndne_f32_e32 v27, v24
	v_fmac_f32_e32 v26, 0x32a5705f, v23
	v_sub_f32_e32 v24, v24, v27
	v_add_f32_e32 v24, v24, v26
	v_exp_f32_e32 v24, v24
	v_cvt_i32_f32_e32 v26, v27
	s_mov_b32 s2, 0xc2ce8ed0
	v_cmp_ngt_f32_e64 s[56:57], s2, v23
	s_mov_b32 s2, 0x42b17218
	v_ldexp_f32 v24, v24, v26
	v_cndmask_b32_e64 v24, 0, v24, s[56:57]
	v_mov_b32_e32 v26, 0x7f800000
	v_cmp_nlt_f32_e64 s[56:57], s2, v23
	v_cndmask_b32_e64 v40, v26, v24, s[56:57]
	v_add_f32_e32 v23, 1.0, v40
	v_add_f32_e32 v24, -1.0, v23
	v_sub_f32_e32 v26, v24, v23
	v_add_f32_e32 v26, 1.0, v26
	v_sub_f32_e32 v24, v40, v24
	v_add_f32_e32 v24, v24, v26
	v_frexp_mant_f32_e32 v28, v23
	s_mov_b32 s2, 0x3f2aaaab
	v_cvt_f64_f32_e32 v[26:27], v23
	v_frexp_exp_i32_f64_e32 v26, v[26:27]
	v_cmp_gt_f32_e64 s[56:57], s2, v28
	v_subbrev_co_u32_e64 v34, s[56:57], 0, v26, s[56:57]
	v_sub_u32_e32 v26, 0, v34
	v_ldexp_f32 v23, v23, v26
	v_ldexp_f32 v24, v24, v26
	v_add_f32_e32 v26, -1.0, v23
	v_add_f32_e32 v27, 1.0, v26
	v_sub_f32_e32 v27, v23, v27
	v_add_f32_e32 v28, v24, v27
	v_add_f32_e32 v27, 1.0, v23
	v_add_f32_e32 v29, -1.0, v27
	v_sub_f32_e32 v23, v23, v29
	v_add_f32_e32 v23, v24, v23
	v_add_f32_e32 v24, v27, v23
	v_rcp_f32_e32 v35, v24
	v_sub_f32_e32 v27, v27, v24
	v_add_f32_e32 v23, v23, v27
	v_add_f32_e32 v27, v26, v28
	v_sub_f32_e32 v26, v26, v27
	v_mul_f32_e32 v37, v27, v35
	v_add_f32_e32 v36, v28, v26
	v_mul_f32_e32 v28, v24, v37
	v_fma_f32 v30, v37, v24, -v28
	v_fmac_f32_e32 v30, v37, v23
	v_add_f32_e32 v26, v28, v30
	v_sub_f32_e32 v29, v27, v26
	v_pk_add_f32 v[32:33], v[26:27], v[28:29] neg_lo:[0,1] neg_hi:[0,1]
	v_mov_b32_e32 v31, v26
	v_pk_add_f32 v[26:27], v[32:33], v[30:31] neg_lo:[0,1] neg_hi:[0,1]
	v_add_f32_e32 v27, v36, v27
	v_add_f32_e32 v26, v26, v27
	;; [unrolled: 1-line block ×3, first 2 shown]
	v_mul_f32_e32 v36, v35, v27
	v_mul_f32_e32 v28, v24, v36
	v_fma_f32 v30, v36, v24, -v28
	v_fmac_f32_e32 v30, v36, v23
	v_sub_f32_e32 v23, v29, v27
	v_add_f32_e32 v23, v26, v23
	v_add_f32_e32 v26, v28, v30
	v_sub_f32_e32 v29, v27, v26
	v_pk_add_f32 v[32:33], v[26:27], v[28:29] neg_lo:[0,1] neg_hi:[0,1]
	v_mov_b32_e32 v31, v26
	v_pk_add_f32 v[26:27], v[32:33], v[30:31] neg_lo:[0,1] neg_hi:[0,1]
	v_add_f32_e32 v23, v23, v27
	v_add_f32_e32 v23, v26, v23
	;; [unrolled: 1-line block ×4, first 2 shown]
	v_sub_f32_e32 v26, v24, v37
	v_mul_f32_e32 v23, v35, v23
	v_sub_f32_e32 v26, v36, v26
	v_add_f32_e32 v23, v26, v23
	v_add_f32_e32 v26, v24, v23
	v_mul_f32_e32 v29, v26, v26
	v_mov_b32_e32 v28, 0x3ecc95a3
	v_fmac_f32_e32 v28, 0x3e9b6dac, v29
	v_mov_b32_e32 v27, 0x3f2aaada
	v_fmac_f32_e32 v27, v29, v28
	v_cvt_f32_i32_e32 v28, v34
	v_sub_f32_e32 v24, v26, v24
	v_ldexp_f32 v31, v26, 1
	v_mul_f32_e32 v29, v26, v29
	v_mov_b32_e32 v26, 0x3f317218
	s_mov_b32 s2, 0x3f317218
	v_pk_mul_f32 v[26:27], v[28:29], v[26:27]
	v_fma_f32 v30, v28, s2, -v26
	v_fmac_f32_e32 v30, 0xb102e308, v28
	v_pk_add_f32 v[28:29], v[26:27], v[30:31]
	v_sub_f32_e32 v23, v23, v24
	v_sub_f32_e32 v24, v29, v31
	v_ldexp_f32 v23, v23, 1
	v_sub_f32_e32 v24, v27, v24
	v_add_f32_e32 v33, v23, v24
	v_mov_b32_e32 v32, v26
	v_pk_add_f32 v[26:27], v[28:29], v[26:27] neg_lo:[0,1] neg_hi:[0,1]
	v_pk_add_f32 v[34:35], v[28:29], v[32:33]
	v_mov_b32_e32 v27, v35
	v_mov_b32_e32 v31, v28
	v_pk_add_f32 v[36:37], v[30:31], v[26:27] neg_lo:[0,1] neg_hi:[0,1]
	v_pk_add_f32 v[26:27], v[30:31], v[26:27]
	v_mov_b32_e32 v24, v27
	v_pk_add_f32 v[30:31], v[24:25], v[28:29] neg_lo:[0,1] neg_hi:[0,1]
	v_mov_b32_e32 v23, v30
	v_pk_add_f32 v[38:39], v[34:35], v[22:23] neg_lo:[0,1] neg_hi:[0,1]
	v_mov_b32_e32 v26, v35
	v_mov_b32_e32 v34, v29
	;; [unrolled: 1-line block ×4, first 2 shown]
	v_pk_add_f32 v[26:27], v[26:27], v[34:35] neg_lo:[0,1] neg_hi:[0,1]
	v_mov_b32_e32 v30, v33
	v_mov_b32_e32 v31, v28
	v_pk_add_f32 v[26:27], v[30:31], v[26:27] neg_lo:[0,1] neg_hi:[0,1]
	v_mov_b32_e32 v38, v36
	v_pk_add_f32 v[28:29], v[38:39], v[26:27]
	v_mov_b32_e32 v30, v29
	v_pk_add_f32 v[30:31], v[28:29], v[30:31]
	v_pk_add_f32 v[32:33], v[24:25], v[30:31]
	v_mov_b32_e32 v29, v32
	v_pk_add_f32 v[34:35], v[28:29], v[36:37] neg_lo:[0,1] neg_hi:[0,1]
	v_mov_b32_e32 v27, v30
	v_sub_f32_e32 v23, v28, v34
	v_pk_add_f32 v[26:27], v[26:27], v[34:35] neg_lo:[0,1] neg_hi:[0,1]
	v_sub_f32_e32 v23, v36, v23
	s_mov_b32 s3, 0x7f800000
	v_add_f32_e32 v23, v26, v23
	s_mov_b32 s2, 0x33800000
	v_add_f32_e32 v23, v23, v27
	v_cmp_eq_f32_e64 s[56:57], s3, v40
	v_cmp_lt_f32_e64 s[60:61], |v40|, s2
	v_add_f32_e32 v23, v32, v23
	s_or_b64 s[56:57], s[56:57], s[60:61]
	v_cndmask_b32_e64 v23, v23, v40, s[56:57]
	v_add_f32_e32 v23, v22, v23
.LBB522_58:
	s_or_b64 exec, exec, s[0:1]
	v_bfe_u32 v22, v23, 16, 1
	v_add3_u32 v22, v23, v22, s58
	v_and_b32_e32 v22, 0xffff0000, v22
	v_cmp_o_f32_e64 s[56:57], v23, v23
	v_cndmask_b32_e64 v24, v20, v22, s[56:57]
	v_and_b32_e32 v4, 0xffff0000, v4
	v_max_f32_e32 v20, v24, v24
	v_max_f32_e32 v22, v4, v4
	v_min_f32_e32 v23, v20, v22
	v_cmp_u_f32_e64 s[58:59], v24, v24
	v_max_f32_e32 v20, v20, v22
	v_cndmask_b32_e64 v23, v23, v24, s[58:59]
	v_cmp_u_f32_e64 s[56:57], v4, v4
	v_cndmask_b32_e64 v20, v20, v24, s[58:59]
	v_cndmask_b32_e64 v23, v23, v4, s[56:57]
	;; [unrolled: 1-line block ×3, first 2 shown]
	v_cmp_neq_f32_e64 s[58:59], v23, v20
	v_cmp_class_f32_e64 s[0:1], v23, s33
	s_or_b64 s[58:59], s[58:59], s[0:1]
	s_and_saveexec_b64 s[0:1], s[58:59]
	s_cbranch_execz .LBB522_60
; %bb.59:
	v_sub_f32_e32 v23, v23, v20
	s_mov_b32 s2, 0x3fb8aa3b
	v_mul_f32_e32 v24, 0x3fb8aa3b, v23
	v_fma_f32 v26, v23, s2, -v24
	v_rndne_f32_e32 v27, v24
	v_fmac_f32_e32 v26, 0x32a5705f, v23
	v_sub_f32_e32 v24, v24, v27
	v_add_f32_e32 v24, v24, v26
	v_exp_f32_e32 v24, v24
	v_cvt_i32_f32_e32 v26, v27
	s_mov_b32 s2, 0xc2ce8ed0
	v_cmp_ngt_f32_e64 s[58:59], s2, v23
	s_mov_b32 s2, 0x42b17218
	v_ldexp_f32 v24, v24, v26
	v_cndmask_b32_e64 v24, 0, v24, s[58:59]
	v_mov_b32_e32 v26, 0x7f800000
	v_cmp_nlt_f32_e64 s[58:59], s2, v23
	v_cndmask_b32_e64 v40, v26, v24, s[58:59]
	v_add_f32_e32 v23, 1.0, v40
	v_add_f32_e32 v24, -1.0, v23
	v_sub_f32_e32 v26, v24, v23
	v_add_f32_e32 v26, 1.0, v26
	v_sub_f32_e32 v24, v40, v24
	v_add_f32_e32 v24, v24, v26
	v_frexp_mant_f32_e32 v28, v23
	s_mov_b32 s2, 0x3f2aaaab
	v_cvt_f64_f32_e32 v[26:27], v23
	v_frexp_exp_i32_f64_e32 v26, v[26:27]
	v_cmp_gt_f32_e64 s[58:59], s2, v28
	v_subbrev_co_u32_e64 v34, s[58:59], 0, v26, s[58:59]
	v_sub_u32_e32 v26, 0, v34
	v_ldexp_f32 v23, v23, v26
	v_ldexp_f32 v24, v24, v26
	v_add_f32_e32 v26, -1.0, v23
	v_add_f32_e32 v27, 1.0, v26
	v_sub_f32_e32 v27, v23, v27
	v_add_f32_e32 v28, v24, v27
	v_add_f32_e32 v27, 1.0, v23
	v_add_f32_e32 v29, -1.0, v27
	v_sub_f32_e32 v23, v23, v29
	v_add_f32_e32 v23, v24, v23
	v_add_f32_e32 v24, v27, v23
	v_rcp_f32_e32 v35, v24
	v_sub_f32_e32 v27, v27, v24
	v_add_f32_e32 v23, v23, v27
	v_add_f32_e32 v27, v26, v28
	v_sub_f32_e32 v26, v26, v27
	v_mul_f32_e32 v37, v27, v35
	v_add_f32_e32 v36, v28, v26
	v_mul_f32_e32 v28, v24, v37
	v_fma_f32 v30, v37, v24, -v28
	v_fmac_f32_e32 v30, v37, v23
	v_add_f32_e32 v26, v28, v30
	v_sub_f32_e32 v29, v27, v26
	v_pk_add_f32 v[32:33], v[26:27], v[28:29] neg_lo:[0,1] neg_hi:[0,1]
	v_mov_b32_e32 v31, v26
	v_pk_add_f32 v[26:27], v[32:33], v[30:31] neg_lo:[0,1] neg_hi:[0,1]
	v_add_f32_e32 v27, v36, v27
	v_add_f32_e32 v26, v26, v27
	;; [unrolled: 1-line block ×3, first 2 shown]
	v_mul_f32_e32 v36, v35, v27
	v_mul_f32_e32 v28, v24, v36
	v_fma_f32 v30, v36, v24, -v28
	v_fmac_f32_e32 v30, v36, v23
	v_sub_f32_e32 v23, v29, v27
	v_add_f32_e32 v23, v26, v23
	v_add_f32_e32 v26, v28, v30
	v_sub_f32_e32 v29, v27, v26
	v_pk_add_f32 v[32:33], v[26:27], v[28:29] neg_lo:[0,1] neg_hi:[0,1]
	v_mov_b32_e32 v31, v26
	v_pk_add_f32 v[26:27], v[32:33], v[30:31] neg_lo:[0,1] neg_hi:[0,1]
	v_add_f32_e32 v23, v23, v27
	v_add_f32_e32 v23, v26, v23
	;; [unrolled: 1-line block ×4, first 2 shown]
	v_sub_f32_e32 v26, v24, v37
	v_mul_f32_e32 v23, v35, v23
	v_sub_f32_e32 v26, v36, v26
	v_add_f32_e32 v23, v26, v23
	v_add_f32_e32 v26, v24, v23
	v_mul_f32_e32 v29, v26, v26
	v_mov_b32_e32 v28, 0x3ecc95a3
	v_fmac_f32_e32 v28, 0x3e9b6dac, v29
	v_mov_b32_e32 v27, 0x3f2aaada
	v_fmac_f32_e32 v27, v29, v28
	v_cvt_f32_i32_e32 v28, v34
	v_sub_f32_e32 v24, v26, v24
	v_ldexp_f32 v31, v26, 1
	v_mul_f32_e32 v29, v26, v29
	v_mov_b32_e32 v26, 0x3f317218
	s_mov_b32 s2, 0x3f317218
	v_pk_mul_f32 v[26:27], v[28:29], v[26:27]
	v_fma_f32 v30, v28, s2, -v26
	v_fmac_f32_e32 v30, 0xb102e308, v28
	v_pk_add_f32 v[28:29], v[26:27], v[30:31]
	v_sub_f32_e32 v23, v23, v24
	v_sub_f32_e32 v24, v29, v31
	v_ldexp_f32 v23, v23, 1
	v_sub_f32_e32 v24, v27, v24
	v_add_f32_e32 v33, v23, v24
	v_mov_b32_e32 v32, v26
	v_pk_add_f32 v[26:27], v[28:29], v[26:27] neg_lo:[0,1] neg_hi:[0,1]
	v_pk_add_f32 v[34:35], v[28:29], v[32:33]
	v_mov_b32_e32 v27, v35
	v_mov_b32_e32 v31, v28
	v_pk_add_f32 v[36:37], v[30:31], v[26:27] neg_lo:[0,1] neg_hi:[0,1]
	v_pk_add_f32 v[26:27], v[30:31], v[26:27]
	v_mov_b32_e32 v24, v27
	v_pk_add_f32 v[30:31], v[24:25], v[28:29] neg_lo:[0,1] neg_hi:[0,1]
	v_mov_b32_e32 v23, v30
	v_pk_add_f32 v[38:39], v[34:35], v[22:23] neg_lo:[0,1] neg_hi:[0,1]
	v_mov_b32_e32 v26, v35
	v_mov_b32_e32 v34, v29
	;; [unrolled: 1-line block ×4, first 2 shown]
	v_pk_add_f32 v[26:27], v[26:27], v[34:35] neg_lo:[0,1] neg_hi:[0,1]
	v_mov_b32_e32 v30, v33
	v_mov_b32_e32 v31, v28
	v_pk_add_f32 v[26:27], v[30:31], v[26:27] neg_lo:[0,1] neg_hi:[0,1]
	v_mov_b32_e32 v38, v36
	v_pk_add_f32 v[28:29], v[38:39], v[26:27]
	v_mov_b32_e32 v30, v29
	v_pk_add_f32 v[30:31], v[28:29], v[30:31]
	v_pk_add_f32 v[32:33], v[24:25], v[30:31]
	v_mov_b32_e32 v29, v32
	v_pk_add_f32 v[34:35], v[28:29], v[36:37] neg_lo:[0,1] neg_hi:[0,1]
	v_mov_b32_e32 v27, v30
	v_sub_f32_e32 v23, v28, v34
	v_pk_add_f32 v[26:27], v[26:27], v[34:35] neg_lo:[0,1] neg_hi:[0,1]
	v_sub_f32_e32 v23, v36, v23
	s_mov_b32 s3, 0x7f800000
	v_add_f32_e32 v23, v26, v23
	s_mov_b32 s2, 0x33800000
	v_add_f32_e32 v23, v23, v27
	v_cmp_eq_f32_e64 s[58:59], s3, v40
	v_cmp_lt_f32_e64 s[60:61], |v40|, s2
	v_add_f32_e32 v23, v32, v23
	s_or_b64 s[58:59], s[58:59], s[60:61]
	v_cndmask_b32_e64 v23, v23, v40, s[58:59]
	v_add_f32_e32 v24, v20, v23
.LBB522_60:
	s_or_b64 exec, exec, s[0:1]
	v_bfe_u32 v20, v24, 16, 1
	s_movk_i32 s62, 0x7fff
	v_add3_u32 v20, v24, v20, s62
	v_and_b32_e32 v20, 0xffff0000, v20
	v_mov_b32_e32 v23, 0x7fc00000
	v_cmp_o_f32_e64 s[58:59], v24, v24
	v_cndmask_b32_e64 v27, v23, v20, s[58:59]
	v_lshlrev_b32_e32 v20, 16, v5
	v_max_f32_e32 v26, v27, v27
	v_max_f32_e32 v24, v20, v20
	v_min_f32_e32 v28, v26, v24
	v_cmp_u_f32_e64 s[60:61], v27, v27
	v_max_f32_e32 v26, v26, v24
	v_cndmask_b32_e64 v28, v28, v27, s[60:61]
	v_cmp_u_f32_e64 s[58:59], v20, v20
	v_cndmask_b32_e64 v26, v26, v27, s[60:61]
	v_cndmask_b32_e64 v28, v28, v20, s[58:59]
	;; [unrolled: 1-line block ×3, first 2 shown]
	v_cmp_neq_f32_e64 s[60:61], v28, v26
	v_cmp_class_f32_e64 s[0:1], v28, s33
	s_or_b64 s[60:61], s[60:61], s[0:1]
	s_and_saveexec_b64 s[0:1], s[60:61]
	s_cbranch_execz .LBB522_62
; %bb.61:
	v_sub_f32_e32 v27, v28, v26
	s_mov_b32 s2, 0x3fb8aa3b
	v_mul_f32_e32 v28, 0x3fb8aa3b, v27
	v_fma_f32 v29, v27, s2, -v28
	v_rndne_f32_e32 v30, v28
	v_fmac_f32_e32 v29, 0x32a5705f, v27
	v_sub_f32_e32 v28, v28, v30
	v_add_f32_e32 v28, v28, v29
	v_exp_f32_e32 v28, v28
	v_cvt_i32_f32_e32 v29, v30
	s_mov_b32 s2, 0xc2ce8ed0
	v_cmp_ngt_f32_e64 s[60:61], s2, v27
	s_mov_b32 s2, 0x42b17218
	v_ldexp_f32 v28, v28, v29
	v_cndmask_b32_e64 v28, 0, v28, s[60:61]
	v_mov_b32_e32 v29, 0x7f800000
	v_cmp_nlt_f32_e64 s[60:61], s2, v27
	v_cndmask_b32_e64 v44, v29, v28, s[60:61]
	v_add_f32_e32 v27, 1.0, v44
	v_add_f32_e32 v28, -1.0, v27
	v_sub_f32_e32 v29, v28, v27
	v_add_f32_e32 v29, 1.0, v29
	v_sub_f32_e32 v28, v44, v28
	v_add_f32_e32 v30, v28, v29
	v_frexp_mant_f32_e32 v31, v27
	s_mov_b32 s2, 0x3f2aaaab
	v_cvt_f64_f32_e32 v[28:29], v27
	v_frexp_exp_i32_f64_e32 v28, v[28:29]
	v_cmp_gt_f32_e64 s[60:61], s2, v31
	v_subbrev_co_u32_e64 v36, s[60:61], 0, v28, s[60:61]
	v_sub_u32_e32 v28, 0, v36
	v_ldexp_f32 v27, v27, v28
	v_ldexp_f32 v28, v30, v28
	v_add_f32_e32 v30, -1.0, v27
	v_add_f32_e32 v29, 1.0, v30
	v_sub_f32_e32 v29, v27, v29
	v_add_f32_e32 v31, v28, v29
	v_add_f32_e32 v29, 1.0, v27
	v_add_f32_e32 v32, -1.0, v29
	v_sub_f32_e32 v27, v27, v32
	v_add_f32_e32 v27, v28, v27
	v_add_f32_e32 v37, v29, v27
	v_rcp_f32_e32 v38, v37
	v_sub_f32_e32 v28, v29, v37
	v_add_f32_e32 v29, v30, v31
	v_add_f32_e32 v27, v27, v28
	v_mul_f32_e32 v40, v29, v38
	v_sub_f32_e32 v28, v30, v29
	v_mul_f32_e32 v30, v37, v40
	v_fma_f32 v32, v40, v37, -v30
	v_fmac_f32_e32 v32, v40, v27
	v_add_f32_e32 v39, v31, v28
	v_add_f32_e32 v28, v30, v32
	v_sub_f32_e32 v31, v29, v28
	v_pk_add_f32 v[34:35], v[28:29], v[30:31] neg_lo:[0,1] neg_hi:[0,1]
	v_mov_b32_e32 v33, v28
	v_pk_add_f32 v[28:29], v[34:35], v[32:33] neg_lo:[0,1] neg_hi:[0,1]
	v_add_f32_e32 v29, v39, v29
	v_add_f32_e32 v28, v28, v29
	;; [unrolled: 1-line block ×3, first 2 shown]
	v_mul_f32_e32 v39, v38, v29
	v_mul_f32_e32 v30, v37, v39
	v_fma_f32 v32, v39, v37, -v30
	v_fmac_f32_e32 v32, v39, v27
	v_sub_f32_e32 v27, v31, v29
	v_add_f32_e32 v27, v28, v27
	v_add_f32_e32 v28, v30, v32
	v_sub_f32_e32 v31, v29, v28
	v_pk_add_f32 v[34:35], v[28:29], v[30:31] neg_lo:[0,1] neg_hi:[0,1]
	v_mov_b32_e32 v33, v28
	v_pk_add_f32 v[28:29], v[34:35], v[32:33] neg_lo:[0,1] neg_hi:[0,1]
	v_add_f32_e32 v27, v27, v29
	v_add_f32_e32 v27, v28, v27
	;; [unrolled: 1-line block ×4, first 2 shown]
	v_sub_f32_e32 v29, v28, v40
	v_mul_f32_e32 v27, v38, v27
	v_sub_f32_e32 v29, v39, v29
	v_add_f32_e32 v27, v29, v27
	v_add_f32_e32 v31, v28, v27
	v_mul_f32_e32 v32, v31, v31
	v_mov_b32_e32 v30, 0x3ecc95a3
	v_fmac_f32_e32 v30, 0x3e9b6dac, v32
	v_mov_b32_e32 v29, 0x3f2aaada
	v_fmac_f32_e32 v29, v32, v30
	v_cvt_f32_i32_e32 v30, v36
	v_sub_f32_e32 v28, v31, v28
	v_sub_f32_e32 v27, v27, v28
	v_ldexp_f32 v33, v31, 1
	v_mul_f32_e32 v31, v31, v32
	v_mov_b32_e32 v28, 0x3f317218
	s_mov_b32 s2, 0x3f317218
	v_pk_mul_f32 v[28:29], v[30:31], v[28:29]
	v_fma_f32 v32, v30, s2, -v28
	v_fmac_f32_e32 v32, 0xb102e308, v30
	v_pk_add_f32 v[30:31], v[28:29], v[32:33]
	v_sub_f32_e32 v33, v31, v33
	v_ldexp_f32 v27, v27, 1
	v_sub_f32_e32 v33, v29, v33
	v_add_f32_e32 v35, v27, v33
	v_mov_b32_e32 v34, v28
	v_pk_add_f32 v[28:29], v[30:31], v[28:29] neg_lo:[0,1] neg_hi:[0,1]
	v_pk_add_f32 v[36:37], v[30:31], v[34:35]
	v_mov_b32_e32 v29, v37
	v_mov_b32_e32 v33, v30
	v_pk_add_f32 v[38:39], v[32:33], v[28:29] neg_lo:[0,1] neg_hi:[0,1]
	v_pk_add_f32 v[28:29], v[32:33], v[28:29]
	v_mov_b32_e32 v32, v29
	v_pk_add_f32 v[40:41], v[32:33], v[30:31] neg_lo:[0,1] neg_hi:[0,1]
	v_mov_b32_e32 v27, v40
	v_pk_add_f32 v[42:43], v[36:37], v[26:27] neg_lo:[0,1] neg_hi:[0,1]
	v_mov_b32_e32 v28, v37
	v_mov_b32_e32 v36, v31
	;; [unrolled: 1-line block ×4, first 2 shown]
	v_pk_add_f32 v[28:29], v[28:29], v[36:37] neg_lo:[0,1] neg_hi:[0,1]
	v_mov_b32_e32 v34, v35
	v_mov_b32_e32 v35, v30
	v_pk_add_f32 v[28:29], v[34:35], v[28:29] neg_lo:[0,1] neg_hi:[0,1]
	v_mov_b32_e32 v42, v38
	v_pk_add_f32 v[30:31], v[42:43], v[28:29]
	v_mov_b32_e32 v34, v31
	v_pk_add_f32 v[34:35], v[30:31], v[34:35]
	v_pk_add_f32 v[32:33], v[32:33], v[34:35]
	v_mov_b32_e32 v31, v32
	v_pk_add_f32 v[36:37], v[30:31], v[38:39] neg_lo:[0,1] neg_hi:[0,1]
	v_mov_b32_e32 v29, v34
	v_sub_f32_e32 v27, v30, v36
	v_pk_add_f32 v[28:29], v[28:29], v[36:37] neg_lo:[0,1] neg_hi:[0,1]
	v_sub_f32_e32 v27, v38, v27
	s_mov_b32 s3, 0x7f800000
	v_add_f32_e32 v27, v28, v27
	s_mov_b32 s2, 0x33800000
	v_add_f32_e32 v27, v27, v29
	v_cmp_eq_f32_e64 s[60:61], s3, v44
	v_cmp_lt_f32_e64 s[64:65], |v44|, s2
	v_add_f32_e32 v27, v32, v27
	s_or_b64 s[60:61], s[60:61], s[64:65]
	v_cndmask_b32_e64 v27, v27, v44, s[60:61]
	v_add_f32_e32 v27, v26, v27
.LBB522_62:
	s_or_b64 exec, exec, s[0:1]
	v_bfe_u32 v26, v27, 16, 1
	v_add3_u32 v26, v27, v26, s62
	v_and_b32_e32 v26, 0xffff0000, v26
	v_cmp_o_f32_e64 s[60:61], v27, v27
	v_cndmask_b32_e64 v28, v23, v26, s[60:61]
	v_and_b32_e32 v5, 0xffff0000, v5
	v_max_f32_e32 v23, v28, v28
	v_max_f32_e32 v26, v5, v5
	v_min_f32_e32 v27, v23, v26
	v_cmp_u_f32_e64 s[62:63], v28, v28
	v_max_f32_e32 v23, v23, v26
	v_cndmask_b32_e64 v27, v27, v28, s[62:63]
	v_cmp_u_f32_e64 s[60:61], v5, v5
	v_cndmask_b32_e64 v23, v23, v28, s[62:63]
	v_cndmask_b32_e64 v27, v27, v5, s[60:61]
	;; [unrolled: 1-line block ×3, first 2 shown]
	v_cmp_neq_f32_e64 s[62:63], v27, v23
	v_cmp_class_f32_e64 s[0:1], v27, s33
	s_or_b64 s[62:63], s[62:63], s[0:1]
	s_and_saveexec_b64 s[0:1], s[62:63]
	s_cbranch_execz .LBB522_64
; %bb.63:
	v_sub_f32_e32 v27, v27, v23
	s_mov_b32 s2, 0x3fb8aa3b
	v_mul_f32_e32 v28, 0x3fb8aa3b, v27
	v_fma_f32 v29, v27, s2, -v28
	v_rndne_f32_e32 v30, v28
	v_fmac_f32_e32 v29, 0x32a5705f, v27
	v_sub_f32_e32 v28, v28, v30
	v_add_f32_e32 v28, v28, v29
	v_exp_f32_e32 v28, v28
	v_cvt_i32_f32_e32 v29, v30
	s_mov_b32 s2, 0xc2ce8ed0
	v_cmp_ngt_f32_e64 s[62:63], s2, v27
	s_mov_b32 s2, 0x42b17218
	v_ldexp_f32 v28, v28, v29
	v_cndmask_b32_e64 v28, 0, v28, s[62:63]
	v_mov_b32_e32 v29, 0x7f800000
	v_cmp_nlt_f32_e64 s[62:63], s2, v27
	v_cndmask_b32_e64 v44, v29, v28, s[62:63]
	v_add_f32_e32 v27, 1.0, v44
	v_add_f32_e32 v28, -1.0, v27
	v_sub_f32_e32 v29, v28, v27
	v_add_f32_e32 v29, 1.0, v29
	v_sub_f32_e32 v28, v44, v28
	v_add_f32_e32 v30, v28, v29
	v_frexp_mant_f32_e32 v31, v27
	s_mov_b32 s2, 0x3f2aaaab
	v_cvt_f64_f32_e32 v[28:29], v27
	v_frexp_exp_i32_f64_e32 v28, v[28:29]
	v_cmp_gt_f32_e64 s[62:63], s2, v31
	v_subbrev_co_u32_e64 v36, s[62:63], 0, v28, s[62:63]
	v_sub_u32_e32 v28, 0, v36
	v_ldexp_f32 v27, v27, v28
	v_ldexp_f32 v28, v30, v28
	v_add_f32_e32 v30, -1.0, v27
	v_add_f32_e32 v29, 1.0, v30
	v_sub_f32_e32 v29, v27, v29
	v_add_f32_e32 v31, v28, v29
	v_add_f32_e32 v29, 1.0, v27
	v_add_f32_e32 v32, -1.0, v29
	v_sub_f32_e32 v27, v27, v32
	v_add_f32_e32 v27, v28, v27
	v_add_f32_e32 v37, v29, v27
	v_rcp_f32_e32 v38, v37
	v_sub_f32_e32 v28, v29, v37
	v_add_f32_e32 v29, v30, v31
	v_add_f32_e32 v27, v27, v28
	v_mul_f32_e32 v40, v29, v38
	v_sub_f32_e32 v28, v30, v29
	v_mul_f32_e32 v30, v37, v40
	v_fma_f32 v32, v40, v37, -v30
	v_fmac_f32_e32 v32, v40, v27
	v_add_f32_e32 v39, v31, v28
	v_add_f32_e32 v28, v30, v32
	v_sub_f32_e32 v31, v29, v28
	v_pk_add_f32 v[34:35], v[28:29], v[30:31] neg_lo:[0,1] neg_hi:[0,1]
	v_mov_b32_e32 v33, v28
	v_pk_add_f32 v[28:29], v[34:35], v[32:33] neg_lo:[0,1] neg_hi:[0,1]
	v_add_f32_e32 v29, v39, v29
	v_add_f32_e32 v28, v28, v29
	;; [unrolled: 1-line block ×3, first 2 shown]
	v_mul_f32_e32 v39, v38, v29
	v_mul_f32_e32 v30, v37, v39
	v_fma_f32 v32, v39, v37, -v30
	v_fmac_f32_e32 v32, v39, v27
	v_sub_f32_e32 v27, v31, v29
	v_add_f32_e32 v27, v28, v27
	v_add_f32_e32 v28, v30, v32
	v_sub_f32_e32 v31, v29, v28
	v_pk_add_f32 v[34:35], v[28:29], v[30:31] neg_lo:[0,1] neg_hi:[0,1]
	v_mov_b32_e32 v33, v28
	v_pk_add_f32 v[28:29], v[34:35], v[32:33] neg_lo:[0,1] neg_hi:[0,1]
	v_add_f32_e32 v27, v27, v29
	v_add_f32_e32 v27, v28, v27
	;; [unrolled: 1-line block ×4, first 2 shown]
	v_sub_f32_e32 v29, v28, v40
	v_mul_f32_e32 v27, v38, v27
	v_sub_f32_e32 v29, v39, v29
	v_add_f32_e32 v27, v29, v27
	v_add_f32_e32 v31, v28, v27
	v_mul_f32_e32 v32, v31, v31
	v_mov_b32_e32 v30, 0x3ecc95a3
	v_fmac_f32_e32 v30, 0x3e9b6dac, v32
	v_mov_b32_e32 v29, 0x3f2aaada
	v_fmac_f32_e32 v29, v32, v30
	v_cvt_f32_i32_e32 v30, v36
	v_sub_f32_e32 v28, v31, v28
	v_sub_f32_e32 v27, v27, v28
	v_ldexp_f32 v33, v31, 1
	v_mul_f32_e32 v31, v31, v32
	v_mov_b32_e32 v28, 0x3f317218
	s_mov_b32 s2, 0x3f317218
	v_pk_mul_f32 v[28:29], v[30:31], v[28:29]
	v_fma_f32 v32, v30, s2, -v28
	v_fmac_f32_e32 v32, 0xb102e308, v30
	v_pk_add_f32 v[30:31], v[28:29], v[32:33]
	v_sub_f32_e32 v33, v31, v33
	v_ldexp_f32 v27, v27, 1
	v_sub_f32_e32 v33, v29, v33
	v_add_f32_e32 v35, v27, v33
	v_mov_b32_e32 v34, v28
	v_pk_add_f32 v[28:29], v[30:31], v[28:29] neg_lo:[0,1] neg_hi:[0,1]
	v_pk_add_f32 v[36:37], v[30:31], v[34:35]
	v_mov_b32_e32 v29, v37
	v_mov_b32_e32 v33, v30
	v_pk_add_f32 v[38:39], v[32:33], v[28:29] neg_lo:[0,1] neg_hi:[0,1]
	v_pk_add_f32 v[28:29], v[32:33], v[28:29]
	v_mov_b32_e32 v32, v29
	v_pk_add_f32 v[40:41], v[32:33], v[30:31] neg_lo:[0,1] neg_hi:[0,1]
	v_mov_b32_e32 v27, v40
	v_pk_add_f32 v[42:43], v[36:37], v[26:27] neg_lo:[0,1] neg_hi:[0,1]
	v_mov_b32_e32 v28, v37
	v_mov_b32_e32 v36, v31
	;; [unrolled: 1-line block ×4, first 2 shown]
	v_pk_add_f32 v[28:29], v[28:29], v[36:37] neg_lo:[0,1] neg_hi:[0,1]
	v_mov_b32_e32 v34, v35
	v_mov_b32_e32 v35, v30
	v_pk_add_f32 v[28:29], v[34:35], v[28:29] neg_lo:[0,1] neg_hi:[0,1]
	v_mov_b32_e32 v42, v38
	v_pk_add_f32 v[30:31], v[42:43], v[28:29]
	v_mov_b32_e32 v34, v31
	v_pk_add_f32 v[34:35], v[30:31], v[34:35]
	v_pk_add_f32 v[32:33], v[32:33], v[34:35]
	v_mov_b32_e32 v31, v32
	v_pk_add_f32 v[36:37], v[30:31], v[38:39] neg_lo:[0,1] neg_hi:[0,1]
	v_mov_b32_e32 v29, v34
	v_sub_f32_e32 v27, v30, v36
	v_pk_add_f32 v[28:29], v[28:29], v[36:37] neg_lo:[0,1] neg_hi:[0,1]
	v_sub_f32_e32 v27, v38, v27
	s_mov_b32 s3, 0x7f800000
	v_add_f32_e32 v27, v28, v27
	s_mov_b32 s2, 0x33800000
	v_add_f32_e32 v27, v27, v29
	v_cmp_eq_f32_e64 s[62:63], s3, v44
	v_cmp_lt_f32_e64 s[64:65], |v44|, s2
	v_add_f32_e32 v27, v32, v27
	s_or_b64 s[62:63], s[62:63], s[64:65]
	v_cndmask_b32_e64 v27, v27, v44, s[62:63]
	v_add_f32_e32 v28, v23, v27
.LBB522_64:
	s_or_b64 exec, exec, s[0:1]
	v_bfe_u32 v23, v28, 16, 1
	s_movk_i32 s66, 0x7fff
	v_add3_u32 v23, v28, v23, s66
	v_and_b32_e32 v23, 0xffff0000, v23
	v_mov_b32_e32 v27, 0x7fc00000
	v_cmp_o_f32_e64 s[62:63], v28, v28
	v_cndmask_b32_e64 v30, v27, v23, s[62:63]
	v_lshlrev_b32_e32 v23, 16, v10
	v_max_f32_e32 v29, v30, v30
	v_max_f32_e32 v28, v23, v23
	v_min_f32_e32 v31, v29, v28
	v_cmp_u_f32_e64 s[64:65], v30, v30
	v_max_f32_e32 v29, v29, v28
	v_cndmask_b32_e64 v31, v31, v30, s[64:65]
	v_cmp_u_f32_e64 s[62:63], v23, v23
	v_cndmask_b32_e64 v29, v29, v30, s[64:65]
	v_cndmask_b32_e64 v31, v31, v23, s[62:63]
	;; [unrolled: 1-line block ×3, first 2 shown]
	v_cmp_neq_f32_e64 s[64:65], v31, v29
	v_cmp_class_f32_e64 s[0:1], v31, s33
	s_or_b64 s[64:65], s[64:65], s[0:1]
	s_and_saveexec_b64 s[0:1], s[64:65]
	s_cbranch_execz .LBB522_66
; %bb.65:
	v_sub_f32_e32 v30, v31, v29
	s_mov_b32 s2, 0x3fb8aa3b
	v_mul_f32_e32 v31, 0x3fb8aa3b, v30
	v_fma_f32 v32, v30, s2, -v31
	v_rndne_f32_e32 v33, v31
	v_fmac_f32_e32 v32, 0x32a5705f, v30
	v_sub_f32_e32 v31, v31, v33
	v_add_f32_e32 v31, v31, v32
	v_exp_f32_e32 v31, v31
	v_cvt_i32_f32_e32 v32, v33
	s_mov_b32 s2, 0xc2ce8ed0
	v_cmp_ngt_f32_e64 s[64:65], s2, v30
	s_mov_b32 s2, 0x42b17218
	v_ldexp_f32 v31, v31, v32
	v_cndmask_b32_e64 v31, 0, v31, s[64:65]
	v_mov_b32_e32 v32, 0x7f800000
	v_cmp_nlt_f32_e64 s[64:65], s2, v30
	v_cndmask_b32_e64 v46, v32, v31, s[64:65]
	v_add_f32_e32 v32, 1.0, v46
	v_add_f32_e32 v30, -1.0, v32
	v_sub_f32_e32 v31, v30, v32
	v_add_f32_e32 v31, 1.0, v31
	v_sub_f32_e32 v30, v46, v30
	v_add_f32_e32 v33, v30, v31
	v_frexp_mant_f32_e32 v34, v32
	s_mov_b32 s2, 0x3f2aaaab
	v_cvt_f64_f32_e32 v[30:31], v32
	v_frexp_exp_i32_f64_e32 v30, v[30:31]
	v_cmp_gt_f32_e64 s[64:65], s2, v34
	v_subbrev_co_u32_e64 v38, s[64:65], 0, v30, s[64:65]
	v_sub_u32_e32 v30, 0, v38
	v_ldexp_f32 v31, v32, v30
	v_add_f32_e32 v32, -1.0, v31
	v_add_f32_e32 v34, 1.0, v31
	v_ldexp_f32 v30, v33, v30
	v_add_f32_e32 v33, 1.0, v32
	v_add_f32_e32 v35, -1.0, v34
	v_sub_f32_e32 v33, v31, v33
	v_sub_f32_e32 v31, v31, v35
	v_add_f32_e32 v33, v30, v33
	v_add_f32_e32 v30, v30, v31
	;; [unrolled: 1-line block ×3, first 2 shown]
	v_rcp_f32_e32 v41, v39
	v_sub_f32_e32 v31, v34, v39
	v_add_f32_e32 v40, v30, v31
	v_add_f32_e32 v31, v32, v33
	v_mul_f32_e32 v43, v31, v41
	v_sub_f32_e32 v30, v32, v31
	v_mul_f32_e32 v32, v39, v43
	v_fma_f32 v34, v43, v39, -v32
	v_fmac_f32_e32 v34, v43, v40
	v_add_f32_e32 v42, v33, v30
	v_add_f32_e32 v30, v32, v34
	v_sub_f32_e32 v33, v31, v30
	v_pk_add_f32 v[36:37], v[30:31], v[32:33] neg_lo:[0,1] neg_hi:[0,1]
	v_mov_b32_e32 v35, v30
	v_pk_add_f32 v[30:31], v[36:37], v[34:35] neg_lo:[0,1] neg_hi:[0,1]
	v_add_f32_e32 v31, v42, v31
	v_add_f32_e32 v30, v30, v31
	;; [unrolled: 1-line block ×3, first 2 shown]
	v_mul_f32_e32 v42, v41, v31
	v_mul_f32_e32 v32, v39, v42
	v_fma_f32 v34, v42, v39, -v32
	v_fmac_f32_e32 v34, v42, v40
	v_sub_f32_e32 v33, v33, v31
	v_add_f32_e32 v39, v30, v33
	v_add_f32_e32 v30, v32, v34
	v_sub_f32_e32 v33, v31, v30
	v_pk_add_f32 v[36:37], v[30:31], v[32:33] neg_lo:[0,1] neg_hi:[0,1]
	v_mov_b32_e32 v35, v30
	v_pk_add_f32 v[30:31], v[36:37], v[34:35] neg_lo:[0,1] neg_hi:[0,1]
	v_add_f32_e32 v31, v39, v31
	v_add_f32_e32 v30, v30, v31
	v_add_f32_e32 v30, v33, v30
	v_add_f32_e32 v33, v43, v42
	v_sub_f32_e32 v31, v33, v43
	v_mul_f32_e32 v30, v41, v30
	v_sub_f32_e32 v31, v42, v31
	v_add_f32_e32 v30, v31, v30
	v_add_f32_e32 v34, v33, v30
	v_mul_f32_e32 v36, v34, v34
	v_mov_b32_e32 v32, 0x3ecc95a3
	v_fmac_f32_e32 v32, 0x3e9b6dac, v36
	v_mov_b32_e32 v31, 0x3f2aaada
	v_fmac_f32_e32 v31, v36, v32
	v_cvt_f32_i32_e32 v32, v38
	v_sub_f32_e32 v33, v34, v33
	v_sub_f32_e32 v30, v30, v33
	v_ldexp_f32 v37, v30, 1
	v_mul_f32_e32 v33, v34, v36
	v_mov_b32_e32 v30, 0x3f317218
	s_mov_b32 s2, 0x3f317218
	v_pk_mul_f32 v[30:31], v[32:33], v[30:31]
	v_ldexp_f32 v35, v34, 1
	v_fma_f32 v34, v32, s2, -v30
	v_fmac_f32_e32 v34, 0xb102e308, v32
	v_pk_add_f32 v[32:33], v[30:31], v[34:35]
	v_sub_f32_e32 v35, v33, v35
	v_sub_f32_e32 v35, v31, v35
	v_add_f32_e32 v37, v37, v35
	v_mov_b32_e32 v36, v30
	v_pk_add_f32 v[30:31], v[32:33], v[30:31] neg_lo:[0,1] neg_hi:[0,1]
	v_pk_add_f32 v[38:39], v[32:33], v[36:37]
	v_mov_b32_e32 v31, v39
	v_mov_b32_e32 v35, v32
	v_pk_add_f32 v[40:41], v[34:35], v[30:31] neg_lo:[0,1] neg_hi:[0,1]
	v_pk_add_f32 v[30:31], v[34:35], v[30:31]
	v_mov_b32_e32 v34, v31
	v_pk_add_f32 v[42:43], v[34:35], v[32:33] neg_lo:[0,1] neg_hi:[0,1]
	v_mov_b32_e32 v35, v42
	v_pk_add_f32 v[44:45], v[38:39], v[34:35] neg_lo:[0,1] neg_hi:[0,1]
	v_mov_b32_e32 v30, v39
	v_mov_b32_e32 v38, v33
	;; [unrolled: 1-line block ×4, first 2 shown]
	v_pk_add_f32 v[30:31], v[30:31], v[38:39] neg_lo:[0,1] neg_hi:[0,1]
	v_mov_b32_e32 v36, v37
	v_mov_b32_e32 v37, v32
	v_pk_add_f32 v[30:31], v[36:37], v[30:31] neg_lo:[0,1] neg_hi:[0,1]
	v_mov_b32_e32 v44, v40
	v_pk_add_f32 v[32:33], v[44:45], v[30:31]
	v_mov_b32_e32 v36, v33
	v_pk_add_f32 v[36:37], v[32:33], v[36:37]
	v_pk_add_f32 v[34:35], v[34:35], v[36:37]
	v_mov_b32_e32 v33, v34
	v_pk_add_f32 v[38:39], v[32:33], v[40:41] neg_lo:[0,1] neg_hi:[0,1]
	v_mov_b32_e32 v31, v36
	v_sub_f32_e32 v32, v32, v38
	v_pk_add_f32 v[30:31], v[30:31], v[38:39] neg_lo:[0,1] neg_hi:[0,1]
	v_sub_f32_e32 v32, v40, v32
	s_mov_b32 s3, 0x7f800000
	v_add_f32_e32 v30, v30, v32
	s_mov_b32 s2, 0x33800000
	v_add_f32_e32 v30, v30, v31
	v_cmp_eq_f32_e64 s[64:65], s3, v46
	v_cmp_lt_f32_e64 s[68:69], |v46|, s2
	v_add_f32_e32 v30, v34, v30
	s_or_b64 s[64:65], s[64:65], s[68:69]
	v_cndmask_b32_e64 v30, v30, v46, s[64:65]
	v_add_f32_e32 v30, v29, v30
.LBB522_66:
	s_or_b64 exec, exec, s[0:1]
	v_bfe_u32 v29, v30, 16, 1
	v_add3_u32 v29, v30, v29, s66
	v_and_b32_e32 v29, 0xffff0000, v29
	v_cmp_o_f32_e64 s[64:65], v30, v30
	v_cndmask_b32_e64 v31, v27, v29, s[64:65]
	v_and_b32_e32 v10, 0xffff0000, v10
	v_max_f32_e32 v27, v31, v31
	v_max_f32_e32 v29, v10, v10
	v_min_f32_e32 v30, v27, v29
	v_cmp_u_f32_e64 s[66:67], v31, v31
	v_max_f32_e32 v27, v27, v29
	v_cndmask_b32_e64 v30, v30, v31, s[66:67]
	v_cmp_u_f32_e64 s[64:65], v10, v10
	v_cndmask_b32_e64 v27, v27, v31, s[66:67]
	v_cndmask_b32_e64 v30, v30, v10, s[64:65]
	;; [unrolled: 1-line block ×3, first 2 shown]
	v_cmp_neq_f32_e64 s[66:67], v30, v27
	v_cmp_class_f32_e64 s[0:1], v30, s33
	s_or_b64 s[66:67], s[66:67], s[0:1]
	s_and_saveexec_b64 s[0:1], s[66:67]
	s_cbranch_execz .LBB522_68
; %bb.67:
	v_sub_f32_e32 v30, v30, v27
	s_mov_b32 s2, 0x3fb8aa3b
	v_mul_f32_e32 v31, 0x3fb8aa3b, v30
	v_fma_f32 v32, v30, s2, -v31
	v_rndne_f32_e32 v33, v31
	v_fmac_f32_e32 v32, 0x32a5705f, v30
	v_sub_f32_e32 v31, v31, v33
	v_add_f32_e32 v31, v31, v32
	v_exp_f32_e32 v31, v31
	v_cvt_i32_f32_e32 v32, v33
	s_mov_b32 s2, 0xc2ce8ed0
	v_cmp_ngt_f32_e64 s[66:67], s2, v30
	s_mov_b32 s2, 0x42b17218
	v_ldexp_f32 v31, v31, v32
	v_cndmask_b32_e64 v31, 0, v31, s[66:67]
	v_mov_b32_e32 v32, 0x7f800000
	v_cmp_nlt_f32_e64 s[66:67], s2, v30
	v_cndmask_b32_e64 v46, v32, v31, s[66:67]
	v_add_f32_e32 v32, 1.0, v46
	v_add_f32_e32 v30, -1.0, v32
	v_sub_f32_e32 v31, v30, v32
	v_add_f32_e32 v31, 1.0, v31
	v_sub_f32_e32 v30, v46, v30
	v_add_f32_e32 v33, v30, v31
	v_frexp_mant_f32_e32 v34, v32
	s_mov_b32 s2, 0x3f2aaaab
	v_cvt_f64_f32_e32 v[30:31], v32
	v_frexp_exp_i32_f64_e32 v30, v[30:31]
	v_cmp_gt_f32_e64 s[66:67], s2, v34
	v_subbrev_co_u32_e64 v38, s[66:67], 0, v30, s[66:67]
	v_sub_u32_e32 v30, 0, v38
	v_ldexp_f32 v31, v32, v30
	v_add_f32_e32 v32, -1.0, v31
	v_add_f32_e32 v34, 1.0, v31
	v_ldexp_f32 v30, v33, v30
	v_add_f32_e32 v33, 1.0, v32
	v_add_f32_e32 v35, -1.0, v34
	v_sub_f32_e32 v33, v31, v33
	v_sub_f32_e32 v31, v31, v35
	v_add_f32_e32 v33, v30, v33
	v_add_f32_e32 v30, v30, v31
	;; [unrolled: 1-line block ×3, first 2 shown]
	v_rcp_f32_e32 v41, v39
	v_sub_f32_e32 v31, v34, v39
	v_add_f32_e32 v40, v30, v31
	v_add_f32_e32 v31, v32, v33
	v_mul_f32_e32 v43, v31, v41
	v_sub_f32_e32 v30, v32, v31
	v_mul_f32_e32 v32, v39, v43
	v_fma_f32 v34, v43, v39, -v32
	v_fmac_f32_e32 v34, v43, v40
	v_add_f32_e32 v42, v33, v30
	v_add_f32_e32 v30, v32, v34
	v_sub_f32_e32 v33, v31, v30
	v_pk_add_f32 v[36:37], v[30:31], v[32:33] neg_lo:[0,1] neg_hi:[0,1]
	v_mov_b32_e32 v35, v30
	v_pk_add_f32 v[30:31], v[36:37], v[34:35] neg_lo:[0,1] neg_hi:[0,1]
	v_add_f32_e32 v31, v42, v31
	v_add_f32_e32 v30, v30, v31
	;; [unrolled: 1-line block ×3, first 2 shown]
	v_mul_f32_e32 v42, v41, v31
	v_mul_f32_e32 v32, v39, v42
	v_fma_f32 v34, v42, v39, -v32
	v_fmac_f32_e32 v34, v42, v40
	v_sub_f32_e32 v33, v33, v31
	v_add_f32_e32 v39, v30, v33
	v_add_f32_e32 v30, v32, v34
	v_sub_f32_e32 v33, v31, v30
	v_pk_add_f32 v[36:37], v[30:31], v[32:33] neg_lo:[0,1] neg_hi:[0,1]
	v_mov_b32_e32 v35, v30
	v_pk_add_f32 v[30:31], v[36:37], v[34:35] neg_lo:[0,1] neg_hi:[0,1]
	v_add_f32_e32 v31, v39, v31
	v_add_f32_e32 v30, v30, v31
	;; [unrolled: 1-line block ×4, first 2 shown]
	v_sub_f32_e32 v31, v33, v43
	v_mul_f32_e32 v30, v41, v30
	v_sub_f32_e32 v31, v42, v31
	v_add_f32_e32 v30, v31, v30
	v_add_f32_e32 v34, v33, v30
	v_mul_f32_e32 v36, v34, v34
	v_mov_b32_e32 v32, 0x3ecc95a3
	v_fmac_f32_e32 v32, 0x3e9b6dac, v36
	v_mov_b32_e32 v31, 0x3f2aaada
	v_fmac_f32_e32 v31, v36, v32
	v_cvt_f32_i32_e32 v32, v38
	v_sub_f32_e32 v33, v34, v33
	v_sub_f32_e32 v30, v30, v33
	v_ldexp_f32 v37, v30, 1
	v_mul_f32_e32 v33, v34, v36
	v_mov_b32_e32 v30, 0x3f317218
	s_mov_b32 s2, 0x3f317218
	v_pk_mul_f32 v[30:31], v[32:33], v[30:31]
	v_ldexp_f32 v35, v34, 1
	v_fma_f32 v34, v32, s2, -v30
	v_fmac_f32_e32 v34, 0xb102e308, v32
	v_pk_add_f32 v[32:33], v[30:31], v[34:35]
	v_sub_f32_e32 v35, v33, v35
	v_sub_f32_e32 v35, v31, v35
	v_add_f32_e32 v37, v37, v35
	v_mov_b32_e32 v36, v30
	v_pk_add_f32 v[30:31], v[32:33], v[30:31] neg_lo:[0,1] neg_hi:[0,1]
	v_pk_add_f32 v[38:39], v[32:33], v[36:37]
	v_mov_b32_e32 v31, v39
	v_mov_b32_e32 v35, v32
	v_pk_add_f32 v[40:41], v[34:35], v[30:31] neg_lo:[0,1] neg_hi:[0,1]
	v_pk_add_f32 v[30:31], v[34:35], v[30:31]
	v_mov_b32_e32 v34, v31
	v_pk_add_f32 v[42:43], v[34:35], v[32:33] neg_lo:[0,1] neg_hi:[0,1]
	v_mov_b32_e32 v35, v42
	v_pk_add_f32 v[44:45], v[38:39], v[34:35] neg_lo:[0,1] neg_hi:[0,1]
	v_mov_b32_e32 v30, v39
	v_mov_b32_e32 v38, v33
	;; [unrolled: 1-line block ×4, first 2 shown]
	v_pk_add_f32 v[30:31], v[30:31], v[38:39] neg_lo:[0,1] neg_hi:[0,1]
	v_mov_b32_e32 v36, v37
	v_mov_b32_e32 v37, v32
	v_pk_add_f32 v[30:31], v[36:37], v[30:31] neg_lo:[0,1] neg_hi:[0,1]
	v_mov_b32_e32 v44, v40
	v_pk_add_f32 v[32:33], v[44:45], v[30:31]
	v_mov_b32_e32 v36, v33
	v_pk_add_f32 v[36:37], v[32:33], v[36:37]
	v_pk_add_f32 v[34:35], v[34:35], v[36:37]
	v_mov_b32_e32 v33, v34
	v_pk_add_f32 v[38:39], v[32:33], v[40:41] neg_lo:[0,1] neg_hi:[0,1]
	v_mov_b32_e32 v31, v36
	v_sub_f32_e32 v32, v32, v38
	v_pk_add_f32 v[30:31], v[30:31], v[38:39] neg_lo:[0,1] neg_hi:[0,1]
	v_sub_f32_e32 v32, v40, v32
	s_mov_b32 s3, 0x7f800000
	v_add_f32_e32 v30, v30, v32
	s_mov_b32 s2, 0x33800000
	v_add_f32_e32 v30, v30, v31
	v_cmp_eq_f32_e64 s[66:67], s3, v46
	v_cmp_lt_f32_e64 s[68:69], |v46|, s2
	v_add_f32_e32 v30, v34, v30
	s_or_b64 s[66:67], s[66:67], s[68:69]
	v_cndmask_b32_e64 v30, v30, v46, s[66:67]
	v_add_f32_e32 v31, v27, v30
.LBB522_68:
	s_or_b64 exec, exec, s[0:1]
	v_bfe_u32 v27, v31, 16, 1
	s_movk_i32 s70, 0x7fff
	v_add3_u32 v27, v31, v27, s70
	v_and_b32_e32 v27, 0xffff0000, v27
	v_mov_b32_e32 v30, 0x7fc00000
	v_cmp_o_f32_e64 s[66:67], v31, v31
	v_cndmask_b32_e64 v33, v30, v27, s[66:67]
	v_lshlrev_b32_e32 v27, 16, v11
	v_max_f32_e32 v32, v33, v33
	v_max_f32_e32 v31, v27, v27
	v_min_f32_e32 v34, v32, v31
	v_cmp_u_f32_e64 s[68:69], v33, v33
	v_max_f32_e32 v32, v32, v31
	v_cndmask_b32_e64 v34, v34, v33, s[68:69]
	v_cmp_u_f32_e64 s[66:67], v27, v27
	v_cndmask_b32_e64 v32, v32, v33, s[68:69]
	v_cndmask_b32_e64 v34, v34, v27, s[66:67]
	;; [unrolled: 1-line block ×3, first 2 shown]
	v_cmp_neq_f32_e64 s[68:69], v34, v32
	v_cmp_class_f32_e64 s[0:1], v34, s33
	s_or_b64 s[68:69], s[68:69], s[0:1]
	s_and_saveexec_b64 s[0:1], s[68:69]
	s_cbranch_execz .LBB522_70
; %bb.69:
	v_sub_f32_e32 v33, v34, v32
	s_mov_b32 s2, 0x3fb8aa3b
	v_mul_f32_e32 v34, 0x3fb8aa3b, v33
	v_fma_f32 v35, v33, s2, -v34
	v_rndne_f32_e32 v36, v34
	v_fmac_f32_e32 v35, 0x32a5705f, v33
	v_sub_f32_e32 v34, v34, v36
	v_add_f32_e32 v34, v34, v35
	v_exp_f32_e32 v34, v34
	v_cvt_i32_f32_e32 v35, v36
	s_mov_b32 s2, 0xc2ce8ed0
	v_cmp_ngt_f32_e64 s[68:69], s2, v33
	s_mov_b32 s2, 0x42b17218
	v_ldexp_f32 v34, v34, v35
	v_cndmask_b32_e64 v34, 0, v34, s[68:69]
	v_mov_b32_e32 v35, 0x7f800000
	v_cmp_nlt_f32_e64 s[68:69], s2, v33
	v_cndmask_b32_e64 v54, v35, v34, s[68:69]
	v_add_f32_e32 v33, 1.0, v54
	v_add_f32_e32 v34, -1.0, v33
	v_sub_f32_e32 v35, v34, v33
	v_add_f32_e32 v35, 1.0, v35
	v_sub_f32_e32 v34, v54, v34
	v_add_f32_e32 v36, v34, v35
	v_frexp_mant_f32_e32 v37, v33
	s_mov_b32 s2, 0x3f2aaaab
	v_cvt_f64_f32_e32 v[34:35], v33
	v_frexp_exp_i32_f64_e32 v34, v[34:35]
	v_cmp_gt_f32_e64 s[68:69], s2, v37
	v_subbrev_co_u32_e64 v42, s[68:69], 0, v34, s[68:69]
	v_sub_u32_e32 v34, 0, v42
	v_ldexp_f32 v33, v33, v34
	v_ldexp_f32 v34, v36, v34
	v_add_f32_e32 v36, -1.0, v33
	v_add_f32_e32 v35, 1.0, v36
	v_sub_f32_e32 v35, v33, v35
	v_add_f32_e32 v37, v34, v35
	v_add_f32_e32 v35, 1.0, v33
	v_add_f32_e32 v38, -1.0, v35
	v_sub_f32_e32 v33, v33, v38
	v_add_f32_e32 v33, v34, v33
	v_add_f32_e32 v43, v35, v33
	v_rcp_f32_e32 v44, v43
	v_sub_f32_e32 v34, v35, v43
	v_add_f32_e32 v35, v36, v37
	v_add_f32_e32 v33, v33, v34
	v_mul_f32_e32 v46, v35, v44
	v_sub_f32_e32 v34, v36, v35
	v_mul_f32_e32 v36, v43, v46
	v_fma_f32 v38, v46, v43, -v36
	v_fmac_f32_e32 v38, v46, v33
	v_add_f32_e32 v45, v37, v34
	v_add_f32_e32 v34, v36, v38
	v_sub_f32_e32 v37, v35, v34
	v_pk_add_f32 v[40:41], v[34:35], v[36:37] neg_lo:[0,1] neg_hi:[0,1]
	v_mov_b32_e32 v39, v34
	v_pk_add_f32 v[34:35], v[40:41], v[38:39] neg_lo:[0,1] neg_hi:[0,1]
	v_add_f32_e32 v35, v45, v35
	v_add_f32_e32 v34, v34, v35
	;; [unrolled: 1-line block ×3, first 2 shown]
	v_mul_f32_e32 v45, v44, v35
	v_mul_f32_e32 v36, v43, v45
	v_fma_f32 v38, v45, v43, -v36
	v_fmac_f32_e32 v38, v45, v33
	v_sub_f32_e32 v33, v37, v35
	v_add_f32_e32 v33, v34, v33
	v_add_f32_e32 v34, v36, v38
	v_sub_f32_e32 v37, v35, v34
	v_pk_add_f32 v[40:41], v[34:35], v[36:37] neg_lo:[0,1] neg_hi:[0,1]
	v_mov_b32_e32 v39, v34
	v_pk_add_f32 v[34:35], v[40:41], v[38:39] neg_lo:[0,1] neg_hi:[0,1]
	v_add_f32_e32 v33, v33, v35
	v_add_f32_e32 v33, v34, v33
	;; [unrolled: 1-line block ×4, first 2 shown]
	v_sub_f32_e32 v35, v34, v46
	v_mul_f32_e32 v33, v44, v33
	v_sub_f32_e32 v35, v45, v35
	v_add_f32_e32 v33, v35, v33
	v_add_f32_e32 v37, v34, v33
	v_mul_f32_e32 v38, v37, v37
	v_mov_b32_e32 v36, 0x3ecc95a3
	v_fmac_f32_e32 v36, 0x3e9b6dac, v38
	v_mov_b32_e32 v35, 0x3f2aaada
	v_fmac_f32_e32 v35, v38, v36
	v_cvt_f32_i32_e32 v36, v42
	v_sub_f32_e32 v34, v37, v34
	v_sub_f32_e32 v33, v33, v34
	v_ldexp_f32 v39, v37, 1
	v_mul_f32_e32 v37, v37, v38
	v_mov_b32_e32 v34, 0x3f317218
	s_mov_b32 s2, 0x3f317218
	v_pk_mul_f32 v[34:35], v[36:37], v[34:35]
	v_fma_f32 v38, v36, s2, -v34
	v_fmac_f32_e32 v38, 0xb102e308, v36
	v_pk_add_f32 v[36:37], v[34:35], v[38:39]
	v_sub_f32_e32 v39, v37, v39
	v_ldexp_f32 v33, v33, 1
	v_sub_f32_e32 v39, v35, v39
	v_add_f32_e32 v41, v33, v39
	v_mov_b32_e32 v40, v34
	v_pk_add_f32 v[34:35], v[36:37], v[34:35] neg_lo:[0,1] neg_hi:[0,1]
	v_pk_add_f32 v[42:43], v[36:37], v[40:41]
	v_mov_b32_e32 v35, v43
	v_mov_b32_e32 v39, v36
	v_pk_add_f32 v[44:45], v[38:39], v[34:35] neg_lo:[0,1] neg_hi:[0,1]
	v_pk_add_f32 v[34:35], v[38:39], v[34:35]
	v_mov_b32_e32 v38, v35
	v_pk_add_f32 v[46:47], v[38:39], v[36:37] neg_lo:[0,1] neg_hi:[0,1]
	v_mov_b32_e32 v33, v46
	v_pk_add_f32 v[48:49], v[42:43], v[32:33] neg_lo:[0,1] neg_hi:[0,1]
	v_mov_b32_e32 v34, v43
	v_mov_b32_e32 v42, v37
	;; [unrolled: 1-line block ×4, first 2 shown]
	v_pk_add_f32 v[34:35], v[34:35], v[42:43] neg_lo:[0,1] neg_hi:[0,1]
	v_mov_b32_e32 v40, v41
	v_mov_b32_e32 v41, v36
	v_pk_add_f32 v[34:35], v[40:41], v[34:35] neg_lo:[0,1] neg_hi:[0,1]
	v_mov_b32_e32 v48, v44
	v_pk_add_f32 v[36:37], v[48:49], v[34:35]
	v_mov_b32_e32 v40, v37
	v_pk_add_f32 v[40:41], v[36:37], v[40:41]
	v_pk_add_f32 v[38:39], v[38:39], v[40:41]
	v_mov_b32_e32 v37, v38
	v_pk_add_f32 v[42:43], v[36:37], v[44:45] neg_lo:[0,1] neg_hi:[0,1]
	v_mov_b32_e32 v35, v40
	v_sub_f32_e32 v33, v36, v42
	v_pk_add_f32 v[34:35], v[34:35], v[42:43] neg_lo:[0,1] neg_hi:[0,1]
	v_sub_f32_e32 v33, v44, v33
	s_mov_b32 s3, 0x7f800000
	v_add_f32_e32 v33, v34, v33
	s_mov_b32 s2, 0x33800000
	v_add_f32_e32 v33, v33, v35
	v_cmp_eq_f32_e64 s[68:69], s3, v54
	v_cmp_lt_f32_e64 s[72:73], |v54|, s2
	v_add_f32_e32 v33, v38, v33
	s_or_b64 s[68:69], s[68:69], s[72:73]
	v_cndmask_b32_e64 v33, v33, v54, s[68:69]
	v_add_f32_e32 v33, v32, v33
.LBB522_70:
	s_or_b64 exec, exec, s[0:1]
	v_bfe_u32 v32, v33, 16, 1
	v_add3_u32 v32, v33, v32, s70
	v_and_b32_e32 v32, 0xffff0000, v32
	v_cmp_o_f32_e64 s[68:69], v33, v33
	v_cndmask_b32_e64 v34, v30, v32, s[68:69]
	v_and_b32_e32 v11, 0xffff0000, v11
	v_max_f32_e32 v30, v34, v34
	v_max_f32_e32 v32, v11, v11
	v_min_f32_e32 v33, v30, v32
	v_cmp_u_f32_e64 s[70:71], v34, v34
	v_max_f32_e32 v30, v30, v32
	v_cndmask_b32_e64 v33, v33, v34, s[70:71]
	v_cmp_u_f32_e64 s[68:69], v11, v11
	v_cndmask_b32_e64 v30, v30, v34, s[70:71]
	v_cndmask_b32_e64 v33, v33, v11, s[68:69]
	;; [unrolled: 1-line block ×3, first 2 shown]
	v_cmp_neq_f32_e64 s[70:71], v33, v30
	v_cmp_class_f32_e64 s[0:1], v33, s33
	s_or_b64 s[70:71], s[70:71], s[0:1]
	s_and_saveexec_b64 s[0:1], s[70:71]
	s_cbranch_execz .LBB522_72
; %bb.71:
	v_sub_f32_e32 v33, v33, v30
	s_mov_b32 s2, 0x3fb8aa3b
	v_mul_f32_e32 v34, 0x3fb8aa3b, v33
	v_fma_f32 v35, v33, s2, -v34
	v_rndne_f32_e32 v36, v34
	v_fmac_f32_e32 v35, 0x32a5705f, v33
	v_sub_f32_e32 v34, v34, v36
	v_add_f32_e32 v34, v34, v35
	v_exp_f32_e32 v34, v34
	v_cvt_i32_f32_e32 v35, v36
	s_mov_b32 s2, 0xc2ce8ed0
	v_cmp_ngt_f32_e64 s[70:71], s2, v33
	s_mov_b32 s2, 0x42b17218
	v_ldexp_f32 v34, v34, v35
	v_cndmask_b32_e64 v34, 0, v34, s[70:71]
	v_mov_b32_e32 v35, 0x7f800000
	v_cmp_nlt_f32_e64 s[70:71], s2, v33
	v_cndmask_b32_e64 v54, v35, v34, s[70:71]
	v_add_f32_e32 v33, 1.0, v54
	v_add_f32_e32 v34, -1.0, v33
	v_sub_f32_e32 v35, v34, v33
	v_add_f32_e32 v35, 1.0, v35
	v_sub_f32_e32 v34, v54, v34
	v_add_f32_e32 v36, v34, v35
	v_frexp_mant_f32_e32 v37, v33
	s_mov_b32 s2, 0x3f2aaaab
	v_cvt_f64_f32_e32 v[34:35], v33
	v_frexp_exp_i32_f64_e32 v34, v[34:35]
	v_cmp_gt_f32_e64 s[70:71], s2, v37
	v_subbrev_co_u32_e64 v42, s[70:71], 0, v34, s[70:71]
	v_sub_u32_e32 v34, 0, v42
	v_ldexp_f32 v33, v33, v34
	v_ldexp_f32 v34, v36, v34
	v_add_f32_e32 v36, -1.0, v33
	v_add_f32_e32 v35, 1.0, v36
	v_sub_f32_e32 v35, v33, v35
	v_add_f32_e32 v37, v34, v35
	v_add_f32_e32 v35, 1.0, v33
	v_add_f32_e32 v38, -1.0, v35
	v_sub_f32_e32 v33, v33, v38
	v_add_f32_e32 v33, v34, v33
	v_add_f32_e32 v43, v35, v33
	v_rcp_f32_e32 v44, v43
	v_sub_f32_e32 v34, v35, v43
	v_add_f32_e32 v35, v36, v37
	v_add_f32_e32 v33, v33, v34
	v_mul_f32_e32 v46, v35, v44
	v_sub_f32_e32 v34, v36, v35
	v_mul_f32_e32 v36, v43, v46
	v_fma_f32 v38, v46, v43, -v36
	v_fmac_f32_e32 v38, v46, v33
	v_add_f32_e32 v45, v37, v34
	v_add_f32_e32 v34, v36, v38
	v_sub_f32_e32 v37, v35, v34
	v_pk_add_f32 v[40:41], v[34:35], v[36:37] neg_lo:[0,1] neg_hi:[0,1]
	v_mov_b32_e32 v39, v34
	v_pk_add_f32 v[34:35], v[40:41], v[38:39] neg_lo:[0,1] neg_hi:[0,1]
	v_add_f32_e32 v35, v45, v35
	v_add_f32_e32 v34, v34, v35
	;; [unrolled: 1-line block ×3, first 2 shown]
	v_mul_f32_e32 v45, v44, v35
	v_mul_f32_e32 v36, v43, v45
	v_fma_f32 v38, v45, v43, -v36
	v_fmac_f32_e32 v38, v45, v33
	v_sub_f32_e32 v33, v37, v35
	v_add_f32_e32 v33, v34, v33
	v_add_f32_e32 v34, v36, v38
	v_sub_f32_e32 v37, v35, v34
	v_pk_add_f32 v[40:41], v[34:35], v[36:37] neg_lo:[0,1] neg_hi:[0,1]
	v_mov_b32_e32 v39, v34
	v_pk_add_f32 v[34:35], v[40:41], v[38:39] neg_lo:[0,1] neg_hi:[0,1]
	v_add_f32_e32 v33, v33, v35
	v_add_f32_e32 v33, v34, v33
	;; [unrolled: 1-line block ×4, first 2 shown]
	v_sub_f32_e32 v35, v34, v46
	v_mul_f32_e32 v33, v44, v33
	v_sub_f32_e32 v35, v45, v35
	v_add_f32_e32 v33, v35, v33
	v_add_f32_e32 v37, v34, v33
	v_mul_f32_e32 v38, v37, v37
	v_mov_b32_e32 v36, 0x3ecc95a3
	v_fmac_f32_e32 v36, 0x3e9b6dac, v38
	v_mov_b32_e32 v35, 0x3f2aaada
	v_fmac_f32_e32 v35, v38, v36
	v_cvt_f32_i32_e32 v36, v42
	v_sub_f32_e32 v34, v37, v34
	v_sub_f32_e32 v33, v33, v34
	v_ldexp_f32 v39, v37, 1
	v_mul_f32_e32 v37, v37, v38
	v_mov_b32_e32 v34, 0x3f317218
	s_mov_b32 s2, 0x3f317218
	v_pk_mul_f32 v[34:35], v[36:37], v[34:35]
	v_fma_f32 v38, v36, s2, -v34
	v_fmac_f32_e32 v38, 0xb102e308, v36
	v_pk_add_f32 v[36:37], v[34:35], v[38:39]
	v_sub_f32_e32 v39, v37, v39
	v_ldexp_f32 v33, v33, 1
	v_sub_f32_e32 v39, v35, v39
	v_add_f32_e32 v41, v33, v39
	v_mov_b32_e32 v40, v34
	v_pk_add_f32 v[34:35], v[36:37], v[34:35] neg_lo:[0,1] neg_hi:[0,1]
	v_pk_add_f32 v[42:43], v[36:37], v[40:41]
	v_mov_b32_e32 v35, v43
	v_mov_b32_e32 v39, v36
	v_pk_add_f32 v[44:45], v[38:39], v[34:35] neg_lo:[0,1] neg_hi:[0,1]
	v_pk_add_f32 v[34:35], v[38:39], v[34:35]
	v_mov_b32_e32 v38, v35
	v_pk_add_f32 v[46:47], v[38:39], v[36:37] neg_lo:[0,1] neg_hi:[0,1]
	v_mov_b32_e32 v33, v46
	v_pk_add_f32 v[48:49], v[42:43], v[32:33] neg_lo:[0,1] neg_hi:[0,1]
	v_mov_b32_e32 v34, v43
	v_mov_b32_e32 v42, v37
	;; [unrolled: 1-line block ×4, first 2 shown]
	v_pk_add_f32 v[34:35], v[34:35], v[42:43] neg_lo:[0,1] neg_hi:[0,1]
	v_mov_b32_e32 v40, v41
	v_mov_b32_e32 v41, v36
	v_pk_add_f32 v[34:35], v[40:41], v[34:35] neg_lo:[0,1] neg_hi:[0,1]
	v_mov_b32_e32 v48, v44
	v_pk_add_f32 v[36:37], v[48:49], v[34:35]
	v_mov_b32_e32 v40, v37
	v_pk_add_f32 v[40:41], v[36:37], v[40:41]
	v_pk_add_f32 v[38:39], v[38:39], v[40:41]
	v_mov_b32_e32 v37, v38
	v_pk_add_f32 v[42:43], v[36:37], v[44:45] neg_lo:[0,1] neg_hi:[0,1]
	v_mov_b32_e32 v35, v40
	v_sub_f32_e32 v33, v36, v42
	v_pk_add_f32 v[34:35], v[34:35], v[42:43] neg_lo:[0,1] neg_hi:[0,1]
	v_sub_f32_e32 v33, v44, v33
	s_mov_b32 s3, 0x7f800000
	v_add_f32_e32 v33, v34, v33
	s_mov_b32 s2, 0x33800000
	v_add_f32_e32 v33, v33, v35
	v_cmp_eq_f32_e64 s[70:71], s3, v54
	v_cmp_lt_f32_e64 s[72:73], |v54|, s2
	v_add_f32_e32 v33, v38, v33
	s_or_b64 s[70:71], s[70:71], s[72:73]
	v_cndmask_b32_e64 v33, v33, v54, s[70:71]
	v_add_f32_e32 v34, v30, v33
.LBB522_72:
	s_or_b64 exec, exec, s[0:1]
	v_bfe_u32 v30, v34, 16, 1
	s_movk_i32 s74, 0x7fff
	v_add3_u32 v30, v34, v30, s74
	v_and_b32_e32 v30, 0xffff0000, v30
	v_mov_b32_e32 v33, 0x7fc00000
	v_cmp_o_f32_e64 s[70:71], v34, v34
	v_cndmask_b32_e64 v36, v33, v30, s[70:71]
	v_lshlrev_b32_e32 v30, 16, v12
	v_max_f32_e32 v35, v36, v36
	v_max_f32_e32 v34, v30, v30
	v_min_f32_e32 v37, v35, v34
	v_cmp_u_f32_e64 s[72:73], v36, v36
	v_max_f32_e32 v35, v35, v34
	v_cndmask_b32_e64 v37, v37, v36, s[72:73]
	v_cmp_u_f32_e64 s[70:71], v30, v30
	v_cndmask_b32_e64 v35, v35, v36, s[72:73]
	v_cndmask_b32_e64 v37, v37, v30, s[70:71]
	;; [unrolled: 1-line block ×3, first 2 shown]
	v_cmp_neq_f32_e64 s[72:73], v37, v35
	v_cmp_class_f32_e64 s[0:1], v37, s33
	s_or_b64 s[72:73], s[72:73], s[0:1]
	s_and_saveexec_b64 s[0:1], s[72:73]
	s_cbranch_execz .LBB522_74
; %bb.73:
	v_sub_f32_e32 v36, v37, v35
	s_mov_b32 s2, 0x3fb8aa3b
	v_mul_f32_e32 v37, 0x3fb8aa3b, v36
	v_fma_f32 v38, v36, s2, -v37
	v_rndne_f32_e32 v39, v37
	v_fmac_f32_e32 v38, 0x32a5705f, v36
	v_sub_f32_e32 v37, v37, v39
	v_add_f32_e32 v37, v37, v38
	v_exp_f32_e32 v37, v37
	v_cvt_i32_f32_e32 v38, v39
	s_mov_b32 s2, 0xc2ce8ed0
	v_cmp_ngt_f32_e64 s[72:73], s2, v36
	s_mov_b32 s2, 0x42b17218
	v_ldexp_f32 v37, v37, v38
	v_cndmask_b32_e64 v37, 0, v37, s[72:73]
	v_mov_b32_e32 v38, 0x7f800000
	v_cmp_nlt_f32_e64 s[72:73], s2, v36
	v_cndmask_b32_e64 v56, v38, v37, s[72:73]
	v_add_f32_e32 v38, 1.0, v56
	v_add_f32_e32 v36, -1.0, v38
	v_sub_f32_e32 v37, v36, v38
	v_add_f32_e32 v37, 1.0, v37
	v_sub_f32_e32 v36, v56, v36
	v_add_f32_e32 v39, v36, v37
	v_frexp_mant_f32_e32 v40, v38
	s_mov_b32 s2, 0x3f2aaaab
	v_cvt_f64_f32_e32 v[36:37], v38
	v_frexp_exp_i32_f64_e32 v36, v[36:37]
	v_cmp_gt_f32_e64 s[72:73], s2, v40
	v_subbrev_co_u32_e64 v44, s[72:73], 0, v36, s[72:73]
	v_sub_u32_e32 v36, 0, v44
	v_ldexp_f32 v37, v38, v36
	v_add_f32_e32 v38, -1.0, v37
	v_add_f32_e32 v40, 1.0, v37
	v_ldexp_f32 v36, v39, v36
	v_add_f32_e32 v39, 1.0, v38
	v_add_f32_e32 v41, -1.0, v40
	v_sub_f32_e32 v39, v37, v39
	v_sub_f32_e32 v37, v37, v41
	v_add_f32_e32 v39, v36, v39
	v_add_f32_e32 v36, v36, v37
	;; [unrolled: 1-line block ×3, first 2 shown]
	v_rcp_f32_e32 v47, v45
	v_sub_f32_e32 v37, v40, v45
	v_add_f32_e32 v46, v36, v37
	v_add_f32_e32 v37, v38, v39
	v_mul_f32_e32 v49, v37, v47
	v_sub_f32_e32 v36, v38, v37
	v_mul_f32_e32 v38, v45, v49
	v_fma_f32 v40, v49, v45, -v38
	v_fmac_f32_e32 v40, v49, v46
	v_add_f32_e32 v48, v39, v36
	v_add_f32_e32 v36, v38, v40
	v_sub_f32_e32 v39, v37, v36
	v_pk_add_f32 v[42:43], v[36:37], v[38:39] neg_lo:[0,1] neg_hi:[0,1]
	v_mov_b32_e32 v41, v36
	v_pk_add_f32 v[36:37], v[42:43], v[40:41] neg_lo:[0,1] neg_hi:[0,1]
	v_add_f32_e32 v37, v48, v37
	v_add_f32_e32 v36, v36, v37
	v_add_f32_e32 v37, v39, v36
	v_mul_f32_e32 v48, v47, v37
	v_mul_f32_e32 v38, v45, v48
	v_fma_f32 v40, v48, v45, -v38
	v_fmac_f32_e32 v40, v48, v46
	v_sub_f32_e32 v39, v39, v37
	v_add_f32_e32 v45, v36, v39
	v_add_f32_e32 v36, v38, v40
	v_sub_f32_e32 v39, v37, v36
	v_pk_add_f32 v[42:43], v[36:37], v[38:39] neg_lo:[0,1] neg_hi:[0,1]
	v_mov_b32_e32 v41, v36
	v_pk_add_f32 v[36:37], v[42:43], v[40:41] neg_lo:[0,1] neg_hi:[0,1]
	v_add_f32_e32 v37, v45, v37
	v_add_f32_e32 v36, v36, v37
	;; [unrolled: 1-line block ×4, first 2 shown]
	v_sub_f32_e32 v37, v39, v49
	v_mul_f32_e32 v36, v47, v36
	v_sub_f32_e32 v37, v48, v37
	v_add_f32_e32 v36, v37, v36
	v_add_f32_e32 v40, v39, v36
	v_mul_f32_e32 v42, v40, v40
	v_mov_b32_e32 v38, 0x3ecc95a3
	v_fmac_f32_e32 v38, 0x3e9b6dac, v42
	v_mov_b32_e32 v37, 0x3f2aaada
	v_fmac_f32_e32 v37, v42, v38
	v_cvt_f32_i32_e32 v38, v44
	v_sub_f32_e32 v39, v40, v39
	v_sub_f32_e32 v36, v36, v39
	v_ldexp_f32 v43, v36, 1
	v_mul_f32_e32 v39, v40, v42
	v_mov_b32_e32 v36, 0x3f317218
	s_mov_b32 s2, 0x3f317218
	v_pk_mul_f32 v[36:37], v[38:39], v[36:37]
	v_ldexp_f32 v41, v40, 1
	v_fma_f32 v40, v38, s2, -v36
	v_fmac_f32_e32 v40, 0xb102e308, v38
	v_pk_add_f32 v[38:39], v[36:37], v[40:41]
	v_sub_f32_e32 v41, v39, v41
	v_sub_f32_e32 v41, v37, v41
	v_add_f32_e32 v43, v43, v41
	v_mov_b32_e32 v42, v36
	v_pk_add_f32 v[36:37], v[38:39], v[36:37] neg_lo:[0,1] neg_hi:[0,1]
	v_pk_add_f32 v[44:45], v[38:39], v[42:43]
	v_mov_b32_e32 v37, v45
	v_mov_b32_e32 v41, v38
	v_pk_add_f32 v[46:47], v[40:41], v[36:37] neg_lo:[0,1] neg_hi:[0,1]
	v_pk_add_f32 v[36:37], v[40:41], v[36:37]
	v_mov_b32_e32 v40, v37
	v_pk_add_f32 v[48:49], v[40:41], v[38:39] neg_lo:[0,1] neg_hi:[0,1]
	v_mov_b32_e32 v41, v48
	v_pk_add_f32 v[54:55], v[44:45], v[40:41] neg_lo:[0,1] neg_hi:[0,1]
	v_mov_b32_e32 v36, v45
	v_mov_b32_e32 v44, v39
	;; [unrolled: 1-line block ×4, first 2 shown]
	v_pk_add_f32 v[36:37], v[36:37], v[44:45] neg_lo:[0,1] neg_hi:[0,1]
	v_mov_b32_e32 v42, v43
	v_mov_b32_e32 v43, v38
	v_pk_add_f32 v[36:37], v[42:43], v[36:37] neg_lo:[0,1] neg_hi:[0,1]
	v_mov_b32_e32 v54, v46
	v_pk_add_f32 v[38:39], v[54:55], v[36:37]
	v_mov_b32_e32 v42, v39
	v_pk_add_f32 v[42:43], v[38:39], v[42:43]
	v_pk_add_f32 v[40:41], v[40:41], v[42:43]
	v_mov_b32_e32 v39, v40
	v_pk_add_f32 v[44:45], v[38:39], v[46:47] neg_lo:[0,1] neg_hi:[0,1]
	v_mov_b32_e32 v37, v42
	v_sub_f32_e32 v38, v38, v44
	v_pk_add_f32 v[36:37], v[36:37], v[44:45] neg_lo:[0,1] neg_hi:[0,1]
	v_sub_f32_e32 v38, v46, v38
	s_mov_b32 s3, 0x7f800000
	v_add_f32_e32 v36, v36, v38
	s_mov_b32 s2, 0x33800000
	v_add_f32_e32 v36, v36, v37
	v_cmp_eq_f32_e64 s[72:73], s3, v56
	v_cmp_lt_f32_e64 s[76:77], |v56|, s2
	v_add_f32_e32 v36, v40, v36
	s_or_b64 s[72:73], s[72:73], s[76:77]
	v_cndmask_b32_e64 v36, v36, v56, s[72:73]
	v_add_f32_e32 v36, v35, v36
.LBB522_74:
	s_or_b64 exec, exec, s[0:1]
	v_bfe_u32 v35, v36, 16, 1
	v_add3_u32 v35, v36, v35, s74
	v_and_b32_e32 v35, 0xffff0000, v35
	v_cmp_o_f32_e64 s[72:73], v36, v36
	v_cndmask_b32_e64 v37, v33, v35, s[72:73]
	v_and_b32_e32 v12, 0xffff0000, v12
	v_max_f32_e32 v33, v37, v37
	v_max_f32_e32 v35, v12, v12
	v_min_f32_e32 v36, v33, v35
	v_cmp_u_f32_e64 s[74:75], v37, v37
	v_max_f32_e32 v33, v33, v35
	v_cndmask_b32_e64 v36, v36, v37, s[74:75]
	v_cmp_u_f32_e64 s[72:73], v12, v12
	v_cndmask_b32_e64 v33, v33, v37, s[74:75]
	v_cndmask_b32_e64 v36, v36, v12, s[72:73]
	;; [unrolled: 1-line block ×3, first 2 shown]
	v_cmp_neq_f32_e64 s[74:75], v36, v33
	v_cmp_class_f32_e64 s[0:1], v36, s33
	s_or_b64 s[74:75], s[74:75], s[0:1]
	s_and_saveexec_b64 s[0:1], s[74:75]
	s_cbranch_execz .LBB522_76
; %bb.75:
	v_sub_f32_e32 v36, v36, v33
	s_mov_b32 s2, 0x3fb8aa3b
	v_mul_f32_e32 v37, 0x3fb8aa3b, v36
	v_fma_f32 v38, v36, s2, -v37
	v_rndne_f32_e32 v39, v37
	v_fmac_f32_e32 v38, 0x32a5705f, v36
	v_sub_f32_e32 v37, v37, v39
	v_add_f32_e32 v37, v37, v38
	v_exp_f32_e32 v37, v37
	v_cvt_i32_f32_e32 v38, v39
	s_mov_b32 s2, 0xc2ce8ed0
	v_cmp_ngt_f32_e64 s[74:75], s2, v36
	s_mov_b32 s2, 0x42b17218
	v_ldexp_f32 v37, v37, v38
	v_cndmask_b32_e64 v37, 0, v37, s[74:75]
	v_mov_b32_e32 v38, 0x7f800000
	v_cmp_nlt_f32_e64 s[74:75], s2, v36
	v_cndmask_b32_e64 v56, v38, v37, s[74:75]
	v_add_f32_e32 v38, 1.0, v56
	v_add_f32_e32 v36, -1.0, v38
	v_sub_f32_e32 v37, v36, v38
	v_add_f32_e32 v37, 1.0, v37
	v_sub_f32_e32 v36, v56, v36
	v_add_f32_e32 v39, v36, v37
	v_frexp_mant_f32_e32 v40, v38
	s_mov_b32 s2, 0x3f2aaaab
	v_cvt_f64_f32_e32 v[36:37], v38
	v_frexp_exp_i32_f64_e32 v36, v[36:37]
	v_cmp_gt_f32_e64 s[74:75], s2, v40
	v_subbrev_co_u32_e64 v44, s[74:75], 0, v36, s[74:75]
	v_sub_u32_e32 v36, 0, v44
	v_ldexp_f32 v37, v38, v36
	v_add_f32_e32 v38, -1.0, v37
	v_add_f32_e32 v40, 1.0, v37
	v_ldexp_f32 v36, v39, v36
	v_add_f32_e32 v39, 1.0, v38
	v_add_f32_e32 v41, -1.0, v40
	v_sub_f32_e32 v39, v37, v39
	v_sub_f32_e32 v37, v37, v41
	v_add_f32_e32 v39, v36, v39
	v_add_f32_e32 v36, v36, v37
	;; [unrolled: 1-line block ×3, first 2 shown]
	v_rcp_f32_e32 v47, v45
	v_sub_f32_e32 v37, v40, v45
	v_add_f32_e32 v46, v36, v37
	v_add_f32_e32 v37, v38, v39
	v_mul_f32_e32 v49, v37, v47
	v_sub_f32_e32 v36, v38, v37
	v_mul_f32_e32 v38, v45, v49
	v_fma_f32 v40, v49, v45, -v38
	v_fmac_f32_e32 v40, v49, v46
	v_add_f32_e32 v48, v39, v36
	v_add_f32_e32 v36, v38, v40
	v_sub_f32_e32 v39, v37, v36
	v_pk_add_f32 v[42:43], v[36:37], v[38:39] neg_lo:[0,1] neg_hi:[0,1]
	v_mov_b32_e32 v41, v36
	v_pk_add_f32 v[36:37], v[42:43], v[40:41] neg_lo:[0,1] neg_hi:[0,1]
	v_add_f32_e32 v37, v48, v37
	v_add_f32_e32 v36, v36, v37
	;; [unrolled: 1-line block ×3, first 2 shown]
	v_mul_f32_e32 v48, v47, v37
	v_mul_f32_e32 v38, v45, v48
	v_fma_f32 v40, v48, v45, -v38
	v_fmac_f32_e32 v40, v48, v46
	v_sub_f32_e32 v39, v39, v37
	v_add_f32_e32 v45, v36, v39
	v_add_f32_e32 v36, v38, v40
	v_sub_f32_e32 v39, v37, v36
	v_pk_add_f32 v[42:43], v[36:37], v[38:39] neg_lo:[0,1] neg_hi:[0,1]
	v_mov_b32_e32 v41, v36
	v_pk_add_f32 v[36:37], v[42:43], v[40:41] neg_lo:[0,1] neg_hi:[0,1]
	v_add_f32_e32 v37, v45, v37
	v_add_f32_e32 v36, v36, v37
	v_add_f32_e32 v36, v39, v36
	v_add_f32_e32 v39, v49, v48
	v_sub_f32_e32 v37, v39, v49
	v_mul_f32_e32 v36, v47, v36
	v_sub_f32_e32 v37, v48, v37
	v_add_f32_e32 v36, v37, v36
	v_add_f32_e32 v40, v39, v36
	v_mul_f32_e32 v42, v40, v40
	v_mov_b32_e32 v38, 0x3ecc95a3
	v_fmac_f32_e32 v38, 0x3e9b6dac, v42
	v_mov_b32_e32 v37, 0x3f2aaada
	v_fmac_f32_e32 v37, v42, v38
	v_cvt_f32_i32_e32 v38, v44
	v_sub_f32_e32 v39, v40, v39
	v_sub_f32_e32 v36, v36, v39
	v_ldexp_f32 v43, v36, 1
	v_mul_f32_e32 v39, v40, v42
	v_mov_b32_e32 v36, 0x3f317218
	s_mov_b32 s2, 0x3f317218
	v_pk_mul_f32 v[36:37], v[38:39], v[36:37]
	v_ldexp_f32 v41, v40, 1
	v_fma_f32 v40, v38, s2, -v36
	v_fmac_f32_e32 v40, 0xb102e308, v38
	v_pk_add_f32 v[38:39], v[36:37], v[40:41]
	v_sub_f32_e32 v41, v39, v41
	v_sub_f32_e32 v41, v37, v41
	v_add_f32_e32 v43, v43, v41
	v_mov_b32_e32 v42, v36
	v_pk_add_f32 v[36:37], v[38:39], v[36:37] neg_lo:[0,1] neg_hi:[0,1]
	v_pk_add_f32 v[44:45], v[38:39], v[42:43]
	v_mov_b32_e32 v37, v45
	v_mov_b32_e32 v41, v38
	v_pk_add_f32 v[46:47], v[40:41], v[36:37] neg_lo:[0,1] neg_hi:[0,1]
	v_pk_add_f32 v[36:37], v[40:41], v[36:37]
	v_mov_b32_e32 v40, v37
	v_pk_add_f32 v[48:49], v[40:41], v[38:39] neg_lo:[0,1] neg_hi:[0,1]
	v_mov_b32_e32 v41, v48
	v_pk_add_f32 v[54:55], v[44:45], v[40:41] neg_lo:[0,1] neg_hi:[0,1]
	v_mov_b32_e32 v36, v45
	v_mov_b32_e32 v44, v39
	;; [unrolled: 1-line block ×4, first 2 shown]
	v_pk_add_f32 v[36:37], v[36:37], v[44:45] neg_lo:[0,1] neg_hi:[0,1]
	v_mov_b32_e32 v42, v43
	v_mov_b32_e32 v43, v38
	v_pk_add_f32 v[36:37], v[42:43], v[36:37] neg_lo:[0,1] neg_hi:[0,1]
	v_mov_b32_e32 v54, v46
	v_pk_add_f32 v[38:39], v[54:55], v[36:37]
	v_mov_b32_e32 v42, v39
	v_pk_add_f32 v[42:43], v[38:39], v[42:43]
	v_pk_add_f32 v[40:41], v[40:41], v[42:43]
	v_mov_b32_e32 v39, v40
	v_pk_add_f32 v[44:45], v[38:39], v[46:47] neg_lo:[0,1] neg_hi:[0,1]
	v_mov_b32_e32 v37, v42
	v_sub_f32_e32 v38, v38, v44
	v_pk_add_f32 v[36:37], v[36:37], v[44:45] neg_lo:[0,1] neg_hi:[0,1]
	v_sub_f32_e32 v38, v46, v38
	s_mov_b32 s3, 0x7f800000
	v_add_f32_e32 v36, v36, v38
	s_mov_b32 s2, 0x33800000
	v_add_f32_e32 v36, v36, v37
	v_cmp_eq_f32_e64 s[74:75], s3, v56
	v_cmp_lt_f32_e64 s[76:77], |v56|, s2
	v_add_f32_e32 v36, v40, v36
	s_or_b64 s[74:75], s[74:75], s[76:77]
	v_cndmask_b32_e64 v36, v36, v56, s[74:75]
	v_add_f32_e32 v37, v33, v36
.LBB522_76:
	s_or_b64 exec, exec, s[0:1]
	v_bfe_u32 v33, v37, 16, 1
	s_movk_i32 s78, 0x7fff
	v_add3_u32 v33, v37, v33, s78
	v_and_b32_e32 v33, 0xffff0000, v33
	v_mov_b32_e32 v36, 0x7fc00000
	v_cmp_o_f32_e64 s[74:75], v37, v37
	v_cndmask_b32_e64 v39, v36, v33, s[74:75]
	v_lshlrev_b32_e32 v33, 16, v13
	v_max_f32_e32 v38, v39, v39
	v_max_f32_e32 v37, v33, v33
	v_min_f32_e32 v40, v38, v37
	v_cmp_u_f32_e64 s[76:77], v39, v39
	v_max_f32_e32 v38, v38, v37
	v_cndmask_b32_e64 v40, v40, v39, s[76:77]
	v_cmp_u_f32_e64 s[74:75], v33, v33
	v_cndmask_b32_e64 v38, v38, v39, s[76:77]
	v_cndmask_b32_e64 v40, v40, v33, s[74:75]
	;; [unrolled: 1-line block ×3, first 2 shown]
	v_cmp_neq_f32_e64 s[76:77], v40, v38
	v_cmp_class_f32_e64 s[0:1], v40, s33
	s_or_b64 s[76:77], s[76:77], s[0:1]
	s_and_saveexec_b64 s[0:1], s[76:77]
	s_cbranch_execz .LBB522_78
; %bb.77:
	v_sub_f32_e32 v39, v40, v38
	s_mov_b32 s2, 0x3fb8aa3b
	v_mul_f32_e32 v40, 0x3fb8aa3b, v39
	v_fma_f32 v41, v39, s2, -v40
	v_rndne_f32_e32 v42, v40
	v_fmac_f32_e32 v41, 0x32a5705f, v39
	v_sub_f32_e32 v40, v40, v42
	v_add_f32_e32 v40, v40, v41
	v_exp_f32_e32 v40, v40
	v_cvt_i32_f32_e32 v41, v42
	s_mov_b32 s2, 0xc2ce8ed0
	v_cmp_ngt_f32_e64 s[76:77], s2, v39
	s_mov_b32 s2, 0x42b17218
	v_ldexp_f32 v40, v40, v41
	v_cndmask_b32_e64 v40, 0, v40, s[76:77]
	v_mov_b32_e32 v41, 0x7f800000
	v_cmp_nlt_f32_e64 s[76:77], s2, v39
	v_cndmask_b32_e64 v60, v41, v40, s[76:77]
	v_add_f32_e32 v39, 1.0, v60
	v_add_f32_e32 v40, -1.0, v39
	v_sub_f32_e32 v41, v40, v39
	v_add_f32_e32 v41, 1.0, v41
	v_sub_f32_e32 v40, v60, v40
	v_add_f32_e32 v42, v40, v41
	v_frexp_mant_f32_e32 v43, v39
	s_mov_b32 s2, 0x3f2aaaab
	v_cvt_f64_f32_e32 v[40:41], v39
	v_frexp_exp_i32_f64_e32 v40, v[40:41]
	v_cmp_gt_f32_e64 s[76:77], s2, v43
	v_subbrev_co_u32_e64 v48, s[76:77], 0, v40, s[76:77]
	v_sub_u32_e32 v40, 0, v48
	v_ldexp_f32 v39, v39, v40
	v_ldexp_f32 v40, v42, v40
	v_add_f32_e32 v42, -1.0, v39
	v_add_f32_e32 v41, 1.0, v42
	v_sub_f32_e32 v41, v39, v41
	v_add_f32_e32 v43, v40, v41
	v_add_f32_e32 v41, 1.0, v39
	v_add_f32_e32 v44, -1.0, v41
	v_sub_f32_e32 v39, v39, v44
	v_add_f32_e32 v39, v40, v39
	v_add_f32_e32 v49, v41, v39
	v_rcp_f32_e32 v54, v49
	v_sub_f32_e32 v40, v41, v49
	v_add_f32_e32 v41, v42, v43
	v_add_f32_e32 v39, v39, v40
	v_mul_f32_e32 v56, v41, v54
	v_sub_f32_e32 v40, v42, v41
	v_mul_f32_e32 v42, v49, v56
	v_fma_f32 v44, v56, v49, -v42
	v_fmac_f32_e32 v44, v56, v39
	v_add_f32_e32 v55, v43, v40
	v_add_f32_e32 v40, v42, v44
	v_sub_f32_e32 v43, v41, v40
	v_pk_add_f32 v[46:47], v[40:41], v[42:43] neg_lo:[0,1] neg_hi:[0,1]
	v_mov_b32_e32 v45, v40
	v_pk_add_f32 v[40:41], v[46:47], v[44:45] neg_lo:[0,1] neg_hi:[0,1]
	v_add_f32_e32 v41, v55, v41
	v_add_f32_e32 v40, v40, v41
	;; [unrolled: 1-line block ×3, first 2 shown]
	v_mul_f32_e32 v55, v54, v41
	v_mul_f32_e32 v42, v49, v55
	v_fma_f32 v44, v55, v49, -v42
	v_fmac_f32_e32 v44, v55, v39
	v_sub_f32_e32 v39, v43, v41
	v_add_f32_e32 v39, v40, v39
	v_add_f32_e32 v40, v42, v44
	v_sub_f32_e32 v43, v41, v40
	v_pk_add_f32 v[46:47], v[40:41], v[42:43] neg_lo:[0,1] neg_hi:[0,1]
	v_mov_b32_e32 v45, v40
	v_pk_add_f32 v[40:41], v[46:47], v[44:45] neg_lo:[0,1] neg_hi:[0,1]
	v_add_f32_e32 v39, v39, v41
	v_add_f32_e32 v39, v40, v39
	;; [unrolled: 1-line block ×4, first 2 shown]
	v_sub_f32_e32 v41, v40, v56
	v_mul_f32_e32 v39, v54, v39
	v_sub_f32_e32 v41, v55, v41
	v_add_f32_e32 v39, v41, v39
	v_add_f32_e32 v43, v40, v39
	v_mul_f32_e32 v44, v43, v43
	v_mov_b32_e32 v42, 0x3ecc95a3
	v_fmac_f32_e32 v42, 0x3e9b6dac, v44
	v_mov_b32_e32 v41, 0x3f2aaada
	v_fmac_f32_e32 v41, v44, v42
	v_cvt_f32_i32_e32 v42, v48
	v_sub_f32_e32 v40, v43, v40
	v_sub_f32_e32 v39, v39, v40
	v_ldexp_f32 v45, v43, 1
	v_mul_f32_e32 v43, v43, v44
	v_mov_b32_e32 v40, 0x3f317218
	s_mov_b32 s2, 0x3f317218
	v_pk_mul_f32 v[40:41], v[42:43], v[40:41]
	v_fma_f32 v44, v42, s2, -v40
	v_fmac_f32_e32 v44, 0xb102e308, v42
	v_pk_add_f32 v[42:43], v[40:41], v[44:45]
	v_sub_f32_e32 v45, v43, v45
	v_ldexp_f32 v39, v39, 1
	v_sub_f32_e32 v45, v41, v45
	v_add_f32_e32 v47, v39, v45
	v_mov_b32_e32 v46, v40
	v_pk_add_f32 v[40:41], v[42:43], v[40:41] neg_lo:[0,1] neg_hi:[0,1]
	v_pk_add_f32 v[48:49], v[42:43], v[46:47]
	v_mov_b32_e32 v41, v49
	v_mov_b32_e32 v45, v42
	v_pk_add_f32 v[54:55], v[44:45], v[40:41] neg_lo:[0,1] neg_hi:[0,1]
	v_pk_add_f32 v[40:41], v[44:45], v[40:41]
	v_mov_b32_e32 v44, v41
	v_pk_add_f32 v[56:57], v[44:45], v[42:43] neg_lo:[0,1] neg_hi:[0,1]
	v_mov_b32_e32 v39, v56
	v_pk_add_f32 v[58:59], v[48:49], v[38:39] neg_lo:[0,1] neg_hi:[0,1]
	v_mov_b32_e32 v40, v49
	v_mov_b32_e32 v48, v43
	;; [unrolled: 1-line block ×4, first 2 shown]
	v_pk_add_f32 v[40:41], v[40:41], v[48:49] neg_lo:[0,1] neg_hi:[0,1]
	v_mov_b32_e32 v46, v47
	v_mov_b32_e32 v47, v42
	v_pk_add_f32 v[40:41], v[46:47], v[40:41] neg_lo:[0,1] neg_hi:[0,1]
	v_mov_b32_e32 v58, v54
	v_pk_add_f32 v[42:43], v[58:59], v[40:41]
	v_mov_b32_e32 v46, v43
	v_pk_add_f32 v[46:47], v[42:43], v[46:47]
	v_pk_add_f32 v[44:45], v[44:45], v[46:47]
	v_mov_b32_e32 v43, v44
	v_pk_add_f32 v[48:49], v[42:43], v[54:55] neg_lo:[0,1] neg_hi:[0,1]
	v_mov_b32_e32 v41, v46
	v_sub_f32_e32 v39, v42, v48
	v_pk_add_f32 v[40:41], v[40:41], v[48:49] neg_lo:[0,1] neg_hi:[0,1]
	v_sub_f32_e32 v39, v54, v39
	s_mov_b32 s3, 0x7f800000
	v_add_f32_e32 v39, v40, v39
	s_mov_b32 s2, 0x33800000
	v_add_f32_e32 v39, v39, v41
	v_cmp_eq_f32_e64 s[76:77], s3, v60
	v_cmp_lt_f32_e64 s[80:81], |v60|, s2
	v_add_f32_e32 v39, v44, v39
	s_or_b64 s[76:77], s[76:77], s[80:81]
	v_cndmask_b32_e64 v39, v39, v60, s[76:77]
	v_add_f32_e32 v39, v38, v39
.LBB522_78:
	s_or_b64 exec, exec, s[0:1]
	v_bfe_u32 v38, v39, 16, 1
	v_add3_u32 v38, v39, v38, s78
	v_and_b32_e32 v38, 0xffff0000, v38
	v_cmp_o_f32_e64 s[76:77], v39, v39
	v_cndmask_b32_e64 v40, v36, v38, s[76:77]
	v_and_b32_e32 v13, 0xffff0000, v13
	v_max_f32_e32 v36, v40, v40
	v_max_f32_e32 v38, v13, v13
	v_min_f32_e32 v39, v36, v38
	v_cmp_u_f32_e64 s[78:79], v40, v40
	v_max_f32_e32 v36, v36, v38
	v_cndmask_b32_e64 v39, v39, v40, s[78:79]
	v_cmp_u_f32_e64 s[76:77], v13, v13
	v_cndmask_b32_e64 v36, v36, v40, s[78:79]
	v_cndmask_b32_e64 v39, v39, v13, s[76:77]
	;; [unrolled: 1-line block ×3, first 2 shown]
	v_cmp_neq_f32_e64 s[78:79], v39, v36
	v_cmp_class_f32_e64 s[0:1], v39, s33
	s_or_b64 s[78:79], s[78:79], s[0:1]
	s_and_saveexec_b64 s[0:1], s[78:79]
	s_cbranch_execz .LBB522_80
; %bb.79:
	v_sub_f32_e32 v39, v39, v36
	s_mov_b32 s2, 0x3fb8aa3b
	v_mul_f32_e32 v40, 0x3fb8aa3b, v39
	v_fma_f32 v41, v39, s2, -v40
	v_rndne_f32_e32 v42, v40
	v_fmac_f32_e32 v41, 0x32a5705f, v39
	v_sub_f32_e32 v40, v40, v42
	v_add_f32_e32 v40, v40, v41
	v_exp_f32_e32 v40, v40
	v_cvt_i32_f32_e32 v41, v42
	s_mov_b32 s2, 0xc2ce8ed0
	v_cmp_ngt_f32_e64 s[78:79], s2, v39
	s_mov_b32 s2, 0x42b17218
	v_ldexp_f32 v40, v40, v41
	v_cndmask_b32_e64 v40, 0, v40, s[78:79]
	v_mov_b32_e32 v41, 0x7f800000
	v_cmp_nlt_f32_e64 s[78:79], s2, v39
	v_cndmask_b32_e64 v60, v41, v40, s[78:79]
	v_add_f32_e32 v39, 1.0, v60
	v_add_f32_e32 v40, -1.0, v39
	v_sub_f32_e32 v41, v40, v39
	v_add_f32_e32 v41, 1.0, v41
	v_sub_f32_e32 v40, v60, v40
	v_add_f32_e32 v42, v40, v41
	v_frexp_mant_f32_e32 v43, v39
	s_mov_b32 s2, 0x3f2aaaab
	v_cvt_f64_f32_e32 v[40:41], v39
	v_frexp_exp_i32_f64_e32 v40, v[40:41]
	v_cmp_gt_f32_e64 s[78:79], s2, v43
	v_subbrev_co_u32_e64 v48, s[78:79], 0, v40, s[78:79]
	v_sub_u32_e32 v40, 0, v48
	v_ldexp_f32 v39, v39, v40
	v_ldexp_f32 v40, v42, v40
	v_add_f32_e32 v42, -1.0, v39
	v_add_f32_e32 v41, 1.0, v42
	v_sub_f32_e32 v41, v39, v41
	v_add_f32_e32 v43, v40, v41
	v_add_f32_e32 v41, 1.0, v39
	v_add_f32_e32 v44, -1.0, v41
	v_sub_f32_e32 v39, v39, v44
	v_add_f32_e32 v39, v40, v39
	v_add_f32_e32 v49, v41, v39
	v_rcp_f32_e32 v54, v49
	v_sub_f32_e32 v40, v41, v49
	v_add_f32_e32 v41, v42, v43
	v_add_f32_e32 v39, v39, v40
	v_mul_f32_e32 v56, v41, v54
	v_sub_f32_e32 v40, v42, v41
	v_mul_f32_e32 v42, v49, v56
	v_fma_f32 v44, v56, v49, -v42
	v_fmac_f32_e32 v44, v56, v39
	v_add_f32_e32 v55, v43, v40
	v_add_f32_e32 v40, v42, v44
	v_sub_f32_e32 v43, v41, v40
	v_pk_add_f32 v[46:47], v[40:41], v[42:43] neg_lo:[0,1] neg_hi:[0,1]
	v_mov_b32_e32 v45, v40
	v_pk_add_f32 v[40:41], v[46:47], v[44:45] neg_lo:[0,1] neg_hi:[0,1]
	v_add_f32_e32 v41, v55, v41
	v_add_f32_e32 v40, v40, v41
	;; [unrolled: 1-line block ×3, first 2 shown]
	v_mul_f32_e32 v55, v54, v41
	v_mul_f32_e32 v42, v49, v55
	v_fma_f32 v44, v55, v49, -v42
	v_fmac_f32_e32 v44, v55, v39
	v_sub_f32_e32 v39, v43, v41
	v_add_f32_e32 v39, v40, v39
	v_add_f32_e32 v40, v42, v44
	v_sub_f32_e32 v43, v41, v40
	v_pk_add_f32 v[46:47], v[40:41], v[42:43] neg_lo:[0,1] neg_hi:[0,1]
	v_mov_b32_e32 v45, v40
	v_pk_add_f32 v[40:41], v[46:47], v[44:45] neg_lo:[0,1] neg_hi:[0,1]
	v_add_f32_e32 v39, v39, v41
	v_add_f32_e32 v39, v40, v39
	;; [unrolled: 1-line block ×4, first 2 shown]
	v_sub_f32_e32 v41, v40, v56
	v_mul_f32_e32 v39, v54, v39
	v_sub_f32_e32 v41, v55, v41
	v_add_f32_e32 v39, v41, v39
	v_add_f32_e32 v43, v40, v39
	v_mul_f32_e32 v44, v43, v43
	v_mov_b32_e32 v42, 0x3ecc95a3
	v_fmac_f32_e32 v42, 0x3e9b6dac, v44
	v_mov_b32_e32 v41, 0x3f2aaada
	v_fmac_f32_e32 v41, v44, v42
	v_cvt_f32_i32_e32 v42, v48
	v_sub_f32_e32 v40, v43, v40
	v_sub_f32_e32 v39, v39, v40
	v_ldexp_f32 v45, v43, 1
	v_mul_f32_e32 v43, v43, v44
	v_mov_b32_e32 v40, 0x3f317218
	s_mov_b32 s2, 0x3f317218
	v_pk_mul_f32 v[40:41], v[42:43], v[40:41]
	v_fma_f32 v44, v42, s2, -v40
	v_fmac_f32_e32 v44, 0xb102e308, v42
	v_pk_add_f32 v[42:43], v[40:41], v[44:45]
	v_sub_f32_e32 v45, v43, v45
	v_ldexp_f32 v39, v39, 1
	v_sub_f32_e32 v45, v41, v45
	v_add_f32_e32 v47, v39, v45
	v_mov_b32_e32 v46, v40
	v_pk_add_f32 v[40:41], v[42:43], v[40:41] neg_lo:[0,1] neg_hi:[0,1]
	v_pk_add_f32 v[48:49], v[42:43], v[46:47]
	v_mov_b32_e32 v41, v49
	v_mov_b32_e32 v45, v42
	v_pk_add_f32 v[54:55], v[44:45], v[40:41] neg_lo:[0,1] neg_hi:[0,1]
	v_pk_add_f32 v[40:41], v[44:45], v[40:41]
	v_mov_b32_e32 v44, v41
	v_pk_add_f32 v[56:57], v[44:45], v[42:43] neg_lo:[0,1] neg_hi:[0,1]
	v_mov_b32_e32 v39, v56
	v_pk_add_f32 v[58:59], v[48:49], v[38:39] neg_lo:[0,1] neg_hi:[0,1]
	v_mov_b32_e32 v40, v49
	v_mov_b32_e32 v48, v43
	;; [unrolled: 1-line block ×4, first 2 shown]
	v_pk_add_f32 v[40:41], v[40:41], v[48:49] neg_lo:[0,1] neg_hi:[0,1]
	v_mov_b32_e32 v46, v47
	v_mov_b32_e32 v47, v42
	v_pk_add_f32 v[40:41], v[46:47], v[40:41] neg_lo:[0,1] neg_hi:[0,1]
	v_mov_b32_e32 v58, v54
	v_pk_add_f32 v[42:43], v[58:59], v[40:41]
	v_mov_b32_e32 v46, v43
	v_pk_add_f32 v[46:47], v[42:43], v[46:47]
	v_pk_add_f32 v[44:45], v[44:45], v[46:47]
	v_mov_b32_e32 v43, v44
	v_pk_add_f32 v[48:49], v[42:43], v[54:55] neg_lo:[0,1] neg_hi:[0,1]
	v_mov_b32_e32 v41, v46
	v_sub_f32_e32 v39, v42, v48
	v_pk_add_f32 v[40:41], v[40:41], v[48:49] neg_lo:[0,1] neg_hi:[0,1]
	v_sub_f32_e32 v39, v54, v39
	s_mov_b32 s3, 0x7f800000
	v_add_f32_e32 v39, v40, v39
	s_mov_b32 s2, 0x33800000
	v_add_f32_e32 v39, v39, v41
	v_cmp_eq_f32_e64 s[78:79], s3, v60
	v_cmp_lt_f32_e64 s[80:81], |v60|, s2
	v_add_f32_e32 v39, v44, v39
	s_or_b64 s[78:79], s[78:79], s[80:81]
	v_cndmask_b32_e64 v39, v39, v60, s[78:79]
	v_add_f32_e32 v40, v36, v39
.LBB522_80:
	s_or_b64 exec, exec, s[0:1]
	v_bfe_u32 v36, v40, 16, 1
	s_movk_i32 s82, 0x7fff
	v_add3_u32 v36, v40, v36, s82
	v_and_b32_e32 v36, 0xffff0000, v36
	v_mov_b32_e32 v39, 0x7fc00000
	v_cmp_o_f32_e64 s[78:79], v40, v40
	v_cndmask_b32_e64 v42, v39, v36, s[78:79]
	v_lshlrev_b32_e32 v36, 16, v6
	v_max_f32_e32 v41, v42, v42
	v_max_f32_e32 v40, v36, v36
	v_min_f32_e32 v43, v41, v40
	v_cmp_u_f32_e64 s[80:81], v42, v42
	v_max_f32_e32 v41, v41, v40
	v_cndmask_b32_e64 v43, v43, v42, s[80:81]
	v_cmp_u_f32_e64 s[78:79], v36, v36
	v_cndmask_b32_e64 v41, v41, v42, s[80:81]
	v_cndmask_b32_e64 v43, v43, v36, s[78:79]
	;; [unrolled: 1-line block ×3, first 2 shown]
	v_cmp_neq_f32_e64 s[80:81], v43, v41
	v_cmp_class_f32_e64 s[0:1], v43, s33
	s_or_b64 s[80:81], s[80:81], s[0:1]
	s_and_saveexec_b64 s[0:1], s[80:81]
	s_cbranch_execz .LBB522_82
; %bb.81:
	v_sub_f32_e32 v42, v43, v41
	s_mov_b32 s2, 0x3fb8aa3b
	v_mul_f32_e32 v43, 0x3fb8aa3b, v42
	v_fma_f32 v44, v42, s2, -v43
	v_rndne_f32_e32 v45, v43
	v_fmac_f32_e32 v44, 0x32a5705f, v42
	v_sub_f32_e32 v43, v43, v45
	v_add_f32_e32 v43, v43, v44
	v_exp_f32_e32 v43, v43
	v_cvt_i32_f32_e32 v44, v45
	s_mov_b32 s2, 0xc2ce8ed0
	v_cmp_ngt_f32_e64 s[80:81], s2, v42
	s_mov_b32 s2, 0x42b17218
	v_ldexp_f32 v43, v43, v44
	v_cndmask_b32_e64 v43, 0, v43, s[80:81]
	v_mov_b32_e32 v44, 0x7f800000
	v_cmp_nlt_f32_e64 s[80:81], s2, v42
	v_cndmask_b32_e64 v62, v44, v43, s[80:81]
	v_add_f32_e32 v44, 1.0, v62
	v_add_f32_e32 v42, -1.0, v44
	v_sub_f32_e32 v43, v42, v44
	v_add_f32_e32 v43, 1.0, v43
	v_sub_f32_e32 v42, v62, v42
	v_add_f32_e32 v45, v42, v43
	v_frexp_mant_f32_e32 v46, v44
	s_mov_b32 s2, 0x3f2aaaab
	v_cvt_f64_f32_e32 v[42:43], v44
	v_frexp_exp_i32_f64_e32 v42, v[42:43]
	v_cmp_gt_f32_e64 s[80:81], s2, v46
	v_subbrev_co_u32_e64 v54, s[80:81], 0, v42, s[80:81]
	v_sub_u32_e32 v42, 0, v54
	v_ldexp_f32 v43, v44, v42
	v_add_f32_e32 v44, -1.0, v43
	v_add_f32_e32 v46, 1.0, v43
	v_ldexp_f32 v42, v45, v42
	v_add_f32_e32 v45, 1.0, v44
	v_add_f32_e32 v47, -1.0, v46
	v_sub_f32_e32 v45, v43, v45
	v_sub_f32_e32 v43, v43, v47
	v_add_f32_e32 v45, v42, v45
	v_add_f32_e32 v42, v42, v43
	;; [unrolled: 1-line block ×3, first 2 shown]
	v_rcp_f32_e32 v57, v55
	v_sub_f32_e32 v43, v46, v55
	v_add_f32_e32 v56, v42, v43
	v_add_f32_e32 v43, v44, v45
	v_mul_f32_e32 v59, v43, v57
	v_sub_f32_e32 v42, v44, v43
	v_mul_f32_e32 v44, v55, v59
	v_fma_f32 v46, v59, v55, -v44
	v_fmac_f32_e32 v46, v59, v56
	v_add_f32_e32 v58, v45, v42
	v_add_f32_e32 v42, v44, v46
	v_sub_f32_e32 v45, v43, v42
	v_pk_add_f32 v[48:49], v[42:43], v[44:45] neg_lo:[0,1] neg_hi:[0,1]
	v_mov_b32_e32 v47, v42
	v_pk_add_f32 v[42:43], v[48:49], v[46:47] neg_lo:[0,1] neg_hi:[0,1]
	v_add_f32_e32 v43, v58, v43
	v_add_f32_e32 v42, v42, v43
	v_add_f32_e32 v43, v45, v42
	v_mul_f32_e32 v58, v57, v43
	v_mul_f32_e32 v44, v55, v58
	v_fma_f32 v46, v58, v55, -v44
	v_fmac_f32_e32 v46, v58, v56
	v_sub_f32_e32 v45, v45, v43
	v_add_f32_e32 v55, v42, v45
	v_add_f32_e32 v42, v44, v46
	v_sub_f32_e32 v45, v43, v42
	v_pk_add_f32 v[48:49], v[42:43], v[44:45] neg_lo:[0,1] neg_hi:[0,1]
	v_mov_b32_e32 v47, v42
	v_pk_add_f32 v[42:43], v[48:49], v[46:47] neg_lo:[0,1] neg_hi:[0,1]
	v_add_f32_e32 v43, v55, v43
	v_add_f32_e32 v42, v42, v43
	;; [unrolled: 1-line block ×4, first 2 shown]
	v_sub_f32_e32 v43, v45, v59
	v_mul_f32_e32 v42, v57, v42
	v_sub_f32_e32 v43, v58, v43
	v_add_f32_e32 v42, v43, v42
	v_add_f32_e32 v46, v45, v42
	v_mul_f32_e32 v48, v46, v46
	v_mov_b32_e32 v44, 0x3ecc95a3
	v_fmac_f32_e32 v44, 0x3e9b6dac, v48
	v_mov_b32_e32 v43, 0x3f2aaada
	v_fmac_f32_e32 v43, v48, v44
	v_cvt_f32_i32_e32 v44, v54
	v_sub_f32_e32 v45, v46, v45
	v_sub_f32_e32 v42, v42, v45
	v_ldexp_f32 v49, v42, 1
	v_mul_f32_e32 v45, v46, v48
	v_mov_b32_e32 v42, 0x3f317218
	s_mov_b32 s2, 0x3f317218
	v_pk_mul_f32 v[42:43], v[44:45], v[42:43]
	v_ldexp_f32 v47, v46, 1
	v_fma_f32 v46, v44, s2, -v42
	v_fmac_f32_e32 v46, 0xb102e308, v44
	v_pk_add_f32 v[44:45], v[42:43], v[46:47]
	v_sub_f32_e32 v47, v45, v47
	v_sub_f32_e32 v47, v43, v47
	v_add_f32_e32 v49, v49, v47
	v_mov_b32_e32 v48, v42
	v_pk_add_f32 v[42:43], v[44:45], v[42:43] neg_lo:[0,1] neg_hi:[0,1]
	v_pk_add_f32 v[54:55], v[44:45], v[48:49]
	v_mov_b32_e32 v43, v55
	v_mov_b32_e32 v47, v44
	v_pk_add_f32 v[56:57], v[46:47], v[42:43] neg_lo:[0,1] neg_hi:[0,1]
	v_pk_add_f32 v[42:43], v[46:47], v[42:43]
	v_mov_b32_e32 v46, v43
	v_pk_add_f32 v[58:59], v[46:47], v[44:45] neg_lo:[0,1] neg_hi:[0,1]
	v_mov_b32_e32 v47, v58
	v_pk_add_f32 v[60:61], v[54:55], v[46:47] neg_lo:[0,1] neg_hi:[0,1]
	v_mov_b32_e32 v42, v55
	v_mov_b32_e32 v54, v45
	;; [unrolled: 1-line block ×4, first 2 shown]
	v_pk_add_f32 v[42:43], v[42:43], v[54:55] neg_lo:[0,1] neg_hi:[0,1]
	v_mov_b32_e32 v48, v49
	v_mov_b32_e32 v49, v44
	v_pk_add_f32 v[42:43], v[48:49], v[42:43] neg_lo:[0,1] neg_hi:[0,1]
	v_mov_b32_e32 v60, v56
	v_pk_add_f32 v[44:45], v[60:61], v[42:43]
	v_mov_b32_e32 v48, v45
	v_pk_add_f32 v[48:49], v[44:45], v[48:49]
	v_pk_add_f32 v[46:47], v[46:47], v[48:49]
	v_mov_b32_e32 v45, v46
	v_pk_add_f32 v[54:55], v[44:45], v[56:57] neg_lo:[0,1] neg_hi:[0,1]
	v_mov_b32_e32 v43, v48
	v_sub_f32_e32 v44, v44, v54
	v_pk_add_f32 v[42:43], v[42:43], v[54:55] neg_lo:[0,1] neg_hi:[0,1]
	v_sub_f32_e32 v44, v56, v44
	s_mov_b32 s3, 0x7f800000
	v_add_f32_e32 v42, v42, v44
	s_mov_b32 s2, 0x33800000
	v_add_f32_e32 v42, v42, v43
	v_cmp_eq_f32_e64 s[80:81], s3, v62
	v_cmp_lt_f32_e64 s[84:85], |v62|, s2
	v_add_f32_e32 v42, v46, v42
	s_or_b64 s[80:81], s[80:81], s[84:85]
	v_cndmask_b32_e64 v42, v42, v62, s[80:81]
	v_add_f32_e32 v42, v41, v42
.LBB522_82:
	s_or_b64 exec, exec, s[0:1]
	v_bfe_u32 v41, v42, 16, 1
	v_add3_u32 v41, v42, v41, s82
	v_and_b32_e32 v41, 0xffff0000, v41
	v_cmp_o_f32_e64 s[80:81], v42, v42
	v_cndmask_b32_e64 v43, v39, v41, s[80:81]
	v_and_b32_e32 v6, 0xffff0000, v6
	v_max_f32_e32 v39, v43, v43
	v_max_f32_e32 v41, v6, v6
	v_min_f32_e32 v42, v39, v41
	v_cmp_u_f32_e64 s[82:83], v43, v43
	v_max_f32_e32 v39, v39, v41
	v_cndmask_b32_e64 v42, v42, v43, s[82:83]
	v_cmp_u_f32_e64 s[80:81], v6, v6
	v_cndmask_b32_e64 v39, v39, v43, s[82:83]
	v_cndmask_b32_e64 v42, v42, v6, s[80:81]
	;; [unrolled: 1-line block ×3, first 2 shown]
	v_cmp_neq_f32_e64 s[82:83], v42, v39
	v_cmp_class_f32_e64 s[0:1], v42, s33
	s_or_b64 s[82:83], s[82:83], s[0:1]
	s_and_saveexec_b64 s[0:1], s[82:83]
	s_cbranch_execz .LBB522_84
; %bb.83:
	v_sub_f32_e32 v42, v42, v39
	s_mov_b32 s2, 0x3fb8aa3b
	v_mul_f32_e32 v43, 0x3fb8aa3b, v42
	v_fma_f32 v44, v42, s2, -v43
	v_rndne_f32_e32 v45, v43
	v_fmac_f32_e32 v44, 0x32a5705f, v42
	v_sub_f32_e32 v43, v43, v45
	v_add_f32_e32 v43, v43, v44
	v_exp_f32_e32 v43, v43
	v_cvt_i32_f32_e32 v44, v45
	s_mov_b32 s2, 0xc2ce8ed0
	v_cmp_ngt_f32_e64 s[82:83], s2, v42
	s_mov_b32 s2, 0x42b17218
	v_ldexp_f32 v43, v43, v44
	v_cndmask_b32_e64 v43, 0, v43, s[82:83]
	v_mov_b32_e32 v44, 0x7f800000
	v_cmp_nlt_f32_e64 s[82:83], s2, v42
	v_cndmask_b32_e64 v62, v44, v43, s[82:83]
	v_add_f32_e32 v44, 1.0, v62
	v_add_f32_e32 v42, -1.0, v44
	v_sub_f32_e32 v43, v42, v44
	v_add_f32_e32 v43, 1.0, v43
	v_sub_f32_e32 v42, v62, v42
	v_add_f32_e32 v45, v42, v43
	v_frexp_mant_f32_e32 v46, v44
	s_mov_b32 s2, 0x3f2aaaab
	v_cvt_f64_f32_e32 v[42:43], v44
	v_frexp_exp_i32_f64_e32 v42, v[42:43]
	v_cmp_gt_f32_e64 s[82:83], s2, v46
	v_subbrev_co_u32_e64 v54, s[82:83], 0, v42, s[82:83]
	v_sub_u32_e32 v42, 0, v54
	v_ldexp_f32 v43, v44, v42
	v_add_f32_e32 v44, -1.0, v43
	v_add_f32_e32 v46, 1.0, v43
	v_ldexp_f32 v42, v45, v42
	v_add_f32_e32 v45, 1.0, v44
	v_add_f32_e32 v47, -1.0, v46
	v_sub_f32_e32 v45, v43, v45
	v_sub_f32_e32 v43, v43, v47
	v_add_f32_e32 v45, v42, v45
	v_add_f32_e32 v42, v42, v43
	;; [unrolled: 1-line block ×3, first 2 shown]
	v_rcp_f32_e32 v57, v55
	v_sub_f32_e32 v43, v46, v55
	v_add_f32_e32 v56, v42, v43
	v_add_f32_e32 v43, v44, v45
	v_mul_f32_e32 v59, v43, v57
	v_sub_f32_e32 v42, v44, v43
	v_mul_f32_e32 v44, v55, v59
	v_fma_f32 v46, v59, v55, -v44
	v_fmac_f32_e32 v46, v59, v56
	v_add_f32_e32 v58, v45, v42
	v_add_f32_e32 v42, v44, v46
	v_sub_f32_e32 v45, v43, v42
	v_pk_add_f32 v[48:49], v[42:43], v[44:45] neg_lo:[0,1] neg_hi:[0,1]
	v_mov_b32_e32 v47, v42
	v_pk_add_f32 v[42:43], v[48:49], v[46:47] neg_lo:[0,1] neg_hi:[0,1]
	v_add_f32_e32 v43, v58, v43
	v_add_f32_e32 v42, v42, v43
	;; [unrolled: 1-line block ×3, first 2 shown]
	v_mul_f32_e32 v58, v57, v43
	v_mul_f32_e32 v44, v55, v58
	v_fma_f32 v46, v58, v55, -v44
	v_fmac_f32_e32 v46, v58, v56
	v_sub_f32_e32 v45, v45, v43
	v_add_f32_e32 v55, v42, v45
	v_add_f32_e32 v42, v44, v46
	v_sub_f32_e32 v45, v43, v42
	v_pk_add_f32 v[48:49], v[42:43], v[44:45] neg_lo:[0,1] neg_hi:[0,1]
	v_mov_b32_e32 v47, v42
	v_pk_add_f32 v[42:43], v[48:49], v[46:47] neg_lo:[0,1] neg_hi:[0,1]
	v_add_f32_e32 v43, v55, v43
	v_add_f32_e32 v42, v42, v43
	;; [unrolled: 1-line block ×4, first 2 shown]
	v_sub_f32_e32 v43, v45, v59
	v_mul_f32_e32 v42, v57, v42
	v_sub_f32_e32 v43, v58, v43
	v_add_f32_e32 v42, v43, v42
	v_add_f32_e32 v46, v45, v42
	v_mul_f32_e32 v48, v46, v46
	v_mov_b32_e32 v44, 0x3ecc95a3
	v_fmac_f32_e32 v44, 0x3e9b6dac, v48
	v_mov_b32_e32 v43, 0x3f2aaada
	v_fmac_f32_e32 v43, v48, v44
	v_cvt_f32_i32_e32 v44, v54
	v_sub_f32_e32 v45, v46, v45
	v_sub_f32_e32 v42, v42, v45
	v_ldexp_f32 v49, v42, 1
	v_mul_f32_e32 v45, v46, v48
	v_mov_b32_e32 v42, 0x3f317218
	s_mov_b32 s2, 0x3f317218
	v_pk_mul_f32 v[42:43], v[44:45], v[42:43]
	v_ldexp_f32 v47, v46, 1
	v_fma_f32 v46, v44, s2, -v42
	v_fmac_f32_e32 v46, 0xb102e308, v44
	v_pk_add_f32 v[44:45], v[42:43], v[46:47]
	v_sub_f32_e32 v47, v45, v47
	v_sub_f32_e32 v47, v43, v47
	v_add_f32_e32 v49, v49, v47
	v_mov_b32_e32 v48, v42
	v_pk_add_f32 v[42:43], v[44:45], v[42:43] neg_lo:[0,1] neg_hi:[0,1]
	v_pk_add_f32 v[54:55], v[44:45], v[48:49]
	v_mov_b32_e32 v43, v55
	v_mov_b32_e32 v47, v44
	v_pk_add_f32 v[56:57], v[46:47], v[42:43] neg_lo:[0,1] neg_hi:[0,1]
	v_pk_add_f32 v[42:43], v[46:47], v[42:43]
	v_mov_b32_e32 v46, v43
	v_pk_add_f32 v[58:59], v[46:47], v[44:45] neg_lo:[0,1] neg_hi:[0,1]
	v_mov_b32_e32 v47, v58
	v_pk_add_f32 v[60:61], v[54:55], v[46:47] neg_lo:[0,1] neg_hi:[0,1]
	v_mov_b32_e32 v42, v55
	v_mov_b32_e32 v54, v45
	;; [unrolled: 1-line block ×4, first 2 shown]
	v_pk_add_f32 v[42:43], v[42:43], v[54:55] neg_lo:[0,1] neg_hi:[0,1]
	v_mov_b32_e32 v48, v49
	v_mov_b32_e32 v49, v44
	v_pk_add_f32 v[42:43], v[48:49], v[42:43] neg_lo:[0,1] neg_hi:[0,1]
	v_mov_b32_e32 v60, v56
	v_pk_add_f32 v[44:45], v[60:61], v[42:43]
	v_mov_b32_e32 v48, v45
	v_pk_add_f32 v[48:49], v[44:45], v[48:49]
	v_pk_add_f32 v[46:47], v[46:47], v[48:49]
	v_mov_b32_e32 v45, v46
	v_pk_add_f32 v[54:55], v[44:45], v[56:57] neg_lo:[0,1] neg_hi:[0,1]
	v_mov_b32_e32 v43, v48
	v_sub_f32_e32 v44, v44, v54
	v_pk_add_f32 v[42:43], v[42:43], v[54:55] neg_lo:[0,1] neg_hi:[0,1]
	v_sub_f32_e32 v44, v56, v44
	s_mov_b32 s3, 0x7f800000
	v_add_f32_e32 v42, v42, v44
	s_mov_b32 s2, 0x33800000
	v_add_f32_e32 v42, v42, v43
	v_cmp_eq_f32_e64 s[82:83], s3, v62
	v_cmp_lt_f32_e64 s[84:85], |v62|, s2
	v_add_f32_e32 v42, v46, v42
	s_or_b64 s[82:83], s[82:83], s[84:85]
	v_cndmask_b32_e64 v42, v42, v62, s[82:83]
	v_add_f32_e32 v43, v39, v42
.LBB522_84:
	s_or_b64 exec, exec, s[0:1]
	v_bfe_u32 v39, v43, 16, 1
	s_movk_i32 s86, 0x7fff
	v_add3_u32 v39, v43, v39, s86
	v_and_b32_e32 v39, 0xffff0000, v39
	v_mov_b32_e32 v42, 0x7fc00000
	v_cmp_o_f32_e64 s[82:83], v43, v43
	v_cndmask_b32_e64 v45, v42, v39, s[82:83]
	v_lshlrev_b32_e32 v39, 16, v7
	v_max_f32_e32 v44, v45, v45
	v_max_f32_e32 v43, v39, v39
	v_min_f32_e32 v46, v44, v43
	v_cmp_u_f32_e64 s[84:85], v45, v45
	v_max_f32_e32 v44, v44, v43
	v_cndmask_b32_e64 v46, v46, v45, s[84:85]
	v_cmp_u_f32_e64 s[82:83], v39, v39
	v_cndmask_b32_e64 v44, v44, v45, s[84:85]
	v_cndmask_b32_e64 v46, v46, v39, s[82:83]
	v_cndmask_b32_e64 v44, v44, v39, s[82:83]
	v_cmp_neq_f32_e64 s[84:85], v46, v44
	v_cmp_class_f32_e64 s[0:1], v46, s33
	s_or_b64 s[84:85], s[84:85], s[0:1]
	s_and_saveexec_b64 s[0:1], s[84:85]
	s_cbranch_execz .LBB522_86
; %bb.85:
	v_sub_f32_e32 v45, v46, v44
	s_mov_b32 s2, 0x3fb8aa3b
	v_mul_f32_e32 v46, 0x3fb8aa3b, v45
	v_fma_f32 v47, v45, s2, -v46
	v_rndne_f32_e32 v48, v46
	v_fmac_f32_e32 v47, 0x32a5705f, v45
	v_sub_f32_e32 v46, v46, v48
	v_add_f32_e32 v46, v46, v47
	v_exp_f32_e32 v46, v46
	v_cvt_i32_f32_e32 v47, v48
	s_mov_b32 s2, 0xc2ce8ed0
	v_cmp_ngt_f32_e64 s[84:85], s2, v45
	s_mov_b32 s2, 0x42b17218
	v_ldexp_f32 v46, v46, v47
	v_cndmask_b32_e64 v46, 0, v46, s[84:85]
	v_mov_b32_e32 v47, 0x7f800000
	v_cmp_nlt_f32_e64 s[84:85], s2, v45
	v_cndmask_b32_e64 v66, v47, v46, s[84:85]
	v_add_f32_e32 v45, 1.0, v66
	v_add_f32_e32 v46, -1.0, v45
	v_sub_f32_e32 v47, v46, v45
	v_add_f32_e32 v47, 1.0, v47
	v_sub_f32_e32 v46, v66, v46
	v_add_f32_e32 v48, v46, v47
	v_frexp_mant_f32_e32 v49, v45
	s_mov_b32 s2, 0x3f2aaaab
	v_cvt_f64_f32_e32 v[46:47], v45
	v_frexp_exp_i32_f64_e32 v46, v[46:47]
	v_cmp_gt_f32_e64 s[84:85], s2, v49
	v_subbrev_co_u32_e64 v58, s[84:85], 0, v46, s[84:85]
	v_sub_u32_e32 v46, 0, v58
	v_ldexp_f32 v45, v45, v46
	v_ldexp_f32 v46, v48, v46
	v_add_f32_e32 v48, -1.0, v45
	v_add_f32_e32 v47, 1.0, v48
	v_sub_f32_e32 v47, v45, v47
	v_add_f32_e32 v49, v46, v47
	v_add_f32_e32 v47, 1.0, v45
	v_add_f32_e32 v54, -1.0, v47
	v_sub_f32_e32 v45, v45, v54
	v_add_f32_e32 v45, v46, v45
	v_add_f32_e32 v59, v47, v45
	v_rcp_f32_e32 v60, v59
	v_sub_f32_e32 v46, v47, v59
	v_add_f32_e32 v47, v48, v49
	v_add_f32_e32 v45, v45, v46
	v_mul_f32_e32 v62, v47, v60
	v_sub_f32_e32 v46, v48, v47
	v_mul_f32_e32 v48, v59, v62
	v_fma_f32 v54, v62, v59, -v48
	v_fmac_f32_e32 v54, v62, v45
	v_add_f32_e32 v61, v49, v46
	v_add_f32_e32 v46, v48, v54
	v_sub_f32_e32 v49, v47, v46
	v_pk_add_f32 v[56:57], v[46:47], v[48:49] neg_lo:[0,1] neg_hi:[0,1]
	v_mov_b32_e32 v55, v46
	v_pk_add_f32 v[46:47], v[56:57], v[54:55] neg_lo:[0,1] neg_hi:[0,1]
	v_add_f32_e32 v47, v61, v47
	v_add_f32_e32 v46, v46, v47
	;; [unrolled: 1-line block ×3, first 2 shown]
	v_mul_f32_e32 v61, v60, v47
	v_mul_f32_e32 v48, v59, v61
	v_fma_f32 v54, v61, v59, -v48
	v_fmac_f32_e32 v54, v61, v45
	v_sub_f32_e32 v45, v49, v47
	v_add_f32_e32 v45, v46, v45
	v_add_f32_e32 v46, v48, v54
	v_sub_f32_e32 v49, v47, v46
	v_pk_add_f32 v[56:57], v[46:47], v[48:49] neg_lo:[0,1] neg_hi:[0,1]
	v_mov_b32_e32 v55, v46
	v_pk_add_f32 v[46:47], v[56:57], v[54:55] neg_lo:[0,1] neg_hi:[0,1]
	v_add_f32_e32 v45, v45, v47
	v_add_f32_e32 v45, v46, v45
	;; [unrolled: 1-line block ×4, first 2 shown]
	v_sub_f32_e32 v47, v46, v62
	v_mul_f32_e32 v45, v60, v45
	v_sub_f32_e32 v47, v61, v47
	v_add_f32_e32 v45, v47, v45
	v_add_f32_e32 v49, v46, v45
	v_mul_f32_e32 v54, v49, v49
	v_mov_b32_e32 v48, 0x3ecc95a3
	v_fmac_f32_e32 v48, 0x3e9b6dac, v54
	v_mov_b32_e32 v47, 0x3f2aaada
	v_fmac_f32_e32 v47, v54, v48
	v_cvt_f32_i32_e32 v48, v58
	v_sub_f32_e32 v46, v49, v46
	v_sub_f32_e32 v45, v45, v46
	v_ldexp_f32 v55, v49, 1
	v_mul_f32_e32 v49, v49, v54
	v_mov_b32_e32 v46, 0x3f317218
	s_mov_b32 s2, 0x3f317218
	v_pk_mul_f32 v[46:47], v[48:49], v[46:47]
	v_fma_f32 v54, v48, s2, -v46
	v_fmac_f32_e32 v54, 0xb102e308, v48
	v_pk_add_f32 v[48:49], v[46:47], v[54:55]
	v_sub_f32_e32 v55, v49, v55
	v_ldexp_f32 v45, v45, 1
	v_sub_f32_e32 v55, v47, v55
	v_add_f32_e32 v57, v45, v55
	v_mov_b32_e32 v56, v46
	v_pk_add_f32 v[46:47], v[48:49], v[46:47] neg_lo:[0,1] neg_hi:[0,1]
	v_pk_add_f32 v[58:59], v[48:49], v[56:57]
	v_mov_b32_e32 v47, v59
	v_mov_b32_e32 v55, v48
	v_pk_add_f32 v[60:61], v[54:55], v[46:47] neg_lo:[0,1] neg_hi:[0,1]
	v_pk_add_f32 v[46:47], v[54:55], v[46:47]
	v_mov_b32_e32 v54, v47
	v_pk_add_f32 v[62:63], v[54:55], v[48:49] neg_lo:[0,1] neg_hi:[0,1]
	v_mov_b32_e32 v45, v62
	v_pk_add_f32 v[64:65], v[58:59], v[44:45] neg_lo:[0,1] neg_hi:[0,1]
	v_mov_b32_e32 v46, v59
	v_mov_b32_e32 v58, v49
	;; [unrolled: 1-line block ×4, first 2 shown]
	v_pk_add_f32 v[46:47], v[46:47], v[58:59] neg_lo:[0,1] neg_hi:[0,1]
	v_mov_b32_e32 v56, v57
	v_mov_b32_e32 v57, v48
	v_pk_add_f32 v[46:47], v[56:57], v[46:47] neg_lo:[0,1] neg_hi:[0,1]
	v_mov_b32_e32 v64, v60
	v_pk_add_f32 v[48:49], v[64:65], v[46:47]
	v_mov_b32_e32 v56, v49
	v_pk_add_f32 v[56:57], v[48:49], v[56:57]
	v_pk_add_f32 v[54:55], v[54:55], v[56:57]
	v_mov_b32_e32 v49, v54
	v_pk_add_f32 v[58:59], v[48:49], v[60:61] neg_lo:[0,1] neg_hi:[0,1]
	v_mov_b32_e32 v47, v56
	v_sub_f32_e32 v45, v48, v58
	v_pk_add_f32 v[46:47], v[46:47], v[58:59] neg_lo:[0,1] neg_hi:[0,1]
	v_sub_f32_e32 v45, v60, v45
	s_mov_b32 s3, 0x7f800000
	v_add_f32_e32 v45, v46, v45
	s_mov_b32 s2, 0x33800000
	v_add_f32_e32 v45, v45, v47
	v_cmp_eq_f32_e64 s[84:85], s3, v66
	v_cmp_lt_f32_e64 s[88:89], |v66|, s2
	v_add_f32_e32 v45, v54, v45
	s_or_b64 s[84:85], s[84:85], s[88:89]
	v_cndmask_b32_e64 v45, v45, v66, s[84:85]
	v_add_f32_e32 v45, v44, v45
.LBB522_86:
	s_or_b64 exec, exec, s[0:1]
	v_bfe_u32 v44, v45, 16, 1
	v_add3_u32 v44, v45, v44, s86
	v_and_b32_e32 v44, 0xffff0000, v44
	v_cmp_o_f32_e64 s[84:85], v45, v45
	v_cndmask_b32_e64 v46, v42, v44, s[84:85]
	v_and_b32_e32 v7, 0xffff0000, v7
	v_max_f32_e32 v42, v46, v46
	v_max_f32_e32 v44, v7, v7
	v_min_f32_e32 v45, v42, v44
	v_cmp_u_f32_e64 s[86:87], v46, v46
	v_max_f32_e32 v42, v42, v44
	v_cndmask_b32_e64 v45, v45, v46, s[86:87]
	v_cmp_u_f32_e64 s[84:85], v7, v7
	v_cndmask_b32_e64 v42, v42, v46, s[86:87]
	v_cndmask_b32_e64 v45, v45, v7, s[84:85]
	;; [unrolled: 1-line block ×3, first 2 shown]
	v_cmp_neq_f32_e64 s[86:87], v45, v42
	v_cmp_class_f32_e64 s[0:1], v45, s33
	s_or_b64 s[86:87], s[86:87], s[0:1]
	s_and_saveexec_b64 s[0:1], s[86:87]
	s_cbranch_execz .LBB522_88
; %bb.87:
	v_sub_f32_e32 v45, v45, v42
	s_mov_b32 s2, 0x3fb8aa3b
	v_mul_f32_e32 v46, 0x3fb8aa3b, v45
	v_fma_f32 v47, v45, s2, -v46
	v_rndne_f32_e32 v48, v46
	v_fmac_f32_e32 v47, 0x32a5705f, v45
	v_sub_f32_e32 v46, v46, v48
	v_add_f32_e32 v46, v46, v47
	v_exp_f32_e32 v46, v46
	v_cvt_i32_f32_e32 v47, v48
	s_mov_b32 s2, 0xc2ce8ed0
	v_cmp_ngt_f32_e64 s[86:87], s2, v45
	s_mov_b32 s2, 0x42b17218
	v_ldexp_f32 v46, v46, v47
	v_cndmask_b32_e64 v46, 0, v46, s[86:87]
	v_mov_b32_e32 v47, 0x7f800000
	v_cmp_nlt_f32_e64 s[86:87], s2, v45
	v_cndmask_b32_e64 v66, v47, v46, s[86:87]
	v_add_f32_e32 v45, 1.0, v66
	v_add_f32_e32 v46, -1.0, v45
	v_sub_f32_e32 v47, v46, v45
	v_add_f32_e32 v47, 1.0, v47
	v_sub_f32_e32 v46, v66, v46
	v_add_f32_e32 v48, v46, v47
	v_frexp_mant_f32_e32 v49, v45
	s_mov_b32 s2, 0x3f2aaaab
	v_cvt_f64_f32_e32 v[46:47], v45
	v_frexp_exp_i32_f64_e32 v46, v[46:47]
	v_cmp_gt_f32_e64 s[86:87], s2, v49
	v_subbrev_co_u32_e64 v58, s[86:87], 0, v46, s[86:87]
	v_sub_u32_e32 v46, 0, v58
	v_ldexp_f32 v45, v45, v46
	v_ldexp_f32 v46, v48, v46
	v_add_f32_e32 v48, -1.0, v45
	v_add_f32_e32 v47, 1.0, v48
	v_sub_f32_e32 v47, v45, v47
	v_add_f32_e32 v49, v46, v47
	v_add_f32_e32 v47, 1.0, v45
	v_add_f32_e32 v54, -1.0, v47
	v_sub_f32_e32 v45, v45, v54
	v_add_f32_e32 v45, v46, v45
	v_add_f32_e32 v59, v47, v45
	v_rcp_f32_e32 v60, v59
	v_sub_f32_e32 v46, v47, v59
	v_add_f32_e32 v47, v48, v49
	v_add_f32_e32 v45, v45, v46
	v_mul_f32_e32 v62, v47, v60
	v_sub_f32_e32 v46, v48, v47
	v_mul_f32_e32 v48, v59, v62
	v_fma_f32 v54, v62, v59, -v48
	v_fmac_f32_e32 v54, v62, v45
	v_add_f32_e32 v61, v49, v46
	v_add_f32_e32 v46, v48, v54
	v_sub_f32_e32 v49, v47, v46
	v_pk_add_f32 v[56:57], v[46:47], v[48:49] neg_lo:[0,1] neg_hi:[0,1]
	v_mov_b32_e32 v55, v46
	v_pk_add_f32 v[46:47], v[56:57], v[54:55] neg_lo:[0,1] neg_hi:[0,1]
	v_add_f32_e32 v47, v61, v47
	v_add_f32_e32 v46, v46, v47
	v_add_f32_e32 v47, v49, v46
	v_mul_f32_e32 v61, v60, v47
	v_mul_f32_e32 v48, v59, v61
	v_fma_f32 v54, v61, v59, -v48
	v_fmac_f32_e32 v54, v61, v45
	v_sub_f32_e32 v45, v49, v47
	v_add_f32_e32 v45, v46, v45
	v_add_f32_e32 v46, v48, v54
	v_sub_f32_e32 v49, v47, v46
	v_pk_add_f32 v[56:57], v[46:47], v[48:49] neg_lo:[0,1] neg_hi:[0,1]
	v_mov_b32_e32 v55, v46
	v_pk_add_f32 v[46:47], v[56:57], v[54:55] neg_lo:[0,1] neg_hi:[0,1]
	v_add_f32_e32 v45, v45, v47
	v_add_f32_e32 v45, v46, v45
	;; [unrolled: 1-line block ×4, first 2 shown]
	v_sub_f32_e32 v47, v46, v62
	v_mul_f32_e32 v45, v60, v45
	v_sub_f32_e32 v47, v61, v47
	v_add_f32_e32 v45, v47, v45
	v_add_f32_e32 v49, v46, v45
	v_mul_f32_e32 v54, v49, v49
	v_mov_b32_e32 v48, 0x3ecc95a3
	v_fmac_f32_e32 v48, 0x3e9b6dac, v54
	v_mov_b32_e32 v47, 0x3f2aaada
	v_fmac_f32_e32 v47, v54, v48
	v_cvt_f32_i32_e32 v48, v58
	v_sub_f32_e32 v46, v49, v46
	v_sub_f32_e32 v45, v45, v46
	v_ldexp_f32 v55, v49, 1
	v_mul_f32_e32 v49, v49, v54
	v_mov_b32_e32 v46, 0x3f317218
	s_mov_b32 s2, 0x3f317218
	v_pk_mul_f32 v[46:47], v[48:49], v[46:47]
	v_fma_f32 v54, v48, s2, -v46
	v_fmac_f32_e32 v54, 0xb102e308, v48
	v_pk_add_f32 v[48:49], v[46:47], v[54:55]
	v_sub_f32_e32 v55, v49, v55
	v_ldexp_f32 v45, v45, 1
	v_sub_f32_e32 v55, v47, v55
	v_add_f32_e32 v57, v45, v55
	v_mov_b32_e32 v56, v46
	v_pk_add_f32 v[46:47], v[48:49], v[46:47] neg_lo:[0,1] neg_hi:[0,1]
	v_pk_add_f32 v[58:59], v[48:49], v[56:57]
	v_mov_b32_e32 v47, v59
	v_mov_b32_e32 v55, v48
	v_pk_add_f32 v[60:61], v[54:55], v[46:47] neg_lo:[0,1] neg_hi:[0,1]
	v_pk_add_f32 v[46:47], v[54:55], v[46:47]
	v_mov_b32_e32 v54, v47
	v_pk_add_f32 v[62:63], v[54:55], v[48:49] neg_lo:[0,1] neg_hi:[0,1]
	v_mov_b32_e32 v45, v62
	v_pk_add_f32 v[64:65], v[58:59], v[44:45] neg_lo:[0,1] neg_hi:[0,1]
	v_mov_b32_e32 v46, v59
	v_mov_b32_e32 v58, v49
	v_mov_b32_e32 v59, v62
	v_mov_b32_e32 v61, v47
	v_pk_add_f32 v[46:47], v[46:47], v[58:59] neg_lo:[0,1] neg_hi:[0,1]
	v_mov_b32_e32 v56, v57
	v_mov_b32_e32 v57, v48
	v_pk_add_f32 v[46:47], v[56:57], v[46:47] neg_lo:[0,1] neg_hi:[0,1]
	v_mov_b32_e32 v64, v60
	v_pk_add_f32 v[48:49], v[64:65], v[46:47]
	v_mov_b32_e32 v56, v49
	v_pk_add_f32 v[56:57], v[48:49], v[56:57]
	v_pk_add_f32 v[54:55], v[54:55], v[56:57]
	v_mov_b32_e32 v49, v54
	v_pk_add_f32 v[58:59], v[48:49], v[60:61] neg_lo:[0,1] neg_hi:[0,1]
	v_mov_b32_e32 v47, v56
	v_sub_f32_e32 v45, v48, v58
	v_pk_add_f32 v[46:47], v[46:47], v[58:59] neg_lo:[0,1] neg_hi:[0,1]
	v_sub_f32_e32 v45, v60, v45
	s_mov_b32 s3, 0x7f800000
	v_add_f32_e32 v45, v46, v45
	s_mov_b32 s2, 0x33800000
	v_add_f32_e32 v45, v45, v47
	v_cmp_eq_f32_e64 s[86:87], s3, v66
	v_cmp_lt_f32_e64 s[88:89], |v66|, s2
	v_add_f32_e32 v45, v54, v45
	s_or_b64 s[86:87], s[86:87], s[88:89]
	v_cndmask_b32_e64 v45, v45, v66, s[86:87]
	v_add_f32_e32 v46, v42, v45
.LBB522_88:
	s_or_b64 exec, exec, s[0:1]
	v_bfe_u32 v42, v46, 16, 1
	s_movk_i32 s90, 0x7fff
	v_add3_u32 v42, v46, v42, s90
	v_and_b32_e32 v42, 0xffff0000, v42
	v_mov_b32_e32 v45, 0x7fc00000
	v_cmp_o_f32_e64 s[86:87], v46, v46
	v_cndmask_b32_e64 v48, v45, v42, s[86:87]
	v_lshlrev_b32_e32 v42, 16, v8
	v_max_f32_e32 v47, v48, v48
	v_max_f32_e32 v46, v42, v42
	v_min_f32_e32 v49, v47, v46
	v_cmp_u_f32_e64 s[88:89], v48, v48
	v_max_f32_e32 v47, v47, v46
	v_cndmask_b32_e64 v49, v49, v48, s[88:89]
	v_cmp_u_f32_e64 s[86:87], v42, v42
	v_cndmask_b32_e64 v47, v47, v48, s[88:89]
	v_cndmask_b32_e64 v49, v49, v42, s[86:87]
	;; [unrolled: 1-line block ×3, first 2 shown]
	v_cmp_neq_f32_e64 s[88:89], v49, v47
	v_cmp_class_f32_e64 s[0:1], v49, s33
	s_or_b64 s[88:89], s[88:89], s[0:1]
	s_and_saveexec_b64 s[0:1], s[88:89]
	s_cbranch_execz .LBB522_90
; %bb.89:
	v_sub_f32_e32 v48, v49, v47
	s_mov_b32 s2, 0x3fb8aa3b
	v_mul_f32_e32 v49, 0x3fb8aa3b, v48
	v_fma_f32 v54, v48, s2, -v49
	v_rndne_f32_e32 v55, v49
	v_fmac_f32_e32 v54, 0x32a5705f, v48
	v_sub_f32_e32 v49, v49, v55
	v_add_f32_e32 v49, v49, v54
	v_exp_f32_e32 v49, v49
	v_cvt_i32_f32_e32 v54, v55
	s_mov_b32 s2, 0xc2ce8ed0
	v_cmp_ngt_f32_e64 s[88:89], s2, v48
	s_mov_b32 s2, 0x42b17218
	v_ldexp_f32 v49, v49, v54
	v_cndmask_b32_e64 v49, 0, v49, s[88:89]
	v_mov_b32_e32 v54, 0x7f800000
	v_cmp_nlt_f32_e64 s[88:89], s2, v48
	v_cndmask_b32_e64 v68, v54, v49, s[88:89]
	v_add_f32_e32 v54, 1.0, v68
	v_add_f32_e32 v48, -1.0, v54
	v_sub_f32_e32 v49, v48, v54
	v_add_f32_e32 v49, 1.0, v49
	v_sub_f32_e32 v48, v68, v48
	v_add_f32_e32 v55, v48, v49
	v_frexp_mant_f32_e32 v56, v54
	s_mov_b32 s2, 0x3f2aaaab
	v_cvt_f64_f32_e32 v[48:49], v54
	v_frexp_exp_i32_f64_e32 v48, v[48:49]
	v_cmp_gt_f32_e64 s[88:89], s2, v56
	v_subbrev_co_u32_e64 v60, s[88:89], 0, v48, s[88:89]
	v_sub_u32_e32 v48, 0, v60
	v_ldexp_f32 v49, v54, v48
	v_add_f32_e32 v54, -1.0, v49
	v_add_f32_e32 v56, 1.0, v49
	v_ldexp_f32 v48, v55, v48
	v_add_f32_e32 v55, 1.0, v54
	v_add_f32_e32 v57, -1.0, v56
	v_sub_f32_e32 v55, v49, v55
	v_sub_f32_e32 v49, v49, v57
	v_add_f32_e32 v55, v48, v55
	v_add_f32_e32 v48, v48, v49
	;; [unrolled: 1-line block ×3, first 2 shown]
	v_rcp_f32_e32 v63, v61
	v_sub_f32_e32 v49, v56, v61
	v_add_f32_e32 v62, v48, v49
	v_add_f32_e32 v49, v54, v55
	v_mul_f32_e32 v65, v49, v63
	v_sub_f32_e32 v48, v54, v49
	v_mul_f32_e32 v54, v61, v65
	v_fma_f32 v56, v65, v61, -v54
	v_fmac_f32_e32 v56, v65, v62
	v_add_f32_e32 v64, v55, v48
	v_add_f32_e32 v48, v54, v56
	v_sub_f32_e32 v55, v49, v48
	v_pk_add_f32 v[58:59], v[48:49], v[54:55] neg_lo:[0,1] neg_hi:[0,1]
	v_mov_b32_e32 v57, v48
	v_pk_add_f32 v[48:49], v[58:59], v[56:57] neg_lo:[0,1] neg_hi:[0,1]
	v_add_f32_e32 v49, v64, v49
	v_add_f32_e32 v48, v48, v49
	;; [unrolled: 1-line block ×3, first 2 shown]
	v_mul_f32_e32 v64, v63, v49
	v_mul_f32_e32 v54, v61, v64
	v_fma_f32 v56, v64, v61, -v54
	v_fmac_f32_e32 v56, v64, v62
	v_sub_f32_e32 v55, v55, v49
	v_add_f32_e32 v61, v48, v55
	v_add_f32_e32 v48, v54, v56
	v_sub_f32_e32 v55, v49, v48
	v_pk_add_f32 v[58:59], v[48:49], v[54:55] neg_lo:[0,1] neg_hi:[0,1]
	v_mov_b32_e32 v57, v48
	v_pk_add_f32 v[48:49], v[58:59], v[56:57] neg_lo:[0,1] neg_hi:[0,1]
	v_add_f32_e32 v49, v61, v49
	v_add_f32_e32 v48, v48, v49
	;; [unrolled: 1-line block ×4, first 2 shown]
	v_sub_f32_e32 v49, v55, v65
	v_mul_f32_e32 v48, v63, v48
	v_sub_f32_e32 v49, v64, v49
	v_add_f32_e32 v48, v49, v48
	v_add_f32_e32 v56, v55, v48
	v_mul_f32_e32 v58, v56, v56
	v_mov_b32_e32 v54, 0x3ecc95a3
	v_fmac_f32_e32 v54, 0x3e9b6dac, v58
	v_mov_b32_e32 v49, 0x3f2aaada
	v_fmac_f32_e32 v49, v58, v54
	v_cvt_f32_i32_e32 v54, v60
	v_sub_f32_e32 v55, v56, v55
	v_sub_f32_e32 v48, v48, v55
	v_ldexp_f32 v59, v48, 1
	v_mul_f32_e32 v55, v56, v58
	v_mov_b32_e32 v48, 0x3f317218
	s_mov_b32 s2, 0x3f317218
	v_pk_mul_f32 v[48:49], v[54:55], v[48:49]
	v_ldexp_f32 v57, v56, 1
	v_fma_f32 v56, v54, s2, -v48
	v_fmac_f32_e32 v56, 0xb102e308, v54
	v_pk_add_f32 v[54:55], v[48:49], v[56:57]
	v_sub_f32_e32 v57, v55, v57
	v_sub_f32_e32 v57, v49, v57
	v_add_f32_e32 v59, v59, v57
	v_mov_b32_e32 v58, v48
	v_pk_add_f32 v[48:49], v[54:55], v[48:49] neg_lo:[0,1] neg_hi:[0,1]
	v_pk_add_f32 v[60:61], v[54:55], v[58:59]
	v_mov_b32_e32 v49, v61
	v_mov_b32_e32 v57, v54
	v_pk_add_f32 v[62:63], v[56:57], v[48:49] neg_lo:[0,1] neg_hi:[0,1]
	v_pk_add_f32 v[48:49], v[56:57], v[48:49]
	v_mov_b32_e32 v56, v49
	v_pk_add_f32 v[64:65], v[56:57], v[54:55] neg_lo:[0,1] neg_hi:[0,1]
	v_mov_b32_e32 v57, v64
	v_pk_add_f32 v[66:67], v[60:61], v[56:57] neg_lo:[0,1] neg_hi:[0,1]
	v_mov_b32_e32 v48, v61
	v_mov_b32_e32 v60, v55
	;; [unrolled: 1-line block ×4, first 2 shown]
	v_pk_add_f32 v[48:49], v[48:49], v[60:61] neg_lo:[0,1] neg_hi:[0,1]
	v_mov_b32_e32 v58, v59
	v_mov_b32_e32 v59, v54
	v_pk_add_f32 v[48:49], v[58:59], v[48:49] neg_lo:[0,1] neg_hi:[0,1]
	v_mov_b32_e32 v66, v62
	v_pk_add_f32 v[54:55], v[66:67], v[48:49]
	v_mov_b32_e32 v58, v55
	v_pk_add_f32 v[58:59], v[54:55], v[58:59]
	v_pk_add_f32 v[56:57], v[56:57], v[58:59]
	v_mov_b32_e32 v55, v56
	v_pk_add_f32 v[60:61], v[54:55], v[62:63] neg_lo:[0,1] neg_hi:[0,1]
	v_mov_b32_e32 v49, v58
	v_sub_f32_e32 v54, v54, v60
	v_pk_add_f32 v[48:49], v[48:49], v[60:61] neg_lo:[0,1] neg_hi:[0,1]
	v_sub_f32_e32 v54, v62, v54
	s_mov_b32 s3, 0x7f800000
	v_add_f32_e32 v48, v48, v54
	s_mov_b32 s2, 0x33800000
	v_add_f32_e32 v48, v48, v49
	v_cmp_eq_f32_e64 s[88:89], s3, v68
	v_cmp_lt_f32_e64 s[92:93], |v68|, s2
	v_add_f32_e32 v48, v56, v48
	s_or_b64 s[88:89], s[88:89], s[92:93]
	v_cndmask_b32_e64 v48, v48, v68, s[88:89]
	v_add_f32_e32 v48, v47, v48
.LBB522_90:
	s_or_b64 exec, exec, s[0:1]
	v_bfe_u32 v47, v48, 16, 1
	v_add3_u32 v47, v48, v47, s90
	v_and_b32_e32 v47, 0xffff0000, v47
	v_cmp_o_f32_e64 s[88:89], v48, v48
	v_cndmask_b32_e64 v48, v45, v47, s[88:89]
	v_and_b32_e32 v8, 0xffff0000, v8
	v_max_f32_e32 v45, v48, v48
	v_max_f32_e32 v47, v8, v8
	v_min_f32_e32 v49, v45, v47
	v_cmp_u_f32_e64 s[90:91], v48, v48
	v_max_f32_e32 v45, v45, v47
	v_cndmask_b32_e64 v49, v49, v48, s[90:91]
	v_cmp_u_f32_e64 s[88:89], v8, v8
	v_cndmask_b32_e64 v45, v45, v48, s[90:91]
	v_cndmask_b32_e64 v49, v49, v8, s[88:89]
	;; [unrolled: 1-line block ×3, first 2 shown]
	v_cmp_neq_f32_e64 s[90:91], v49, v45
	v_cmp_class_f32_e64 s[0:1], v49, s33
	s_or_b64 s[90:91], s[90:91], s[0:1]
	s_and_saveexec_b64 s[0:1], s[90:91]
	s_cbranch_execz .LBB522_92
; %bb.91:
	v_sub_f32_e32 v48, v49, v45
	s_mov_b32 s2, 0x3fb8aa3b
	v_mul_f32_e32 v49, 0x3fb8aa3b, v48
	v_fma_f32 v54, v48, s2, -v49
	v_rndne_f32_e32 v55, v49
	v_fmac_f32_e32 v54, 0x32a5705f, v48
	v_sub_f32_e32 v49, v49, v55
	v_add_f32_e32 v49, v49, v54
	v_exp_f32_e32 v49, v49
	v_cvt_i32_f32_e32 v54, v55
	s_mov_b32 s2, 0xc2ce8ed0
	v_cmp_ngt_f32_e64 s[90:91], s2, v48
	s_mov_b32 s2, 0x42b17218
	v_ldexp_f32 v49, v49, v54
	v_cndmask_b32_e64 v49, 0, v49, s[90:91]
	v_mov_b32_e32 v54, 0x7f800000
	v_cmp_nlt_f32_e64 s[90:91], s2, v48
	v_cndmask_b32_e64 v68, v54, v49, s[90:91]
	v_add_f32_e32 v54, 1.0, v68
	v_add_f32_e32 v48, -1.0, v54
	v_sub_f32_e32 v49, v48, v54
	v_add_f32_e32 v49, 1.0, v49
	v_sub_f32_e32 v48, v68, v48
	v_add_f32_e32 v55, v48, v49
	v_frexp_mant_f32_e32 v56, v54
	s_mov_b32 s2, 0x3f2aaaab
	v_cvt_f64_f32_e32 v[48:49], v54
	v_frexp_exp_i32_f64_e32 v48, v[48:49]
	v_cmp_gt_f32_e64 s[90:91], s2, v56
	v_subbrev_co_u32_e64 v60, s[90:91], 0, v48, s[90:91]
	v_sub_u32_e32 v48, 0, v60
	v_ldexp_f32 v49, v54, v48
	v_add_f32_e32 v54, -1.0, v49
	v_add_f32_e32 v56, 1.0, v49
	v_ldexp_f32 v48, v55, v48
	v_add_f32_e32 v55, 1.0, v54
	v_add_f32_e32 v57, -1.0, v56
	v_sub_f32_e32 v55, v49, v55
	v_sub_f32_e32 v49, v49, v57
	v_add_f32_e32 v55, v48, v55
	v_add_f32_e32 v48, v48, v49
	;; [unrolled: 1-line block ×3, first 2 shown]
	v_rcp_f32_e32 v63, v61
	v_sub_f32_e32 v49, v56, v61
	v_add_f32_e32 v62, v48, v49
	v_add_f32_e32 v49, v54, v55
	v_mul_f32_e32 v65, v49, v63
	v_sub_f32_e32 v48, v54, v49
	v_mul_f32_e32 v54, v61, v65
	v_fma_f32 v56, v65, v61, -v54
	v_fmac_f32_e32 v56, v65, v62
	v_add_f32_e32 v64, v55, v48
	v_add_f32_e32 v48, v54, v56
	v_sub_f32_e32 v55, v49, v48
	v_pk_add_f32 v[58:59], v[48:49], v[54:55] neg_lo:[0,1] neg_hi:[0,1]
	v_mov_b32_e32 v57, v48
	v_pk_add_f32 v[48:49], v[58:59], v[56:57] neg_lo:[0,1] neg_hi:[0,1]
	v_add_f32_e32 v49, v64, v49
	v_add_f32_e32 v48, v48, v49
	;; [unrolled: 1-line block ×3, first 2 shown]
	v_mul_f32_e32 v64, v63, v49
	v_mul_f32_e32 v54, v61, v64
	v_fma_f32 v56, v64, v61, -v54
	v_fmac_f32_e32 v56, v64, v62
	v_sub_f32_e32 v55, v55, v49
	v_add_f32_e32 v61, v48, v55
	v_add_f32_e32 v48, v54, v56
	v_sub_f32_e32 v55, v49, v48
	v_pk_add_f32 v[58:59], v[48:49], v[54:55] neg_lo:[0,1] neg_hi:[0,1]
	v_mov_b32_e32 v57, v48
	v_pk_add_f32 v[48:49], v[58:59], v[56:57] neg_lo:[0,1] neg_hi:[0,1]
	v_add_f32_e32 v49, v61, v49
	v_add_f32_e32 v48, v48, v49
	;; [unrolled: 1-line block ×4, first 2 shown]
	v_sub_f32_e32 v49, v55, v65
	v_mul_f32_e32 v48, v63, v48
	v_sub_f32_e32 v49, v64, v49
	v_add_f32_e32 v48, v49, v48
	v_add_f32_e32 v56, v55, v48
	v_mul_f32_e32 v58, v56, v56
	v_mov_b32_e32 v54, 0x3ecc95a3
	v_fmac_f32_e32 v54, 0x3e9b6dac, v58
	v_mov_b32_e32 v49, 0x3f2aaada
	v_fmac_f32_e32 v49, v58, v54
	v_cvt_f32_i32_e32 v54, v60
	v_sub_f32_e32 v55, v56, v55
	v_sub_f32_e32 v48, v48, v55
	v_ldexp_f32 v59, v48, 1
	v_mul_f32_e32 v55, v56, v58
	v_mov_b32_e32 v48, 0x3f317218
	s_mov_b32 s2, 0x3f317218
	v_pk_mul_f32 v[48:49], v[54:55], v[48:49]
	v_ldexp_f32 v57, v56, 1
	v_fma_f32 v56, v54, s2, -v48
	v_fmac_f32_e32 v56, 0xb102e308, v54
	v_pk_add_f32 v[54:55], v[48:49], v[56:57]
	v_sub_f32_e32 v57, v55, v57
	v_sub_f32_e32 v57, v49, v57
	v_add_f32_e32 v59, v59, v57
	v_mov_b32_e32 v58, v48
	v_pk_add_f32 v[48:49], v[54:55], v[48:49] neg_lo:[0,1] neg_hi:[0,1]
	v_pk_add_f32 v[60:61], v[54:55], v[58:59]
	v_mov_b32_e32 v49, v61
	v_mov_b32_e32 v57, v54
	v_pk_add_f32 v[62:63], v[56:57], v[48:49] neg_lo:[0,1] neg_hi:[0,1]
	v_pk_add_f32 v[48:49], v[56:57], v[48:49]
	v_mov_b32_e32 v56, v49
	v_pk_add_f32 v[64:65], v[56:57], v[54:55] neg_lo:[0,1] neg_hi:[0,1]
	v_mov_b32_e32 v57, v64
	v_pk_add_f32 v[66:67], v[60:61], v[56:57] neg_lo:[0,1] neg_hi:[0,1]
	v_mov_b32_e32 v48, v61
	v_mov_b32_e32 v60, v55
	;; [unrolled: 1-line block ×4, first 2 shown]
	v_pk_add_f32 v[48:49], v[48:49], v[60:61] neg_lo:[0,1] neg_hi:[0,1]
	v_mov_b32_e32 v58, v59
	v_mov_b32_e32 v59, v54
	v_pk_add_f32 v[48:49], v[58:59], v[48:49] neg_lo:[0,1] neg_hi:[0,1]
	v_mov_b32_e32 v66, v62
	v_pk_add_f32 v[54:55], v[66:67], v[48:49]
	v_mov_b32_e32 v58, v55
	v_pk_add_f32 v[58:59], v[54:55], v[58:59]
	v_pk_add_f32 v[56:57], v[56:57], v[58:59]
	v_mov_b32_e32 v55, v56
	v_pk_add_f32 v[60:61], v[54:55], v[62:63] neg_lo:[0,1] neg_hi:[0,1]
	v_mov_b32_e32 v49, v58
	v_sub_f32_e32 v54, v54, v60
	v_pk_add_f32 v[48:49], v[48:49], v[60:61] neg_lo:[0,1] neg_hi:[0,1]
	v_sub_f32_e32 v54, v62, v54
	s_mov_b32 s3, 0x7f800000
	v_add_f32_e32 v48, v48, v54
	s_mov_b32 s2, 0x33800000
	v_add_f32_e32 v48, v48, v49
	v_cmp_eq_f32_e64 s[90:91], s3, v68
	v_cmp_lt_f32_e64 s[92:93], |v68|, s2
	v_add_f32_e32 v48, v56, v48
	s_or_b64 s[90:91], s[90:91], s[92:93]
	v_cndmask_b32_e64 v48, v48, v68, s[90:91]
	v_add_f32_e32 v48, v45, v48
.LBB522_92:
	s_or_b64 exec, exec, s[0:1]
	v_bfe_u32 v45, v48, 16, 1
	s_movk_i32 vcc_lo, 0x7fff
	v_add3_u32 v45, v48, v45, vcc_lo
	v_and_b32_e32 v45, 0xffff0000, v45
	v_mov_b32_e32 v49, 0x7fc00000
	v_cmp_o_f32_e64 s[90:91], v48, v48
	v_cndmask_b32_e64 v55, v49, v45, s[90:91]
	v_lshlrev_b32_e32 v45, 16, v9
	v_max_f32_e32 v54, v55, v55
	v_max_f32_e32 v48, v45, v45
	v_min_f32_e32 v56, v54, v48
	v_cmp_u_f32_e64 s[92:93], v55, v55
	v_max_f32_e32 v54, v54, v48
	v_cndmask_b32_e64 v56, v56, v55, s[92:93]
	v_cmp_u_f32_e64 s[90:91], v45, v45
	v_cndmask_b32_e64 v54, v54, v55, s[92:93]
	v_cndmask_b32_e64 v56, v56, v45, s[90:91]
	;; [unrolled: 1-line block ×3, first 2 shown]
	v_cmp_neq_f32_e64 s[92:93], v56, v54
	v_cmp_class_f32_e64 s[0:1], v56, s33
	s_or_b64 s[92:93], s[92:93], s[0:1]
	s_and_saveexec_b64 s[0:1], s[92:93]
	s_cbranch_execz .LBB522_94
; %bb.93:
	v_sub_f32_e32 v55, v56, v54
	s_mov_b32 s2, 0x3fb8aa3b
	v_mul_f32_e32 v56, 0x3fb8aa3b, v55
	v_fma_f32 v57, v55, s2, -v56
	v_rndne_f32_e32 v58, v56
	v_fmac_f32_e32 v57, 0x32a5705f, v55
	v_sub_f32_e32 v56, v56, v58
	v_add_f32_e32 v56, v56, v57
	v_exp_f32_e32 v56, v56
	v_cvt_i32_f32_e32 v57, v58
	s_mov_b32 s2, 0xc2ce8ed0
	v_cmp_ngt_f32_e64 s[92:93], s2, v55
	s_mov_b32 s2, 0x42b17218
	v_ldexp_f32 v56, v56, v57
	v_cndmask_b32_e64 v56, 0, v56, s[92:93]
	v_mov_b32_e32 v57, 0x7f800000
	v_cmp_nlt_f32_e64 s[92:93], s2, v55
	v_cndmask_b32_e64 v72, v57, v56, s[92:93]
	v_add_f32_e32 v55, 1.0, v72
	v_add_f32_e32 v56, -1.0, v55
	v_sub_f32_e32 v57, v56, v55
	v_add_f32_e32 v57, 1.0, v57
	v_sub_f32_e32 v56, v72, v56
	v_add_f32_e32 v58, v56, v57
	v_frexp_mant_f32_e32 v59, v55
	s_mov_b32 s2, 0x3f2aaaab
	v_cvt_f64_f32_e32 v[56:57], v55
	v_frexp_exp_i32_f64_e32 v56, v[56:57]
	v_cmp_gt_f32_e64 s[92:93], s2, v59
	v_subbrev_co_u32_e64 v64, s[92:93], 0, v56, s[92:93]
	v_sub_u32_e32 v56, 0, v64
	v_ldexp_f32 v55, v55, v56
	v_ldexp_f32 v56, v58, v56
	v_add_f32_e32 v58, -1.0, v55
	v_add_f32_e32 v57, 1.0, v58
	v_sub_f32_e32 v57, v55, v57
	v_add_f32_e32 v59, v56, v57
	v_add_f32_e32 v57, 1.0, v55
	v_add_f32_e32 v60, -1.0, v57
	v_sub_f32_e32 v55, v55, v60
	v_add_f32_e32 v55, v56, v55
	v_add_f32_e32 v65, v57, v55
	v_rcp_f32_e32 v66, v65
	v_sub_f32_e32 v56, v57, v65
	v_add_f32_e32 v57, v58, v59
	v_add_f32_e32 v55, v55, v56
	v_mul_f32_e32 v68, v57, v66
	v_sub_f32_e32 v56, v58, v57
	v_mul_f32_e32 v58, v65, v68
	v_fma_f32 v60, v68, v65, -v58
	v_fmac_f32_e32 v60, v68, v55
	v_add_f32_e32 v67, v59, v56
	v_add_f32_e32 v56, v58, v60
	v_sub_f32_e32 v59, v57, v56
	v_pk_add_f32 v[62:63], v[56:57], v[58:59] neg_lo:[0,1] neg_hi:[0,1]
	v_mov_b32_e32 v61, v56
	v_pk_add_f32 v[56:57], v[62:63], v[60:61] neg_lo:[0,1] neg_hi:[0,1]
	v_add_f32_e32 v57, v67, v57
	v_add_f32_e32 v56, v56, v57
	;; [unrolled: 1-line block ×3, first 2 shown]
	v_mul_f32_e32 v67, v66, v57
	v_mul_f32_e32 v58, v65, v67
	v_fma_f32 v60, v67, v65, -v58
	v_fmac_f32_e32 v60, v67, v55
	v_sub_f32_e32 v55, v59, v57
	v_add_f32_e32 v55, v56, v55
	v_add_f32_e32 v56, v58, v60
	v_sub_f32_e32 v59, v57, v56
	v_pk_add_f32 v[62:63], v[56:57], v[58:59] neg_lo:[0,1] neg_hi:[0,1]
	v_mov_b32_e32 v61, v56
	v_pk_add_f32 v[56:57], v[62:63], v[60:61] neg_lo:[0,1] neg_hi:[0,1]
	v_add_f32_e32 v55, v55, v57
	v_add_f32_e32 v55, v56, v55
	;; [unrolled: 1-line block ×4, first 2 shown]
	v_sub_f32_e32 v57, v56, v68
	v_mul_f32_e32 v55, v66, v55
	v_sub_f32_e32 v57, v67, v57
	v_add_f32_e32 v55, v57, v55
	v_add_f32_e32 v59, v56, v55
	v_mul_f32_e32 v60, v59, v59
	v_mov_b32_e32 v58, 0x3ecc95a3
	v_fmac_f32_e32 v58, 0x3e9b6dac, v60
	v_mov_b32_e32 v57, 0x3f2aaada
	v_fmac_f32_e32 v57, v60, v58
	v_cvt_f32_i32_e32 v58, v64
	v_sub_f32_e32 v56, v59, v56
	v_sub_f32_e32 v55, v55, v56
	v_ldexp_f32 v61, v59, 1
	v_mul_f32_e32 v59, v59, v60
	v_mov_b32_e32 v56, 0x3f317218
	s_mov_b32 s2, 0x3f317218
	v_pk_mul_f32 v[56:57], v[58:59], v[56:57]
	v_fma_f32 v60, v58, s2, -v56
	v_fmac_f32_e32 v60, 0xb102e308, v58
	v_pk_add_f32 v[58:59], v[56:57], v[60:61]
	v_sub_f32_e32 v61, v59, v61
	v_ldexp_f32 v55, v55, 1
	v_sub_f32_e32 v61, v57, v61
	v_add_f32_e32 v63, v55, v61
	v_mov_b32_e32 v62, v56
	v_pk_add_f32 v[56:57], v[58:59], v[56:57] neg_lo:[0,1] neg_hi:[0,1]
	v_pk_add_f32 v[64:65], v[58:59], v[62:63]
	v_mov_b32_e32 v57, v65
	v_mov_b32_e32 v61, v58
	v_pk_add_f32 v[66:67], v[60:61], v[56:57] neg_lo:[0,1] neg_hi:[0,1]
	v_pk_add_f32 v[56:57], v[60:61], v[56:57]
	v_mov_b32_e32 v60, v57
	v_pk_add_f32 v[68:69], v[60:61], v[58:59] neg_lo:[0,1] neg_hi:[0,1]
	v_mov_b32_e32 v55, v68
	v_pk_add_f32 v[70:71], v[64:65], v[54:55] neg_lo:[0,1] neg_hi:[0,1]
	v_mov_b32_e32 v56, v65
	v_mov_b32_e32 v64, v59
	;; [unrolled: 1-line block ×4, first 2 shown]
	v_pk_add_f32 v[56:57], v[56:57], v[64:65] neg_lo:[0,1] neg_hi:[0,1]
	v_mov_b32_e32 v62, v63
	v_mov_b32_e32 v63, v58
	v_pk_add_f32 v[56:57], v[62:63], v[56:57] neg_lo:[0,1] neg_hi:[0,1]
	v_mov_b32_e32 v70, v66
	v_pk_add_f32 v[58:59], v[70:71], v[56:57]
	v_mov_b32_e32 v62, v59
	v_pk_add_f32 v[62:63], v[58:59], v[62:63]
	v_pk_add_f32 v[60:61], v[60:61], v[62:63]
	v_mov_b32_e32 v59, v60
	v_pk_add_f32 v[64:65], v[58:59], v[66:67] neg_lo:[0,1] neg_hi:[0,1]
	v_mov_b32_e32 v57, v62
	v_sub_f32_e32 v55, v58, v64
	v_pk_add_f32 v[56:57], v[56:57], v[64:65] neg_lo:[0,1] neg_hi:[0,1]
	v_sub_f32_e32 v55, v66, v55
	s_mov_b32 s3, 0x7f800000
	v_add_f32_e32 v55, v56, v55
	s_mov_b32 s2, 0x33800000
	v_add_f32_e32 v55, v55, v57
	v_cmp_eq_f32_e64 s[92:93], s3, v72
	v_cmp_lt_f32_e64 s[2:3], |v72|, s2
	v_add_f32_e32 v55, v60, v55
	s_or_b64 s[92:93], s[92:93], s[2:3]
	v_cndmask_b32_e64 v55, v55, v72, s[92:93]
	v_add_f32_e32 v55, v54, v55
.LBB522_94:
	s_or_b64 exec, exec, s[0:1]
	v_bfe_u32 v54, v55, 16, 1
	v_add3_u32 v54, v55, v54, vcc_lo
	v_and_b32_e32 v54, 0xffff0000, v54
	v_cmp_o_f32_e64 s[92:93], v55, v55
	v_cndmask_b32_e64 v55, v49, v54, s[92:93]
	v_and_b32_e32 v9, 0xffff0000, v9
	v_max_f32_e32 v54, v55, v55
	v_max_f32_e32 v49, v9, v9
	v_min_f32_e32 v56, v54, v49
	v_cmp_u_f32_e32 vcc, v55, v55
	v_max_f32_e32 v54, v54, v49
	v_cndmask_b32_e32 v56, v56, v55, vcc
	v_cmp_u_f32_e64 s[92:93], v9, v9
	v_cndmask_b32_e32 v54, v54, v55, vcc
	v_cndmask_b32_e64 v56, v56, v9, s[92:93]
	v_cndmask_b32_e64 v54, v54, v9, s[92:93]
	s_movk_i32 s0, 0x1f8
	v_cmp_neq_f32_e32 vcc, v56, v54
	v_cmp_class_f32_e64 s[0:1], v56, s0
	s_or_b64 s[2:3], vcc, s[0:1]
	s_and_saveexec_b64 s[0:1], s[2:3]
	s_cbranch_execz .LBB522_96
; %bb.95:
	v_sub_f32_e32 v55, v56, v54
	s_mov_b32 s2, 0x3fb8aa3b
	v_mul_f32_e32 v56, 0x3fb8aa3b, v55
	v_fma_f32 v57, v55, s2, -v56
	v_rndne_f32_e32 v58, v56
	v_fmac_f32_e32 v57, 0x32a5705f, v55
	v_sub_f32_e32 v56, v56, v58
	v_add_f32_e32 v56, v56, v57
	v_exp_f32_e32 v56, v56
	v_cvt_i32_f32_e32 v57, v58
	s_mov_b32 s2, 0xc2ce8ed0
	v_cmp_ngt_f32_e32 vcc, s2, v55
	s_mov_b32 s2, 0x42b17218
	v_ldexp_f32 v56, v56, v57
	v_cndmask_b32_e32 v56, 0, v56, vcc
	v_mov_b32_e32 v57, 0x7f800000
	v_cmp_nlt_f32_e32 vcc, s2, v55
	v_cndmask_b32_e32 v72, v57, v56, vcc
	v_add_f32_e32 v55, 1.0, v72
	v_add_f32_e32 v56, -1.0, v55
	v_sub_f32_e32 v57, v56, v55
	v_add_f32_e32 v57, 1.0, v57
	v_sub_f32_e32 v56, v72, v56
	v_add_f32_e32 v58, v56, v57
	v_frexp_mant_f32_e32 v59, v55
	s_mov_b32 s2, 0x3f2aaaab
	v_cvt_f64_f32_e32 v[56:57], v55
	v_frexp_exp_i32_f64_e32 v56, v[56:57]
	v_cmp_gt_f32_e32 vcc, s2, v59
	v_subbrev_co_u32_e32 v64, vcc, 0, v56, vcc
	v_sub_u32_e32 v56, 0, v64
	v_ldexp_f32 v55, v55, v56
	v_ldexp_f32 v56, v58, v56
	v_add_f32_e32 v58, -1.0, v55
	v_add_f32_e32 v57, 1.0, v58
	v_sub_f32_e32 v57, v55, v57
	v_add_f32_e32 v59, v56, v57
	v_add_f32_e32 v57, 1.0, v55
	v_add_f32_e32 v60, -1.0, v57
	v_sub_f32_e32 v55, v55, v60
	v_add_f32_e32 v55, v56, v55
	v_add_f32_e32 v65, v57, v55
	v_rcp_f32_e32 v66, v65
	v_sub_f32_e32 v56, v57, v65
	v_add_f32_e32 v57, v58, v59
	v_add_f32_e32 v55, v55, v56
	v_mul_f32_e32 v68, v57, v66
	v_sub_f32_e32 v56, v58, v57
	v_mul_f32_e32 v58, v65, v68
	v_fma_f32 v60, v68, v65, -v58
	v_fmac_f32_e32 v60, v68, v55
	v_add_f32_e32 v67, v59, v56
	v_add_f32_e32 v56, v58, v60
	v_sub_f32_e32 v59, v57, v56
	v_pk_add_f32 v[62:63], v[56:57], v[58:59] neg_lo:[0,1] neg_hi:[0,1]
	v_mov_b32_e32 v61, v56
	v_pk_add_f32 v[56:57], v[62:63], v[60:61] neg_lo:[0,1] neg_hi:[0,1]
	v_add_f32_e32 v57, v67, v57
	v_add_f32_e32 v56, v56, v57
	;; [unrolled: 1-line block ×3, first 2 shown]
	v_mul_f32_e32 v67, v66, v57
	v_mul_f32_e32 v58, v65, v67
	v_fma_f32 v60, v67, v65, -v58
	v_fmac_f32_e32 v60, v67, v55
	v_sub_f32_e32 v55, v59, v57
	v_add_f32_e32 v55, v56, v55
	v_add_f32_e32 v56, v58, v60
	v_sub_f32_e32 v59, v57, v56
	v_pk_add_f32 v[62:63], v[56:57], v[58:59] neg_lo:[0,1] neg_hi:[0,1]
	v_mov_b32_e32 v61, v56
	v_pk_add_f32 v[56:57], v[62:63], v[60:61] neg_lo:[0,1] neg_hi:[0,1]
	v_add_f32_e32 v55, v55, v57
	v_add_f32_e32 v55, v56, v55
	;; [unrolled: 1-line block ×4, first 2 shown]
	v_sub_f32_e32 v57, v56, v68
	v_mul_f32_e32 v55, v66, v55
	v_sub_f32_e32 v57, v67, v57
	v_add_f32_e32 v55, v57, v55
	v_add_f32_e32 v59, v56, v55
	v_mul_f32_e32 v60, v59, v59
	v_mov_b32_e32 v58, 0x3ecc95a3
	v_fmac_f32_e32 v58, 0x3e9b6dac, v60
	v_mov_b32_e32 v57, 0x3f2aaada
	v_fmac_f32_e32 v57, v60, v58
	v_cvt_f32_i32_e32 v58, v64
	v_sub_f32_e32 v56, v59, v56
	v_sub_f32_e32 v55, v55, v56
	v_ldexp_f32 v61, v59, 1
	v_mul_f32_e32 v59, v59, v60
	v_mov_b32_e32 v56, 0x3f317218
	s_mov_b32 s2, 0x3f317218
	v_pk_mul_f32 v[56:57], v[58:59], v[56:57]
	v_fma_f32 v60, v58, s2, -v56
	v_fmac_f32_e32 v60, 0xb102e308, v58
	v_pk_add_f32 v[58:59], v[56:57], v[60:61]
	v_sub_f32_e32 v61, v59, v61
	v_ldexp_f32 v55, v55, 1
	v_sub_f32_e32 v61, v57, v61
	v_add_f32_e32 v63, v55, v61
	v_mov_b32_e32 v62, v56
	v_pk_add_f32 v[56:57], v[58:59], v[56:57] neg_lo:[0,1] neg_hi:[0,1]
	v_pk_add_f32 v[64:65], v[58:59], v[62:63]
	v_mov_b32_e32 v57, v65
	v_mov_b32_e32 v61, v58
	v_pk_add_f32 v[66:67], v[60:61], v[56:57] neg_lo:[0,1] neg_hi:[0,1]
	v_pk_add_f32 v[56:57], v[60:61], v[56:57]
	v_mov_b32_e32 v60, v57
	v_pk_add_f32 v[68:69], v[60:61], v[58:59] neg_lo:[0,1] neg_hi:[0,1]
	v_mov_b32_e32 v55, v68
	v_pk_add_f32 v[70:71], v[64:65], v[54:55] neg_lo:[0,1] neg_hi:[0,1]
	v_mov_b32_e32 v56, v65
	v_mov_b32_e32 v64, v59
	;; [unrolled: 1-line block ×4, first 2 shown]
	v_pk_add_f32 v[56:57], v[56:57], v[64:65] neg_lo:[0,1] neg_hi:[0,1]
	v_mov_b32_e32 v62, v63
	v_mov_b32_e32 v63, v58
	v_pk_add_f32 v[56:57], v[62:63], v[56:57] neg_lo:[0,1] neg_hi:[0,1]
	v_mov_b32_e32 v70, v66
	v_pk_add_f32 v[58:59], v[70:71], v[56:57]
	v_mov_b32_e32 v62, v59
	v_pk_add_f32 v[62:63], v[58:59], v[62:63]
	v_pk_add_f32 v[60:61], v[60:61], v[62:63]
	v_mov_b32_e32 v59, v60
	v_pk_add_f32 v[64:65], v[58:59], v[66:67] neg_lo:[0,1] neg_hi:[0,1]
	v_mov_b32_e32 v57, v62
	v_sub_f32_e32 v55, v58, v64
	v_pk_add_f32 v[56:57], v[56:57], v[64:65] neg_lo:[0,1] neg_hi:[0,1]
	v_sub_f32_e32 v55, v66, v55
	s_mov_b32 s3, 0x7f800000
	v_add_f32_e32 v55, v56, v55
	s_mov_b32 s2, 0x33800000
	v_add_f32_e32 v55, v55, v57
	v_cmp_eq_f32_e32 vcc, s3, v72
	v_cmp_lt_f32_e64 s[2:3], |v72|, s2
	v_add_f32_e32 v55, v60, v55
	s_or_b64 vcc, vcc, s[2:3]
	v_cndmask_b32_e32 v55, v55, v72, vcc
	v_add_f32_e32 v55, v54, v55
.LBB522_96:
	s_or_b64 exec, exec, s[0:1]
	s_load_dwordx2 s[0:1], s[4:5], 0x18
	v_bfe_u32 v54, v55, 16, 1
	v_mov_b32_e32 v56, 0x7fc0
	v_cmp_o_f32_e32 vcc, v55, v55
	s_waitcnt lgkmcnt(0)
	v_writelane_b32 v75, s0, 8
	v_writelane_b32 v75, s1, 9
	s_movk_i32 s0, 0x7fff
	v_add3_u32 v54, v55, v54, s0
	v_lshrrev_b32_e32 v54, 16, v54
	v_cndmask_b32_e32 v57, v56, v54, vcc
	v_mbcnt_lo_u32_b32 v54, -1, 0
	v_mbcnt_hi_u32_b32 v55, -1, v54
	v_and_b32_e32 v56, 15, v55
	v_and_b32_e32 v58, 0xffff, v57
	v_cmp_ne_u32_e32 vcc, 0, v56
	s_nop 0
	v_mov_b32_dpp v54, v58 row_shr:1 row_mask:0xf bank_mask:0xf
	s_and_saveexec_b64 s[0:1], vcc
	s_cbranch_execz .LBB522_100
; %bb.97:
	v_lshlrev_b32_e32 v57, 16, v54
	v_lshlrev_b32_e32 v54, 16, v58
	v_max_f32_e32 v59, v54, v54
	v_max_f32_e32 v60, v57, v57
	v_min_f32_e32 v58, v60, v59
	v_cmp_u_f32_e32 vcc, v57, v57
	v_max_f32_e32 v59, v60, v59
	v_cndmask_b32_e32 v58, v58, v57, vcc
	v_cmp_u_f32_e64 s[4:5], v54, v54
	v_cndmask_b32_e32 v59, v59, v57, vcc
	v_cndmask_b32_e64 v58, v58, v54, s[4:5]
	v_cndmask_b32_e64 v54, v59, v54, s[4:5]
	s_movk_i32 s2, 0x1f8
	v_cmp_neq_f32_e32 vcc, v58, v54
	v_cmp_class_f32_e64 s[2:3], v58, s2
	s_or_b64 s[2:3], vcc, s[2:3]
	s_and_saveexec_b64 s[4:5], s[2:3]
	s_cbranch_execz .LBB522_99
; %bb.98:
	v_sub_f32_e32 v57, v58, v54
	s_mov_b32 s2, 0x3fb8aa3b
	v_mul_f32_e32 v58, 0x3fb8aa3b, v57
	v_fma_f32 v59, v57, s2, -v58
	v_rndne_f32_e32 v60, v58
	v_fmac_f32_e32 v59, 0x32a5705f, v57
	v_sub_f32_e32 v58, v58, v60
	v_add_f32_e32 v58, v58, v59
	v_exp_f32_e32 v58, v58
	v_cvt_i32_f32_e32 v59, v60
	s_mov_b32 s2, 0xc2ce8ed0
	v_cmp_ngt_f32_e32 vcc, s2, v57
	s_mov_b32 s2, 0x42b17218
	v_ldexp_f32 v58, v58, v59
	v_cndmask_b32_e32 v58, 0, v58, vcc
	v_mov_b32_e32 v59, 0x7f800000
	v_cmp_nlt_f32_e32 vcc, s2, v57
	v_cndmask_b32_e32 v74, v59, v58, vcc
	v_add_f32_e32 v57, 1.0, v74
	v_add_f32_e32 v58, -1.0, v57
	v_sub_f32_e32 v59, v58, v57
	v_add_f32_e32 v59, 1.0, v59
	v_sub_f32_e32 v58, v74, v58
	v_add_f32_e32 v60, v58, v59
	v_frexp_mant_f32_e32 v61, v57
	s_mov_b32 s2, 0x3f2aaaab
	v_cvt_f64_f32_e32 v[58:59], v57
	v_frexp_exp_i32_f64_e32 v58, v[58:59]
	v_cmp_gt_f32_e32 vcc, s2, v61
	v_subbrev_co_u32_e32 v66, vcc, 0, v58, vcc
	v_sub_u32_e32 v58, 0, v66
	v_ldexp_f32 v57, v57, v58
	v_ldexp_f32 v58, v60, v58
	v_add_f32_e32 v60, -1.0, v57
	v_add_f32_e32 v59, 1.0, v60
	v_sub_f32_e32 v59, v57, v59
	v_add_f32_e32 v61, v58, v59
	v_add_f32_e32 v59, 1.0, v57
	v_add_f32_e32 v62, -1.0, v59
	v_sub_f32_e32 v57, v57, v62
	v_add_f32_e32 v57, v58, v57
	v_add_f32_e32 v67, v59, v57
	v_rcp_f32_e32 v68, v67
	v_sub_f32_e32 v58, v59, v67
	v_add_f32_e32 v59, v60, v61
	v_add_f32_e32 v57, v57, v58
	v_mul_f32_e32 v70, v59, v68
	v_sub_f32_e32 v58, v60, v59
	v_mul_f32_e32 v60, v67, v70
	v_fma_f32 v62, v70, v67, -v60
	v_fmac_f32_e32 v62, v70, v57
	v_add_f32_e32 v69, v61, v58
	v_add_f32_e32 v58, v60, v62
	v_sub_f32_e32 v61, v59, v58
	v_pk_add_f32 v[64:65], v[58:59], v[60:61] neg_lo:[0,1] neg_hi:[0,1]
	v_mov_b32_e32 v63, v58
	v_pk_add_f32 v[58:59], v[64:65], v[62:63] neg_lo:[0,1] neg_hi:[0,1]
	v_add_f32_e32 v59, v69, v59
	v_add_f32_e32 v58, v58, v59
	;; [unrolled: 1-line block ×3, first 2 shown]
	v_mul_f32_e32 v69, v68, v59
	v_mul_f32_e32 v60, v67, v69
	v_fma_f32 v62, v69, v67, -v60
	v_fmac_f32_e32 v62, v69, v57
	v_sub_f32_e32 v57, v61, v59
	v_add_f32_e32 v57, v58, v57
	v_add_f32_e32 v58, v60, v62
	v_sub_f32_e32 v61, v59, v58
	v_pk_add_f32 v[64:65], v[58:59], v[60:61] neg_lo:[0,1] neg_hi:[0,1]
	v_mov_b32_e32 v63, v58
	v_pk_add_f32 v[58:59], v[64:65], v[62:63] neg_lo:[0,1] neg_hi:[0,1]
	v_add_f32_e32 v57, v57, v59
	v_add_f32_e32 v57, v58, v57
	;; [unrolled: 1-line block ×4, first 2 shown]
	v_sub_f32_e32 v59, v58, v70
	v_mul_f32_e32 v57, v68, v57
	v_sub_f32_e32 v59, v69, v59
	v_add_f32_e32 v57, v59, v57
	v_add_f32_e32 v61, v58, v57
	v_mul_f32_e32 v62, v61, v61
	v_mov_b32_e32 v60, 0x3ecc95a3
	v_fmac_f32_e32 v60, 0x3e9b6dac, v62
	v_mov_b32_e32 v59, 0x3f2aaada
	v_fmac_f32_e32 v59, v62, v60
	v_cvt_f32_i32_e32 v60, v66
	v_sub_f32_e32 v58, v61, v58
	v_sub_f32_e32 v57, v57, v58
	v_ldexp_f32 v63, v61, 1
	v_mul_f32_e32 v61, v61, v62
	v_mov_b32_e32 v58, 0x3f317218
	s_mov_b32 s2, 0x3f317218
	v_pk_mul_f32 v[58:59], v[60:61], v[58:59]
	v_fma_f32 v62, v60, s2, -v58
	v_fmac_f32_e32 v62, 0xb102e308, v60
	v_pk_add_f32 v[60:61], v[58:59], v[62:63]
	v_sub_f32_e32 v63, v61, v63
	v_ldexp_f32 v57, v57, 1
	v_sub_f32_e32 v63, v59, v63
	v_add_f32_e32 v65, v57, v63
	v_mov_b32_e32 v64, v58
	v_pk_add_f32 v[58:59], v[60:61], v[58:59] neg_lo:[0,1] neg_hi:[0,1]
	v_pk_add_f32 v[66:67], v[60:61], v[64:65]
	v_mov_b32_e32 v59, v67
	v_mov_b32_e32 v63, v60
	v_pk_add_f32 v[68:69], v[62:63], v[58:59] neg_lo:[0,1] neg_hi:[0,1]
	v_pk_add_f32 v[58:59], v[62:63], v[58:59]
	v_mov_b32_e32 v62, v59
	v_pk_add_f32 v[70:71], v[62:63], v[60:61] neg_lo:[0,1] neg_hi:[0,1]
	v_mov_b32_e32 v57, v70
	v_pk_add_f32 v[72:73], v[66:67], v[56:57] neg_lo:[0,1] neg_hi:[0,1]
	v_mov_b32_e32 v58, v67
	v_mov_b32_e32 v66, v61
	;; [unrolled: 1-line block ×4, first 2 shown]
	v_pk_add_f32 v[58:59], v[58:59], v[66:67] neg_lo:[0,1] neg_hi:[0,1]
	v_mov_b32_e32 v64, v65
	v_mov_b32_e32 v65, v60
	v_pk_add_f32 v[58:59], v[64:65], v[58:59] neg_lo:[0,1] neg_hi:[0,1]
	v_mov_b32_e32 v72, v68
	v_pk_add_f32 v[60:61], v[72:73], v[58:59]
	v_mov_b32_e32 v64, v61
	v_pk_add_f32 v[64:65], v[60:61], v[64:65]
	v_pk_add_f32 v[62:63], v[62:63], v[64:65]
	v_mov_b32_e32 v61, v62
	v_pk_add_f32 v[66:67], v[60:61], v[68:69] neg_lo:[0,1] neg_hi:[0,1]
	v_mov_b32_e32 v59, v64
	v_sub_f32_e32 v57, v60, v66
	v_pk_add_f32 v[58:59], v[58:59], v[66:67] neg_lo:[0,1] neg_hi:[0,1]
	v_sub_f32_e32 v57, v68, v57
	s_mov_b32 s3, 0x7f800000
	v_add_f32_e32 v57, v58, v57
	s_mov_b32 s2, 0x33800000
	v_add_f32_e32 v57, v57, v59
	v_cmp_eq_f32_e32 vcc, s3, v74
	v_cmp_lt_f32_e64 s[2:3], |v74|, s2
	v_add_f32_e32 v57, v62, v57
	s_or_b64 vcc, vcc, s[2:3]
	v_cndmask_b32_e32 v57, v57, v74, vcc
	v_add_f32_e32 v57, v54, v57
.LBB522_99:
	s_or_b64 exec, exec, s[4:5]
	v_bfe_u32 v54, v57, 16, 1
	s_movk_i32 s2, 0x7fff
	v_add3_u32 v54, v57, v54, s2
	v_lshrrev_b32_e32 v54, 16, v54
	v_mov_b32_e32 v58, 0x7fc0
	v_cmp_o_f32_e32 vcc, v57, v57
	v_cndmask_b32_e32 v57, v58, v54, vcc
	v_and_b32_e32 v58, 0xffff, v57
.LBB522_100:
	s_or_b64 exec, exec, s[0:1]
	v_mul_u32_u24_e32 v54, 46, v0
	v_mov_b32_dpp v59, v58 row_shr:2 row_mask:0xf bank_mask:0xf
	v_cmp_lt_u32_e32 vcc, 1, v56
	s_and_saveexec_b64 s[0:1], vcc
	s_cbranch_execz .LBB522_104
; %bb.101:
	v_lshlrev_b32_e32 v59, 16, v59
	v_lshlrev_b32_e32 v57, 16, v58
	v_max_f32_e32 v60, v57, v57
	v_max_f32_e32 v61, v59, v59
	v_min_f32_e32 v58, v61, v60
	v_cmp_u_f32_e32 vcc, v59, v59
	v_max_f32_e32 v60, v61, v60
	v_cndmask_b32_e32 v58, v58, v59, vcc
	v_cmp_u_f32_e64 s[4:5], v57, v57
	v_cndmask_b32_e32 v60, v60, v59, vcc
	v_cndmask_b32_e64 v58, v58, v57, s[4:5]
	v_cndmask_b32_e64 v57, v60, v57, s[4:5]
	s_movk_i32 s2, 0x1f8
	v_cmp_neq_f32_e32 vcc, v58, v57
	v_cmp_class_f32_e64 s[2:3], v58, s2
	s_or_b64 s[2:3], vcc, s[2:3]
	s_and_saveexec_b64 s[4:5], s[2:3]
	s_cbranch_execz .LBB522_103
; %bb.102:
	v_sub_f32_e32 v58, v58, v57
	s_mov_b32 s2, 0x3fb8aa3b
	v_mul_f32_e32 v59, 0x3fb8aa3b, v58
	v_fma_f32 v60, v58, s2, -v59
	v_rndne_f32_e32 v61, v59
	v_fmac_f32_e32 v60, 0x32a5705f, v58
	v_sub_f32_e32 v59, v59, v61
	v_add_f32_e32 v59, v59, v60
	v_exp_f32_e32 v59, v59
	v_cvt_i32_f32_e32 v60, v61
	s_mov_b32 s2, 0xc2ce8ed0
	v_cmp_ngt_f32_e32 vcc, s2, v58
	s_mov_b32 s2, 0x42b17218
	v_ldexp_f32 v59, v59, v60
	v_cndmask_b32_e32 v59, 0, v59, vcc
	v_mov_b32_e32 v60, 0x7f800000
	v_cmp_nlt_f32_e32 vcc, s2, v58
	v_cndmask_b32_e32 v74, v60, v59, vcc
	v_add_f32_e32 v60, 1.0, v74
	v_add_f32_e32 v58, -1.0, v60
	v_sub_f32_e32 v59, v58, v60
	v_add_f32_e32 v59, 1.0, v59
	v_sub_f32_e32 v58, v74, v58
	v_add_f32_e32 v61, v58, v59
	v_frexp_mant_f32_e32 v62, v60
	s_mov_b32 s2, 0x3f2aaaab
	v_cvt_f64_f32_e32 v[58:59], v60
	v_frexp_exp_i32_f64_e32 v58, v[58:59]
	v_cmp_gt_f32_e32 vcc, s2, v62
	v_subbrev_co_u32_e32 v66, vcc, 0, v58, vcc
	v_sub_u32_e32 v58, 0, v66
	v_ldexp_f32 v59, v60, v58
	v_add_f32_e32 v60, -1.0, v59
	v_add_f32_e32 v62, 1.0, v59
	v_ldexp_f32 v58, v61, v58
	v_add_f32_e32 v61, 1.0, v60
	v_add_f32_e32 v63, -1.0, v62
	v_sub_f32_e32 v61, v59, v61
	v_sub_f32_e32 v59, v59, v63
	v_add_f32_e32 v61, v58, v61
	v_add_f32_e32 v58, v58, v59
	;; [unrolled: 1-line block ×3, first 2 shown]
	v_rcp_f32_e32 v69, v67
	v_sub_f32_e32 v59, v62, v67
	v_add_f32_e32 v68, v58, v59
	v_add_f32_e32 v59, v60, v61
	v_mul_f32_e32 v71, v59, v69
	v_sub_f32_e32 v58, v60, v59
	v_mul_f32_e32 v60, v67, v71
	v_fma_f32 v62, v71, v67, -v60
	v_fmac_f32_e32 v62, v71, v68
	v_add_f32_e32 v70, v61, v58
	v_add_f32_e32 v58, v60, v62
	v_sub_f32_e32 v61, v59, v58
	v_pk_add_f32 v[64:65], v[58:59], v[60:61] neg_lo:[0,1] neg_hi:[0,1]
	v_mov_b32_e32 v63, v58
	v_pk_add_f32 v[58:59], v[64:65], v[62:63] neg_lo:[0,1] neg_hi:[0,1]
	v_add_f32_e32 v59, v70, v59
	v_add_f32_e32 v58, v58, v59
	;; [unrolled: 1-line block ×3, first 2 shown]
	v_mul_f32_e32 v70, v69, v59
	v_mul_f32_e32 v60, v67, v70
	v_fma_f32 v62, v70, v67, -v60
	v_fmac_f32_e32 v62, v70, v68
	v_sub_f32_e32 v61, v61, v59
	v_add_f32_e32 v67, v58, v61
	v_add_f32_e32 v58, v60, v62
	v_sub_f32_e32 v61, v59, v58
	v_pk_add_f32 v[64:65], v[58:59], v[60:61] neg_lo:[0,1] neg_hi:[0,1]
	v_mov_b32_e32 v63, v58
	v_pk_add_f32 v[58:59], v[64:65], v[62:63] neg_lo:[0,1] neg_hi:[0,1]
	v_add_f32_e32 v59, v67, v59
	v_add_f32_e32 v58, v58, v59
	;; [unrolled: 1-line block ×4, first 2 shown]
	v_sub_f32_e32 v59, v61, v71
	v_mul_f32_e32 v58, v69, v58
	v_sub_f32_e32 v59, v70, v59
	v_add_f32_e32 v58, v59, v58
	v_add_f32_e32 v62, v61, v58
	v_mul_f32_e32 v64, v62, v62
	v_mov_b32_e32 v60, 0x3ecc95a3
	v_fmac_f32_e32 v60, 0x3e9b6dac, v64
	v_mov_b32_e32 v59, 0x3f2aaada
	v_fmac_f32_e32 v59, v64, v60
	v_cvt_f32_i32_e32 v60, v66
	v_sub_f32_e32 v61, v62, v61
	v_sub_f32_e32 v58, v58, v61
	v_ldexp_f32 v65, v58, 1
	v_mul_f32_e32 v61, v62, v64
	v_mov_b32_e32 v58, 0x3f317218
	s_mov_b32 s2, 0x3f317218
	v_pk_mul_f32 v[58:59], v[60:61], v[58:59]
	v_ldexp_f32 v63, v62, 1
	v_fma_f32 v62, v60, s2, -v58
	v_fmac_f32_e32 v62, 0xb102e308, v60
	v_pk_add_f32 v[60:61], v[58:59], v[62:63]
	v_sub_f32_e32 v63, v61, v63
	v_sub_f32_e32 v63, v59, v63
	v_add_f32_e32 v65, v65, v63
	v_mov_b32_e32 v64, v58
	v_pk_add_f32 v[58:59], v[60:61], v[58:59] neg_lo:[0,1] neg_hi:[0,1]
	v_pk_add_f32 v[66:67], v[60:61], v[64:65]
	v_mov_b32_e32 v59, v67
	v_mov_b32_e32 v63, v60
	v_pk_add_f32 v[68:69], v[62:63], v[58:59] neg_lo:[0,1] neg_hi:[0,1]
	v_pk_add_f32 v[58:59], v[62:63], v[58:59]
	v_mov_b32_e32 v62, v59
	v_pk_add_f32 v[70:71], v[62:63], v[60:61] neg_lo:[0,1] neg_hi:[0,1]
	v_mov_b32_e32 v63, v70
	v_pk_add_f32 v[72:73], v[66:67], v[62:63] neg_lo:[0,1] neg_hi:[0,1]
	v_mov_b32_e32 v58, v67
	v_mov_b32_e32 v66, v61
	;; [unrolled: 1-line block ×4, first 2 shown]
	v_pk_add_f32 v[58:59], v[58:59], v[66:67] neg_lo:[0,1] neg_hi:[0,1]
	v_mov_b32_e32 v64, v65
	v_mov_b32_e32 v65, v60
	v_pk_add_f32 v[58:59], v[64:65], v[58:59] neg_lo:[0,1] neg_hi:[0,1]
	v_mov_b32_e32 v72, v68
	v_pk_add_f32 v[60:61], v[72:73], v[58:59]
	v_mov_b32_e32 v64, v61
	v_pk_add_f32 v[64:65], v[60:61], v[64:65]
	v_pk_add_f32 v[62:63], v[62:63], v[64:65]
	v_mov_b32_e32 v61, v62
	v_pk_add_f32 v[66:67], v[60:61], v[68:69] neg_lo:[0,1] neg_hi:[0,1]
	v_mov_b32_e32 v59, v64
	v_sub_f32_e32 v60, v60, v66
	v_pk_add_f32 v[58:59], v[58:59], v[66:67] neg_lo:[0,1] neg_hi:[0,1]
	v_sub_f32_e32 v60, v68, v60
	s_mov_b32 s3, 0x7f800000
	v_add_f32_e32 v58, v58, v60
	s_mov_b32 s2, 0x33800000
	v_add_f32_e32 v58, v58, v59
	v_cmp_eq_f32_e32 vcc, s3, v74
	v_cmp_lt_f32_e64 s[2:3], |v74|, s2
	v_add_f32_e32 v58, v62, v58
	s_or_b64 vcc, vcc, s[2:3]
	v_cndmask_b32_e32 v58, v58, v74, vcc
	v_add_f32_e32 v59, v57, v58
.LBB522_103:
	s_or_b64 exec, exec, s[4:5]
	v_bfe_u32 v57, v59, 16, 1
	s_movk_i32 s2, 0x7fff
	v_add3_u32 v57, v59, v57, s2
	v_lshrrev_b32_e32 v57, 16, v57
	v_mov_b32_e32 v58, 0x7fc0
	v_cmp_o_f32_e32 vcc, v59, v59
	v_cndmask_b32_e32 v57, v58, v57, vcc
	v_and_b32_e32 v58, 0xffff, v57
.LBB522_104:
	s_or_b64 exec, exec, s[0:1]
	s_nop 0
	v_mov_b32_dpp v59, v58 row_shr:4 row_mask:0xf bank_mask:0xf
	v_cmp_lt_u32_e32 vcc, 3, v56
	s_and_saveexec_b64 s[0:1], vcc
	s_cbranch_execz .LBB522_108
; %bb.105:
	v_lshlrev_b32_e32 v59, 16, v59
	v_lshlrev_b32_e32 v57, 16, v58
	v_max_f32_e32 v60, v57, v57
	v_max_f32_e32 v61, v59, v59
	v_min_f32_e32 v58, v61, v60
	v_cmp_u_f32_e32 vcc, v59, v59
	v_max_f32_e32 v60, v61, v60
	v_cndmask_b32_e32 v58, v58, v59, vcc
	v_cmp_u_f32_e64 s[4:5], v57, v57
	v_cndmask_b32_e32 v60, v60, v59, vcc
	v_cndmask_b32_e64 v58, v58, v57, s[4:5]
	v_cndmask_b32_e64 v57, v60, v57, s[4:5]
	s_movk_i32 s2, 0x1f8
	v_cmp_neq_f32_e32 vcc, v58, v57
	v_cmp_class_f32_e64 s[2:3], v58, s2
	s_or_b64 s[2:3], vcc, s[2:3]
	s_and_saveexec_b64 s[4:5], s[2:3]
	s_cbranch_execz .LBB522_107
; %bb.106:
	v_sub_f32_e32 v58, v58, v57
	s_mov_b32 s2, 0x3fb8aa3b
	v_mul_f32_e32 v59, 0x3fb8aa3b, v58
	v_fma_f32 v60, v58, s2, -v59
	v_rndne_f32_e32 v61, v59
	v_fmac_f32_e32 v60, 0x32a5705f, v58
	v_sub_f32_e32 v59, v59, v61
	v_add_f32_e32 v59, v59, v60
	v_exp_f32_e32 v59, v59
	v_cvt_i32_f32_e32 v60, v61
	s_mov_b32 s2, 0xc2ce8ed0
	v_cmp_ngt_f32_e32 vcc, s2, v58
	s_mov_b32 s2, 0x42b17218
	v_ldexp_f32 v59, v59, v60
	v_cndmask_b32_e32 v59, 0, v59, vcc
	v_mov_b32_e32 v60, 0x7f800000
	v_cmp_nlt_f32_e32 vcc, s2, v58
	v_cndmask_b32_e32 v74, v60, v59, vcc
	v_add_f32_e32 v60, 1.0, v74
	v_add_f32_e32 v58, -1.0, v60
	v_sub_f32_e32 v59, v58, v60
	v_add_f32_e32 v59, 1.0, v59
	v_sub_f32_e32 v58, v74, v58
	v_add_f32_e32 v61, v58, v59
	v_frexp_mant_f32_e32 v62, v60
	s_mov_b32 s2, 0x3f2aaaab
	v_cvt_f64_f32_e32 v[58:59], v60
	v_frexp_exp_i32_f64_e32 v58, v[58:59]
	v_cmp_gt_f32_e32 vcc, s2, v62
	v_subbrev_co_u32_e32 v66, vcc, 0, v58, vcc
	v_sub_u32_e32 v58, 0, v66
	v_ldexp_f32 v59, v60, v58
	v_add_f32_e32 v60, -1.0, v59
	v_add_f32_e32 v62, 1.0, v59
	v_ldexp_f32 v58, v61, v58
	v_add_f32_e32 v61, 1.0, v60
	v_add_f32_e32 v63, -1.0, v62
	v_sub_f32_e32 v61, v59, v61
	v_sub_f32_e32 v59, v59, v63
	v_add_f32_e32 v61, v58, v61
	v_add_f32_e32 v58, v58, v59
	;; [unrolled: 1-line block ×3, first 2 shown]
	v_rcp_f32_e32 v69, v67
	v_sub_f32_e32 v59, v62, v67
	v_add_f32_e32 v68, v58, v59
	v_add_f32_e32 v59, v60, v61
	v_mul_f32_e32 v71, v59, v69
	v_sub_f32_e32 v58, v60, v59
	v_mul_f32_e32 v60, v67, v71
	v_fma_f32 v62, v71, v67, -v60
	v_fmac_f32_e32 v62, v71, v68
	v_add_f32_e32 v70, v61, v58
	v_add_f32_e32 v58, v60, v62
	v_sub_f32_e32 v61, v59, v58
	v_pk_add_f32 v[64:65], v[58:59], v[60:61] neg_lo:[0,1] neg_hi:[0,1]
	v_mov_b32_e32 v63, v58
	v_pk_add_f32 v[58:59], v[64:65], v[62:63] neg_lo:[0,1] neg_hi:[0,1]
	v_add_f32_e32 v59, v70, v59
	v_add_f32_e32 v58, v58, v59
	;; [unrolled: 1-line block ×3, first 2 shown]
	v_mul_f32_e32 v70, v69, v59
	v_mul_f32_e32 v60, v67, v70
	v_fma_f32 v62, v70, v67, -v60
	v_fmac_f32_e32 v62, v70, v68
	v_sub_f32_e32 v61, v61, v59
	v_add_f32_e32 v67, v58, v61
	v_add_f32_e32 v58, v60, v62
	v_sub_f32_e32 v61, v59, v58
	v_pk_add_f32 v[64:65], v[58:59], v[60:61] neg_lo:[0,1] neg_hi:[0,1]
	v_mov_b32_e32 v63, v58
	v_pk_add_f32 v[58:59], v[64:65], v[62:63] neg_lo:[0,1] neg_hi:[0,1]
	v_add_f32_e32 v59, v67, v59
	v_add_f32_e32 v58, v58, v59
	;; [unrolled: 1-line block ×4, first 2 shown]
	v_sub_f32_e32 v59, v61, v71
	v_mul_f32_e32 v58, v69, v58
	v_sub_f32_e32 v59, v70, v59
	v_add_f32_e32 v58, v59, v58
	v_add_f32_e32 v62, v61, v58
	v_mul_f32_e32 v64, v62, v62
	v_mov_b32_e32 v60, 0x3ecc95a3
	v_fmac_f32_e32 v60, 0x3e9b6dac, v64
	v_mov_b32_e32 v59, 0x3f2aaada
	v_fmac_f32_e32 v59, v64, v60
	v_cvt_f32_i32_e32 v60, v66
	v_sub_f32_e32 v61, v62, v61
	v_sub_f32_e32 v58, v58, v61
	v_ldexp_f32 v65, v58, 1
	v_mul_f32_e32 v61, v62, v64
	v_mov_b32_e32 v58, 0x3f317218
	s_mov_b32 s2, 0x3f317218
	v_pk_mul_f32 v[58:59], v[60:61], v[58:59]
	v_ldexp_f32 v63, v62, 1
	v_fma_f32 v62, v60, s2, -v58
	v_fmac_f32_e32 v62, 0xb102e308, v60
	v_pk_add_f32 v[60:61], v[58:59], v[62:63]
	v_sub_f32_e32 v63, v61, v63
	v_sub_f32_e32 v63, v59, v63
	v_add_f32_e32 v65, v65, v63
	v_mov_b32_e32 v64, v58
	v_pk_add_f32 v[58:59], v[60:61], v[58:59] neg_lo:[0,1] neg_hi:[0,1]
	v_pk_add_f32 v[66:67], v[60:61], v[64:65]
	v_mov_b32_e32 v59, v67
	v_mov_b32_e32 v63, v60
	v_pk_add_f32 v[68:69], v[62:63], v[58:59] neg_lo:[0,1] neg_hi:[0,1]
	v_pk_add_f32 v[58:59], v[62:63], v[58:59]
	v_mov_b32_e32 v62, v59
	v_pk_add_f32 v[70:71], v[62:63], v[60:61] neg_lo:[0,1] neg_hi:[0,1]
	v_mov_b32_e32 v63, v70
	v_pk_add_f32 v[72:73], v[66:67], v[62:63] neg_lo:[0,1] neg_hi:[0,1]
	v_mov_b32_e32 v58, v67
	v_mov_b32_e32 v66, v61
	;; [unrolled: 1-line block ×4, first 2 shown]
	v_pk_add_f32 v[58:59], v[58:59], v[66:67] neg_lo:[0,1] neg_hi:[0,1]
	v_mov_b32_e32 v64, v65
	v_mov_b32_e32 v65, v60
	v_pk_add_f32 v[58:59], v[64:65], v[58:59] neg_lo:[0,1] neg_hi:[0,1]
	v_mov_b32_e32 v72, v68
	v_pk_add_f32 v[60:61], v[72:73], v[58:59]
	v_mov_b32_e32 v64, v61
	v_pk_add_f32 v[64:65], v[60:61], v[64:65]
	v_pk_add_f32 v[62:63], v[62:63], v[64:65]
	v_mov_b32_e32 v61, v62
	v_pk_add_f32 v[66:67], v[60:61], v[68:69] neg_lo:[0,1] neg_hi:[0,1]
	v_mov_b32_e32 v59, v64
	v_sub_f32_e32 v60, v60, v66
	v_pk_add_f32 v[58:59], v[58:59], v[66:67] neg_lo:[0,1] neg_hi:[0,1]
	v_sub_f32_e32 v60, v68, v60
	s_mov_b32 s3, 0x7f800000
	v_add_f32_e32 v58, v58, v60
	s_mov_b32 s2, 0x33800000
	v_add_f32_e32 v58, v58, v59
	v_cmp_eq_f32_e32 vcc, s3, v74
	v_cmp_lt_f32_e64 s[2:3], |v74|, s2
	v_add_f32_e32 v58, v62, v58
	s_or_b64 vcc, vcc, s[2:3]
	v_cndmask_b32_e32 v58, v58, v74, vcc
	v_add_f32_e32 v59, v57, v58
.LBB522_107:
	s_or_b64 exec, exec, s[4:5]
	v_bfe_u32 v57, v59, 16, 1
	s_movk_i32 s2, 0x7fff
	v_add3_u32 v57, v59, v57, s2
	v_lshrrev_b32_e32 v57, 16, v57
	v_mov_b32_e32 v58, 0x7fc0
	v_cmp_o_f32_e32 vcc, v59, v59
	v_cndmask_b32_e32 v57, v58, v57, vcc
	v_and_b32_e32 v58, 0xffff, v57
.LBB522_108:
	s_or_b64 exec, exec, s[0:1]
	s_nop 0
	v_mov_b32_dpp v59, v58 row_shr:8 row_mask:0xf bank_mask:0xf
	v_cmp_lt_u32_e32 vcc, 7, v56
	s_and_saveexec_b64 s[0:1], vcc
	s_cbranch_execz .LBB522_112
; %bb.109:
	v_lshlrev_b32_e32 v57, 16, v59
	v_lshlrev_b32_e32 v56, 16, v58
	v_max_f32_e32 v59, v56, v56
	v_max_f32_e32 v60, v57, v57
	v_min_f32_e32 v58, v60, v59
	v_cmp_u_f32_e32 vcc, v57, v57
	v_max_f32_e32 v59, v60, v59
	v_cndmask_b32_e32 v58, v58, v57, vcc
	v_cmp_u_f32_e64 s[4:5], v56, v56
	v_cndmask_b32_e32 v59, v59, v57, vcc
	v_cndmask_b32_e64 v58, v58, v56, s[4:5]
	v_cndmask_b32_e64 v56, v59, v56, s[4:5]
	s_movk_i32 s2, 0x1f8
	v_cmp_neq_f32_e32 vcc, v58, v56
	v_cmp_class_f32_e64 s[2:3], v58, s2
	s_or_b64 s[2:3], vcc, s[2:3]
	s_and_saveexec_b64 s[4:5], s[2:3]
	s_cbranch_execz .LBB522_111
; %bb.110:
	v_sub_f32_e32 v57, v58, v56
	s_mov_b32 s2, 0x3fb8aa3b
	v_mul_f32_e32 v58, 0x3fb8aa3b, v57
	v_fma_f32 v59, v57, s2, -v58
	v_rndne_f32_e32 v60, v58
	v_fmac_f32_e32 v59, 0x32a5705f, v57
	v_sub_f32_e32 v58, v58, v60
	v_add_f32_e32 v58, v58, v59
	v_exp_f32_e32 v58, v58
	v_cvt_i32_f32_e32 v59, v60
	s_mov_b32 s2, 0xc2ce8ed0
	v_cmp_ngt_f32_e32 vcc, s2, v57
	s_mov_b32 s2, 0x42b17218
	v_ldexp_f32 v58, v58, v59
	v_cndmask_b32_e32 v58, 0, v58, vcc
	v_mov_b32_e32 v59, 0x7f800000
	v_cmp_nlt_f32_e32 vcc, s2, v57
	v_cndmask_b32_e32 v74, v59, v58, vcc
	v_add_f32_e32 v57, 1.0, v74
	v_add_f32_e32 v58, -1.0, v57
	v_sub_f32_e32 v59, v58, v57
	v_add_f32_e32 v59, 1.0, v59
	v_sub_f32_e32 v58, v74, v58
	v_add_f32_e32 v60, v58, v59
	v_frexp_mant_f32_e32 v61, v57
	s_mov_b32 s2, 0x3f2aaaab
	v_cvt_f64_f32_e32 v[58:59], v57
	v_frexp_exp_i32_f64_e32 v58, v[58:59]
	v_cmp_gt_f32_e32 vcc, s2, v61
	v_subbrev_co_u32_e32 v66, vcc, 0, v58, vcc
	v_sub_u32_e32 v58, 0, v66
	v_ldexp_f32 v57, v57, v58
	v_ldexp_f32 v58, v60, v58
	v_add_f32_e32 v60, -1.0, v57
	v_add_f32_e32 v59, 1.0, v60
	v_sub_f32_e32 v59, v57, v59
	v_add_f32_e32 v61, v58, v59
	v_add_f32_e32 v59, 1.0, v57
	v_add_f32_e32 v62, -1.0, v59
	v_sub_f32_e32 v57, v57, v62
	v_add_f32_e32 v57, v58, v57
	v_add_f32_e32 v67, v59, v57
	v_rcp_f32_e32 v68, v67
	v_sub_f32_e32 v58, v59, v67
	v_add_f32_e32 v59, v60, v61
	v_add_f32_e32 v57, v57, v58
	v_mul_f32_e32 v70, v59, v68
	v_sub_f32_e32 v58, v60, v59
	v_mul_f32_e32 v60, v67, v70
	v_fma_f32 v62, v70, v67, -v60
	v_fmac_f32_e32 v62, v70, v57
	v_add_f32_e32 v69, v61, v58
	v_add_f32_e32 v58, v60, v62
	v_sub_f32_e32 v61, v59, v58
	v_pk_add_f32 v[64:65], v[58:59], v[60:61] neg_lo:[0,1] neg_hi:[0,1]
	v_mov_b32_e32 v63, v58
	v_pk_add_f32 v[58:59], v[64:65], v[62:63] neg_lo:[0,1] neg_hi:[0,1]
	v_add_f32_e32 v59, v69, v59
	v_add_f32_e32 v58, v58, v59
	;; [unrolled: 1-line block ×3, first 2 shown]
	v_mul_f32_e32 v69, v68, v59
	v_mul_f32_e32 v60, v67, v69
	v_fma_f32 v62, v69, v67, -v60
	v_fmac_f32_e32 v62, v69, v57
	v_sub_f32_e32 v57, v61, v59
	v_add_f32_e32 v57, v58, v57
	v_add_f32_e32 v58, v60, v62
	v_sub_f32_e32 v61, v59, v58
	v_pk_add_f32 v[64:65], v[58:59], v[60:61] neg_lo:[0,1] neg_hi:[0,1]
	v_mov_b32_e32 v63, v58
	v_pk_add_f32 v[58:59], v[64:65], v[62:63] neg_lo:[0,1] neg_hi:[0,1]
	v_add_f32_e32 v57, v57, v59
	v_add_f32_e32 v57, v58, v57
	;; [unrolled: 1-line block ×4, first 2 shown]
	v_sub_f32_e32 v59, v58, v70
	v_mul_f32_e32 v57, v68, v57
	v_sub_f32_e32 v59, v69, v59
	v_add_f32_e32 v57, v59, v57
	v_add_f32_e32 v61, v58, v57
	v_mul_f32_e32 v62, v61, v61
	v_mov_b32_e32 v60, 0x3ecc95a3
	v_fmac_f32_e32 v60, 0x3e9b6dac, v62
	v_mov_b32_e32 v59, 0x3f2aaada
	v_fmac_f32_e32 v59, v62, v60
	v_cvt_f32_i32_e32 v60, v66
	v_sub_f32_e32 v58, v61, v58
	v_sub_f32_e32 v57, v57, v58
	v_ldexp_f32 v63, v61, 1
	v_mul_f32_e32 v61, v61, v62
	v_mov_b32_e32 v58, 0x3f317218
	s_mov_b32 s2, 0x3f317218
	v_pk_mul_f32 v[58:59], v[60:61], v[58:59]
	v_fma_f32 v62, v60, s2, -v58
	v_fmac_f32_e32 v62, 0xb102e308, v60
	v_pk_add_f32 v[60:61], v[58:59], v[62:63]
	v_sub_f32_e32 v63, v61, v63
	v_ldexp_f32 v57, v57, 1
	v_sub_f32_e32 v63, v59, v63
	v_add_f32_e32 v65, v57, v63
	v_mov_b32_e32 v64, v58
	v_pk_add_f32 v[58:59], v[60:61], v[58:59] neg_lo:[0,1] neg_hi:[0,1]
	v_pk_add_f32 v[66:67], v[60:61], v[64:65]
	v_mov_b32_e32 v59, v67
	v_mov_b32_e32 v63, v60
	v_pk_add_f32 v[68:69], v[62:63], v[58:59] neg_lo:[0,1] neg_hi:[0,1]
	v_pk_add_f32 v[58:59], v[62:63], v[58:59]
	v_mov_b32_e32 v62, v59
	v_pk_add_f32 v[70:71], v[62:63], v[60:61] neg_lo:[0,1] neg_hi:[0,1]
	v_mov_b32_e32 v57, v70
	v_pk_add_f32 v[72:73], v[66:67], v[56:57] neg_lo:[0,1] neg_hi:[0,1]
	v_mov_b32_e32 v58, v67
	v_mov_b32_e32 v66, v61
	;; [unrolled: 1-line block ×4, first 2 shown]
	v_pk_add_f32 v[58:59], v[58:59], v[66:67] neg_lo:[0,1] neg_hi:[0,1]
	v_mov_b32_e32 v64, v65
	v_mov_b32_e32 v65, v60
	v_pk_add_f32 v[58:59], v[64:65], v[58:59] neg_lo:[0,1] neg_hi:[0,1]
	v_mov_b32_e32 v72, v68
	v_pk_add_f32 v[60:61], v[72:73], v[58:59]
	v_mov_b32_e32 v64, v61
	v_pk_add_f32 v[64:65], v[60:61], v[64:65]
	v_pk_add_f32 v[62:63], v[62:63], v[64:65]
	v_mov_b32_e32 v61, v62
	v_pk_add_f32 v[66:67], v[60:61], v[68:69] neg_lo:[0,1] neg_hi:[0,1]
	v_mov_b32_e32 v59, v64
	v_sub_f32_e32 v57, v60, v66
	v_pk_add_f32 v[58:59], v[58:59], v[66:67] neg_lo:[0,1] neg_hi:[0,1]
	v_sub_f32_e32 v57, v68, v57
	s_mov_b32 s3, 0x7f800000
	v_add_f32_e32 v57, v58, v57
	s_mov_b32 s2, 0x33800000
	v_add_f32_e32 v57, v57, v59
	v_cmp_eq_f32_e32 vcc, s3, v74
	v_cmp_lt_f32_e64 s[2:3], |v74|, s2
	v_add_f32_e32 v57, v62, v57
	s_or_b64 vcc, vcc, s[2:3]
	v_cndmask_b32_e32 v57, v57, v74, vcc
	v_add_f32_e32 v57, v56, v57
.LBB522_111:
	s_or_b64 exec, exec, s[4:5]
	v_bfe_u32 v56, v57, 16, 1
	s_movk_i32 s2, 0x7fff
	v_add3_u32 v56, v57, v56, s2
	v_lshrrev_b32_e32 v56, 16, v56
	v_mov_b32_e32 v58, 0x7fc0
	v_cmp_o_f32_e32 vcc, v57, v57
	v_cndmask_b32_e32 v57, v58, v56, vcc
	v_and_b32_e32 v58, 0xffff, v57
.LBB522_112:
	s_or_b64 exec, exec, s[0:1]
	v_and_b32_e32 v59, 16, v55
	v_mov_b32_dpp v56, v58 row_bcast:15 row_mask:0xf bank_mask:0xf
	v_cmp_ne_u32_e32 vcc, 0, v59
	s_and_saveexec_b64 s[0:1], vcc
	s_cbranch_execz .LBB522_116
; %bb.113:
	v_lshlrev_b32_e32 v57, 16, v56
	v_lshlrev_b32_e32 v56, 16, v58
	v_max_f32_e32 v59, v56, v56
	v_max_f32_e32 v60, v57, v57
	v_min_f32_e32 v58, v60, v59
	v_cmp_u_f32_e32 vcc, v57, v57
	v_max_f32_e32 v59, v60, v59
	v_cndmask_b32_e32 v58, v58, v57, vcc
	v_cmp_u_f32_e64 s[4:5], v56, v56
	v_cndmask_b32_e32 v59, v59, v57, vcc
	v_cndmask_b32_e64 v58, v58, v56, s[4:5]
	v_cndmask_b32_e64 v56, v59, v56, s[4:5]
	s_movk_i32 s2, 0x1f8
	v_cmp_neq_f32_e32 vcc, v58, v56
	v_cmp_class_f32_e64 s[2:3], v58, s2
	s_or_b64 s[2:3], vcc, s[2:3]
	s_and_saveexec_b64 s[4:5], s[2:3]
	s_cbranch_execz .LBB522_115
; %bb.114:
	v_sub_f32_e32 v57, v58, v56
	s_mov_b32 s2, 0x3fb8aa3b
	v_mul_f32_e32 v58, 0x3fb8aa3b, v57
	v_fma_f32 v59, v57, s2, -v58
	v_rndne_f32_e32 v60, v58
	v_fmac_f32_e32 v59, 0x32a5705f, v57
	v_sub_f32_e32 v58, v58, v60
	v_add_f32_e32 v58, v58, v59
	v_exp_f32_e32 v58, v58
	v_cvt_i32_f32_e32 v59, v60
	s_mov_b32 s2, 0xc2ce8ed0
	v_cmp_ngt_f32_e32 vcc, s2, v57
	s_mov_b32 s2, 0x42b17218
	v_ldexp_f32 v58, v58, v59
	v_cndmask_b32_e32 v58, 0, v58, vcc
	v_mov_b32_e32 v59, 0x7f800000
	v_cmp_nlt_f32_e32 vcc, s2, v57
	v_cndmask_b32_e32 v74, v59, v58, vcc
	v_add_f32_e32 v57, 1.0, v74
	v_add_f32_e32 v58, -1.0, v57
	v_sub_f32_e32 v59, v58, v57
	v_add_f32_e32 v59, 1.0, v59
	v_sub_f32_e32 v58, v74, v58
	v_add_f32_e32 v60, v58, v59
	v_frexp_mant_f32_e32 v61, v57
	s_mov_b32 s2, 0x3f2aaaab
	v_cvt_f64_f32_e32 v[58:59], v57
	v_frexp_exp_i32_f64_e32 v58, v[58:59]
	v_cmp_gt_f32_e32 vcc, s2, v61
	v_subbrev_co_u32_e32 v66, vcc, 0, v58, vcc
	v_sub_u32_e32 v58, 0, v66
	v_ldexp_f32 v57, v57, v58
	v_ldexp_f32 v58, v60, v58
	v_add_f32_e32 v60, -1.0, v57
	v_add_f32_e32 v59, 1.0, v60
	v_sub_f32_e32 v59, v57, v59
	v_add_f32_e32 v61, v58, v59
	v_add_f32_e32 v59, 1.0, v57
	v_add_f32_e32 v62, -1.0, v59
	v_sub_f32_e32 v57, v57, v62
	v_add_f32_e32 v57, v58, v57
	v_add_f32_e32 v67, v59, v57
	v_rcp_f32_e32 v68, v67
	v_sub_f32_e32 v58, v59, v67
	v_add_f32_e32 v59, v60, v61
	v_add_f32_e32 v57, v57, v58
	v_mul_f32_e32 v70, v59, v68
	v_sub_f32_e32 v58, v60, v59
	v_mul_f32_e32 v60, v67, v70
	v_fma_f32 v62, v70, v67, -v60
	v_fmac_f32_e32 v62, v70, v57
	v_add_f32_e32 v69, v61, v58
	v_add_f32_e32 v58, v60, v62
	v_sub_f32_e32 v61, v59, v58
	v_pk_add_f32 v[64:65], v[58:59], v[60:61] neg_lo:[0,1] neg_hi:[0,1]
	v_mov_b32_e32 v63, v58
	v_pk_add_f32 v[58:59], v[64:65], v[62:63] neg_lo:[0,1] neg_hi:[0,1]
	v_add_f32_e32 v59, v69, v59
	v_add_f32_e32 v58, v58, v59
	v_add_f32_e32 v59, v61, v58
	v_mul_f32_e32 v69, v68, v59
	v_mul_f32_e32 v60, v67, v69
	v_fma_f32 v62, v69, v67, -v60
	v_fmac_f32_e32 v62, v69, v57
	v_sub_f32_e32 v57, v61, v59
	v_add_f32_e32 v57, v58, v57
	v_add_f32_e32 v58, v60, v62
	v_sub_f32_e32 v61, v59, v58
	v_pk_add_f32 v[64:65], v[58:59], v[60:61] neg_lo:[0,1] neg_hi:[0,1]
	v_mov_b32_e32 v63, v58
	v_pk_add_f32 v[58:59], v[64:65], v[62:63] neg_lo:[0,1] neg_hi:[0,1]
	v_add_f32_e32 v57, v57, v59
	v_add_f32_e32 v57, v58, v57
	;; [unrolled: 1-line block ×4, first 2 shown]
	v_sub_f32_e32 v59, v58, v70
	v_mul_f32_e32 v57, v68, v57
	v_sub_f32_e32 v59, v69, v59
	v_add_f32_e32 v57, v59, v57
	v_add_f32_e32 v61, v58, v57
	v_mul_f32_e32 v62, v61, v61
	v_mov_b32_e32 v60, 0x3ecc95a3
	v_fmac_f32_e32 v60, 0x3e9b6dac, v62
	v_mov_b32_e32 v59, 0x3f2aaada
	v_fmac_f32_e32 v59, v62, v60
	v_cvt_f32_i32_e32 v60, v66
	v_sub_f32_e32 v58, v61, v58
	v_sub_f32_e32 v57, v57, v58
	v_ldexp_f32 v63, v61, 1
	v_mul_f32_e32 v61, v61, v62
	v_mov_b32_e32 v58, 0x3f317218
	s_mov_b32 s2, 0x3f317218
	v_pk_mul_f32 v[58:59], v[60:61], v[58:59]
	v_fma_f32 v62, v60, s2, -v58
	v_fmac_f32_e32 v62, 0xb102e308, v60
	v_pk_add_f32 v[60:61], v[58:59], v[62:63]
	v_sub_f32_e32 v63, v61, v63
	v_ldexp_f32 v57, v57, 1
	v_sub_f32_e32 v63, v59, v63
	v_add_f32_e32 v65, v57, v63
	v_mov_b32_e32 v64, v58
	v_pk_add_f32 v[58:59], v[60:61], v[58:59] neg_lo:[0,1] neg_hi:[0,1]
	v_pk_add_f32 v[66:67], v[60:61], v[64:65]
	v_mov_b32_e32 v59, v67
	v_mov_b32_e32 v63, v60
	v_pk_add_f32 v[68:69], v[62:63], v[58:59] neg_lo:[0,1] neg_hi:[0,1]
	v_pk_add_f32 v[58:59], v[62:63], v[58:59]
	v_mov_b32_e32 v62, v59
	v_pk_add_f32 v[70:71], v[62:63], v[60:61] neg_lo:[0,1] neg_hi:[0,1]
	v_mov_b32_e32 v57, v70
	v_pk_add_f32 v[72:73], v[66:67], v[56:57] neg_lo:[0,1] neg_hi:[0,1]
	v_mov_b32_e32 v58, v67
	v_mov_b32_e32 v66, v61
	;; [unrolled: 1-line block ×4, first 2 shown]
	v_pk_add_f32 v[58:59], v[58:59], v[66:67] neg_lo:[0,1] neg_hi:[0,1]
	v_mov_b32_e32 v64, v65
	v_mov_b32_e32 v65, v60
	v_pk_add_f32 v[58:59], v[64:65], v[58:59] neg_lo:[0,1] neg_hi:[0,1]
	v_mov_b32_e32 v72, v68
	v_pk_add_f32 v[60:61], v[72:73], v[58:59]
	v_mov_b32_e32 v64, v61
	v_pk_add_f32 v[64:65], v[60:61], v[64:65]
	v_pk_add_f32 v[62:63], v[62:63], v[64:65]
	v_mov_b32_e32 v61, v62
	v_pk_add_f32 v[66:67], v[60:61], v[68:69] neg_lo:[0,1] neg_hi:[0,1]
	v_mov_b32_e32 v59, v64
	v_sub_f32_e32 v57, v60, v66
	v_pk_add_f32 v[58:59], v[58:59], v[66:67] neg_lo:[0,1] neg_hi:[0,1]
	v_sub_f32_e32 v57, v68, v57
	s_mov_b32 s3, 0x7f800000
	v_add_f32_e32 v57, v58, v57
	s_mov_b32 s2, 0x33800000
	v_add_f32_e32 v57, v57, v59
	v_cmp_eq_f32_e32 vcc, s3, v74
	v_cmp_lt_f32_e64 s[2:3], |v74|, s2
	v_add_f32_e32 v57, v62, v57
	s_or_b64 vcc, vcc, s[2:3]
	v_cndmask_b32_e32 v57, v57, v74, vcc
	v_add_f32_e32 v57, v56, v57
.LBB522_115:
	s_or_b64 exec, exec, s[4:5]
	v_bfe_u32 v56, v57, 16, 1
	s_movk_i32 s2, 0x7fff
	v_add3_u32 v56, v57, v56, s2
	v_lshrrev_b32_e32 v56, 16, v56
	v_mov_b32_e32 v58, 0x7fc0
	v_cmp_o_f32_e32 vcc, v57, v57
	v_cndmask_b32_e32 v57, v58, v56, vcc
	v_and_b32_e32 v58, 0xffff, v57
.LBB522_116:
	s_or_b64 exec, exec, s[0:1]
	s_nop 0
	v_mov_b32_dpp v56, v58 row_bcast:31 row_mask:0xf bank_mask:0xf
	v_cmp_lt_u32_e32 vcc, 31, v55
	s_and_saveexec_b64 s[0:1], vcc
	s_cbranch_execz .LBB522_120
; %bb.117:
	v_lshlrev_b32_e32 v57, 16, v56
	v_lshlrev_b32_e32 v56, 16, v58
	v_max_f32_e32 v59, v56, v56
	v_max_f32_e32 v60, v57, v57
	v_min_f32_e32 v58, v60, v59
	v_cmp_u_f32_e32 vcc, v57, v57
	v_max_f32_e32 v59, v60, v59
	v_cndmask_b32_e32 v58, v58, v57, vcc
	v_cmp_u_f32_e64 s[4:5], v56, v56
	v_cndmask_b32_e32 v59, v59, v57, vcc
	v_cndmask_b32_e64 v58, v58, v56, s[4:5]
	v_cndmask_b32_e64 v56, v59, v56, s[4:5]
	s_movk_i32 s2, 0x1f8
	v_cmp_neq_f32_e32 vcc, v58, v56
	v_cmp_class_f32_e64 s[2:3], v58, s2
	s_or_b64 s[2:3], vcc, s[2:3]
	s_and_saveexec_b64 s[4:5], s[2:3]
	s_cbranch_execz .LBB522_119
; %bb.118:
	v_sub_f32_e32 v57, v58, v56
	s_mov_b32 s2, 0x3fb8aa3b
	v_mul_f32_e32 v58, 0x3fb8aa3b, v57
	v_fma_f32 v59, v57, s2, -v58
	v_rndne_f32_e32 v60, v58
	v_fmac_f32_e32 v59, 0x32a5705f, v57
	v_sub_f32_e32 v58, v58, v60
	v_add_f32_e32 v58, v58, v59
	v_exp_f32_e32 v58, v58
	v_cvt_i32_f32_e32 v59, v60
	s_mov_b32 s2, 0xc2ce8ed0
	v_cmp_ngt_f32_e32 vcc, s2, v57
	s_mov_b32 s2, 0x42b17218
	v_ldexp_f32 v58, v58, v59
	v_cndmask_b32_e32 v58, 0, v58, vcc
	v_mov_b32_e32 v59, 0x7f800000
	v_cmp_nlt_f32_e32 vcc, s2, v57
	v_cndmask_b32_e32 v74, v59, v58, vcc
	v_add_f32_e32 v57, 1.0, v74
	v_add_f32_e32 v58, -1.0, v57
	v_sub_f32_e32 v59, v58, v57
	v_add_f32_e32 v59, 1.0, v59
	v_sub_f32_e32 v58, v74, v58
	v_add_f32_e32 v60, v58, v59
	v_frexp_mant_f32_e32 v61, v57
	s_mov_b32 s2, 0x3f2aaaab
	v_cvt_f64_f32_e32 v[58:59], v57
	v_frexp_exp_i32_f64_e32 v58, v[58:59]
	v_cmp_gt_f32_e32 vcc, s2, v61
	v_subbrev_co_u32_e32 v66, vcc, 0, v58, vcc
	v_sub_u32_e32 v58, 0, v66
	v_ldexp_f32 v57, v57, v58
	v_ldexp_f32 v58, v60, v58
	v_add_f32_e32 v60, -1.0, v57
	v_add_f32_e32 v59, 1.0, v60
	v_sub_f32_e32 v59, v57, v59
	v_add_f32_e32 v61, v58, v59
	v_add_f32_e32 v59, 1.0, v57
	v_add_f32_e32 v62, -1.0, v59
	v_sub_f32_e32 v57, v57, v62
	v_add_f32_e32 v57, v58, v57
	v_add_f32_e32 v67, v59, v57
	v_rcp_f32_e32 v68, v67
	v_sub_f32_e32 v58, v59, v67
	v_add_f32_e32 v59, v60, v61
	v_add_f32_e32 v57, v57, v58
	v_mul_f32_e32 v70, v59, v68
	v_sub_f32_e32 v58, v60, v59
	v_mul_f32_e32 v60, v67, v70
	v_fma_f32 v62, v70, v67, -v60
	v_fmac_f32_e32 v62, v70, v57
	v_add_f32_e32 v69, v61, v58
	v_add_f32_e32 v58, v60, v62
	v_sub_f32_e32 v61, v59, v58
	v_pk_add_f32 v[64:65], v[58:59], v[60:61] neg_lo:[0,1] neg_hi:[0,1]
	v_mov_b32_e32 v63, v58
	v_pk_add_f32 v[58:59], v[64:65], v[62:63] neg_lo:[0,1] neg_hi:[0,1]
	v_add_f32_e32 v59, v69, v59
	v_add_f32_e32 v58, v58, v59
	v_add_f32_e32 v59, v61, v58
	v_mul_f32_e32 v69, v68, v59
	v_mul_f32_e32 v60, v67, v69
	v_fma_f32 v62, v69, v67, -v60
	v_fmac_f32_e32 v62, v69, v57
	v_sub_f32_e32 v57, v61, v59
	v_add_f32_e32 v57, v58, v57
	v_add_f32_e32 v58, v60, v62
	v_sub_f32_e32 v61, v59, v58
	v_pk_add_f32 v[64:65], v[58:59], v[60:61] neg_lo:[0,1] neg_hi:[0,1]
	v_mov_b32_e32 v63, v58
	v_pk_add_f32 v[58:59], v[64:65], v[62:63] neg_lo:[0,1] neg_hi:[0,1]
	v_add_f32_e32 v57, v57, v59
	v_add_f32_e32 v57, v58, v57
	;; [unrolled: 1-line block ×4, first 2 shown]
	v_sub_f32_e32 v59, v58, v70
	v_mul_f32_e32 v57, v68, v57
	v_sub_f32_e32 v59, v69, v59
	v_add_f32_e32 v57, v59, v57
	v_add_f32_e32 v61, v58, v57
	v_mul_f32_e32 v62, v61, v61
	v_mov_b32_e32 v60, 0x3ecc95a3
	v_fmac_f32_e32 v60, 0x3e9b6dac, v62
	v_mov_b32_e32 v59, 0x3f2aaada
	v_fmac_f32_e32 v59, v62, v60
	v_cvt_f32_i32_e32 v60, v66
	v_sub_f32_e32 v58, v61, v58
	v_sub_f32_e32 v57, v57, v58
	v_ldexp_f32 v63, v61, 1
	v_mul_f32_e32 v61, v61, v62
	v_mov_b32_e32 v58, 0x3f317218
	s_mov_b32 s2, 0x3f317218
	v_pk_mul_f32 v[58:59], v[60:61], v[58:59]
	v_fma_f32 v62, v60, s2, -v58
	v_fmac_f32_e32 v62, 0xb102e308, v60
	v_pk_add_f32 v[60:61], v[58:59], v[62:63]
	v_sub_f32_e32 v63, v61, v63
	v_ldexp_f32 v57, v57, 1
	v_sub_f32_e32 v63, v59, v63
	v_add_f32_e32 v65, v57, v63
	v_mov_b32_e32 v64, v58
	v_pk_add_f32 v[58:59], v[60:61], v[58:59] neg_lo:[0,1] neg_hi:[0,1]
	v_pk_add_f32 v[66:67], v[60:61], v[64:65]
	v_mov_b32_e32 v59, v67
	v_mov_b32_e32 v63, v60
	v_pk_add_f32 v[68:69], v[62:63], v[58:59] neg_lo:[0,1] neg_hi:[0,1]
	v_pk_add_f32 v[58:59], v[62:63], v[58:59]
	v_mov_b32_e32 v62, v59
	v_pk_add_f32 v[70:71], v[62:63], v[60:61] neg_lo:[0,1] neg_hi:[0,1]
	v_mov_b32_e32 v57, v70
	v_pk_add_f32 v[72:73], v[66:67], v[56:57] neg_lo:[0,1] neg_hi:[0,1]
	v_mov_b32_e32 v58, v67
	v_mov_b32_e32 v66, v61
	;; [unrolled: 1-line block ×4, first 2 shown]
	v_pk_add_f32 v[58:59], v[58:59], v[66:67] neg_lo:[0,1] neg_hi:[0,1]
	v_mov_b32_e32 v64, v65
	v_mov_b32_e32 v65, v60
	v_pk_add_f32 v[58:59], v[64:65], v[58:59] neg_lo:[0,1] neg_hi:[0,1]
	v_mov_b32_e32 v72, v68
	v_pk_add_f32 v[60:61], v[72:73], v[58:59]
	v_mov_b32_e32 v64, v61
	v_pk_add_f32 v[64:65], v[60:61], v[64:65]
	v_pk_add_f32 v[62:63], v[62:63], v[64:65]
	v_mov_b32_e32 v61, v62
	v_pk_add_f32 v[66:67], v[60:61], v[68:69] neg_lo:[0,1] neg_hi:[0,1]
	v_mov_b32_e32 v59, v64
	v_sub_f32_e32 v57, v60, v66
	v_pk_add_f32 v[58:59], v[58:59], v[66:67] neg_lo:[0,1] neg_hi:[0,1]
	v_sub_f32_e32 v57, v68, v57
	s_mov_b32 s3, 0x7f800000
	v_add_f32_e32 v57, v58, v57
	s_mov_b32 s2, 0x33800000
	v_add_f32_e32 v57, v57, v59
	v_cmp_eq_f32_e32 vcc, s3, v74
	v_cmp_lt_f32_e64 s[2:3], |v74|, s2
	v_add_f32_e32 v57, v62, v57
	s_or_b64 vcc, vcc, s[2:3]
	v_cndmask_b32_e32 v57, v57, v74, vcc
	v_add_f32_e32 v57, v56, v57
.LBB522_119:
	s_or_b64 exec, exec, s[4:5]
	v_bfe_u32 v56, v57, 16, 1
	s_movk_i32 s2, 0x7fff
	v_add3_u32 v56, v57, v56, s2
	v_lshrrev_b32_e32 v56, 16, v56
	v_mov_b32_e32 v58, 0x7fc0
	v_cmp_o_f32_e32 vcc, v57, v57
	v_cndmask_b32_e32 v57, v58, v56, vcc
.LBB522_120:
	s_or_b64 exec, exec, s[0:1]
	v_cmp_eq_u32_e32 vcc, 63, v0
	s_and_saveexec_b64 s[0:1], vcc
	s_cbranch_execz .LBB522_122
; %bb.121:
	v_mov_b32_e32 v56, 0
	ds_write_b16 v56, v57
.LBB522_122:
	s_or_b64 exec, exec, s[0:1]
	v_and_b32_e32 v56, 0xffff, v57
	v_add_u32_e32 v57, -1, v55
	v_and_b32_e32 v58, 64, v55
	v_cmp_lt_i32_e32 vcc, v57, v58
	v_cndmask_b32_e32 v55, v57, v55, vcc
	v_lshlrev_b32_e32 v55, 2, v55
	ds_bpermute_b32 v55, v55, v56
	v_cmp_ne_u32_e32 vcc, 0, v0
	s_waitcnt lgkmcnt(0)
	; wave barrier
	s_waitcnt lgkmcnt(0)
	s_and_saveexec_b64 s[4:5], vcc
	s_cbranch_execz .LBB522_126
; %bb.123:
	v_lshlrev_b32_e32 v51, 16, v55
	v_max_f32_e32 v2, v51, v51
	v_min_f32_e32 v52, v2, v53
	v_cmp_u_f32_e32 vcc, v51, v51
	v_max_f32_e32 v2, v2, v53
	v_cndmask_b32_e32 v52, v52, v51, vcc
	v_cndmask_b32_e32 v2, v2, v51, vcc
	v_cndmask_b32_e64 v52, v52, v50, s[94:95]
	v_cndmask_b32_e64 v2, v2, v50, s[94:95]
	s_movk_i32 s0, 0x1f8
	v_cmp_neq_f32_e32 vcc, v52, v2
	v_cmp_class_f32_e64 s[0:1], v52, s0
	s_or_b64 s[2:3], vcc, s[0:1]
	s_and_saveexec_b64 s[0:1], s[2:3]
	s_cbranch_execz .LBB522_125
; %bb.124:
	v_sub_f32_e32 v50, v52, v2
	s_mov_b32 s2, 0x3fb8aa3b
	v_mul_f32_e32 v51, 0x3fb8aa3b, v50
	v_fma_f32 v52, v50, s2, -v51
	v_rndne_f32_e32 v53, v51
	v_fmac_f32_e32 v52, 0x32a5705f, v50
	v_sub_f32_e32 v51, v51, v53
	v_add_f32_e32 v51, v51, v52
	v_exp_f32_e32 v51, v51
	v_cvt_i32_f32_e32 v52, v53
	s_mov_b32 s2, 0xc2ce8ed0
	v_cmp_ngt_f32_e32 vcc, s2, v50
	s_mov_b32 s2, 0x42b17218
	v_ldexp_f32 v51, v51, v52
	v_cndmask_b32_e32 v51, 0, v51, vcc
	v_mov_b32_e32 v52, 0x7f800000
	v_cmp_nlt_f32_e32 vcc, s2, v50
	v_cndmask_b32_e32 v68, v52, v51, vcc
	v_add_f32_e32 v52, 1.0, v68
	v_add_f32_e32 v50, -1.0, v52
	v_sub_f32_e32 v51, v50, v52
	v_add_f32_e32 v51, 1.0, v51
	v_sub_f32_e32 v50, v68, v50
	v_add_f32_e32 v53, v50, v51
	v_frexp_mant_f32_e32 v55, v52
	s_mov_b32 s2, 0x3f2aaaab
	v_cvt_f64_f32_e32 v[50:51], v52
	v_frexp_exp_i32_f64_e32 v50, v[50:51]
	v_cmp_gt_f32_e32 vcc, s2, v55
	v_subbrev_co_u32_e32 v55, vcc, 0, v50, vcc
	v_sub_u32_e32 v50, 0, v55
	v_ldexp_f32 v51, v52, v50
	v_add_f32_e32 v52, -1.0, v51
	v_add_f32_e32 v56, 1.0, v51
	v_ldexp_f32 v50, v53, v50
	v_add_f32_e32 v53, 1.0, v52
	v_add_f32_e32 v57, -1.0, v56
	v_sub_f32_e32 v53, v51, v53
	v_sub_f32_e32 v51, v51, v57
	v_add_f32_e32 v53, v50, v53
	v_add_f32_e32 v50, v50, v51
	;; [unrolled: 1-line block ×3, first 2 shown]
	v_rcp_f32_e32 v62, v60
	v_sub_f32_e32 v51, v56, v60
	v_add_f32_e32 v61, v50, v51
	v_add_f32_e32 v51, v52, v53
	v_mul_f32_e32 v64, v51, v62
	v_sub_f32_e32 v50, v52, v51
	v_mul_f32_e32 v52, v60, v64
	v_fma_f32 v56, v64, v60, -v52
	v_fmac_f32_e32 v56, v64, v61
	v_add_f32_e32 v63, v53, v50
	v_add_f32_e32 v50, v52, v56
	v_sub_f32_e32 v53, v51, v50
	v_pk_add_f32 v[58:59], v[50:51], v[52:53] neg_lo:[0,1] neg_hi:[0,1]
	v_mov_b32_e32 v57, v50
	v_pk_add_f32 v[50:51], v[58:59], v[56:57] neg_lo:[0,1] neg_hi:[0,1]
	v_add_f32_e32 v51, v63, v51
	v_add_f32_e32 v50, v50, v51
	;; [unrolled: 1-line block ×3, first 2 shown]
	v_mul_f32_e32 v63, v62, v51
	v_mul_f32_e32 v52, v60, v63
	v_fma_f32 v56, v63, v60, -v52
	v_fmac_f32_e32 v56, v63, v61
	v_sub_f32_e32 v53, v53, v51
	v_add_f32_e32 v60, v50, v53
	v_add_f32_e32 v50, v52, v56
	v_sub_f32_e32 v53, v51, v50
	v_pk_add_f32 v[58:59], v[50:51], v[52:53] neg_lo:[0,1] neg_hi:[0,1]
	v_mov_b32_e32 v57, v50
	v_pk_add_f32 v[50:51], v[58:59], v[56:57] neg_lo:[0,1] neg_hi:[0,1]
	v_add_f32_e32 v51, v60, v51
	v_add_f32_e32 v50, v50, v51
	;; [unrolled: 1-line block ×4, first 2 shown]
	v_sub_f32_e32 v51, v53, v64
	v_mul_f32_e32 v50, v62, v50
	v_sub_f32_e32 v51, v63, v51
	v_add_f32_e32 v50, v51, v50
	v_add_f32_e32 v56, v53, v50
	v_mul_f32_e32 v58, v56, v56
	v_mov_b32_e32 v52, 0x3ecc95a3
	v_fmac_f32_e32 v52, 0x3e9b6dac, v58
	v_mov_b32_e32 v51, 0x3f2aaada
	v_fmac_f32_e32 v51, v58, v52
	v_cvt_f32_i32_e32 v52, v55
	v_sub_f32_e32 v53, v56, v53
	v_sub_f32_e32 v50, v50, v53
	v_ldexp_f32 v55, v50, 1
	v_mul_f32_e32 v53, v56, v58
	v_mov_b32_e32 v50, 0x3f317218
	s_mov_b32 s2, 0x3f317218
	v_pk_mul_f32 v[50:51], v[52:53], v[50:51]
	v_ldexp_f32 v57, v56, 1
	v_fma_f32 v56, v52, s2, -v50
	v_fmac_f32_e32 v56, 0xb102e308, v52
	v_pk_add_f32 v[52:53], v[50:51], v[56:57]
	v_sub_f32_e32 v57, v53, v57
	v_sub_f32_e32 v57, v51, v57
	v_add_f32_e32 v59, v55, v57
	v_mov_b32_e32 v58, v50
	v_pk_add_f32 v[50:51], v[52:53], v[50:51] neg_lo:[0,1] neg_hi:[0,1]
	v_pk_add_f32 v[60:61], v[52:53], v[58:59]
	v_mov_b32_e32 v51, v61
	v_mov_b32_e32 v57, v52
	v_pk_add_f32 v[62:63], v[56:57], v[50:51] neg_lo:[0,1] neg_hi:[0,1]
	v_pk_add_f32 v[50:51], v[56:57], v[50:51]
	v_mov_b32_e32 v56, v51
	v_pk_add_f32 v[64:65], v[56:57], v[52:53] neg_lo:[0,1] neg_hi:[0,1]
	v_mov_b32_e32 v55, v64
	v_pk_add_f32 v[66:67], v[60:61], v[54:55] neg_lo:[0,1] neg_hi:[0,1]
	v_mov_b32_e32 v50, v61
	v_mov_b32_e32 v60, v53
	;; [unrolled: 1-line block ×4, first 2 shown]
	v_pk_add_f32 v[50:51], v[50:51], v[60:61] neg_lo:[0,1] neg_hi:[0,1]
	v_mov_b32_e32 v58, v59
	v_mov_b32_e32 v59, v52
	v_pk_add_f32 v[50:51], v[58:59], v[50:51] neg_lo:[0,1] neg_hi:[0,1]
	v_mov_b32_e32 v66, v62
	v_pk_add_f32 v[52:53], v[66:67], v[50:51]
	v_mov_b32_e32 v58, v53
	v_pk_add_f32 v[58:59], v[52:53], v[58:59]
	v_pk_add_f32 v[56:57], v[56:57], v[58:59]
	v_mov_b32_e32 v53, v56
	v_pk_add_f32 v[60:61], v[52:53], v[62:63] neg_lo:[0,1] neg_hi:[0,1]
	v_mov_b32_e32 v51, v58
	v_sub_f32_e32 v52, v52, v60
	v_pk_add_f32 v[50:51], v[50:51], v[60:61] neg_lo:[0,1] neg_hi:[0,1]
	v_sub_f32_e32 v52, v62, v52
	s_mov_b32 s3, 0x7f800000
	v_add_f32_e32 v50, v50, v52
	s_mov_b32 s2, 0x33800000
	v_add_f32_e32 v50, v50, v51
	v_cmp_eq_f32_e32 vcc, s3, v68
	v_cmp_lt_f32_e64 s[2:3], |v68|, s2
	v_add_f32_e32 v50, v56, v50
	s_or_b64 vcc, vcc, s[2:3]
	v_cndmask_b32_e32 v50, v50, v68, vcc
	v_add_f32_e32 v51, v2, v50
.LBB522_125:
	s_or_b64 exec, exec, s[0:1]
	v_bfe_u32 v2, v51, 16, 1
	s_movk_i32 s0, 0x7fff
	v_add3_u32 v2, v51, v2, s0
	v_lshrrev_b32_e32 v2, 16, v2
	v_mov_b32_e32 v50, 0x7fc0
	v_cmp_o_f32_e32 vcc, v51, v51
	v_cndmask_b32_e32 v2, v50, v2, vcc
	v_lshlrev_b32_e32 v50, 16, v2
	v_max_f32_e32 v52, v50, v50
	v_min_f32_e32 v51, v52, v25
	v_max_f32_e32 v52, v52, v25
	;;#ASMSTART
	;;#ASMEND
.LBB522_126:
	s_or_b64 exec, exec, s[4:5]
	v_cmp_u_f32_e32 vcc, v50, v50
	v_cndmask_b32_e32 v25, v51, v50, vcc
	v_cndmask_b32_e32 v51, v52, v50, vcc
	v_cndmask_b32_e64 v25, v25, v15, s[48:49]
	v_cndmask_b32_e64 v15, v51, v15, s[48:49]
	s_movk_i32 s4, 0x1f8
	v_cmp_neq_f32_e32 vcc, v25, v15
	v_cmp_class_f32_e64 s[0:1], v25, s4
	s_or_b64 s[2:3], vcc, s[0:1]
	s_and_saveexec_b64 s[0:1], s[2:3]
	s_cbranch_execz .LBB522_128
; %bb.127:
	v_sub_f32_e32 v25, v25, v15
	s_mov_b32 s2, 0x3fb8aa3b
	v_mul_f32_e32 v50, 0x3fb8aa3b, v25
	v_fma_f32 v51, v25, s2, -v50
	v_rndne_f32_e32 v52, v50
	v_fmac_f32_e32 v51, 0x32a5705f, v25
	v_sub_f32_e32 v50, v50, v52
	v_add_f32_e32 v50, v50, v51
	v_exp_f32_e32 v50, v50
	v_cvt_i32_f32_e32 v51, v52
	s_mov_b32 s2, 0xc2ce8ed0
	v_cmp_ngt_f32_e32 vcc, s2, v25
	s_mov_b32 s2, 0x42b17218
	v_ldexp_f32 v50, v50, v51
	v_cndmask_b32_e32 v50, 0, v50, vcc
	v_mov_b32_e32 v51, 0x7f800000
	v_cmp_nlt_f32_e32 vcc, s2, v25
	v_cndmask_b32_e32 v55, v51, v50, vcc
	v_add_f32_e32 v25, 1.0, v55
	v_add_f32_e32 v50, -1.0, v25
	v_sub_f32_e32 v51, v50, v25
	v_add_f32_e32 v51, 1.0, v51
	v_sub_f32_e32 v50, v55, v50
	v_add_f32_e32 v52, v50, v51
	v_frexp_mant_f32_e32 v53, v25
	s_mov_b32 s2, 0x3f2aaaab
	v_cvt_f64_f32_e32 v[50:51], v25
	v_frexp_exp_i32_f64_e32 v50, v[50:51]
	v_cmp_gt_f32_e32 vcc, s2, v53
	v_subbrev_co_u32_e32 v60, vcc, 0, v50, vcc
	v_sub_u32_e32 v50, 0, v60
	v_ldexp_f32 v25, v25, v50
	v_ldexp_f32 v50, v52, v50
	v_add_f32_e32 v52, -1.0, v25
	v_add_f32_e32 v51, 1.0, v52
	v_sub_f32_e32 v51, v25, v51
	v_add_f32_e32 v53, v50, v51
	v_add_f32_e32 v51, 1.0, v25
	v_add_f32_e32 v56, -1.0, v51
	v_sub_f32_e32 v25, v25, v56
	v_add_f32_e32 v25, v50, v25
	v_add_f32_e32 v61, v51, v25
	v_rcp_f32_e32 v62, v61
	v_sub_f32_e32 v50, v51, v61
	v_add_f32_e32 v51, v52, v53
	v_add_f32_e32 v25, v25, v50
	v_mul_f32_e32 v64, v51, v62
	v_sub_f32_e32 v50, v52, v51
	v_mul_f32_e32 v52, v61, v64
	v_fma_f32 v56, v64, v61, -v52
	v_fmac_f32_e32 v56, v64, v25
	v_add_f32_e32 v63, v53, v50
	v_add_f32_e32 v50, v52, v56
	v_sub_f32_e32 v53, v51, v50
	v_pk_add_f32 v[58:59], v[50:51], v[52:53] neg_lo:[0,1] neg_hi:[0,1]
	v_mov_b32_e32 v57, v50
	v_pk_add_f32 v[50:51], v[58:59], v[56:57] neg_lo:[0,1] neg_hi:[0,1]
	v_add_f32_e32 v51, v63, v51
	v_add_f32_e32 v50, v50, v51
	;; [unrolled: 1-line block ×3, first 2 shown]
	v_mul_f32_e32 v63, v62, v51
	v_mul_f32_e32 v52, v61, v63
	v_fma_f32 v56, v63, v61, -v52
	v_fmac_f32_e32 v56, v63, v25
	v_sub_f32_e32 v25, v53, v51
	v_add_f32_e32 v25, v50, v25
	v_add_f32_e32 v50, v52, v56
	v_sub_f32_e32 v53, v51, v50
	v_pk_add_f32 v[58:59], v[50:51], v[52:53] neg_lo:[0,1] neg_hi:[0,1]
	v_mov_b32_e32 v57, v50
	v_pk_add_f32 v[50:51], v[58:59], v[56:57] neg_lo:[0,1] neg_hi:[0,1]
	v_add_f32_e32 v25, v25, v51
	v_add_f32_e32 v25, v50, v25
	;; [unrolled: 1-line block ×4, first 2 shown]
	v_sub_f32_e32 v51, v50, v64
	v_mul_f32_e32 v25, v62, v25
	v_sub_f32_e32 v51, v63, v51
	v_add_f32_e32 v25, v51, v25
	v_add_f32_e32 v53, v50, v25
	v_mul_f32_e32 v56, v53, v53
	v_mov_b32_e32 v52, 0x3ecc95a3
	v_fmac_f32_e32 v52, 0x3e9b6dac, v56
	v_mov_b32_e32 v51, 0x3f2aaada
	v_fmac_f32_e32 v51, v56, v52
	v_cvt_f32_i32_e32 v52, v60
	v_sub_f32_e32 v50, v53, v50
	v_sub_f32_e32 v25, v25, v50
	v_ldexp_f32 v57, v53, 1
	v_mul_f32_e32 v53, v53, v56
	v_mov_b32_e32 v50, 0x3f317218
	s_mov_b32 s2, 0x3f317218
	v_pk_mul_f32 v[50:51], v[52:53], v[50:51]
	v_fma_f32 v56, v52, s2, -v50
	v_fmac_f32_e32 v56, 0xb102e308, v52
	v_pk_add_f32 v[52:53], v[50:51], v[56:57]
	v_sub_f32_e32 v57, v53, v57
	v_ldexp_f32 v25, v25, 1
	v_sub_f32_e32 v57, v51, v57
	v_add_f32_e32 v59, v25, v57
	v_mov_b32_e32 v58, v50
	v_pk_add_f32 v[50:51], v[52:53], v[50:51] neg_lo:[0,1] neg_hi:[0,1]
	v_pk_add_f32 v[60:61], v[52:53], v[58:59]
	v_mov_b32_e32 v51, v61
	v_mov_b32_e32 v57, v52
	v_pk_add_f32 v[62:63], v[56:57], v[50:51] neg_lo:[0,1] neg_hi:[0,1]
	v_pk_add_f32 v[50:51], v[56:57], v[50:51]
	v_mov_b32_e32 v56, v51
	v_pk_add_f32 v[64:65], v[56:57], v[52:53] neg_lo:[0,1] neg_hi:[0,1]
	v_mov_b32_e32 v25, v64
	v_pk_add_f32 v[66:67], v[60:61], v[24:25] neg_lo:[0,1] neg_hi:[0,1]
	v_mov_b32_e32 v50, v61
	v_mov_b32_e32 v60, v53
	;; [unrolled: 1-line block ×4, first 2 shown]
	v_pk_add_f32 v[50:51], v[50:51], v[60:61] neg_lo:[0,1] neg_hi:[0,1]
	v_mov_b32_e32 v58, v59
	v_mov_b32_e32 v59, v52
	v_pk_add_f32 v[50:51], v[58:59], v[50:51] neg_lo:[0,1] neg_hi:[0,1]
	v_mov_b32_e32 v66, v62
	v_pk_add_f32 v[52:53], v[66:67], v[50:51]
	v_mov_b32_e32 v58, v53
	v_pk_add_f32 v[58:59], v[52:53], v[58:59]
	v_pk_add_f32 v[56:57], v[56:57], v[58:59]
	v_mov_b32_e32 v53, v56
	v_pk_add_f32 v[60:61], v[52:53], v[62:63] neg_lo:[0,1] neg_hi:[0,1]
	v_mov_b32_e32 v51, v58
	v_sub_f32_e32 v25, v52, v60
	v_pk_add_f32 v[50:51], v[50:51], v[60:61] neg_lo:[0,1] neg_hi:[0,1]
	v_sub_f32_e32 v25, v62, v25
	s_mov_b32 s3, 0x7f800000
	v_add_f32_e32 v25, v50, v25
	s_mov_b32 s2, 0x33800000
	v_add_f32_e32 v25, v25, v51
	v_cmp_eq_f32_e32 vcc, s3, v55
	v_cmp_lt_f32_e64 s[2:3], |v55|, s2
	v_add_f32_e32 v25, v56, v25
	s_or_b64 vcc, vcc, s[2:3]
	v_cndmask_b32_e32 v25, v25, v55, vcc
	v_add_f32_e32 v50, v15, v25
.LBB522_128:
	s_or_b64 exec, exec, s[0:1]
	v_bfe_u32 v15, v50, 16, 1
	s_movk_i32 s5, 0x7fff
	v_add3_u32 v15, v50, v15, s5
	v_lshrrev_b32_e32 v15, 16, v15
	v_mov_b32_e32 v25, 0x7fc0
	v_cmp_o_f32_e32 vcc, v50, v50
	v_cndmask_b32_e32 v15, v25, v15, vcc
	v_lshlrev_b32_e32 v50, 16, v15
	v_max_f32_e32 v52, v50, v50
	v_min_f32_e32 v51, v52, v18
	v_cmp_u_f32_e32 vcc, v50, v50
	v_max_f32_e32 v18, v52, v18
	v_cndmask_b32_e32 v51, v51, v50, vcc
	v_cndmask_b32_e32 v18, v18, v50, vcc
	v_cndmask_b32_e64 v51, v51, v16, s[50:51]
	v_cndmask_b32_e64 v16, v18, v16, s[50:51]
	v_cmp_neq_f32_e32 vcc, v51, v16
	v_cmp_class_f32_e64 s[0:1], v51, s4
	s_or_b64 s[2:3], vcc, s[0:1]
	s_and_saveexec_b64 s[0:1], s[2:3]
	s_cbranch_execz .LBB522_130
; %bb.129:
	v_sub_f32_e32 v18, v51, v16
	s_mov_b32 s2, 0x3fb8aa3b
	v_mul_f32_e32 v50, 0x3fb8aa3b, v18
	v_fma_f32 v51, v18, s2, -v50
	v_rndne_f32_e32 v52, v50
	v_fmac_f32_e32 v51, 0x32a5705f, v18
	v_sub_f32_e32 v50, v50, v52
	v_add_f32_e32 v50, v50, v51
	v_exp_f32_e32 v50, v50
	v_cvt_i32_f32_e32 v51, v52
	s_mov_b32 s2, 0xc2ce8ed0
	v_cmp_ngt_f32_e32 vcc, s2, v18
	s_mov_b32 s2, 0x42b17218
	v_ldexp_f32 v50, v50, v51
	v_cndmask_b32_e32 v50, 0, v50, vcc
	v_mov_b32_e32 v51, 0x7f800000
	v_cmp_nlt_f32_e32 vcc, s2, v18
	v_cndmask_b32_e32 v66, v51, v50, vcc
	v_add_f32_e32 v18, 1.0, v66
	v_add_f32_e32 v50, -1.0, v18
	v_sub_f32_e32 v51, v50, v18
	v_add_f32_e32 v51, 1.0, v51
	v_sub_f32_e32 v50, v66, v50
	v_add_f32_e32 v52, v50, v51
	v_frexp_mant_f32_e32 v53, v18
	s_mov_b32 s2, 0x3f2aaaab
	v_cvt_f64_f32_e32 v[50:51], v18
	v_frexp_exp_i32_f64_e32 v50, v[50:51]
	v_cmp_gt_f32_e32 vcc, s2, v53
	v_subbrev_co_u32_e32 v55, vcc, 0, v50, vcc
	v_sub_u32_e32 v50, 0, v55
	v_ldexp_f32 v18, v18, v50
	v_ldexp_f32 v50, v52, v50
	v_add_f32_e32 v52, -1.0, v18
	v_add_f32_e32 v51, 1.0, v52
	v_sub_f32_e32 v51, v18, v51
	v_add_f32_e32 v53, v50, v51
	v_add_f32_e32 v51, 1.0, v18
	v_add_f32_e32 v56, -1.0, v51
	v_sub_f32_e32 v18, v18, v56
	v_add_f32_e32 v18, v50, v18
	v_add_f32_e32 v60, v51, v18
	v_rcp_f32_e32 v61, v60
	v_sub_f32_e32 v50, v51, v60
	v_add_f32_e32 v51, v52, v53
	v_add_f32_e32 v18, v18, v50
	v_mul_f32_e32 v63, v51, v61
	v_sub_f32_e32 v50, v52, v51
	v_mul_f32_e32 v52, v60, v63
	v_fma_f32 v56, v63, v60, -v52
	v_fmac_f32_e32 v56, v63, v18
	v_add_f32_e32 v62, v53, v50
	v_add_f32_e32 v50, v52, v56
	v_sub_f32_e32 v53, v51, v50
	v_pk_add_f32 v[58:59], v[50:51], v[52:53] neg_lo:[0,1] neg_hi:[0,1]
	v_mov_b32_e32 v57, v50
	v_pk_add_f32 v[50:51], v[58:59], v[56:57] neg_lo:[0,1] neg_hi:[0,1]
	v_add_f32_e32 v51, v62, v51
	v_add_f32_e32 v50, v50, v51
	;; [unrolled: 1-line block ×3, first 2 shown]
	v_mul_f32_e32 v62, v61, v51
	v_mul_f32_e32 v52, v60, v62
	v_fma_f32 v56, v62, v60, -v52
	v_fmac_f32_e32 v56, v62, v18
	v_sub_f32_e32 v18, v53, v51
	v_add_f32_e32 v18, v50, v18
	v_add_f32_e32 v50, v52, v56
	v_sub_f32_e32 v53, v51, v50
	v_pk_add_f32 v[58:59], v[50:51], v[52:53] neg_lo:[0,1] neg_hi:[0,1]
	v_mov_b32_e32 v57, v50
	v_pk_add_f32 v[50:51], v[58:59], v[56:57] neg_lo:[0,1] neg_hi:[0,1]
	v_add_f32_e32 v18, v18, v51
	v_add_f32_e32 v18, v50, v18
	;; [unrolled: 1-line block ×4, first 2 shown]
	v_sub_f32_e32 v51, v50, v63
	v_mul_f32_e32 v18, v61, v18
	v_sub_f32_e32 v51, v62, v51
	v_add_f32_e32 v18, v51, v18
	v_add_f32_e32 v53, v50, v18
	v_mul_f32_e32 v56, v53, v53
	v_mov_b32_e32 v52, 0x3ecc95a3
	v_fmac_f32_e32 v52, 0x3e9b6dac, v56
	v_mov_b32_e32 v51, 0x3f2aaada
	v_fmac_f32_e32 v51, v56, v52
	v_cvt_f32_i32_e32 v52, v55
	v_sub_f32_e32 v50, v53, v50
	v_sub_f32_e32 v18, v18, v50
	v_ldexp_f32 v57, v53, 1
	v_mul_f32_e32 v53, v53, v56
	v_mov_b32_e32 v50, 0x3f317218
	s_mov_b32 s2, 0x3f317218
	v_pk_mul_f32 v[50:51], v[52:53], v[50:51]
	v_fma_f32 v56, v52, s2, -v50
	v_fmac_f32_e32 v56, 0xb102e308, v52
	v_pk_add_f32 v[52:53], v[50:51], v[56:57]
	v_sub_f32_e32 v55, v53, v57
	v_ldexp_f32 v18, v18, 1
	v_sub_f32_e32 v55, v51, v55
	v_add_f32_e32 v59, v18, v55
	v_mov_b32_e32 v58, v50
	v_pk_add_f32 v[50:51], v[52:53], v[50:51] neg_lo:[0,1] neg_hi:[0,1]
	v_pk_add_f32 v[60:61], v[52:53], v[58:59]
	v_mov_b32_e32 v51, v61
	v_mov_b32_e32 v57, v52
	v_pk_add_f32 v[62:63], v[56:57], v[50:51] neg_lo:[0,1] neg_hi:[0,1]
	v_pk_add_f32 v[50:51], v[56:57], v[50:51]
	v_mov_b32_e32 v18, v51
	v_pk_add_f32 v[56:57], v[18:19], v[52:53] neg_lo:[0,1] neg_hi:[0,1]
	v_mov_b32_e32 v55, v56
	v_pk_add_f32 v[64:65], v[60:61], v[54:55] neg_lo:[0,1] neg_hi:[0,1]
	v_mov_b32_e32 v50, v61
	v_mov_b32_e32 v60, v53
	;; [unrolled: 1-line block ×4, first 2 shown]
	v_pk_add_f32 v[50:51], v[50:51], v[60:61] neg_lo:[0,1] neg_hi:[0,1]
	v_mov_b32_e32 v56, v59
	v_mov_b32_e32 v57, v52
	v_pk_add_f32 v[50:51], v[56:57], v[50:51] neg_lo:[0,1] neg_hi:[0,1]
	v_mov_b32_e32 v64, v62
	v_pk_add_f32 v[52:53], v[64:65], v[50:51]
	v_mov_b32_e32 v56, v53
	v_pk_add_f32 v[56:57], v[52:53], v[56:57]
	v_pk_add_f32 v[58:59], v[18:19], v[56:57]
	v_mov_b32_e32 v53, v58
	v_pk_add_f32 v[60:61], v[52:53], v[62:63] neg_lo:[0,1] neg_hi:[0,1]
	v_mov_b32_e32 v51, v56
	v_sub_f32_e32 v18, v52, v60
	v_pk_add_f32 v[50:51], v[50:51], v[60:61] neg_lo:[0,1] neg_hi:[0,1]
	v_sub_f32_e32 v18, v62, v18
	s_mov_b32 s3, 0x7f800000
	v_add_f32_e32 v18, v50, v18
	s_mov_b32 s2, 0x33800000
	v_add_f32_e32 v18, v18, v51
	v_cmp_eq_f32_e32 vcc, s3, v66
	v_cmp_lt_f32_e64 s[2:3], |v66|, s2
	v_add_f32_e32 v18, v58, v18
	s_or_b64 vcc, vcc, s[2:3]
	v_cndmask_b32_e32 v18, v18, v66, vcc
	v_add_f32_e32 v50, v16, v18
.LBB522_130:
	s_or_b64 exec, exec, s[0:1]
	v_bfe_u32 v16, v50, 16, 1
	v_add3_u32 v16, v50, v16, s5
	v_lshrrev_b32_e32 v16, 16, v16
	v_cmp_o_f32_e32 vcc, v50, v50
	v_cndmask_b32_e32 v16, v25, v16, vcc
	v_lshlrev_b32_e32 v25, 16, v16
	v_max_f32_e32 v50, v25, v25
	v_min_f32_e32 v18, v50, v19
	v_cmp_u_f32_e32 vcc, v25, v25
	v_max_f32_e32 v19, v50, v19
	v_cndmask_b32_e32 v18, v18, v25, vcc
	v_cndmask_b32_e32 v19, v19, v25, vcc
	v_cndmask_b32_e64 v18, v18, v3, s[52:53]
	v_cndmask_b32_e64 v3, v19, v3, s[52:53]
	v_cmp_neq_f32_e32 vcc, v18, v3
	v_cmp_class_f32_e64 s[0:1], v18, s4
	s_or_b64 s[2:3], vcc, s[0:1]
	s_and_saveexec_b64 s[0:1], s[2:3]
	s_cbranch_execz .LBB522_132
; %bb.131:
	v_sub_f32_e32 v18, v18, v3
	s_mov_b32 s2, 0x3fb8aa3b
	v_mul_f32_e32 v19, 0x3fb8aa3b, v18
	v_fma_f32 v25, v18, s2, -v19
	v_rndne_f32_e32 v50, v19
	v_fmac_f32_e32 v25, 0x32a5705f, v18
	v_sub_f32_e32 v19, v19, v50
	v_add_f32_e32 v19, v19, v25
	v_exp_f32_e32 v19, v19
	v_cvt_i32_f32_e32 v25, v50
	s_mov_b32 s2, 0xc2ce8ed0
	v_cmp_ngt_f32_e32 vcc, s2, v18
	s_mov_b32 s2, 0x42b17218
	v_ldexp_f32 v19, v19, v25
	v_cndmask_b32_e32 v19, 0, v19, vcc
	v_mov_b32_e32 v25, 0x7f800000
	v_cmp_nlt_f32_e32 vcc, s2, v18
	v_cndmask_b32_e32 v55, v25, v19, vcc
	v_add_f32_e32 v25, 1.0, v55
	v_add_f32_e32 v18, -1.0, v25
	v_sub_f32_e32 v19, v18, v25
	v_add_f32_e32 v19, 1.0, v19
	v_sub_f32_e32 v18, v55, v18
	v_add_f32_e32 v50, v18, v19
	v_frexp_mant_f32_e32 v51, v25
	s_mov_b32 s2, 0x3f2aaaab
	v_cvt_f64_f32_e32 v[18:19], v25
	v_frexp_exp_i32_f64_e32 v18, v[18:19]
	v_cmp_gt_f32_e32 vcc, s2, v51
	v_subbrev_co_u32_e32 v58, vcc, 0, v18, vcc
	v_sub_u32_e32 v18, 0, v58
	v_ldexp_f32 v19, v25, v18
	v_add_f32_e32 v25, -1.0, v19
	v_add_f32_e32 v51, 1.0, v19
	v_ldexp_f32 v18, v50, v18
	v_add_f32_e32 v50, 1.0, v25
	v_add_f32_e32 v52, -1.0, v51
	v_sub_f32_e32 v50, v19, v50
	v_sub_f32_e32 v19, v19, v52
	v_add_f32_e32 v50, v18, v50
	v_add_f32_e32 v18, v18, v19
	;; [unrolled: 1-line block ×3, first 2 shown]
	v_rcp_f32_e32 v61, v59
	v_sub_f32_e32 v19, v51, v59
	v_add_f32_e32 v60, v18, v19
	v_add_f32_e32 v19, v25, v50
	v_sub_f32_e32 v18, v25, v19
	v_mul_f32_e32 v62, v19, v61
	v_add_f32_e32 v25, v50, v18
	v_mul_f32_e32 v50, v59, v62
	v_fma_f32 v52, v62, v59, -v50
	v_fmac_f32_e32 v52, v62, v60
	v_add_f32_e32 v18, v50, v52
	v_sub_f32_e32 v51, v19, v18
	v_pk_add_f32 v[56:57], v[18:19], v[50:51] neg_lo:[0,1] neg_hi:[0,1]
	v_mov_b32_e32 v53, v18
	v_pk_add_f32 v[18:19], v[56:57], v[52:53] neg_lo:[0,1] neg_hi:[0,1]
	v_add_f32_e32 v19, v25, v19
	v_add_f32_e32 v18, v18, v19
	;; [unrolled: 1-line block ×3, first 2 shown]
	v_mul_f32_e32 v25, v61, v19
	v_mul_f32_e32 v50, v59, v25
	v_fma_f32 v52, v25, v59, -v50
	v_fmac_f32_e32 v52, v25, v60
	v_sub_f32_e32 v51, v51, v19
	v_add_f32_e32 v59, v18, v51
	v_add_f32_e32 v18, v50, v52
	v_sub_f32_e32 v51, v19, v18
	v_pk_add_f32 v[56:57], v[18:19], v[50:51] neg_lo:[0,1] neg_hi:[0,1]
	v_mov_b32_e32 v53, v18
	v_pk_add_f32 v[18:19], v[56:57], v[52:53] neg_lo:[0,1] neg_hi:[0,1]
	v_add_f32_e32 v19, v59, v19
	v_add_f32_e32 v18, v18, v19
	;; [unrolled: 1-line block ×4, first 2 shown]
	v_sub_f32_e32 v19, v51, v62
	v_mul_f32_e32 v18, v61, v18
	v_sub_f32_e32 v19, v25, v19
	v_add_f32_e32 v18, v19, v18
	v_add_f32_e32 v25, v51, v18
	v_mul_f32_e32 v52, v25, v25
	v_mov_b32_e32 v50, 0x3ecc95a3
	v_fmac_f32_e32 v50, 0x3e9b6dac, v52
	v_mov_b32_e32 v19, 0x3f2aaada
	v_fmac_f32_e32 v19, v52, v50
	v_cvt_f32_i32_e32 v50, v58
	v_sub_f32_e32 v51, v25, v51
	v_sub_f32_e32 v18, v18, v51
	v_ldexp_f32 v56, v18, 1
	v_mul_f32_e32 v51, v25, v52
	v_mov_b32_e32 v18, 0x3f317218
	s_mov_b32 s2, 0x3f317218
	v_pk_mul_f32 v[18:19], v[50:51], v[18:19]
	v_fma_f32 v52, v50, s2, -v18
	v_ldexp_f32 v53, v25, 1
	v_fmac_f32_e32 v52, 0xb102e308, v50
	v_pk_add_f32 v[50:51], v[18:19], v[52:53]
	v_sub_f32_e32 v25, v51, v53
	v_sub_f32_e32 v25, v19, v25
	v_add_f32_e32 v57, v56, v25
	v_mov_b32_e32 v56, v18
	v_pk_add_f32 v[18:19], v[50:51], v[18:19] neg_lo:[0,1] neg_hi:[0,1]
	v_pk_add_f32 v[58:59], v[50:51], v[56:57]
	v_mov_b32_e32 v19, v59
	v_mov_b32_e32 v53, v50
	v_pk_add_f32 v[60:61], v[52:53], v[18:19] neg_lo:[0,1] neg_hi:[0,1]
	v_pk_add_f32 v[18:19], v[52:53], v[18:19]
	v_mov_b32_e32 v52, v19
	v_pk_add_f32 v[62:63], v[52:53], v[50:51] neg_lo:[0,1] neg_hi:[0,1]
	v_mov_b32_e32 v25, v62
	v_pk_add_f32 v[64:65], v[58:59], v[24:25] neg_lo:[0,1] neg_hi:[0,1]
	v_mov_b32_e32 v18, v59
	v_mov_b32_e32 v58, v51
	;; [unrolled: 1-line block ×4, first 2 shown]
	v_pk_add_f32 v[18:19], v[18:19], v[58:59] neg_lo:[0,1] neg_hi:[0,1]
	v_mov_b32_e32 v56, v57
	v_mov_b32_e32 v57, v50
	v_pk_add_f32 v[18:19], v[56:57], v[18:19] neg_lo:[0,1] neg_hi:[0,1]
	v_mov_b32_e32 v64, v60
	v_pk_add_f32 v[50:51], v[64:65], v[18:19]
	v_mov_b32_e32 v56, v51
	v_pk_add_f32 v[56:57], v[50:51], v[56:57]
	v_pk_add_f32 v[52:53], v[52:53], v[56:57]
	v_mov_b32_e32 v51, v52
	v_pk_add_f32 v[58:59], v[50:51], v[60:61] neg_lo:[0,1] neg_hi:[0,1]
	v_mov_b32_e32 v19, v56
	v_sub_f32_e32 v25, v50, v58
	v_pk_add_f32 v[18:19], v[18:19], v[58:59] neg_lo:[0,1] neg_hi:[0,1]
	v_sub_f32_e32 v25, v60, v25
	s_mov_b32 s3, 0x7f800000
	v_add_f32_e32 v18, v18, v25
	s_mov_b32 s2, 0x33800000
	v_add_f32_e32 v18, v18, v19
	v_cmp_eq_f32_e32 vcc, s3, v55
	v_cmp_lt_f32_e64 s[2:3], |v55|, s2
	v_add_f32_e32 v18, v52, v18
	s_or_b64 vcc, vcc, s[2:3]
	v_cndmask_b32_e32 v18, v18, v55, vcc
	v_add_f32_e32 v25, v3, v18
.LBB522_132:
	s_or_b64 exec, exec, s[0:1]
	v_bfe_u32 v3, v25, 16, 1
	v_add3_u32 v3, v25, v3, s5
	v_lshrrev_b32_e32 v3, 16, v3
	v_mov_b32_e32 v18, 0x7fc0
	v_cmp_o_f32_e32 vcc, v25, v25
	v_cndmask_b32_e32 v3, v18, v3, vcc
	v_lshlrev_b32_e32 v19, 16, v3
	v_max_f32_e32 v50, v19, v19
	v_min_f32_e32 v25, v50, v21
	v_cmp_u_f32_e32 vcc, v19, v19
	v_max_f32_e32 v21, v50, v21
	v_cndmask_b32_e32 v25, v25, v19, vcc
	v_cndmask_b32_e32 v21, v21, v19, vcc
	v_cndmask_b32_e64 v25, v25, v17, s[54:55]
	v_cndmask_b32_e64 v17, v21, v17, s[54:55]
	v_cmp_neq_f32_e32 vcc, v25, v17
	v_cmp_class_f32_e64 s[0:1], v25, s4
	s_or_b64 s[2:3], vcc, s[0:1]
	s_and_saveexec_b64 s[0:1], s[2:3]
	s_cbranch_execz .LBB522_134
; %bb.133:
	v_sub_f32_e32 v19, v25, v17
	s_mov_b32 s2, 0x3fb8aa3b
	v_mul_f32_e32 v21, 0x3fb8aa3b, v19
	v_fma_f32 v25, v19, s2, -v21
	v_rndne_f32_e32 v50, v21
	v_fmac_f32_e32 v25, 0x32a5705f, v19
	v_sub_f32_e32 v21, v21, v50
	v_add_f32_e32 v21, v21, v25
	v_exp_f32_e32 v21, v21
	v_cvt_i32_f32_e32 v25, v50
	s_mov_b32 s2, 0xc2ce8ed0
	v_cmp_ngt_f32_e32 vcc, s2, v19
	s_mov_b32 s2, 0x42b17218
	v_ldexp_f32 v21, v21, v25
	v_cndmask_b32_e32 v21, 0, v21, vcc
	v_mov_b32_e32 v25, 0x7f800000
	v_cmp_nlt_f32_e32 vcc, s2, v19
	v_cndmask_b32_e32 v21, v25, v21, vcc
	v_add_f32_e32 v19, 1.0, v21
	v_add_f32_e32 v25, -1.0, v19
	v_sub_f32_e32 v50, v25, v19
	v_add_f32_e32 v50, 1.0, v50
	v_sub_f32_e32 v25, v21, v25
	v_add_f32_e32 v25, v25, v50
	v_frexp_mant_f32_e32 v52, v19
	s_mov_b32 s2, 0x3f2aaaab
	v_cvt_f64_f32_e32 v[50:51], v19
	v_frexp_exp_i32_f64_e32 v50, v[50:51]
	v_cmp_gt_f32_e32 vcc, s2, v52
	v_subbrev_co_u32_e32 v55, vcc, 0, v50, vcc
	v_sub_u32_e32 v50, 0, v55
	v_ldexp_f32 v19, v19, v50
	v_ldexp_f32 v25, v25, v50
	v_add_f32_e32 v50, -1.0, v19
	v_add_f32_e32 v51, 1.0, v50
	v_sub_f32_e32 v51, v19, v51
	v_add_f32_e32 v52, v25, v51
	v_add_f32_e32 v51, 1.0, v19
	v_add_f32_e32 v53, -1.0, v51
	v_sub_f32_e32 v19, v19, v53
	v_add_f32_e32 v19, v25, v19
	v_add_f32_e32 v25, v51, v19
	v_rcp_f32_e32 v60, v25
	v_sub_f32_e32 v51, v51, v25
	v_add_f32_e32 v19, v19, v51
	v_add_f32_e32 v51, v50, v52
	v_sub_f32_e32 v50, v50, v51
	v_mul_f32_e32 v62, v51, v60
	v_add_f32_e32 v61, v52, v50
	v_mul_f32_e32 v52, v25, v62
	v_fma_f32 v56, v62, v25, -v52
	v_fmac_f32_e32 v56, v62, v19
	v_add_f32_e32 v50, v52, v56
	v_sub_f32_e32 v53, v51, v50
	v_pk_add_f32 v[58:59], v[50:51], v[52:53] neg_lo:[0,1] neg_hi:[0,1]
	v_mov_b32_e32 v57, v50
	v_pk_add_f32 v[50:51], v[58:59], v[56:57] neg_lo:[0,1] neg_hi:[0,1]
	v_add_f32_e32 v51, v61, v51
	v_add_f32_e32 v50, v50, v51
	;; [unrolled: 1-line block ×3, first 2 shown]
	v_mul_f32_e32 v61, v60, v51
	v_mul_f32_e32 v52, v25, v61
	v_fma_f32 v56, v61, v25, -v52
	v_fmac_f32_e32 v56, v61, v19
	v_sub_f32_e32 v19, v53, v51
	v_add_f32_e32 v19, v50, v19
	v_add_f32_e32 v50, v52, v56
	v_sub_f32_e32 v53, v51, v50
	v_pk_add_f32 v[58:59], v[50:51], v[52:53] neg_lo:[0,1] neg_hi:[0,1]
	v_mov_b32_e32 v57, v50
	v_pk_add_f32 v[50:51], v[58:59], v[56:57] neg_lo:[0,1] neg_hi:[0,1]
	v_add_f32_e32 v19, v19, v51
	v_add_f32_e32 v19, v50, v19
	;; [unrolled: 1-line block ×4, first 2 shown]
	v_sub_f32_e32 v50, v25, v62
	v_mul_f32_e32 v19, v60, v19
	v_sub_f32_e32 v50, v61, v50
	v_add_f32_e32 v19, v50, v19
	v_add_f32_e32 v50, v25, v19
	v_mul_f32_e32 v53, v50, v50
	v_mov_b32_e32 v52, 0x3ecc95a3
	v_fmac_f32_e32 v52, 0x3e9b6dac, v53
	v_mov_b32_e32 v51, 0x3f2aaada
	v_fmac_f32_e32 v51, v53, v52
	v_cvt_f32_i32_e32 v52, v55
	v_sub_f32_e32 v25, v50, v25
	v_ldexp_f32 v57, v50, 1
	v_mul_f32_e32 v53, v50, v53
	v_mov_b32_e32 v50, 0x3f317218
	s_mov_b32 s2, 0x3f317218
	v_pk_mul_f32 v[50:51], v[52:53], v[50:51]
	v_fma_f32 v56, v52, s2, -v50
	v_fmac_f32_e32 v56, 0xb102e308, v52
	v_pk_add_f32 v[52:53], v[50:51], v[56:57]
	v_sub_f32_e32 v19, v19, v25
	v_sub_f32_e32 v25, v53, v57
	v_ldexp_f32 v19, v19, 1
	v_sub_f32_e32 v25, v51, v25
	v_add_f32_e32 v59, v19, v25
	v_mov_b32_e32 v58, v50
	v_pk_add_f32 v[50:51], v[52:53], v[50:51] neg_lo:[0,1] neg_hi:[0,1]
	v_pk_add_f32 v[60:61], v[52:53], v[58:59]
	v_mov_b32_e32 v51, v61
	v_mov_b32_e32 v57, v52
	v_pk_add_f32 v[62:63], v[56:57], v[50:51] neg_lo:[0,1] neg_hi:[0,1]
	v_pk_add_f32 v[50:51], v[56:57], v[50:51]
	v_mov_b32_e32 v56, v51
	v_pk_add_f32 v[64:65], v[56:57], v[52:53] neg_lo:[0,1] neg_hi:[0,1]
	v_mov_b32_e32 v19, v64
	v_pk_add_f32 v[66:67], v[60:61], v[18:19] neg_lo:[0,1] neg_hi:[0,1]
	v_mov_b32_e32 v50, v61
	v_mov_b32_e32 v60, v53
	;; [unrolled: 1-line block ×4, first 2 shown]
	v_pk_add_f32 v[50:51], v[50:51], v[60:61] neg_lo:[0,1] neg_hi:[0,1]
	v_mov_b32_e32 v58, v59
	v_mov_b32_e32 v59, v52
	v_pk_add_f32 v[50:51], v[58:59], v[50:51] neg_lo:[0,1] neg_hi:[0,1]
	v_mov_b32_e32 v66, v62
	v_pk_add_f32 v[52:53], v[66:67], v[50:51]
	v_mov_b32_e32 v58, v53
	v_pk_add_f32 v[58:59], v[52:53], v[58:59]
	v_pk_add_f32 v[56:57], v[56:57], v[58:59]
	v_mov_b32_e32 v53, v56
	v_pk_add_f32 v[60:61], v[52:53], v[62:63] neg_lo:[0,1] neg_hi:[0,1]
	v_mov_b32_e32 v51, v58
	v_sub_f32_e32 v19, v52, v60
	v_pk_add_f32 v[50:51], v[50:51], v[60:61] neg_lo:[0,1] neg_hi:[0,1]
	v_sub_f32_e32 v19, v62, v19
	s_mov_b32 s3, 0x7f800000
	v_add_f32_e32 v19, v50, v19
	s_mov_b32 s2, 0x33800000
	v_add_f32_e32 v19, v19, v51
	v_cmp_eq_f32_e32 vcc, s3, v21
	v_cmp_lt_f32_e64 s[2:3], |v21|, s2
	v_add_f32_e32 v19, v56, v19
	s_or_b64 vcc, vcc, s[2:3]
	v_cndmask_b32_e32 v19, v19, v21, vcc
	v_add_f32_e32 v19, v17, v19
.LBB522_134:
	s_or_b64 exec, exec, s[0:1]
	v_bfe_u32 v17, v19, 16, 1
	v_add3_u32 v17, v19, v17, s5
	v_lshrrev_b32_e32 v17, 16, v17
	v_cmp_o_f32_e32 vcc, v19, v19
	v_cndmask_b32_e32 v17, v18, v17, vcc
	v_lshlrev_b32_e32 v19, 16, v17
	v_max_f32_e32 v21, v19, v19
	v_min_f32_e32 v18, v21, v22
	v_cmp_u_f32_e32 vcc, v19, v19
	v_max_f32_e32 v21, v21, v22
	v_cndmask_b32_e32 v18, v18, v19, vcc
	v_cndmask_b32_e32 v21, v21, v19, vcc
	v_cndmask_b32_e64 v18, v18, v4, s[56:57]
	v_cndmask_b32_e64 v4, v21, v4, s[56:57]
	v_cmp_neq_f32_e32 vcc, v18, v4
	v_cmp_class_f32_e64 s[0:1], v18, s4
	s_or_b64 s[2:3], vcc, s[0:1]
	s_and_saveexec_b64 s[0:1], s[2:3]
	s_cbranch_execz .LBB522_136
; %bb.135:
	v_sub_f32_e32 v18, v18, v4
	s_mov_b32 s2, 0x3fb8aa3b
	v_mul_f32_e32 v19, 0x3fb8aa3b, v18
	v_fma_f32 v21, v18, s2, -v19
	v_rndne_f32_e32 v22, v19
	v_fmac_f32_e32 v21, 0x32a5705f, v18
	v_sub_f32_e32 v19, v19, v22
	v_add_f32_e32 v19, v19, v21
	v_exp_f32_e32 v19, v19
	v_cvt_i32_f32_e32 v21, v22
	s_mov_b32 s2, 0xc2ce8ed0
	v_cmp_ngt_f32_e32 vcc, s2, v18
	s_mov_b32 s2, 0x42b17218
	v_ldexp_f32 v19, v19, v21
	v_cndmask_b32_e32 v19, 0, v19, vcc
	v_mov_b32_e32 v21, 0x7f800000
	v_cmp_nlt_f32_e32 vcc, s2, v18
	v_cndmask_b32_e32 v25, v21, v19, vcc
	v_add_f32_e32 v21, 1.0, v25
	v_add_f32_e32 v18, -1.0, v21
	v_sub_f32_e32 v19, v18, v21
	v_add_f32_e32 v19, 1.0, v19
	v_sub_f32_e32 v18, v25, v18
	v_add_f32_e32 v22, v18, v19
	v_frexp_mant_f32_e32 v50, v21
	s_mov_b32 s2, 0x3f2aaaab
	v_cvt_f64_f32_e32 v[18:19], v21
	v_frexp_exp_i32_f64_e32 v18, v[18:19]
	v_cmp_gt_f32_e32 vcc, s2, v50
	v_subbrev_co_u32_e32 v55, vcc, 0, v18, vcc
	v_sub_u32_e32 v18, 0, v55
	v_ldexp_f32 v19, v21, v18
	v_add_f32_e32 v21, -1.0, v19
	v_add_f32_e32 v50, 1.0, v19
	v_ldexp_f32 v18, v22, v18
	v_add_f32_e32 v22, 1.0, v21
	v_add_f32_e32 v51, -1.0, v50
	v_sub_f32_e32 v22, v19, v22
	v_sub_f32_e32 v19, v19, v51
	v_add_f32_e32 v22, v18, v22
	v_add_f32_e32 v18, v18, v19
	;; [unrolled: 1-line block ×3, first 2 shown]
	v_rcp_f32_e32 v60, v58
	v_sub_f32_e32 v19, v50, v58
	v_add_f32_e32 v59, v18, v19
	v_add_f32_e32 v19, v21, v22
	v_sub_f32_e32 v18, v21, v19
	v_add_f32_e32 v21, v22, v18
	v_mul_f32_e32 v22, v19, v60
	v_mul_f32_e32 v50, v58, v22
	v_fma_f32 v52, v22, v58, -v50
	v_fmac_f32_e32 v52, v22, v59
	v_add_f32_e32 v18, v50, v52
	v_sub_f32_e32 v51, v19, v18
	v_pk_add_f32 v[56:57], v[18:19], v[50:51] neg_lo:[0,1] neg_hi:[0,1]
	v_mov_b32_e32 v53, v18
	v_pk_add_f32 v[18:19], v[56:57], v[52:53] neg_lo:[0,1] neg_hi:[0,1]
	v_add_f32_e32 v19, v21, v19
	v_add_f32_e32 v18, v18, v19
	;; [unrolled: 1-line block ×3, first 2 shown]
	v_mul_f32_e32 v21, v60, v19
	v_mul_f32_e32 v50, v58, v21
	v_fma_f32 v52, v21, v58, -v50
	v_fmac_f32_e32 v52, v21, v59
	v_sub_f32_e32 v51, v51, v19
	v_add_f32_e32 v58, v18, v51
	v_add_f32_e32 v18, v50, v52
	v_sub_f32_e32 v51, v19, v18
	v_pk_add_f32 v[56:57], v[18:19], v[50:51] neg_lo:[0,1] neg_hi:[0,1]
	v_mov_b32_e32 v53, v18
	v_pk_add_f32 v[18:19], v[56:57], v[52:53] neg_lo:[0,1] neg_hi:[0,1]
	v_add_f32_e32 v19, v58, v19
	v_add_f32_e32 v18, v18, v19
	;; [unrolled: 1-line block ×4, first 2 shown]
	v_sub_f32_e32 v19, v51, v22
	v_mul_f32_e32 v18, v60, v18
	v_sub_f32_e32 v19, v21, v19
	v_add_f32_e32 v18, v19, v18
	v_add_f32_e32 v21, v51, v18
	v_mul_f32_e32 v22, v21, v21
	v_mov_b32_e32 v50, 0x3ecc95a3
	v_fmac_f32_e32 v50, 0x3e9b6dac, v22
	v_mov_b32_e32 v19, 0x3f2aaada
	v_fmac_f32_e32 v19, v22, v50
	v_cvt_f32_i32_e32 v50, v55
	v_sub_f32_e32 v51, v21, v51
	v_sub_f32_e32 v18, v18, v51
	v_ldexp_f32 v55, v18, 1
	v_mul_f32_e32 v51, v21, v22
	v_mov_b32_e32 v18, 0x3f317218
	s_mov_b32 s2, 0x3f317218
	v_pk_mul_f32 v[18:19], v[50:51], v[18:19]
	v_fma_f32 v52, v50, s2, -v18
	v_ldexp_f32 v53, v21, 1
	v_fmac_f32_e32 v52, 0xb102e308, v50
	v_pk_add_f32 v[50:51], v[18:19], v[52:53]
	v_sub_f32_e32 v21, v51, v53
	v_sub_f32_e32 v21, v19, v21
	v_add_f32_e32 v57, v55, v21
	v_mov_b32_e32 v56, v18
	v_pk_add_f32 v[18:19], v[50:51], v[18:19] neg_lo:[0,1] neg_hi:[0,1]
	v_pk_add_f32 v[58:59], v[50:51], v[56:57]
	v_mov_b32_e32 v19, v59
	v_mov_b32_e32 v53, v50
	v_pk_add_f32 v[60:61], v[52:53], v[18:19] neg_lo:[0,1] neg_hi:[0,1]
	v_pk_add_f32 v[18:19], v[52:53], v[18:19]
	v_mov_b32_e32 v22, v19
	v_pk_add_f32 v[52:53], v[22:23], v[50:51] neg_lo:[0,1] neg_hi:[0,1]
	v_mov_b32_e32 v21, v52
	v_pk_add_f32 v[62:63], v[58:59], v[20:21] neg_lo:[0,1] neg_hi:[0,1]
	v_mov_b32_e32 v18, v59
	v_mov_b32_e32 v58, v51
	;; [unrolled: 1-line block ×4, first 2 shown]
	v_pk_add_f32 v[18:19], v[18:19], v[58:59] neg_lo:[0,1] neg_hi:[0,1]
	v_mov_b32_e32 v52, v57
	v_mov_b32_e32 v53, v50
	v_pk_add_f32 v[18:19], v[52:53], v[18:19] neg_lo:[0,1] neg_hi:[0,1]
	v_mov_b32_e32 v62, v60
	v_pk_add_f32 v[50:51], v[62:63], v[18:19]
	v_mov_b32_e32 v52, v51
	v_pk_add_f32 v[52:53], v[50:51], v[52:53]
	v_pk_add_f32 v[56:57], v[22:23], v[52:53]
	v_mov_b32_e32 v51, v56
	v_pk_add_f32 v[58:59], v[50:51], v[60:61] neg_lo:[0,1] neg_hi:[0,1]
	v_mov_b32_e32 v19, v52
	v_sub_f32_e32 v21, v50, v58
	v_pk_add_f32 v[18:19], v[18:19], v[58:59] neg_lo:[0,1] neg_hi:[0,1]
	v_sub_f32_e32 v21, v60, v21
	s_mov_b32 s3, 0x7f800000
	v_add_f32_e32 v18, v18, v21
	s_mov_b32 s2, 0x33800000
	v_add_f32_e32 v18, v18, v19
	v_cmp_eq_f32_e32 vcc, s3, v25
	v_cmp_lt_f32_e64 s[2:3], |v25|, s2
	v_add_f32_e32 v18, v56, v18
	s_or_b64 vcc, vcc, s[2:3]
	v_cndmask_b32_e32 v18, v18, v25, vcc
	v_add_f32_e32 v19, v4, v18
.LBB522_136:
	s_or_b64 exec, exec, s[0:1]
	v_bfe_u32 v4, v19, 16, 1
	v_add3_u32 v4, v19, v4, s5
	v_lshrrev_b32_e32 v4, 16, v4
	v_mov_b32_e32 v18, 0x7fc0
	v_cmp_o_f32_e32 vcc, v19, v19
	v_cndmask_b32_e32 v4, v18, v4, vcc
	v_lshlrev_b32_e32 v21, 16, v4
	v_max_f32_e32 v19, v21, v21
	v_min_f32_e32 v22, v19, v24
	v_cmp_u_f32_e32 vcc, v21, v21
	v_max_f32_e32 v19, v19, v24
	v_cndmask_b32_e32 v22, v22, v21, vcc
	v_cndmask_b32_e32 v19, v19, v21, vcc
	v_cndmask_b32_e64 v22, v22, v20, s[58:59]
	v_cndmask_b32_e64 v19, v19, v20, s[58:59]
	v_cmp_neq_f32_e32 vcc, v22, v19
	v_cmp_class_f32_e64 s[0:1], v22, s4
	s_or_b64 s[2:3], vcc, s[0:1]
	s_and_saveexec_b64 s[0:1], s[2:3]
	s_cbranch_execz .LBB522_138
; %bb.137:
	v_sub_f32_e32 v20, v22, v19
	s_mov_b32 s2, 0x3fb8aa3b
	v_mul_f32_e32 v21, 0x3fb8aa3b, v20
	v_fma_f32 v22, v20, s2, -v21
	v_rndne_f32_e32 v24, v21
	v_fmac_f32_e32 v22, 0x32a5705f, v20
	v_sub_f32_e32 v21, v21, v24
	v_add_f32_e32 v21, v21, v22
	v_exp_f32_e32 v21, v21
	v_cvt_i32_f32_e32 v22, v24
	s_mov_b32 s2, 0xc2ce8ed0
	v_cmp_ngt_f32_e32 vcc, s2, v20
	s_mov_b32 s2, 0x42b17218
	v_ldexp_f32 v21, v21, v22
	v_cndmask_b32_e32 v21, 0, v21, vcc
	v_mov_b32_e32 v22, 0x7f800000
	v_cmp_nlt_f32_e32 vcc, s2, v20
	v_cndmask_b32_e32 v55, v22, v21, vcc
	v_add_f32_e32 v22, 1.0, v55
	v_add_f32_e32 v20, -1.0, v22
	v_sub_f32_e32 v21, v20, v22
	v_add_f32_e32 v21, 1.0, v21
	v_sub_f32_e32 v20, v55, v20
	v_add_f32_e32 v24, v20, v21
	v_frexp_mant_f32_e32 v25, v22
	s_mov_b32 s2, 0x3f2aaaab
	v_cvt_f64_f32_e32 v[20:21], v22
	v_frexp_exp_i32_f64_e32 v20, v[20:21]
	v_cmp_gt_f32_e32 vcc, s2, v25
	v_subbrev_co_u32_e32 v56, vcc, 0, v20, vcc
	v_sub_u32_e32 v20, 0, v56
	v_ldexp_f32 v21, v22, v20
	v_add_f32_e32 v22, -1.0, v21
	v_add_f32_e32 v25, 1.0, v21
	v_ldexp_f32 v20, v24, v20
	v_add_f32_e32 v24, 1.0, v22
	v_add_f32_e32 v50, -1.0, v25
	v_sub_f32_e32 v24, v21, v24
	v_sub_f32_e32 v21, v21, v50
	v_add_f32_e32 v24, v20, v24
	v_add_f32_e32 v20, v20, v21
	;; [unrolled: 1-line block ×3, first 2 shown]
	v_rcp_f32_e32 v59, v57
	v_sub_f32_e32 v21, v25, v57
	v_add_f32_e32 v58, v20, v21
	v_add_f32_e32 v21, v22, v24
	v_sub_f32_e32 v20, v22, v21
	v_mul_f32_e32 v60, v21, v59
	v_add_f32_e32 v22, v24, v20
	v_mul_f32_e32 v24, v57, v60
	v_fma_f32 v50, v60, v57, -v24
	v_fmac_f32_e32 v50, v60, v58
	v_add_f32_e32 v20, v24, v50
	v_sub_f32_e32 v25, v21, v20
	v_pk_add_f32 v[52:53], v[20:21], v[24:25] neg_lo:[0,1] neg_hi:[0,1]
	v_mov_b32_e32 v51, v20
	v_pk_add_f32 v[20:21], v[52:53], v[50:51] neg_lo:[0,1] neg_hi:[0,1]
	v_add_f32_e32 v21, v22, v21
	v_add_f32_e32 v20, v20, v21
	;; [unrolled: 1-line block ×3, first 2 shown]
	v_mul_f32_e32 v22, v59, v21
	v_mul_f32_e32 v24, v57, v22
	v_fma_f32 v50, v22, v57, -v24
	v_fmac_f32_e32 v50, v22, v58
	v_sub_f32_e32 v25, v25, v21
	v_add_f32_e32 v57, v20, v25
	v_add_f32_e32 v20, v24, v50
	v_sub_f32_e32 v25, v21, v20
	v_pk_add_f32 v[52:53], v[20:21], v[24:25] neg_lo:[0,1] neg_hi:[0,1]
	v_mov_b32_e32 v51, v20
	v_pk_add_f32 v[20:21], v[52:53], v[50:51] neg_lo:[0,1] neg_hi:[0,1]
	v_add_f32_e32 v21, v57, v21
	v_add_f32_e32 v20, v20, v21
	;; [unrolled: 1-line block ×4, first 2 shown]
	v_sub_f32_e32 v21, v25, v60
	v_mul_f32_e32 v20, v59, v20
	v_sub_f32_e32 v21, v22, v21
	v_add_f32_e32 v20, v21, v20
	v_add_f32_e32 v22, v25, v20
	v_mul_f32_e32 v50, v22, v22
	v_mov_b32_e32 v24, 0x3ecc95a3
	v_fmac_f32_e32 v24, 0x3e9b6dac, v50
	v_mov_b32_e32 v21, 0x3f2aaada
	v_fmac_f32_e32 v21, v50, v24
	v_cvt_f32_i32_e32 v24, v56
	v_sub_f32_e32 v25, v22, v25
	v_sub_f32_e32 v20, v20, v25
	v_ldexp_f32 v52, v20, 1
	v_mul_f32_e32 v25, v22, v50
	v_mov_b32_e32 v20, 0x3f317218
	s_mov_b32 s2, 0x3f317218
	v_pk_mul_f32 v[20:21], v[24:25], v[20:21]
	v_fma_f32 v50, v24, s2, -v20
	v_ldexp_f32 v51, v22, 1
	v_fmac_f32_e32 v50, 0xb102e308, v24
	v_pk_add_f32 v[24:25], v[20:21], v[50:51]
	v_sub_f32_e32 v22, v25, v51
	v_sub_f32_e32 v22, v21, v22
	v_add_f32_e32 v53, v52, v22
	v_mov_b32_e32 v52, v20
	v_pk_add_f32 v[20:21], v[24:25], v[20:21] neg_lo:[0,1] neg_hi:[0,1]
	v_pk_add_f32 v[56:57], v[24:25], v[52:53]
	v_mov_b32_e32 v21, v57
	v_mov_b32_e32 v51, v24
	v_pk_add_f32 v[58:59], v[50:51], v[20:21] neg_lo:[0,1] neg_hi:[0,1]
	v_pk_add_f32 v[20:21], v[50:51], v[20:21]
	v_mov_b32_e32 v22, v21
	v_pk_add_f32 v[50:51], v[22:23], v[24:25] neg_lo:[0,1] neg_hi:[0,1]
	v_mov_b32_e32 v51, v50
	v_pk_add_f32 v[60:61], v[56:57], v[50:51] neg_lo:[0,1] neg_hi:[0,1]
	v_mov_b32_e32 v20, v57
	v_mov_b32_e32 v56, v25
	;; [unrolled: 1-line block ×4, first 2 shown]
	v_pk_add_f32 v[20:21], v[20:21], v[56:57] neg_lo:[0,1] neg_hi:[0,1]
	v_mov_b32_e32 v50, v53
	v_mov_b32_e32 v51, v24
	v_pk_add_f32 v[20:21], v[50:51], v[20:21] neg_lo:[0,1] neg_hi:[0,1]
	v_mov_b32_e32 v60, v58
	v_pk_add_f32 v[24:25], v[60:61], v[20:21]
	v_mov_b32_e32 v50, v25
	v_pk_add_f32 v[50:51], v[24:25], v[50:51]
	v_pk_add_f32 v[52:53], v[22:23], v[50:51]
	v_mov_b32_e32 v25, v52
	v_pk_add_f32 v[56:57], v[24:25], v[58:59] neg_lo:[0,1] neg_hi:[0,1]
	v_mov_b32_e32 v21, v50
	v_sub_f32_e32 v22, v24, v56
	v_pk_add_f32 v[20:21], v[20:21], v[56:57] neg_lo:[0,1] neg_hi:[0,1]
	v_sub_f32_e32 v22, v58, v22
	s_mov_b32 s3, 0x7f800000
	v_add_f32_e32 v20, v20, v22
	s_mov_b32 s2, 0x33800000
	v_add_f32_e32 v20, v20, v21
	v_cmp_eq_f32_e32 vcc, s3, v55
	v_cmp_lt_f32_e64 s[2:3], |v55|, s2
	v_add_f32_e32 v20, v52, v20
	s_or_b64 vcc, vcc, s[2:3]
	v_cndmask_b32_e32 v20, v20, v55, vcc
	v_add_f32_e32 v21, v19, v20
.LBB522_138:
	s_or_b64 exec, exec, s[0:1]
	v_bfe_u32 v19, v21, 16, 1
	v_add3_u32 v19, v21, v19, s5
	v_lshrrev_b32_e32 v19, 16, v19
	v_cmp_o_f32_e32 vcc, v21, v21
	v_cndmask_b32_e32 v18, v18, v19, vcc
	v_lshlrev_b32_e32 v20, 16, v18
	v_max_f32_e32 v21, v20, v20
	v_min_f32_e32 v19, v21, v26
	v_cmp_u_f32_e32 vcc, v20, v20
	v_max_f32_e32 v21, v21, v26
	v_cndmask_b32_e32 v19, v19, v20, vcc
	v_cndmask_b32_e32 v21, v21, v20, vcc
	v_cndmask_b32_e64 v19, v19, v5, s[60:61]
	v_cndmask_b32_e64 v5, v21, v5, s[60:61]
	v_cmp_neq_f32_e32 vcc, v19, v5
	v_cmp_class_f32_e64 s[0:1], v19, s4
	s_or_b64 s[2:3], vcc, s[0:1]
	s_and_saveexec_b64 s[0:1], s[2:3]
	s_cbranch_execz .LBB522_140
; %bb.139:
	v_sub_f32_e32 v19, v19, v5
	s_mov_b32 s2, 0x3fb8aa3b
	v_mul_f32_e32 v20, 0x3fb8aa3b, v19
	v_fma_f32 v21, v19, s2, -v20
	v_rndne_f32_e32 v22, v20
	v_fmac_f32_e32 v21, 0x32a5705f, v19
	v_sub_f32_e32 v20, v20, v22
	v_add_f32_e32 v20, v20, v21
	v_exp_f32_e32 v20, v20
	v_cvt_i32_f32_e32 v21, v22
	s_mov_b32 s2, 0xc2ce8ed0
	v_cmp_ngt_f32_e32 vcc, s2, v19
	s_mov_b32 s2, 0x42b17218
	v_ldexp_f32 v20, v20, v21
	v_cndmask_b32_e32 v20, 0, v20, vcc
	v_mov_b32_e32 v21, 0x7f800000
	v_cmp_nlt_f32_e32 vcc, s2, v19
	v_cndmask_b32_e32 v55, v21, v20, vcc
	v_add_f32_e32 v19, 1.0, v55
	v_add_f32_e32 v20, -1.0, v19
	v_sub_f32_e32 v21, v20, v19
	v_add_f32_e32 v21, 1.0, v21
	v_sub_f32_e32 v20, v55, v20
	v_add_f32_e32 v22, v20, v21
	v_frexp_mant_f32_e32 v24, v19
	s_mov_b32 s2, 0x3f2aaaab
	v_cvt_f64_f32_e32 v[20:21], v19
	v_frexp_exp_i32_f64_e32 v20, v[20:21]
	v_cmp_gt_f32_e32 vcc, s2, v24
	v_subbrev_co_u32_e32 v26, vcc, 0, v20, vcc
	v_sub_u32_e32 v20, 0, v26
	v_ldexp_f32 v19, v19, v20
	v_ldexp_f32 v20, v22, v20
	v_add_f32_e32 v22, -1.0, v19
	v_add_f32_e32 v21, 1.0, v22
	v_sub_f32_e32 v21, v19, v21
	v_add_f32_e32 v24, v20, v21
	v_add_f32_e32 v21, 1.0, v19
	v_add_f32_e32 v25, -1.0, v21
	v_sub_f32_e32 v19, v19, v25
	v_add_f32_e32 v19, v20, v19
	v_add_f32_e32 v56, v21, v19
	v_rcp_f32_e32 v57, v56
	v_sub_f32_e32 v20, v21, v56
	v_add_f32_e32 v21, v22, v24
	v_add_f32_e32 v19, v19, v20
	v_sub_f32_e32 v20, v22, v21
	v_mul_f32_e32 v58, v21, v57
	v_add_f32_e32 v22, v24, v20
	v_mul_f32_e32 v24, v56, v58
	v_fma_f32 v50, v58, v56, -v24
	v_fmac_f32_e32 v50, v58, v19
	v_add_f32_e32 v20, v24, v50
	v_sub_f32_e32 v25, v21, v20
	v_pk_add_f32 v[52:53], v[20:21], v[24:25] neg_lo:[0,1] neg_hi:[0,1]
	v_mov_b32_e32 v51, v20
	v_pk_add_f32 v[20:21], v[52:53], v[50:51] neg_lo:[0,1] neg_hi:[0,1]
	v_add_f32_e32 v21, v22, v21
	v_add_f32_e32 v20, v20, v21
	;; [unrolled: 1-line block ×3, first 2 shown]
	v_mul_f32_e32 v22, v57, v21
	v_mul_f32_e32 v24, v56, v22
	v_fma_f32 v50, v22, v56, -v24
	v_fmac_f32_e32 v50, v22, v19
	v_sub_f32_e32 v19, v25, v21
	v_add_f32_e32 v19, v20, v19
	v_add_f32_e32 v20, v24, v50
	v_sub_f32_e32 v25, v21, v20
	v_pk_add_f32 v[52:53], v[20:21], v[24:25] neg_lo:[0,1] neg_hi:[0,1]
	v_mov_b32_e32 v51, v20
	v_pk_add_f32 v[20:21], v[52:53], v[50:51] neg_lo:[0,1] neg_hi:[0,1]
	v_add_f32_e32 v19, v19, v21
	v_add_f32_e32 v19, v20, v19
	;; [unrolled: 1-line block ×4, first 2 shown]
	v_sub_f32_e32 v21, v20, v58
	v_mul_f32_e32 v19, v57, v19
	v_sub_f32_e32 v21, v22, v21
	v_add_f32_e32 v19, v21, v19
	v_add_f32_e32 v22, v20, v19
	v_mul_f32_e32 v25, v22, v22
	v_mov_b32_e32 v24, 0x3ecc95a3
	v_fmac_f32_e32 v24, 0x3e9b6dac, v25
	v_mov_b32_e32 v21, 0x3f2aaada
	v_fmac_f32_e32 v21, v25, v24
	v_cvt_f32_i32_e32 v24, v26
	v_sub_f32_e32 v20, v22, v20
	v_sub_f32_e32 v19, v19, v20
	v_mul_f32_e32 v25, v22, v25
	v_mov_b32_e32 v20, 0x3f317218
	s_mov_b32 s2, 0x3f317218
	v_pk_mul_f32 v[20:21], v[24:25], v[20:21]
	v_fma_f32 v50, v24, s2, -v20
	v_ldexp_f32 v51, v22, 1
	v_fmac_f32_e32 v50, 0xb102e308, v24
	v_pk_add_f32 v[24:25], v[20:21], v[50:51]
	v_sub_f32_e32 v22, v25, v51
	v_ldexp_f32 v19, v19, 1
	v_sub_f32_e32 v22, v21, v22
	v_add_f32_e32 v53, v19, v22
	v_mov_b32_e32 v52, v20
	v_pk_add_f32 v[20:21], v[24:25], v[20:21] neg_lo:[0,1] neg_hi:[0,1]
	v_pk_add_f32 v[56:57], v[24:25], v[52:53]
	v_mov_b32_e32 v21, v57
	v_mov_b32_e32 v51, v24
	v_pk_add_f32 v[58:59], v[50:51], v[20:21] neg_lo:[0,1] neg_hi:[0,1]
	v_pk_add_f32 v[20:21], v[50:51], v[20:21]
	v_mov_b32_e32 v22, v21
	v_pk_add_f32 v[50:51], v[22:23], v[24:25] neg_lo:[0,1] neg_hi:[0,1]
	v_mov_b32_e32 v19, v50
	v_pk_add_f32 v[60:61], v[56:57], v[18:19] neg_lo:[0,1] neg_hi:[0,1]
	v_mov_b32_e32 v20, v57
	v_mov_b32_e32 v56, v25
	;; [unrolled: 1-line block ×4, first 2 shown]
	v_pk_add_f32 v[20:21], v[20:21], v[56:57] neg_lo:[0,1] neg_hi:[0,1]
	v_mov_b32_e32 v50, v53
	v_mov_b32_e32 v51, v24
	v_pk_add_f32 v[20:21], v[50:51], v[20:21] neg_lo:[0,1] neg_hi:[0,1]
	v_mov_b32_e32 v60, v58
	v_pk_add_f32 v[24:25], v[60:61], v[20:21]
	v_mov_b32_e32 v26, v25
	v_pk_add_f32 v[50:51], v[24:25], v[26:27]
	v_pk_add_f32 v[52:53], v[22:23], v[50:51]
	v_mov_b32_e32 v25, v52
	v_pk_add_f32 v[56:57], v[24:25], v[58:59] neg_lo:[0,1] neg_hi:[0,1]
	v_mov_b32_e32 v21, v50
	v_sub_f32_e32 v19, v24, v56
	v_pk_add_f32 v[20:21], v[20:21], v[56:57] neg_lo:[0,1] neg_hi:[0,1]
	v_sub_f32_e32 v19, v58, v19
	s_mov_b32 s3, 0x7f800000
	v_add_f32_e32 v19, v20, v19
	s_mov_b32 s2, 0x33800000
	v_add_f32_e32 v19, v19, v21
	v_cmp_eq_f32_e32 vcc, s3, v55
	v_cmp_lt_f32_e64 s[2:3], |v55|, s2
	v_add_f32_e32 v19, v52, v19
	s_or_b64 vcc, vcc, s[2:3]
	v_cndmask_b32_e32 v19, v19, v55, vcc
	v_add_f32_e32 v20, v5, v19
.LBB522_140:
	s_or_b64 exec, exec, s[0:1]
	v_bfe_u32 v5, v20, 16, 1
	v_add3_u32 v5, v20, v5, s5
	v_lshrrev_b32_e32 v5, 16, v5
	v_mov_b32_e32 v19, 0x7fc0
	v_cmp_o_f32_e32 vcc, v20, v20
	v_cndmask_b32_e32 v5, v19, v5, vcc
	v_lshlrev_b32_e32 v21, 16, v5
	v_max_f32_e32 v20, v21, v21
	v_min_f32_e32 v22, v20, v28
	v_cmp_u_f32_e32 vcc, v21, v21
	v_max_f32_e32 v20, v20, v28
	v_cndmask_b32_e32 v22, v22, v21, vcc
	v_cndmask_b32_e32 v20, v20, v21, vcc
	v_cndmask_b32_e64 v22, v22, v23, s[62:63]
	v_cndmask_b32_e64 v20, v20, v23, s[62:63]
	v_cmp_neq_f32_e32 vcc, v22, v20
	v_cmp_class_f32_e64 s[0:1], v22, s4
	s_or_b64 s[2:3], vcc, s[0:1]
	s_and_saveexec_b64 s[0:1], s[2:3]
	s_cbranch_execz .LBB522_142
; %bb.141:
	v_sub_f32_e32 v21, v22, v20
	s_mov_b32 s2, 0x3fb8aa3b
	v_mul_f32_e32 v22, 0x3fb8aa3b, v21
	v_fma_f32 v23, v21, s2, -v22
	v_rndne_f32_e32 v24, v22
	v_fmac_f32_e32 v23, 0x32a5705f, v21
	v_sub_f32_e32 v22, v22, v24
	v_add_f32_e32 v22, v22, v23
	v_exp_f32_e32 v22, v22
	v_cvt_i32_f32_e32 v23, v24
	s_mov_b32 s2, 0xc2ce8ed0
	v_cmp_ngt_f32_e32 vcc, s2, v21
	s_mov_b32 s2, 0x42b17218
	v_ldexp_f32 v22, v22, v23
	v_cndmask_b32_e32 v22, 0, v22, vcc
	v_mov_b32_e32 v23, 0x7f800000
	v_cmp_nlt_f32_e32 vcc, s2, v21
	v_cndmask_b32_e32 v55, v23, v22, vcc
	v_add_f32_e32 v21, 1.0, v55
	v_add_f32_e32 v22, -1.0, v21
	v_sub_f32_e32 v23, v22, v21
	v_add_f32_e32 v23, 1.0, v23
	v_sub_f32_e32 v22, v55, v22
	v_add_f32_e32 v24, v22, v23
	v_frexp_mant_f32_e32 v25, v21
	s_mov_b32 s2, 0x3f2aaaab
	v_cvt_f64_f32_e32 v[22:23], v21
	v_frexp_exp_i32_f64_e32 v22, v[22:23]
	v_cmp_gt_f32_e32 vcc, s2, v25
	v_subbrev_co_u32_e32 v26, vcc, 0, v22, vcc
	v_sub_u32_e32 v22, 0, v26
	v_ldexp_f32 v21, v21, v22
	v_ldexp_f32 v22, v24, v22
	v_add_f32_e32 v24, -1.0, v21
	v_add_f32_e32 v23, 1.0, v24
	v_sub_f32_e32 v23, v21, v23
	v_add_f32_e32 v25, v22, v23
	v_add_f32_e32 v23, 1.0, v21
	v_add_f32_e32 v28, -1.0, v23
	v_sub_f32_e32 v21, v21, v28
	v_add_f32_e32 v21, v22, v21
	v_add_f32_e32 v28, v23, v21
	v_rcp_f32_e32 v56, v28
	v_sub_f32_e32 v22, v23, v28
	v_add_f32_e32 v23, v24, v25
	v_add_f32_e32 v21, v21, v22
	v_mul_f32_e32 v58, v23, v56
	v_sub_f32_e32 v22, v24, v23
	v_mul_f32_e32 v24, v28, v58
	v_fma_f32 v50, v58, v28, -v24
	v_fmac_f32_e32 v50, v58, v21
	v_add_f32_e32 v57, v25, v22
	v_add_f32_e32 v22, v24, v50
	v_sub_f32_e32 v25, v23, v22
	v_pk_add_f32 v[52:53], v[22:23], v[24:25] neg_lo:[0,1] neg_hi:[0,1]
	v_mov_b32_e32 v51, v22
	v_pk_add_f32 v[22:23], v[52:53], v[50:51] neg_lo:[0,1] neg_hi:[0,1]
	v_add_f32_e32 v23, v57, v23
	v_add_f32_e32 v22, v22, v23
	;; [unrolled: 1-line block ×3, first 2 shown]
	v_mul_f32_e32 v57, v56, v23
	v_mul_f32_e32 v24, v28, v57
	v_fma_f32 v50, v57, v28, -v24
	v_fmac_f32_e32 v50, v57, v21
	v_sub_f32_e32 v21, v25, v23
	v_add_f32_e32 v21, v22, v21
	v_add_f32_e32 v22, v24, v50
	v_sub_f32_e32 v25, v23, v22
	v_pk_add_f32 v[52:53], v[22:23], v[24:25] neg_lo:[0,1] neg_hi:[0,1]
	v_mov_b32_e32 v51, v22
	v_pk_add_f32 v[22:23], v[52:53], v[50:51] neg_lo:[0,1] neg_hi:[0,1]
	v_add_f32_e32 v21, v21, v23
	v_add_f32_e32 v21, v22, v21
	;; [unrolled: 1-line block ×4, first 2 shown]
	v_sub_f32_e32 v23, v22, v58
	v_mul_f32_e32 v21, v56, v21
	v_sub_f32_e32 v23, v57, v23
	v_add_f32_e32 v21, v23, v21
	v_add_f32_e32 v25, v22, v21
	v_mul_f32_e32 v28, v25, v25
	v_mov_b32_e32 v24, 0x3ecc95a3
	v_fmac_f32_e32 v24, 0x3e9b6dac, v28
	v_mov_b32_e32 v23, 0x3f2aaada
	v_fmac_f32_e32 v23, v28, v24
	v_cvt_f32_i32_e32 v24, v26
	v_sub_f32_e32 v22, v25, v22
	v_sub_f32_e32 v21, v21, v22
	v_ldexp_f32 v51, v25, 1
	v_mul_f32_e32 v25, v25, v28
	v_mov_b32_e32 v22, 0x3f317218
	s_mov_b32 s2, 0x3f317218
	v_pk_mul_f32 v[22:23], v[24:25], v[22:23]
	v_fma_f32 v50, v24, s2, -v22
	v_fmac_f32_e32 v50, 0xb102e308, v24
	v_pk_add_f32 v[24:25], v[22:23], v[50:51]
	v_sub_f32_e32 v26, v25, v51
	v_ldexp_f32 v21, v21, 1
	v_sub_f32_e32 v26, v23, v26
	v_add_f32_e32 v53, v21, v26
	v_mov_b32_e32 v52, v22
	v_pk_add_f32 v[22:23], v[24:25], v[22:23] neg_lo:[0,1] neg_hi:[0,1]
	v_pk_add_f32 v[56:57], v[24:25], v[52:53]
	v_mov_b32_e32 v23, v57
	v_mov_b32_e32 v51, v24
	v_pk_add_f32 v[58:59], v[50:51], v[22:23] neg_lo:[0,1] neg_hi:[0,1]
	v_pk_add_f32 v[22:23], v[50:51], v[22:23]
	v_mov_b32_e32 v26, v23
	v_pk_add_f32 v[50:51], v[26:27], v[24:25] neg_lo:[0,1] neg_hi:[0,1]
	v_mov_b32_e32 v21, v50
	v_pk_add_f32 v[60:61], v[56:57], v[20:21] neg_lo:[0,1] neg_hi:[0,1]
	v_mov_b32_e32 v22, v57
	v_mov_b32_e32 v56, v25
	;; [unrolled: 1-line block ×4, first 2 shown]
	v_pk_add_f32 v[22:23], v[22:23], v[56:57] neg_lo:[0,1] neg_hi:[0,1]
	v_mov_b32_e32 v50, v53
	v_mov_b32_e32 v51, v24
	v_pk_add_f32 v[22:23], v[50:51], v[22:23] neg_lo:[0,1] neg_hi:[0,1]
	v_mov_b32_e32 v60, v58
	v_pk_add_f32 v[24:25], v[60:61], v[22:23]
	v_mov_b32_e32 v28, v25
	v_pk_add_f32 v[50:51], v[24:25], v[28:29]
	v_pk_add_f32 v[52:53], v[26:27], v[50:51]
	v_mov_b32_e32 v25, v52
	v_pk_add_f32 v[56:57], v[24:25], v[58:59] neg_lo:[0,1] neg_hi:[0,1]
	v_mov_b32_e32 v23, v50
	v_sub_f32_e32 v21, v24, v56
	v_pk_add_f32 v[22:23], v[22:23], v[56:57] neg_lo:[0,1] neg_hi:[0,1]
	v_sub_f32_e32 v21, v58, v21
	s_mov_b32 s3, 0x7f800000
	v_add_f32_e32 v21, v22, v21
	s_mov_b32 s2, 0x33800000
	v_add_f32_e32 v21, v21, v23
	v_cmp_eq_f32_e32 vcc, s3, v55
	v_cmp_lt_f32_e64 s[2:3], |v55|, s2
	v_add_f32_e32 v21, v52, v21
	s_or_b64 vcc, vcc, s[2:3]
	v_cndmask_b32_e32 v21, v21, v55, vcc
	v_add_f32_e32 v21, v20, v21
.LBB522_142:
	s_or_b64 exec, exec, s[0:1]
	v_bfe_u32 v20, v21, 16, 1
	v_add3_u32 v20, v21, v20, s5
	v_lshrrev_b32_e32 v20, 16, v20
	v_cmp_o_f32_e32 vcc, v21, v21
	v_cndmask_b32_e32 v19, v19, v20, vcc
	v_lshlrev_b32_e32 v21, 16, v19
	v_max_f32_e32 v22, v21, v21
	v_min_f32_e32 v20, v22, v29
	v_cmp_u_f32_e32 vcc, v21, v21
	v_max_f32_e32 v22, v22, v29
	v_cndmask_b32_e32 v20, v20, v21, vcc
	v_cndmask_b32_e32 v22, v22, v21, vcc
	v_cndmask_b32_e64 v20, v20, v10, s[64:65]
	v_cndmask_b32_e64 v10, v22, v10, s[64:65]
	v_cmp_neq_f32_e32 vcc, v20, v10
	v_cmp_class_f32_e64 s[0:1], v20, s4
	s_or_b64 s[2:3], vcc, s[0:1]
	s_and_saveexec_b64 s[0:1], s[2:3]
	s_cbranch_execz .LBB522_144
; %bb.143:
	v_sub_f32_e32 v20, v20, v10
	s_mov_b32 s2, 0x3fb8aa3b
	v_mul_f32_e32 v21, 0x3fb8aa3b, v20
	v_fma_f32 v22, v20, s2, -v21
	v_rndne_f32_e32 v23, v21
	v_fmac_f32_e32 v22, 0x32a5705f, v20
	v_sub_f32_e32 v21, v21, v23
	v_add_f32_e32 v21, v21, v22
	v_exp_f32_e32 v21, v21
	v_cvt_i32_f32_e32 v22, v23
	s_mov_b32 s2, 0xc2ce8ed0
	v_cmp_ngt_f32_e32 vcc, s2, v20
	s_mov_b32 s2, 0x42b17218
	v_ldexp_f32 v21, v21, v22
	v_cndmask_b32_e32 v21, 0, v21, vcc
	v_mov_b32_e32 v22, 0x7f800000
	v_cmp_nlt_f32_e32 vcc, s2, v20
	v_cndmask_b32_e32 v55, v22, v21, vcc
	v_add_f32_e32 v22, 1.0, v55
	v_add_f32_e32 v20, -1.0, v22
	v_sub_f32_e32 v21, v20, v22
	v_add_f32_e32 v21, 1.0, v21
	v_sub_f32_e32 v20, v55, v20
	v_add_f32_e32 v23, v20, v21
	v_frexp_mant_f32_e32 v24, v22
	s_mov_b32 s2, 0x3f2aaaab
	v_cvt_f64_f32_e32 v[20:21], v22
	v_frexp_exp_i32_f64_e32 v20, v[20:21]
	v_cmp_gt_f32_e32 vcc, s2, v24
	v_subbrev_co_u32_e32 v26, vcc, 0, v20, vcc
	v_sub_u32_e32 v20, 0, v26
	v_ldexp_f32 v21, v22, v20
	v_add_f32_e32 v22, -1.0, v21
	v_add_f32_e32 v24, 1.0, v21
	v_ldexp_f32 v20, v23, v20
	v_add_f32_e32 v23, 1.0, v22
	v_add_f32_e32 v25, -1.0, v24
	v_sub_f32_e32 v23, v21, v23
	v_sub_f32_e32 v21, v21, v25
	v_add_f32_e32 v23, v20, v23
	v_add_f32_e32 v20, v20, v21
	;; [unrolled: 1-line block ×3, first 2 shown]
	v_rcp_f32_e32 v52, v50
	v_sub_f32_e32 v21, v24, v50
	v_add_f32_e32 v51, v20, v21
	v_add_f32_e32 v21, v22, v23
	v_mul_f32_e32 v56, v21, v52
	v_sub_f32_e32 v20, v22, v21
	v_mul_f32_e32 v22, v50, v56
	v_fma_f32 v24, v56, v50, -v22
	v_fmac_f32_e32 v24, v56, v51
	v_add_f32_e32 v53, v23, v20
	v_add_f32_e32 v20, v22, v24
	v_sub_f32_e32 v23, v21, v20
	v_pk_add_f32 v[28:29], v[20:21], v[22:23] neg_lo:[0,1] neg_hi:[0,1]
	v_mov_b32_e32 v25, v20
	v_pk_add_f32 v[20:21], v[28:29], v[24:25] neg_lo:[0,1] neg_hi:[0,1]
	v_add_f32_e32 v21, v53, v21
	v_add_f32_e32 v20, v20, v21
	;; [unrolled: 1-line block ×3, first 2 shown]
	v_mul_f32_e32 v53, v52, v21
	v_mul_f32_e32 v22, v50, v53
	v_fma_f32 v24, v53, v50, -v22
	v_fmac_f32_e32 v24, v53, v51
	v_sub_f32_e32 v23, v23, v21
	v_add_f32_e32 v50, v20, v23
	v_add_f32_e32 v20, v22, v24
	v_sub_f32_e32 v23, v21, v20
	v_pk_add_f32 v[28:29], v[20:21], v[22:23] neg_lo:[0,1] neg_hi:[0,1]
	v_mov_b32_e32 v25, v20
	v_pk_add_f32 v[20:21], v[28:29], v[24:25] neg_lo:[0,1] neg_hi:[0,1]
	v_add_f32_e32 v21, v50, v21
	v_add_f32_e32 v20, v20, v21
	;; [unrolled: 1-line block ×4, first 2 shown]
	v_sub_f32_e32 v21, v23, v56
	v_mul_f32_e32 v20, v52, v20
	v_sub_f32_e32 v21, v53, v21
	v_add_f32_e32 v20, v21, v20
	v_add_f32_e32 v24, v23, v20
	v_mul_f32_e32 v28, v24, v24
	v_mov_b32_e32 v22, 0x3ecc95a3
	v_fmac_f32_e32 v22, 0x3e9b6dac, v28
	v_mov_b32_e32 v21, 0x3f2aaada
	v_fmac_f32_e32 v21, v28, v22
	v_cvt_f32_i32_e32 v22, v26
	v_sub_f32_e32 v23, v24, v23
	v_sub_f32_e32 v20, v20, v23
	v_ldexp_f32 v26, v20, 1
	v_mul_f32_e32 v23, v24, v28
	v_mov_b32_e32 v20, 0x3f317218
	s_mov_b32 s2, 0x3f317218
	v_pk_mul_f32 v[20:21], v[22:23], v[20:21]
	v_ldexp_f32 v25, v24, 1
	v_fma_f32 v24, v22, s2, -v20
	v_fmac_f32_e32 v24, 0xb102e308, v22
	v_pk_add_f32 v[22:23], v[20:21], v[24:25]
	v_sub_f32_e32 v25, v23, v25
	v_sub_f32_e32 v25, v21, v25
	v_add_f32_e32 v29, v26, v25
	v_mov_b32_e32 v28, v20
	v_pk_add_f32 v[20:21], v[22:23], v[20:21] neg_lo:[0,1] neg_hi:[0,1]
	v_pk_add_f32 v[50:51], v[22:23], v[28:29]
	v_mov_b32_e32 v21, v51
	v_mov_b32_e32 v25, v22
	v_pk_add_f32 v[52:53], v[24:25], v[20:21] neg_lo:[0,1] neg_hi:[0,1]
	v_pk_add_f32 v[20:21], v[24:25], v[20:21]
	v_mov_b32_e32 v24, v21
	v_pk_add_f32 v[56:57], v[24:25], v[22:23] neg_lo:[0,1] neg_hi:[0,1]
	v_mov_b32_e32 v25, v56
	v_pk_add_f32 v[58:59], v[50:51], v[24:25] neg_lo:[0,1] neg_hi:[0,1]
	v_mov_b32_e32 v20, v51
	v_mov_b32_e32 v50, v23
	;; [unrolled: 1-line block ×4, first 2 shown]
	v_pk_add_f32 v[20:21], v[20:21], v[50:51] neg_lo:[0,1] neg_hi:[0,1]
	v_mov_b32_e32 v28, v29
	v_mov_b32_e32 v29, v22
	v_pk_add_f32 v[20:21], v[28:29], v[20:21] neg_lo:[0,1] neg_hi:[0,1]
	v_mov_b32_e32 v58, v52
	v_pk_add_f32 v[22:23], v[58:59], v[20:21]
	v_mov_b32_e32 v26, v23
	v_pk_add_f32 v[28:29], v[22:23], v[26:27]
	v_pk_add_f32 v[24:25], v[24:25], v[28:29]
	v_mov_b32_e32 v23, v24
	v_pk_add_f32 v[50:51], v[22:23], v[52:53] neg_lo:[0,1] neg_hi:[0,1]
	v_mov_b32_e32 v21, v28
	v_sub_f32_e32 v22, v22, v50
	v_pk_add_f32 v[20:21], v[20:21], v[50:51] neg_lo:[0,1] neg_hi:[0,1]
	v_sub_f32_e32 v22, v52, v22
	s_mov_b32 s3, 0x7f800000
	v_add_f32_e32 v20, v20, v22
	s_mov_b32 s2, 0x33800000
	v_add_f32_e32 v20, v20, v21
	v_cmp_eq_f32_e32 vcc, s3, v55
	v_cmp_lt_f32_e64 s[2:3], |v55|, s2
	v_add_f32_e32 v20, v24, v20
	s_or_b64 vcc, vcc, s[2:3]
	v_cndmask_b32_e32 v20, v20, v55, vcc
	v_add_f32_e32 v21, v10, v20
.LBB522_144:
	s_or_b64 exec, exec, s[0:1]
	v_bfe_u32 v10, v21, 16, 1
	v_add3_u32 v10, v21, v10, s5
	v_lshrrev_b32_e32 v10, 16, v10
	v_mov_b32_e32 v20, 0x7fc0
	v_cmp_o_f32_e32 vcc, v21, v21
	v_cndmask_b32_e32 v10, v20, v10, vcc
	v_lshlrev_b32_e32 v22, 16, v10
	v_max_f32_e32 v21, v22, v22
	v_min_f32_e32 v23, v21, v31
	v_cmp_u_f32_e32 vcc, v22, v22
	v_max_f32_e32 v21, v21, v31
	v_cndmask_b32_e32 v23, v23, v22, vcc
	v_cndmask_b32_e32 v21, v21, v22, vcc
	v_cndmask_b32_e64 v23, v23, v27, s[66:67]
	v_cndmask_b32_e64 v21, v21, v27, s[66:67]
	v_cmp_neq_f32_e32 vcc, v23, v21
	v_cmp_class_f32_e64 s[0:1], v23, s4
	s_or_b64 s[2:3], vcc, s[0:1]
	s_and_saveexec_b64 s[0:1], s[2:3]
	s_cbranch_execz .LBB522_146
; %bb.145:
	v_sub_f32_e32 v22, v23, v21
	s_mov_b32 s2, 0x3fb8aa3b
	v_mul_f32_e32 v23, 0x3fb8aa3b, v22
	v_fma_f32 v24, v22, s2, -v23
	v_rndne_f32_e32 v25, v23
	v_fmac_f32_e32 v24, 0x32a5705f, v22
	v_sub_f32_e32 v23, v23, v25
	v_add_f32_e32 v23, v23, v24
	v_exp_f32_e32 v23, v23
	v_cvt_i32_f32_e32 v24, v25
	s_mov_b32 s2, 0xc2ce8ed0
	v_cmp_ngt_f32_e32 vcc, s2, v22
	s_mov_b32 s2, 0x42b17218
	v_ldexp_f32 v23, v23, v24
	v_cndmask_b32_e32 v23, 0, v23, vcc
	v_mov_b32_e32 v24, 0x7f800000
	v_cmp_nlt_f32_e32 vcc, s2, v22
	v_cndmask_b32_e32 v31, v24, v23, vcc
	v_add_f32_e32 v24, 1.0, v31
	v_add_f32_e32 v22, -1.0, v24
	v_sub_f32_e32 v23, v22, v24
	v_add_f32_e32 v23, 1.0, v23
	v_sub_f32_e32 v22, v31, v22
	v_add_f32_e32 v25, v22, v23
	v_frexp_mant_f32_e32 v26, v24
	s_mov_b32 s2, 0x3f2aaaab
	v_cvt_f64_f32_e32 v[22:23], v24
	v_frexp_exp_i32_f64_e32 v22, v[22:23]
	v_cmp_gt_f32_e32 vcc, s2, v26
	v_subbrev_co_u32_e32 v50, vcc, 0, v22, vcc
	v_sub_u32_e32 v22, 0, v50
	v_ldexp_f32 v23, v24, v22
	v_add_f32_e32 v24, -1.0, v23
	v_add_f32_e32 v26, 1.0, v23
	v_ldexp_f32 v22, v25, v22
	v_add_f32_e32 v25, 1.0, v24
	v_add_f32_e32 v27, -1.0, v26
	v_sub_f32_e32 v25, v23, v25
	v_sub_f32_e32 v23, v23, v27
	v_add_f32_e32 v25, v22, v25
	v_add_f32_e32 v22, v22, v23
	;; [unrolled: 1-line block ×3, first 2 shown]
	v_rcp_f32_e32 v53, v51
	v_sub_f32_e32 v23, v26, v51
	v_add_f32_e32 v52, v22, v23
	v_add_f32_e32 v23, v24, v25
	v_mul_f32_e32 v56, v23, v53
	v_sub_f32_e32 v22, v24, v23
	v_mul_f32_e32 v24, v51, v56
	v_fma_f32 v26, v56, v51, -v24
	v_fmac_f32_e32 v26, v56, v52
	v_add_f32_e32 v55, v25, v22
	v_add_f32_e32 v22, v24, v26
	v_sub_f32_e32 v25, v23, v22
	v_pk_add_f32 v[28:29], v[22:23], v[24:25] neg_lo:[0,1] neg_hi:[0,1]
	v_mov_b32_e32 v27, v22
	v_pk_add_f32 v[22:23], v[28:29], v[26:27] neg_lo:[0,1] neg_hi:[0,1]
	v_add_f32_e32 v23, v55, v23
	v_add_f32_e32 v22, v22, v23
	;; [unrolled: 1-line block ×3, first 2 shown]
	v_mul_f32_e32 v55, v53, v23
	v_mul_f32_e32 v24, v51, v55
	v_fma_f32 v26, v55, v51, -v24
	v_fmac_f32_e32 v26, v55, v52
	v_sub_f32_e32 v25, v25, v23
	v_add_f32_e32 v51, v22, v25
	v_add_f32_e32 v22, v24, v26
	v_sub_f32_e32 v25, v23, v22
	v_pk_add_f32 v[28:29], v[22:23], v[24:25] neg_lo:[0,1] neg_hi:[0,1]
	v_mov_b32_e32 v27, v22
	v_pk_add_f32 v[22:23], v[28:29], v[26:27] neg_lo:[0,1] neg_hi:[0,1]
	v_add_f32_e32 v23, v51, v23
	v_add_f32_e32 v22, v22, v23
	;; [unrolled: 1-line block ×4, first 2 shown]
	v_sub_f32_e32 v23, v25, v56
	v_mul_f32_e32 v22, v53, v22
	v_sub_f32_e32 v23, v55, v23
	v_add_f32_e32 v22, v23, v22
	v_add_f32_e32 v26, v25, v22
	v_mul_f32_e32 v28, v26, v26
	v_mov_b32_e32 v24, 0x3ecc95a3
	v_fmac_f32_e32 v24, 0x3e9b6dac, v28
	v_mov_b32_e32 v23, 0x3f2aaada
	v_fmac_f32_e32 v23, v28, v24
	v_cvt_f32_i32_e32 v24, v50
	v_sub_f32_e32 v25, v26, v25
	v_sub_f32_e32 v22, v22, v25
	v_ldexp_f32 v29, v22, 1
	v_mul_f32_e32 v25, v26, v28
	v_mov_b32_e32 v22, 0x3f317218
	s_mov_b32 s2, 0x3f317218
	v_pk_mul_f32 v[22:23], v[24:25], v[22:23]
	v_ldexp_f32 v27, v26, 1
	v_fma_f32 v26, v24, s2, -v22
	v_fmac_f32_e32 v26, 0xb102e308, v24
	v_pk_add_f32 v[24:25], v[22:23], v[26:27]
	v_sub_f32_e32 v27, v25, v27
	v_sub_f32_e32 v27, v23, v27
	v_add_f32_e32 v29, v29, v27
	v_mov_b32_e32 v28, v22
	v_pk_add_f32 v[22:23], v[24:25], v[22:23] neg_lo:[0,1] neg_hi:[0,1]
	v_pk_add_f32 v[50:51], v[24:25], v[28:29]
	v_mov_b32_e32 v23, v51
	v_mov_b32_e32 v27, v24
	v_pk_add_f32 v[52:53], v[26:27], v[22:23] neg_lo:[0,1] neg_hi:[0,1]
	v_pk_add_f32 v[22:23], v[26:27], v[22:23]
	v_mov_b32_e32 v26, v23
	v_pk_add_f32 v[56:57], v[26:27], v[24:25] neg_lo:[0,1] neg_hi:[0,1]
	v_mov_b32_e32 v27, v56
	v_pk_add_f32 v[58:59], v[50:51], v[26:27] neg_lo:[0,1] neg_hi:[0,1]
	v_mov_b32_e32 v22, v51
	v_mov_b32_e32 v50, v25
	;; [unrolled: 1-line block ×4, first 2 shown]
	v_pk_add_f32 v[22:23], v[22:23], v[50:51] neg_lo:[0,1] neg_hi:[0,1]
	v_mov_b32_e32 v28, v29
	v_mov_b32_e32 v29, v24
	v_pk_add_f32 v[22:23], v[28:29], v[22:23] neg_lo:[0,1] neg_hi:[0,1]
	v_mov_b32_e32 v58, v52
	v_pk_add_f32 v[24:25], v[58:59], v[22:23]
	v_mov_b32_e32 v28, v25
	v_pk_add_f32 v[28:29], v[24:25], v[28:29]
	v_pk_add_f32 v[26:27], v[26:27], v[28:29]
	v_mov_b32_e32 v25, v26
	v_pk_add_f32 v[50:51], v[24:25], v[52:53] neg_lo:[0,1] neg_hi:[0,1]
	v_mov_b32_e32 v23, v28
	v_sub_f32_e32 v24, v24, v50
	v_pk_add_f32 v[22:23], v[22:23], v[50:51] neg_lo:[0,1] neg_hi:[0,1]
	v_sub_f32_e32 v24, v52, v24
	s_mov_b32 s3, 0x7f800000
	v_add_f32_e32 v22, v22, v24
	s_mov_b32 s2, 0x33800000
	v_add_f32_e32 v22, v22, v23
	v_cmp_eq_f32_e32 vcc, s3, v31
	v_cmp_lt_f32_e64 s[2:3], |v31|, s2
	v_add_f32_e32 v22, v26, v22
	s_or_b64 vcc, vcc, s[2:3]
	v_cndmask_b32_e32 v22, v22, v31, vcc
	v_add_f32_e32 v22, v21, v22
.LBB522_146:
	s_or_b64 exec, exec, s[0:1]
	v_bfe_u32 v21, v22, 16, 1
	v_add3_u32 v21, v22, v21, s5
	v_lshrrev_b32_e32 v21, 16, v21
	v_cmp_o_f32_e32 vcc, v22, v22
	v_cndmask_b32_e32 v20, v20, v21, vcc
	v_lshlrev_b32_e32 v22, 16, v20
	v_max_f32_e32 v23, v22, v22
	v_min_f32_e32 v21, v23, v32
	v_cmp_u_f32_e32 vcc, v22, v22
	v_max_f32_e32 v23, v23, v32
	v_cndmask_b32_e32 v21, v21, v22, vcc
	v_cndmask_b32_e32 v23, v23, v22, vcc
	v_cndmask_b32_e64 v21, v21, v11, s[68:69]
	v_cndmask_b32_e64 v11, v23, v11, s[68:69]
	v_cmp_neq_f32_e32 vcc, v21, v11
	v_cmp_class_f32_e64 s[0:1], v21, s4
	s_or_b64 s[2:3], vcc, s[0:1]
	s_and_saveexec_b64 s[0:1], s[2:3]
	s_cbranch_execz .LBB522_148
; %bb.147:
	v_sub_f32_e32 v21, v21, v11
	s_mov_b32 s2, 0x3fb8aa3b
	v_mul_f32_e32 v22, 0x3fb8aa3b, v21
	v_fma_f32 v23, v21, s2, -v22
	v_rndne_f32_e32 v24, v22
	v_fmac_f32_e32 v23, 0x32a5705f, v21
	v_sub_f32_e32 v22, v22, v24
	v_add_f32_e32 v22, v22, v23
	v_exp_f32_e32 v22, v22
	v_cvt_i32_f32_e32 v23, v24
	s_mov_b32 s2, 0xc2ce8ed0
	v_cmp_ngt_f32_e32 vcc, s2, v21
	s_mov_b32 s2, 0x42b17218
	v_ldexp_f32 v22, v22, v23
	v_cndmask_b32_e32 v22, 0, v22, vcc
	v_mov_b32_e32 v23, 0x7f800000
	v_cmp_nlt_f32_e32 vcc, s2, v21
	v_cndmask_b32_e32 v31, v23, v22, vcc
	v_add_f32_e32 v21, 1.0, v31
	v_add_f32_e32 v22, -1.0, v21
	v_sub_f32_e32 v23, v22, v21
	v_add_f32_e32 v23, 1.0, v23
	v_sub_f32_e32 v22, v31, v22
	v_add_f32_e32 v24, v22, v23
	v_frexp_mant_f32_e32 v25, v21
	s_mov_b32 s2, 0x3f2aaaab
	v_cvt_f64_f32_e32 v[22:23], v21
	v_frexp_exp_i32_f64_e32 v22, v[22:23]
	v_cmp_gt_f32_e32 vcc, s2, v25
	v_subbrev_co_u32_e32 v32, vcc, 0, v22, vcc
	v_sub_u32_e32 v22, 0, v32
	v_ldexp_f32 v21, v21, v22
	v_ldexp_f32 v22, v24, v22
	v_add_f32_e32 v24, -1.0, v21
	v_add_f32_e32 v23, 1.0, v24
	v_sub_f32_e32 v23, v21, v23
	v_add_f32_e32 v25, v22, v23
	v_add_f32_e32 v23, 1.0, v21
	v_add_f32_e32 v26, -1.0, v23
	v_sub_f32_e32 v21, v21, v26
	v_add_f32_e32 v21, v22, v21
	v_add_f32_e32 v50, v23, v21
	v_rcp_f32_e32 v51, v50
	v_sub_f32_e32 v22, v23, v50
	v_add_f32_e32 v23, v24, v25
	v_add_f32_e32 v21, v21, v22
	v_mul_f32_e32 v53, v23, v51
	v_sub_f32_e32 v22, v24, v23
	v_mul_f32_e32 v24, v50, v53
	v_fma_f32 v26, v53, v50, -v24
	v_fmac_f32_e32 v26, v53, v21
	v_add_f32_e32 v52, v25, v22
	v_add_f32_e32 v22, v24, v26
	v_sub_f32_e32 v25, v23, v22
	v_pk_add_f32 v[28:29], v[22:23], v[24:25] neg_lo:[0,1] neg_hi:[0,1]
	v_mov_b32_e32 v27, v22
	v_pk_add_f32 v[22:23], v[28:29], v[26:27] neg_lo:[0,1] neg_hi:[0,1]
	v_add_f32_e32 v23, v52, v23
	v_add_f32_e32 v22, v22, v23
	;; [unrolled: 1-line block ×3, first 2 shown]
	v_mul_f32_e32 v52, v51, v23
	v_mul_f32_e32 v24, v50, v52
	v_fma_f32 v26, v52, v50, -v24
	v_fmac_f32_e32 v26, v52, v21
	v_sub_f32_e32 v21, v25, v23
	v_add_f32_e32 v21, v22, v21
	v_add_f32_e32 v22, v24, v26
	v_sub_f32_e32 v25, v23, v22
	v_pk_add_f32 v[28:29], v[22:23], v[24:25] neg_lo:[0,1] neg_hi:[0,1]
	v_mov_b32_e32 v27, v22
	v_pk_add_f32 v[22:23], v[28:29], v[26:27] neg_lo:[0,1] neg_hi:[0,1]
	v_add_f32_e32 v21, v21, v23
	v_add_f32_e32 v21, v22, v21
	;; [unrolled: 1-line block ×4, first 2 shown]
	v_sub_f32_e32 v23, v22, v53
	v_mul_f32_e32 v21, v51, v21
	v_sub_f32_e32 v23, v52, v23
	v_add_f32_e32 v21, v23, v21
	v_add_f32_e32 v25, v22, v21
	v_mul_f32_e32 v26, v25, v25
	v_mov_b32_e32 v24, 0x3ecc95a3
	v_fmac_f32_e32 v24, 0x3e9b6dac, v26
	v_mov_b32_e32 v23, 0x3f2aaada
	v_fmac_f32_e32 v23, v26, v24
	v_cvt_f32_i32_e32 v24, v32
	v_sub_f32_e32 v22, v25, v22
	v_sub_f32_e32 v21, v21, v22
	v_ldexp_f32 v27, v25, 1
	v_mul_f32_e32 v25, v25, v26
	v_mov_b32_e32 v22, 0x3f317218
	s_mov_b32 s2, 0x3f317218
	v_pk_mul_f32 v[22:23], v[24:25], v[22:23]
	v_fma_f32 v26, v24, s2, -v22
	v_fmac_f32_e32 v26, 0xb102e308, v24
	v_pk_add_f32 v[24:25], v[22:23], v[26:27]
	v_sub_f32_e32 v27, v25, v27
	v_ldexp_f32 v21, v21, 1
	v_sub_f32_e32 v27, v23, v27
	v_add_f32_e32 v29, v21, v27
	v_mov_b32_e32 v28, v22
	v_pk_add_f32 v[22:23], v[24:25], v[22:23] neg_lo:[0,1] neg_hi:[0,1]
	v_pk_add_f32 v[50:51], v[24:25], v[28:29]
	v_mov_b32_e32 v23, v51
	v_mov_b32_e32 v27, v24
	v_pk_add_f32 v[52:53], v[26:27], v[22:23] neg_lo:[0,1] neg_hi:[0,1]
	v_pk_add_f32 v[22:23], v[26:27], v[22:23]
	v_mov_b32_e32 v26, v23
	v_pk_add_f32 v[56:57], v[26:27], v[24:25] neg_lo:[0,1] neg_hi:[0,1]
	v_mov_b32_e32 v21, v56
	v_pk_add_f32 v[58:59], v[50:51], v[20:21] neg_lo:[0,1] neg_hi:[0,1]
	v_mov_b32_e32 v22, v51
	v_mov_b32_e32 v50, v25
	;; [unrolled: 1-line block ×4, first 2 shown]
	v_pk_add_f32 v[22:23], v[22:23], v[50:51] neg_lo:[0,1] neg_hi:[0,1]
	v_mov_b32_e32 v28, v29
	v_mov_b32_e32 v29, v24
	v_pk_add_f32 v[22:23], v[28:29], v[22:23] neg_lo:[0,1] neg_hi:[0,1]
	v_mov_b32_e32 v58, v52
	v_pk_add_f32 v[24:25], v[58:59], v[22:23]
	v_mov_b32_e32 v28, v25
	v_pk_add_f32 v[28:29], v[24:25], v[28:29]
	v_pk_add_f32 v[26:27], v[26:27], v[28:29]
	v_mov_b32_e32 v25, v26
	v_pk_add_f32 v[50:51], v[24:25], v[52:53] neg_lo:[0,1] neg_hi:[0,1]
	v_mov_b32_e32 v23, v28
	v_sub_f32_e32 v21, v24, v50
	v_pk_add_f32 v[22:23], v[22:23], v[50:51] neg_lo:[0,1] neg_hi:[0,1]
	v_sub_f32_e32 v21, v52, v21
	s_mov_b32 s3, 0x7f800000
	v_add_f32_e32 v21, v22, v21
	s_mov_b32 s2, 0x33800000
	v_add_f32_e32 v21, v21, v23
	v_cmp_eq_f32_e32 vcc, s3, v31
	v_cmp_lt_f32_e64 s[2:3], |v31|, s2
	v_add_f32_e32 v21, v26, v21
	s_or_b64 vcc, vcc, s[2:3]
	v_cndmask_b32_e32 v21, v21, v31, vcc
	v_add_f32_e32 v22, v11, v21
.LBB522_148:
	s_or_b64 exec, exec, s[0:1]
	v_bfe_u32 v11, v22, 16, 1
	v_add3_u32 v11, v22, v11, s5
	v_lshrrev_b32_e32 v11, 16, v11
	v_mov_b32_e32 v21, 0x7fc0
	v_cmp_o_f32_e32 vcc, v22, v22
	v_cndmask_b32_e32 v11, v21, v11, vcc
	v_lshlrev_b32_e32 v23, 16, v11
	v_max_f32_e32 v22, v23, v23
	v_min_f32_e32 v24, v22, v34
	v_cmp_u_f32_e32 vcc, v23, v23
	v_max_f32_e32 v22, v22, v34
	v_cndmask_b32_e32 v24, v24, v23, vcc
	v_cndmask_b32_e32 v22, v22, v23, vcc
	v_cndmask_b32_e64 v24, v24, v30, s[70:71]
	v_cndmask_b32_e64 v22, v22, v30, s[70:71]
	v_cmp_neq_f32_e32 vcc, v24, v22
	v_cmp_class_f32_e64 s[0:1], v24, s4
	s_or_b64 s[2:3], vcc, s[0:1]
	s_and_saveexec_b64 s[0:1], s[2:3]
	s_cbranch_execz .LBB522_150
; %bb.149:
	v_sub_f32_e32 v23, v24, v22
	s_mov_b32 s2, 0x3fb8aa3b
	v_mul_f32_e32 v24, 0x3fb8aa3b, v23
	v_fma_f32 v25, v23, s2, -v24
	v_rndne_f32_e32 v26, v24
	v_fmac_f32_e32 v25, 0x32a5705f, v23
	v_sub_f32_e32 v24, v24, v26
	v_add_f32_e32 v24, v24, v25
	v_exp_f32_e32 v24, v24
	v_cvt_i32_f32_e32 v25, v26
	s_mov_b32 s2, 0xc2ce8ed0
	v_cmp_ngt_f32_e32 vcc, s2, v23
	s_mov_b32 s2, 0x42b17218
	v_ldexp_f32 v24, v24, v25
	v_cndmask_b32_e32 v24, 0, v24, vcc
	v_mov_b32_e32 v25, 0x7f800000
	v_cmp_nlt_f32_e32 vcc, s2, v23
	v_cndmask_b32_e32 v32, v25, v24, vcc
	v_add_f32_e32 v23, 1.0, v32
	v_add_f32_e32 v24, -1.0, v23
	v_sub_f32_e32 v25, v24, v23
	v_add_f32_e32 v25, 1.0, v25
	v_sub_f32_e32 v24, v32, v24
	v_add_f32_e32 v26, v24, v25
	v_frexp_mant_f32_e32 v27, v23
	s_mov_b32 s2, 0x3f2aaaab
	v_cvt_f64_f32_e32 v[24:25], v23
	v_frexp_exp_i32_f64_e32 v24, v[24:25]
	v_cmp_gt_f32_e32 vcc, s2, v27
	v_subbrev_co_u32_e32 v34, vcc, 0, v24, vcc
	v_sub_u32_e32 v24, 0, v34
	v_ldexp_f32 v23, v23, v24
	v_ldexp_f32 v24, v26, v24
	v_add_f32_e32 v26, -1.0, v23
	v_add_f32_e32 v25, 1.0, v26
	v_sub_f32_e32 v25, v23, v25
	v_add_f32_e32 v27, v24, v25
	v_add_f32_e32 v25, 1.0, v23
	v_add_f32_e32 v28, -1.0, v25
	v_sub_f32_e32 v23, v23, v28
	v_add_f32_e32 v23, v24, v23
	v_add_f32_e32 v50, v25, v23
	v_rcp_f32_e32 v51, v50
	v_sub_f32_e32 v24, v25, v50
	v_add_f32_e32 v25, v26, v27
	v_add_f32_e32 v23, v23, v24
	v_mul_f32_e32 v53, v25, v51
	v_sub_f32_e32 v24, v26, v25
	v_mul_f32_e32 v26, v50, v53
	v_fma_f32 v28, v53, v50, -v26
	v_fmac_f32_e32 v28, v53, v23
	v_add_f32_e32 v52, v27, v24
	v_add_f32_e32 v24, v26, v28
	v_sub_f32_e32 v27, v25, v24
	v_pk_add_f32 v[30:31], v[24:25], v[26:27] neg_lo:[0,1] neg_hi:[0,1]
	v_mov_b32_e32 v29, v24
	v_pk_add_f32 v[24:25], v[30:31], v[28:29] neg_lo:[0,1] neg_hi:[0,1]
	v_add_f32_e32 v25, v52, v25
	v_add_f32_e32 v24, v24, v25
	;; [unrolled: 1-line block ×3, first 2 shown]
	v_mul_f32_e32 v52, v51, v25
	v_mul_f32_e32 v26, v50, v52
	v_fma_f32 v28, v52, v50, -v26
	v_fmac_f32_e32 v28, v52, v23
	v_sub_f32_e32 v23, v27, v25
	v_add_f32_e32 v23, v24, v23
	v_add_f32_e32 v24, v26, v28
	v_sub_f32_e32 v27, v25, v24
	v_pk_add_f32 v[30:31], v[24:25], v[26:27] neg_lo:[0,1] neg_hi:[0,1]
	v_mov_b32_e32 v29, v24
	v_pk_add_f32 v[24:25], v[30:31], v[28:29] neg_lo:[0,1] neg_hi:[0,1]
	v_add_f32_e32 v23, v23, v25
	v_add_f32_e32 v23, v24, v23
	;; [unrolled: 1-line block ×4, first 2 shown]
	v_sub_f32_e32 v25, v24, v53
	v_mul_f32_e32 v23, v51, v23
	v_sub_f32_e32 v25, v52, v25
	v_add_f32_e32 v23, v25, v23
	v_add_f32_e32 v27, v24, v23
	v_mul_f32_e32 v28, v27, v27
	v_mov_b32_e32 v26, 0x3ecc95a3
	v_fmac_f32_e32 v26, 0x3e9b6dac, v28
	v_mov_b32_e32 v25, 0x3f2aaada
	v_fmac_f32_e32 v25, v28, v26
	v_cvt_f32_i32_e32 v26, v34
	v_sub_f32_e32 v24, v27, v24
	v_sub_f32_e32 v23, v23, v24
	v_ldexp_f32 v29, v27, 1
	v_mul_f32_e32 v27, v27, v28
	v_mov_b32_e32 v24, 0x3f317218
	s_mov_b32 s2, 0x3f317218
	v_pk_mul_f32 v[24:25], v[26:27], v[24:25]
	v_fma_f32 v28, v26, s2, -v24
	v_fmac_f32_e32 v28, 0xb102e308, v26
	v_pk_add_f32 v[26:27], v[24:25], v[28:29]
	v_sub_f32_e32 v29, v27, v29
	v_ldexp_f32 v23, v23, 1
	v_sub_f32_e32 v29, v25, v29
	v_add_f32_e32 v31, v23, v29
	v_mov_b32_e32 v30, v24
	v_pk_add_f32 v[24:25], v[26:27], v[24:25] neg_lo:[0,1] neg_hi:[0,1]
	v_pk_add_f32 v[50:51], v[26:27], v[30:31]
	v_mov_b32_e32 v25, v51
	v_mov_b32_e32 v29, v26
	v_pk_add_f32 v[52:53], v[28:29], v[24:25] neg_lo:[0,1] neg_hi:[0,1]
	v_pk_add_f32 v[24:25], v[28:29], v[24:25]
	v_mov_b32_e32 v28, v25
	v_pk_add_f32 v[56:57], v[28:29], v[26:27] neg_lo:[0,1] neg_hi:[0,1]
	v_mov_b32_e32 v23, v56
	v_pk_add_f32 v[58:59], v[50:51], v[22:23] neg_lo:[0,1] neg_hi:[0,1]
	v_mov_b32_e32 v24, v51
	v_mov_b32_e32 v50, v27
	;; [unrolled: 1-line block ×4, first 2 shown]
	v_pk_add_f32 v[24:25], v[24:25], v[50:51] neg_lo:[0,1] neg_hi:[0,1]
	v_mov_b32_e32 v30, v31
	v_mov_b32_e32 v31, v26
	v_pk_add_f32 v[24:25], v[30:31], v[24:25] neg_lo:[0,1] neg_hi:[0,1]
	v_mov_b32_e32 v58, v52
	v_pk_add_f32 v[26:27], v[58:59], v[24:25]
	v_mov_b32_e32 v30, v27
	v_pk_add_f32 v[30:31], v[26:27], v[30:31]
	v_pk_add_f32 v[28:29], v[28:29], v[30:31]
	v_mov_b32_e32 v27, v28
	v_pk_add_f32 v[50:51], v[26:27], v[52:53] neg_lo:[0,1] neg_hi:[0,1]
	v_mov_b32_e32 v25, v30
	v_sub_f32_e32 v23, v26, v50
	v_pk_add_f32 v[24:25], v[24:25], v[50:51] neg_lo:[0,1] neg_hi:[0,1]
	v_sub_f32_e32 v23, v52, v23
	s_mov_b32 s3, 0x7f800000
	v_add_f32_e32 v23, v24, v23
	s_mov_b32 s2, 0x33800000
	v_add_f32_e32 v23, v23, v25
	v_cmp_eq_f32_e32 vcc, s3, v32
	v_cmp_lt_f32_e64 s[2:3], |v32|, s2
	v_add_f32_e32 v23, v28, v23
	s_or_b64 vcc, vcc, s[2:3]
	v_cndmask_b32_e32 v23, v23, v32, vcc
	v_add_f32_e32 v23, v22, v23
.LBB522_150:
	s_or_b64 exec, exec, s[0:1]
	v_bfe_u32 v22, v23, 16, 1
	v_add3_u32 v22, v23, v22, s5
	v_lshrrev_b32_e32 v22, 16, v22
	v_cmp_o_f32_e32 vcc, v23, v23
	v_cndmask_b32_e32 v21, v21, v22, vcc
	v_lshlrev_b32_e32 v23, 16, v21
	v_max_f32_e32 v24, v23, v23
	v_min_f32_e32 v22, v24, v35
	v_cmp_u_f32_e32 vcc, v23, v23
	v_max_f32_e32 v24, v24, v35
	v_cndmask_b32_e32 v22, v22, v23, vcc
	v_cndmask_b32_e32 v24, v24, v23, vcc
	v_cndmask_b32_e64 v22, v22, v12, s[72:73]
	v_cndmask_b32_e64 v12, v24, v12, s[72:73]
	v_cmp_neq_f32_e32 vcc, v22, v12
	v_cmp_class_f32_e64 s[0:1], v22, s4
	s_or_b64 s[2:3], vcc, s[0:1]
	s_and_saveexec_b64 s[0:1], s[2:3]
	s_cbranch_execz .LBB522_152
; %bb.151:
	v_sub_f32_e32 v22, v22, v12
	s_mov_b32 s2, 0x3fb8aa3b
	v_mul_f32_e32 v23, 0x3fb8aa3b, v22
	v_fma_f32 v24, v22, s2, -v23
	v_rndne_f32_e32 v25, v23
	v_fmac_f32_e32 v24, 0x32a5705f, v22
	v_sub_f32_e32 v23, v23, v25
	v_add_f32_e32 v23, v23, v24
	v_exp_f32_e32 v23, v23
	v_cvt_i32_f32_e32 v24, v25
	s_mov_b32 s2, 0xc2ce8ed0
	v_cmp_ngt_f32_e32 vcc, s2, v22
	s_mov_b32 s2, 0x42b17218
	v_ldexp_f32 v23, v23, v24
	v_cndmask_b32_e32 v23, 0, v23, vcc
	v_mov_b32_e32 v24, 0x7f800000
	v_cmp_nlt_f32_e32 vcc, s2, v22
	v_cndmask_b32_e32 v32, v24, v23, vcc
	v_add_f32_e32 v24, 1.0, v32
	v_add_f32_e32 v22, -1.0, v24
	v_sub_f32_e32 v23, v22, v24
	v_add_f32_e32 v23, 1.0, v23
	v_sub_f32_e32 v22, v32, v22
	v_add_f32_e32 v25, v22, v23
	v_frexp_mant_f32_e32 v26, v24
	s_mov_b32 s2, 0x3f2aaaab
	v_cvt_f64_f32_e32 v[22:23], v24
	v_frexp_exp_i32_f64_e32 v22, v[22:23]
	v_cmp_gt_f32_e32 vcc, s2, v26
	v_subbrev_co_u32_e32 v30, vcc, 0, v22, vcc
	v_sub_u32_e32 v22, 0, v30
	v_ldexp_f32 v23, v24, v22
	v_add_f32_e32 v24, -1.0, v23
	v_add_f32_e32 v26, 1.0, v23
	v_ldexp_f32 v22, v25, v22
	v_add_f32_e32 v25, 1.0, v24
	v_add_f32_e32 v27, -1.0, v26
	v_sub_f32_e32 v25, v23, v25
	v_sub_f32_e32 v23, v23, v27
	v_add_f32_e32 v25, v22, v25
	v_add_f32_e32 v22, v22, v23
	;; [unrolled: 1-line block ×3, first 2 shown]
	v_rcp_f32_e32 v35, v31
	v_sub_f32_e32 v23, v26, v31
	v_add_f32_e32 v34, v22, v23
	v_add_f32_e32 v23, v24, v25
	v_mul_f32_e32 v51, v23, v35
	v_sub_f32_e32 v22, v24, v23
	v_mul_f32_e32 v24, v31, v51
	v_fma_f32 v26, v51, v31, -v24
	v_fmac_f32_e32 v26, v51, v34
	v_add_f32_e32 v50, v25, v22
	v_add_f32_e32 v22, v24, v26
	v_sub_f32_e32 v25, v23, v22
	v_pk_add_f32 v[28:29], v[22:23], v[24:25] neg_lo:[0,1] neg_hi:[0,1]
	v_mov_b32_e32 v27, v22
	v_pk_add_f32 v[22:23], v[28:29], v[26:27] neg_lo:[0,1] neg_hi:[0,1]
	v_add_f32_e32 v23, v50, v23
	v_add_f32_e32 v22, v22, v23
	;; [unrolled: 1-line block ×3, first 2 shown]
	v_mul_f32_e32 v50, v35, v23
	v_mul_f32_e32 v24, v31, v50
	v_fma_f32 v26, v50, v31, -v24
	v_fmac_f32_e32 v26, v50, v34
	v_sub_f32_e32 v25, v25, v23
	v_add_f32_e32 v31, v22, v25
	v_add_f32_e32 v22, v24, v26
	v_sub_f32_e32 v25, v23, v22
	v_pk_add_f32 v[28:29], v[22:23], v[24:25] neg_lo:[0,1] neg_hi:[0,1]
	v_mov_b32_e32 v27, v22
	v_pk_add_f32 v[22:23], v[28:29], v[26:27] neg_lo:[0,1] neg_hi:[0,1]
	v_add_f32_e32 v23, v31, v23
	v_add_f32_e32 v22, v22, v23
	;; [unrolled: 1-line block ×4, first 2 shown]
	v_sub_f32_e32 v23, v25, v51
	v_mul_f32_e32 v22, v35, v22
	v_sub_f32_e32 v23, v50, v23
	v_add_f32_e32 v22, v23, v22
	v_add_f32_e32 v26, v25, v22
	v_mul_f32_e32 v28, v26, v26
	v_mov_b32_e32 v24, 0x3ecc95a3
	v_fmac_f32_e32 v24, 0x3e9b6dac, v28
	v_mov_b32_e32 v23, 0x3f2aaada
	v_fmac_f32_e32 v23, v28, v24
	v_cvt_f32_i32_e32 v24, v30
	v_sub_f32_e32 v25, v26, v25
	v_sub_f32_e32 v22, v22, v25
	v_ldexp_f32 v29, v22, 1
	v_mul_f32_e32 v25, v26, v28
	v_mov_b32_e32 v22, 0x3f317218
	s_mov_b32 s2, 0x3f317218
	v_pk_mul_f32 v[22:23], v[24:25], v[22:23]
	v_ldexp_f32 v27, v26, 1
	v_fma_f32 v26, v24, s2, -v22
	v_fmac_f32_e32 v26, 0xb102e308, v24
	v_pk_add_f32 v[24:25], v[22:23], v[26:27]
	v_sub_f32_e32 v27, v25, v27
	v_sub_f32_e32 v27, v23, v27
	v_add_f32_e32 v29, v29, v27
	v_mov_b32_e32 v28, v22
	v_pk_add_f32 v[22:23], v[24:25], v[22:23] neg_lo:[0,1] neg_hi:[0,1]
	v_pk_add_f32 v[30:31], v[24:25], v[28:29]
	v_mov_b32_e32 v23, v31
	v_mov_b32_e32 v27, v24
	v_pk_add_f32 v[34:35], v[26:27], v[22:23] neg_lo:[0,1] neg_hi:[0,1]
	v_pk_add_f32 v[22:23], v[26:27], v[22:23]
	v_mov_b32_e32 v26, v23
	v_pk_add_f32 v[50:51], v[26:27], v[24:25] neg_lo:[0,1] neg_hi:[0,1]
	v_mov_b32_e32 v27, v50
	v_pk_add_f32 v[52:53], v[30:31], v[26:27] neg_lo:[0,1] neg_hi:[0,1]
	v_mov_b32_e32 v22, v31
	v_mov_b32_e32 v30, v25
	;; [unrolled: 1-line block ×4, first 2 shown]
	v_pk_add_f32 v[22:23], v[22:23], v[30:31] neg_lo:[0,1] neg_hi:[0,1]
	v_mov_b32_e32 v28, v29
	v_mov_b32_e32 v29, v24
	v_pk_add_f32 v[22:23], v[28:29], v[22:23] neg_lo:[0,1] neg_hi:[0,1]
	v_mov_b32_e32 v52, v34
	v_pk_add_f32 v[24:25], v[52:53], v[22:23]
	v_mov_b32_e32 v28, v25
	v_pk_add_f32 v[28:29], v[24:25], v[28:29]
	v_pk_add_f32 v[26:27], v[26:27], v[28:29]
	v_mov_b32_e32 v25, v26
	v_pk_add_f32 v[30:31], v[24:25], v[34:35] neg_lo:[0,1] neg_hi:[0,1]
	v_mov_b32_e32 v23, v28
	v_sub_f32_e32 v24, v24, v30
	v_pk_add_f32 v[22:23], v[22:23], v[30:31] neg_lo:[0,1] neg_hi:[0,1]
	v_sub_f32_e32 v24, v34, v24
	s_mov_b32 s3, 0x7f800000
	v_add_f32_e32 v22, v22, v24
	s_mov_b32 s2, 0x33800000
	v_add_f32_e32 v22, v22, v23
	v_cmp_eq_f32_e32 vcc, s3, v32
	v_cmp_lt_f32_e64 s[2:3], |v32|, s2
	v_add_f32_e32 v22, v26, v22
	s_or_b64 vcc, vcc, s[2:3]
	v_cndmask_b32_e32 v22, v22, v32, vcc
	v_add_f32_e32 v23, v12, v22
.LBB522_152:
	s_or_b64 exec, exec, s[0:1]
	v_bfe_u32 v12, v23, 16, 1
	v_add3_u32 v12, v23, v12, s5
	v_lshrrev_b32_e32 v12, 16, v12
	v_mov_b32_e32 v22, 0x7fc0
	v_cmp_o_f32_e32 vcc, v23, v23
	v_cndmask_b32_e32 v12, v22, v12, vcc
	v_lshlrev_b32_e32 v24, 16, v12
	v_max_f32_e32 v23, v24, v24
	v_min_f32_e32 v25, v23, v37
	v_cmp_u_f32_e32 vcc, v24, v24
	v_max_f32_e32 v23, v23, v37
	v_cndmask_b32_e32 v25, v25, v24, vcc
	v_cndmask_b32_e32 v23, v23, v24, vcc
	v_cndmask_b32_e64 v25, v25, v33, s[74:75]
	v_cndmask_b32_e64 v23, v23, v33, s[74:75]
	v_cmp_neq_f32_e32 vcc, v25, v23
	v_cmp_class_f32_e64 s[0:1], v25, s4
	s_or_b64 s[2:3], vcc, s[0:1]
	s_and_saveexec_b64 s[0:1], s[2:3]
	s_cbranch_execz .LBB522_154
; %bb.153:
	v_sub_f32_e32 v24, v25, v23
	s_mov_b32 s2, 0x3fb8aa3b
	v_mul_f32_e32 v25, 0x3fb8aa3b, v24
	v_fma_f32 v26, v24, s2, -v25
	v_rndne_f32_e32 v27, v25
	v_fmac_f32_e32 v26, 0x32a5705f, v24
	v_sub_f32_e32 v25, v25, v27
	v_add_f32_e32 v25, v25, v26
	v_exp_f32_e32 v25, v25
	v_cvt_i32_f32_e32 v26, v27
	s_mov_b32 s2, 0xc2ce8ed0
	v_cmp_ngt_f32_e32 vcc, s2, v24
	s_mov_b32 s2, 0x42b17218
	v_ldexp_f32 v25, v25, v26
	v_cndmask_b32_e32 v25, 0, v25, vcc
	v_mov_b32_e32 v26, 0x7f800000
	v_cmp_nlt_f32_e32 vcc, s2, v24
	v_cndmask_b32_e32 v37, v26, v25, vcc
	v_add_f32_e32 v26, 1.0, v37
	v_add_f32_e32 v24, -1.0, v26
	v_sub_f32_e32 v25, v24, v26
	v_add_f32_e32 v25, 1.0, v25
	v_sub_f32_e32 v24, v37, v24
	v_add_f32_e32 v27, v24, v25
	v_frexp_mant_f32_e32 v28, v26
	s_mov_b32 s2, 0x3f2aaaab
	v_cvt_f64_f32_e32 v[24:25], v26
	v_frexp_exp_i32_f64_e32 v24, v[24:25]
	v_cmp_gt_f32_e32 vcc, s2, v28
	v_subbrev_co_u32_e32 v32, vcc, 0, v24, vcc
	v_sub_u32_e32 v24, 0, v32
	v_ldexp_f32 v25, v26, v24
	v_add_f32_e32 v26, -1.0, v25
	v_add_f32_e32 v28, 1.0, v25
	v_ldexp_f32 v24, v27, v24
	v_add_f32_e32 v27, 1.0, v26
	v_add_f32_e32 v29, -1.0, v28
	v_sub_f32_e32 v27, v25, v27
	v_sub_f32_e32 v25, v25, v29
	v_add_f32_e32 v27, v24, v27
	v_add_f32_e32 v24, v24, v25
	;; [unrolled: 1-line block ×3, first 2 shown]
	v_rcp_f32_e32 v35, v33
	v_sub_f32_e32 v25, v28, v33
	v_add_f32_e32 v34, v24, v25
	v_add_f32_e32 v25, v26, v27
	v_mul_f32_e32 v51, v25, v35
	v_sub_f32_e32 v24, v26, v25
	v_mul_f32_e32 v26, v33, v51
	v_fma_f32 v28, v51, v33, -v26
	v_fmac_f32_e32 v28, v51, v34
	v_add_f32_e32 v50, v27, v24
	v_add_f32_e32 v24, v26, v28
	v_sub_f32_e32 v27, v25, v24
	v_pk_add_f32 v[30:31], v[24:25], v[26:27] neg_lo:[0,1] neg_hi:[0,1]
	v_mov_b32_e32 v29, v24
	v_pk_add_f32 v[24:25], v[30:31], v[28:29] neg_lo:[0,1] neg_hi:[0,1]
	v_add_f32_e32 v25, v50, v25
	v_add_f32_e32 v24, v24, v25
	;; [unrolled: 1-line block ×3, first 2 shown]
	v_mul_f32_e32 v50, v35, v25
	v_mul_f32_e32 v26, v33, v50
	v_fma_f32 v28, v50, v33, -v26
	v_fmac_f32_e32 v28, v50, v34
	v_sub_f32_e32 v27, v27, v25
	v_add_f32_e32 v33, v24, v27
	v_add_f32_e32 v24, v26, v28
	v_sub_f32_e32 v27, v25, v24
	v_pk_add_f32 v[30:31], v[24:25], v[26:27] neg_lo:[0,1] neg_hi:[0,1]
	v_mov_b32_e32 v29, v24
	v_pk_add_f32 v[24:25], v[30:31], v[28:29] neg_lo:[0,1] neg_hi:[0,1]
	v_add_f32_e32 v25, v33, v25
	v_add_f32_e32 v24, v24, v25
	;; [unrolled: 1-line block ×4, first 2 shown]
	v_sub_f32_e32 v25, v27, v51
	v_mul_f32_e32 v24, v35, v24
	v_sub_f32_e32 v25, v50, v25
	v_add_f32_e32 v24, v25, v24
	v_add_f32_e32 v28, v27, v24
	v_mul_f32_e32 v30, v28, v28
	v_mov_b32_e32 v26, 0x3ecc95a3
	v_fmac_f32_e32 v26, 0x3e9b6dac, v30
	v_mov_b32_e32 v25, 0x3f2aaada
	v_fmac_f32_e32 v25, v30, v26
	v_cvt_f32_i32_e32 v26, v32
	v_sub_f32_e32 v27, v28, v27
	v_sub_f32_e32 v24, v24, v27
	v_ldexp_f32 v31, v24, 1
	v_mul_f32_e32 v27, v28, v30
	v_mov_b32_e32 v24, 0x3f317218
	s_mov_b32 s2, 0x3f317218
	v_pk_mul_f32 v[24:25], v[26:27], v[24:25]
	v_ldexp_f32 v29, v28, 1
	v_fma_f32 v28, v26, s2, -v24
	v_fmac_f32_e32 v28, 0xb102e308, v26
	v_pk_add_f32 v[26:27], v[24:25], v[28:29]
	v_sub_f32_e32 v29, v27, v29
	v_sub_f32_e32 v29, v25, v29
	v_add_f32_e32 v31, v31, v29
	v_mov_b32_e32 v30, v24
	v_pk_add_f32 v[24:25], v[26:27], v[24:25] neg_lo:[0,1] neg_hi:[0,1]
	v_pk_add_f32 v[32:33], v[26:27], v[30:31]
	v_mov_b32_e32 v25, v33
	v_mov_b32_e32 v29, v26
	v_pk_add_f32 v[34:35], v[28:29], v[24:25] neg_lo:[0,1] neg_hi:[0,1]
	v_pk_add_f32 v[24:25], v[28:29], v[24:25]
	v_mov_b32_e32 v28, v25
	v_pk_add_f32 v[50:51], v[28:29], v[26:27] neg_lo:[0,1] neg_hi:[0,1]
	v_mov_b32_e32 v29, v50
	v_pk_add_f32 v[52:53], v[32:33], v[28:29] neg_lo:[0,1] neg_hi:[0,1]
	v_mov_b32_e32 v24, v33
	v_mov_b32_e32 v32, v27
	;; [unrolled: 1-line block ×4, first 2 shown]
	v_pk_add_f32 v[24:25], v[24:25], v[32:33] neg_lo:[0,1] neg_hi:[0,1]
	v_mov_b32_e32 v30, v31
	v_mov_b32_e32 v31, v26
	v_pk_add_f32 v[24:25], v[30:31], v[24:25] neg_lo:[0,1] neg_hi:[0,1]
	v_mov_b32_e32 v52, v34
	v_pk_add_f32 v[26:27], v[52:53], v[24:25]
	v_mov_b32_e32 v30, v27
	v_pk_add_f32 v[30:31], v[26:27], v[30:31]
	v_pk_add_f32 v[28:29], v[28:29], v[30:31]
	v_mov_b32_e32 v27, v28
	v_pk_add_f32 v[32:33], v[26:27], v[34:35] neg_lo:[0,1] neg_hi:[0,1]
	v_mov_b32_e32 v25, v30
	v_sub_f32_e32 v26, v26, v32
	v_pk_add_f32 v[24:25], v[24:25], v[32:33] neg_lo:[0,1] neg_hi:[0,1]
	v_sub_f32_e32 v26, v34, v26
	s_mov_b32 s3, 0x7f800000
	v_add_f32_e32 v24, v24, v26
	s_mov_b32 s2, 0x33800000
	v_add_f32_e32 v24, v24, v25
	v_cmp_eq_f32_e32 vcc, s3, v37
	v_cmp_lt_f32_e64 s[2:3], |v37|, s2
	v_add_f32_e32 v24, v28, v24
	s_or_b64 vcc, vcc, s[2:3]
	v_cndmask_b32_e32 v24, v24, v37, vcc
	v_add_f32_e32 v24, v23, v24
.LBB522_154:
	s_or_b64 exec, exec, s[0:1]
	v_bfe_u32 v23, v24, 16, 1
	v_add3_u32 v23, v24, v23, s5
	v_lshrrev_b32_e32 v23, 16, v23
	v_cmp_o_f32_e32 vcc, v24, v24
	v_cndmask_b32_e32 v22, v22, v23, vcc
	v_lshlrev_b32_e32 v24, 16, v22
	v_max_f32_e32 v25, v24, v24
	v_min_f32_e32 v23, v25, v38
	v_cmp_u_f32_e32 vcc, v24, v24
	v_max_f32_e32 v25, v25, v38
	v_cndmask_b32_e32 v23, v23, v24, vcc
	v_cndmask_b32_e32 v25, v25, v24, vcc
	v_cndmask_b32_e64 v23, v23, v13, s[76:77]
	v_cndmask_b32_e64 v13, v25, v13, s[76:77]
	v_cmp_neq_f32_e32 vcc, v23, v13
	v_cmp_class_f32_e64 s[0:1], v23, s4
	s_or_b64 s[2:3], vcc, s[0:1]
	s_and_saveexec_b64 s[0:1], s[2:3]
	s_cbranch_execz .LBB522_156
; %bb.155:
	v_sub_f32_e32 v23, v23, v13
	s_mov_b32 s2, 0x3fb8aa3b
	v_mul_f32_e32 v24, 0x3fb8aa3b, v23
	v_fma_f32 v25, v23, s2, -v24
	v_rndne_f32_e32 v26, v24
	v_fmac_f32_e32 v25, 0x32a5705f, v23
	v_sub_f32_e32 v24, v24, v26
	v_add_f32_e32 v24, v24, v25
	v_exp_f32_e32 v24, v24
	v_cvt_i32_f32_e32 v25, v26
	s_mov_b32 s2, 0xc2ce8ed0
	v_cmp_ngt_f32_e32 vcc, s2, v23
	s_mov_b32 s2, 0x42b17218
	v_ldexp_f32 v24, v24, v25
	v_cndmask_b32_e32 v24, 0, v24, vcc
	v_mov_b32_e32 v25, 0x7f800000
	v_cmp_nlt_f32_e32 vcc, s2, v23
	v_cndmask_b32_e32 v37, v25, v24, vcc
	v_add_f32_e32 v23, 1.0, v37
	v_add_f32_e32 v24, -1.0, v23
	v_sub_f32_e32 v25, v24, v23
	v_add_f32_e32 v25, 1.0, v25
	v_sub_f32_e32 v24, v37, v24
	v_add_f32_e32 v26, v24, v25
	v_frexp_mant_f32_e32 v27, v23
	s_mov_b32 s2, 0x3f2aaaab
	v_cvt_f64_f32_e32 v[24:25], v23
	v_frexp_exp_i32_f64_e32 v24, v[24:25]
	v_cmp_gt_f32_e32 vcc, s2, v27
	v_subbrev_co_u32_e32 v32, vcc, 0, v24, vcc
	v_sub_u32_e32 v24, 0, v32
	v_ldexp_f32 v23, v23, v24
	v_ldexp_f32 v24, v26, v24
	v_add_f32_e32 v26, -1.0, v23
	v_add_f32_e32 v25, 1.0, v26
	v_sub_f32_e32 v25, v23, v25
	v_add_f32_e32 v27, v24, v25
	v_add_f32_e32 v25, 1.0, v23
	v_add_f32_e32 v28, -1.0, v25
	v_sub_f32_e32 v23, v23, v28
	v_add_f32_e32 v23, v24, v23
	v_add_f32_e32 v33, v25, v23
	v_rcp_f32_e32 v34, v33
	v_sub_f32_e32 v24, v25, v33
	v_add_f32_e32 v25, v26, v27
	v_add_f32_e32 v23, v23, v24
	v_mul_f32_e32 v38, v25, v34
	v_sub_f32_e32 v24, v26, v25
	v_mul_f32_e32 v26, v33, v38
	v_fma_f32 v28, v38, v33, -v26
	v_fmac_f32_e32 v28, v38, v23
	v_add_f32_e32 v35, v27, v24
	v_add_f32_e32 v24, v26, v28
	v_sub_f32_e32 v27, v25, v24
	v_pk_add_f32 v[30:31], v[24:25], v[26:27] neg_lo:[0,1] neg_hi:[0,1]
	v_mov_b32_e32 v29, v24
	v_pk_add_f32 v[24:25], v[30:31], v[28:29] neg_lo:[0,1] neg_hi:[0,1]
	v_add_f32_e32 v25, v35, v25
	v_add_f32_e32 v24, v24, v25
	;; [unrolled: 1-line block ×3, first 2 shown]
	v_mul_f32_e32 v35, v34, v25
	v_mul_f32_e32 v26, v33, v35
	v_fma_f32 v28, v35, v33, -v26
	v_fmac_f32_e32 v28, v35, v23
	v_sub_f32_e32 v23, v27, v25
	v_add_f32_e32 v23, v24, v23
	v_add_f32_e32 v24, v26, v28
	v_sub_f32_e32 v27, v25, v24
	v_pk_add_f32 v[30:31], v[24:25], v[26:27] neg_lo:[0,1] neg_hi:[0,1]
	v_mov_b32_e32 v29, v24
	v_pk_add_f32 v[24:25], v[30:31], v[28:29] neg_lo:[0,1] neg_hi:[0,1]
	v_add_f32_e32 v23, v23, v25
	v_add_f32_e32 v23, v24, v23
	;; [unrolled: 1-line block ×4, first 2 shown]
	v_sub_f32_e32 v25, v24, v38
	v_mul_f32_e32 v23, v34, v23
	v_sub_f32_e32 v25, v35, v25
	v_add_f32_e32 v23, v25, v23
	v_add_f32_e32 v27, v24, v23
	v_mul_f32_e32 v28, v27, v27
	v_mov_b32_e32 v26, 0x3ecc95a3
	v_fmac_f32_e32 v26, 0x3e9b6dac, v28
	v_mov_b32_e32 v25, 0x3f2aaada
	v_fmac_f32_e32 v25, v28, v26
	v_cvt_f32_i32_e32 v26, v32
	v_sub_f32_e32 v24, v27, v24
	v_sub_f32_e32 v23, v23, v24
	v_ldexp_f32 v29, v27, 1
	v_mul_f32_e32 v27, v27, v28
	v_mov_b32_e32 v24, 0x3f317218
	s_mov_b32 s2, 0x3f317218
	v_pk_mul_f32 v[24:25], v[26:27], v[24:25]
	v_fma_f32 v28, v26, s2, -v24
	v_fmac_f32_e32 v28, 0xb102e308, v26
	v_pk_add_f32 v[26:27], v[24:25], v[28:29]
	v_sub_f32_e32 v29, v27, v29
	v_ldexp_f32 v23, v23, 1
	v_sub_f32_e32 v29, v25, v29
	v_add_f32_e32 v31, v23, v29
	v_mov_b32_e32 v30, v24
	v_pk_add_f32 v[24:25], v[26:27], v[24:25] neg_lo:[0,1] neg_hi:[0,1]
	v_pk_add_f32 v[32:33], v[26:27], v[30:31]
	v_mov_b32_e32 v25, v33
	v_mov_b32_e32 v29, v26
	v_pk_add_f32 v[34:35], v[28:29], v[24:25] neg_lo:[0,1] neg_hi:[0,1]
	v_pk_add_f32 v[24:25], v[28:29], v[24:25]
	v_mov_b32_e32 v28, v25
	v_pk_add_f32 v[50:51], v[28:29], v[26:27] neg_lo:[0,1] neg_hi:[0,1]
	v_mov_b32_e32 v23, v50
	v_pk_add_f32 v[52:53], v[32:33], v[22:23] neg_lo:[0,1] neg_hi:[0,1]
	v_mov_b32_e32 v24, v33
	v_mov_b32_e32 v32, v27
	;; [unrolled: 1-line block ×4, first 2 shown]
	v_pk_add_f32 v[24:25], v[24:25], v[32:33] neg_lo:[0,1] neg_hi:[0,1]
	v_mov_b32_e32 v30, v31
	v_mov_b32_e32 v31, v26
	v_pk_add_f32 v[24:25], v[30:31], v[24:25] neg_lo:[0,1] neg_hi:[0,1]
	v_mov_b32_e32 v52, v34
	v_pk_add_f32 v[26:27], v[52:53], v[24:25]
	v_mov_b32_e32 v30, v27
	v_pk_add_f32 v[30:31], v[26:27], v[30:31]
	v_pk_add_f32 v[28:29], v[28:29], v[30:31]
	v_mov_b32_e32 v27, v28
	v_pk_add_f32 v[32:33], v[26:27], v[34:35] neg_lo:[0,1] neg_hi:[0,1]
	v_mov_b32_e32 v25, v30
	v_sub_f32_e32 v23, v26, v32
	v_pk_add_f32 v[24:25], v[24:25], v[32:33] neg_lo:[0,1] neg_hi:[0,1]
	v_sub_f32_e32 v23, v34, v23
	s_mov_b32 s3, 0x7f800000
	v_add_f32_e32 v23, v24, v23
	s_mov_b32 s2, 0x33800000
	v_add_f32_e32 v23, v23, v25
	v_cmp_eq_f32_e32 vcc, s3, v37
	v_cmp_lt_f32_e64 s[2:3], |v37|, s2
	v_add_f32_e32 v23, v28, v23
	s_or_b64 vcc, vcc, s[2:3]
	v_cndmask_b32_e32 v23, v23, v37, vcc
	v_add_f32_e32 v24, v13, v23
.LBB522_156:
	s_or_b64 exec, exec, s[0:1]
	v_bfe_u32 v13, v24, 16, 1
	v_add3_u32 v13, v24, v13, s5
	v_lshrrev_b32_e32 v13, 16, v13
	v_mov_b32_e32 v23, 0x7fc0
	v_cmp_o_f32_e32 vcc, v24, v24
	v_cndmask_b32_e32 v13, v23, v13, vcc
	v_lshlrev_b32_e32 v25, 16, v13
	v_max_f32_e32 v24, v25, v25
	v_min_f32_e32 v26, v24, v40
	v_cmp_u_f32_e32 vcc, v25, v25
	v_max_f32_e32 v24, v24, v40
	v_cndmask_b32_e32 v26, v26, v25, vcc
	v_cndmask_b32_e32 v24, v24, v25, vcc
	v_cndmask_b32_e64 v26, v26, v36, s[78:79]
	v_cndmask_b32_e64 v24, v24, v36, s[78:79]
	v_cmp_neq_f32_e32 vcc, v26, v24
	v_cmp_class_f32_e64 s[0:1], v26, s4
	s_or_b64 s[2:3], vcc, s[0:1]
	s_and_saveexec_b64 s[0:1], s[2:3]
	s_cbranch_execz .LBB522_158
; %bb.157:
	v_sub_f32_e32 v25, v26, v24
	s_mov_b32 s2, 0x3fb8aa3b
	v_mul_f32_e32 v26, 0x3fb8aa3b, v25
	v_fma_f32 v27, v25, s2, -v26
	v_rndne_f32_e32 v28, v26
	v_fmac_f32_e32 v27, 0x32a5705f, v25
	v_sub_f32_e32 v26, v26, v28
	v_add_f32_e32 v26, v26, v27
	v_exp_f32_e32 v26, v26
	v_cvt_i32_f32_e32 v27, v28
	s_mov_b32 s2, 0xc2ce8ed0
	v_cmp_ngt_f32_e32 vcc, s2, v25
	s_mov_b32 s2, 0x42b17218
	v_ldexp_f32 v26, v26, v27
	v_cndmask_b32_e32 v26, 0, v26, vcc
	v_mov_b32_e32 v27, 0x7f800000
	v_cmp_nlt_f32_e32 vcc, s2, v25
	v_cndmask_b32_e32 v38, v27, v26, vcc
	v_add_f32_e32 v25, 1.0, v38
	v_add_f32_e32 v26, -1.0, v25
	v_sub_f32_e32 v27, v26, v25
	v_add_f32_e32 v27, 1.0, v27
	v_sub_f32_e32 v26, v38, v26
	v_add_f32_e32 v28, v26, v27
	v_frexp_mant_f32_e32 v29, v25
	s_mov_b32 s2, 0x3f2aaaab
	v_cvt_f64_f32_e32 v[26:27], v25
	v_frexp_exp_i32_f64_e32 v26, v[26:27]
	v_cmp_gt_f32_e32 vcc, s2, v29
	v_subbrev_co_u32_e32 v34, vcc, 0, v26, vcc
	v_sub_u32_e32 v26, 0, v34
	v_ldexp_f32 v25, v25, v26
	v_ldexp_f32 v26, v28, v26
	v_add_f32_e32 v28, -1.0, v25
	v_add_f32_e32 v27, 1.0, v28
	v_sub_f32_e32 v27, v25, v27
	v_add_f32_e32 v29, v26, v27
	v_add_f32_e32 v27, 1.0, v25
	v_add_f32_e32 v30, -1.0, v27
	v_sub_f32_e32 v25, v25, v30
	v_add_f32_e32 v25, v26, v25
	v_add_f32_e32 v35, v27, v25
	v_rcp_f32_e32 v36, v35
	v_sub_f32_e32 v26, v27, v35
	v_add_f32_e32 v27, v28, v29
	v_add_f32_e32 v25, v25, v26
	v_mul_f32_e32 v40, v27, v36
	v_sub_f32_e32 v26, v28, v27
	v_mul_f32_e32 v28, v35, v40
	v_fma_f32 v30, v40, v35, -v28
	v_fmac_f32_e32 v30, v40, v25
	v_add_f32_e32 v37, v29, v26
	v_add_f32_e32 v26, v28, v30
	v_sub_f32_e32 v29, v27, v26
	v_pk_add_f32 v[32:33], v[26:27], v[28:29] neg_lo:[0,1] neg_hi:[0,1]
	v_mov_b32_e32 v31, v26
	v_pk_add_f32 v[26:27], v[32:33], v[30:31] neg_lo:[0,1] neg_hi:[0,1]
	v_add_f32_e32 v27, v37, v27
	v_add_f32_e32 v26, v26, v27
	;; [unrolled: 1-line block ×3, first 2 shown]
	v_mul_f32_e32 v37, v36, v27
	v_mul_f32_e32 v28, v35, v37
	v_fma_f32 v30, v37, v35, -v28
	v_fmac_f32_e32 v30, v37, v25
	v_sub_f32_e32 v25, v29, v27
	v_add_f32_e32 v25, v26, v25
	v_add_f32_e32 v26, v28, v30
	v_sub_f32_e32 v29, v27, v26
	v_pk_add_f32 v[32:33], v[26:27], v[28:29] neg_lo:[0,1] neg_hi:[0,1]
	v_mov_b32_e32 v31, v26
	v_pk_add_f32 v[26:27], v[32:33], v[30:31] neg_lo:[0,1] neg_hi:[0,1]
	v_add_f32_e32 v25, v25, v27
	v_add_f32_e32 v25, v26, v25
	;; [unrolled: 1-line block ×4, first 2 shown]
	v_sub_f32_e32 v27, v26, v40
	v_mul_f32_e32 v25, v36, v25
	v_sub_f32_e32 v27, v37, v27
	v_add_f32_e32 v25, v27, v25
	v_add_f32_e32 v29, v26, v25
	v_mul_f32_e32 v30, v29, v29
	v_mov_b32_e32 v28, 0x3ecc95a3
	v_fmac_f32_e32 v28, 0x3e9b6dac, v30
	v_mov_b32_e32 v27, 0x3f2aaada
	v_fmac_f32_e32 v27, v30, v28
	v_cvt_f32_i32_e32 v28, v34
	v_sub_f32_e32 v26, v29, v26
	v_sub_f32_e32 v25, v25, v26
	v_ldexp_f32 v31, v29, 1
	v_mul_f32_e32 v29, v29, v30
	v_mov_b32_e32 v26, 0x3f317218
	s_mov_b32 s2, 0x3f317218
	v_pk_mul_f32 v[26:27], v[28:29], v[26:27]
	v_fma_f32 v30, v28, s2, -v26
	v_fmac_f32_e32 v30, 0xb102e308, v28
	v_pk_add_f32 v[28:29], v[26:27], v[30:31]
	v_sub_f32_e32 v31, v29, v31
	v_ldexp_f32 v25, v25, 1
	v_sub_f32_e32 v31, v27, v31
	v_add_f32_e32 v33, v25, v31
	v_mov_b32_e32 v32, v26
	v_pk_add_f32 v[26:27], v[28:29], v[26:27] neg_lo:[0,1] neg_hi:[0,1]
	v_pk_add_f32 v[34:35], v[28:29], v[32:33]
	v_mov_b32_e32 v27, v35
	v_mov_b32_e32 v31, v28
	v_pk_add_f32 v[36:37], v[30:31], v[26:27] neg_lo:[0,1] neg_hi:[0,1]
	v_pk_add_f32 v[26:27], v[30:31], v[26:27]
	v_mov_b32_e32 v30, v27
	v_pk_add_f32 v[50:51], v[30:31], v[28:29] neg_lo:[0,1] neg_hi:[0,1]
	v_mov_b32_e32 v25, v50
	v_pk_add_f32 v[52:53], v[34:35], v[24:25] neg_lo:[0,1] neg_hi:[0,1]
	v_mov_b32_e32 v26, v35
	v_mov_b32_e32 v34, v29
	v_mov_b32_e32 v35, v50
	v_mov_b32_e32 v37, v27
	v_pk_add_f32 v[26:27], v[26:27], v[34:35] neg_lo:[0,1] neg_hi:[0,1]
	v_mov_b32_e32 v32, v33
	v_mov_b32_e32 v33, v28
	v_pk_add_f32 v[26:27], v[32:33], v[26:27] neg_lo:[0,1] neg_hi:[0,1]
	v_mov_b32_e32 v52, v36
	v_pk_add_f32 v[28:29], v[52:53], v[26:27]
	v_mov_b32_e32 v32, v29
	v_pk_add_f32 v[32:33], v[28:29], v[32:33]
	v_pk_add_f32 v[30:31], v[30:31], v[32:33]
	v_mov_b32_e32 v29, v30
	v_pk_add_f32 v[34:35], v[28:29], v[36:37] neg_lo:[0,1] neg_hi:[0,1]
	v_mov_b32_e32 v27, v32
	v_sub_f32_e32 v25, v28, v34
	v_pk_add_f32 v[26:27], v[26:27], v[34:35] neg_lo:[0,1] neg_hi:[0,1]
	v_sub_f32_e32 v25, v36, v25
	s_mov_b32 s3, 0x7f800000
	v_add_f32_e32 v25, v26, v25
	s_mov_b32 s2, 0x33800000
	v_add_f32_e32 v25, v25, v27
	v_cmp_eq_f32_e32 vcc, s3, v38
	v_cmp_lt_f32_e64 s[2:3], |v38|, s2
	v_add_f32_e32 v25, v30, v25
	s_or_b64 vcc, vcc, s[2:3]
	v_cndmask_b32_e32 v25, v25, v38, vcc
	v_add_f32_e32 v25, v24, v25
.LBB522_158:
	s_or_b64 exec, exec, s[0:1]
	v_bfe_u32 v24, v25, 16, 1
	v_add3_u32 v24, v25, v24, s5
	v_lshrrev_b32_e32 v24, 16, v24
	v_cmp_o_f32_e32 vcc, v25, v25
	v_cndmask_b32_e32 v23, v23, v24, vcc
	v_lshlrev_b32_e32 v25, 16, v23
	v_max_f32_e32 v26, v25, v25
	v_min_f32_e32 v24, v26, v41
	v_cmp_u_f32_e32 vcc, v25, v25
	v_max_f32_e32 v26, v26, v41
	v_cndmask_b32_e32 v24, v24, v25, vcc
	v_cndmask_b32_e32 v26, v26, v25, vcc
	v_cndmask_b32_e64 v24, v24, v6, s[80:81]
	v_cndmask_b32_e64 v6, v26, v6, s[80:81]
	v_cmp_neq_f32_e32 vcc, v24, v6
	v_cmp_class_f32_e64 s[0:1], v24, s4
	s_or_b64 s[2:3], vcc, s[0:1]
	s_and_saveexec_b64 s[0:1], s[2:3]
	s_cbranch_execz .LBB522_160
; %bb.159:
	v_sub_f32_e32 v24, v24, v6
	s_mov_b32 s2, 0x3fb8aa3b
	v_mul_f32_e32 v25, 0x3fb8aa3b, v24
	v_fma_f32 v26, v24, s2, -v25
	v_rndne_f32_e32 v27, v25
	v_fmac_f32_e32 v26, 0x32a5705f, v24
	v_sub_f32_e32 v25, v25, v27
	v_add_f32_e32 v25, v25, v26
	v_exp_f32_e32 v25, v25
	v_cvt_i32_f32_e32 v26, v27
	s_mov_b32 s2, 0xc2ce8ed0
	v_cmp_ngt_f32_e32 vcc, s2, v24
	s_mov_b32 s2, 0x42b17218
	v_ldexp_f32 v25, v25, v26
	v_cndmask_b32_e32 v25, 0, v25, vcc
	v_mov_b32_e32 v26, 0x7f800000
	v_cmp_nlt_f32_e32 vcc, s2, v24
	v_cndmask_b32_e32 v38, v26, v25, vcc
	v_add_f32_e32 v26, 1.0, v38
	v_add_f32_e32 v24, -1.0, v26
	v_sub_f32_e32 v25, v24, v26
	v_add_f32_e32 v25, 1.0, v25
	v_sub_f32_e32 v24, v38, v24
	v_add_f32_e32 v27, v24, v25
	v_frexp_mant_f32_e32 v28, v26
	s_mov_b32 s2, 0x3f2aaaab
	v_cvt_f64_f32_e32 v[24:25], v26
	v_frexp_exp_i32_f64_e32 v24, v[24:25]
	v_cmp_gt_f32_e32 vcc, s2, v28
	v_subbrev_co_u32_e32 v32, vcc, 0, v24, vcc
	v_sub_u32_e32 v24, 0, v32
	v_ldexp_f32 v25, v26, v24
	v_add_f32_e32 v26, -1.0, v25
	v_add_f32_e32 v28, 1.0, v25
	v_ldexp_f32 v24, v27, v24
	v_add_f32_e32 v27, 1.0, v26
	v_add_f32_e32 v29, -1.0, v28
	v_sub_f32_e32 v27, v25, v27
	v_sub_f32_e32 v25, v25, v29
	v_add_f32_e32 v27, v24, v27
	v_add_f32_e32 v24, v24, v25
	;; [unrolled: 1-line block ×3, first 2 shown]
	v_rcp_f32_e32 v35, v33
	v_sub_f32_e32 v25, v28, v33
	v_add_f32_e32 v34, v24, v25
	v_add_f32_e32 v25, v26, v27
	v_mul_f32_e32 v37, v25, v35
	v_sub_f32_e32 v24, v26, v25
	v_mul_f32_e32 v26, v33, v37
	v_fma_f32 v28, v37, v33, -v26
	v_fmac_f32_e32 v28, v37, v34
	v_add_f32_e32 v36, v27, v24
	v_add_f32_e32 v24, v26, v28
	v_sub_f32_e32 v27, v25, v24
	v_pk_add_f32 v[30:31], v[24:25], v[26:27] neg_lo:[0,1] neg_hi:[0,1]
	v_mov_b32_e32 v29, v24
	v_pk_add_f32 v[24:25], v[30:31], v[28:29] neg_lo:[0,1] neg_hi:[0,1]
	v_add_f32_e32 v25, v36, v25
	v_add_f32_e32 v24, v24, v25
	;; [unrolled: 1-line block ×3, first 2 shown]
	v_mul_f32_e32 v36, v35, v25
	v_mul_f32_e32 v26, v33, v36
	v_fma_f32 v28, v36, v33, -v26
	v_fmac_f32_e32 v28, v36, v34
	v_sub_f32_e32 v27, v27, v25
	v_add_f32_e32 v33, v24, v27
	v_add_f32_e32 v24, v26, v28
	v_sub_f32_e32 v27, v25, v24
	v_pk_add_f32 v[30:31], v[24:25], v[26:27] neg_lo:[0,1] neg_hi:[0,1]
	v_mov_b32_e32 v29, v24
	v_pk_add_f32 v[24:25], v[30:31], v[28:29] neg_lo:[0,1] neg_hi:[0,1]
	v_add_f32_e32 v25, v33, v25
	v_add_f32_e32 v24, v24, v25
	;; [unrolled: 1-line block ×4, first 2 shown]
	v_sub_f32_e32 v25, v27, v37
	v_mul_f32_e32 v24, v35, v24
	v_sub_f32_e32 v25, v36, v25
	v_add_f32_e32 v24, v25, v24
	v_add_f32_e32 v28, v27, v24
	v_mul_f32_e32 v30, v28, v28
	v_mov_b32_e32 v26, 0x3ecc95a3
	v_fmac_f32_e32 v26, 0x3e9b6dac, v30
	v_mov_b32_e32 v25, 0x3f2aaada
	v_fmac_f32_e32 v25, v30, v26
	v_cvt_f32_i32_e32 v26, v32
	v_sub_f32_e32 v27, v28, v27
	v_sub_f32_e32 v24, v24, v27
	v_ldexp_f32 v31, v24, 1
	v_mul_f32_e32 v27, v28, v30
	v_mov_b32_e32 v24, 0x3f317218
	s_mov_b32 s2, 0x3f317218
	v_pk_mul_f32 v[24:25], v[26:27], v[24:25]
	v_ldexp_f32 v29, v28, 1
	v_fma_f32 v28, v26, s2, -v24
	v_fmac_f32_e32 v28, 0xb102e308, v26
	v_pk_add_f32 v[26:27], v[24:25], v[28:29]
	v_sub_f32_e32 v29, v27, v29
	v_sub_f32_e32 v29, v25, v29
	v_add_f32_e32 v31, v31, v29
	v_mov_b32_e32 v30, v24
	v_pk_add_f32 v[24:25], v[26:27], v[24:25] neg_lo:[0,1] neg_hi:[0,1]
	v_pk_add_f32 v[32:33], v[26:27], v[30:31]
	v_mov_b32_e32 v25, v33
	v_mov_b32_e32 v29, v26
	v_pk_add_f32 v[34:35], v[28:29], v[24:25] neg_lo:[0,1] neg_hi:[0,1]
	v_pk_add_f32 v[24:25], v[28:29], v[24:25]
	v_mov_b32_e32 v28, v25
	v_pk_add_f32 v[36:37], v[28:29], v[26:27] neg_lo:[0,1] neg_hi:[0,1]
	v_mov_b32_e32 v29, v36
	v_pk_add_f32 v[40:41], v[32:33], v[28:29] neg_lo:[0,1] neg_hi:[0,1]
	v_mov_b32_e32 v24, v33
	v_mov_b32_e32 v32, v27
	;; [unrolled: 1-line block ×4, first 2 shown]
	v_pk_add_f32 v[24:25], v[24:25], v[32:33] neg_lo:[0,1] neg_hi:[0,1]
	v_mov_b32_e32 v30, v31
	v_mov_b32_e32 v31, v26
	v_pk_add_f32 v[24:25], v[30:31], v[24:25] neg_lo:[0,1] neg_hi:[0,1]
	v_mov_b32_e32 v40, v34
	v_pk_add_f32 v[26:27], v[40:41], v[24:25]
	v_mov_b32_e32 v30, v27
	v_pk_add_f32 v[30:31], v[26:27], v[30:31]
	v_pk_add_f32 v[28:29], v[28:29], v[30:31]
	v_mov_b32_e32 v27, v28
	v_pk_add_f32 v[32:33], v[26:27], v[34:35] neg_lo:[0,1] neg_hi:[0,1]
	v_mov_b32_e32 v25, v30
	v_sub_f32_e32 v26, v26, v32
	v_pk_add_f32 v[24:25], v[24:25], v[32:33] neg_lo:[0,1] neg_hi:[0,1]
	v_sub_f32_e32 v26, v34, v26
	s_mov_b32 s3, 0x7f800000
	v_add_f32_e32 v24, v24, v26
	s_mov_b32 s2, 0x33800000
	v_add_f32_e32 v24, v24, v25
	v_cmp_eq_f32_e32 vcc, s3, v38
	v_cmp_lt_f32_e64 s[2:3], |v38|, s2
	v_add_f32_e32 v24, v28, v24
	s_or_b64 vcc, vcc, s[2:3]
	v_cndmask_b32_e32 v24, v24, v38, vcc
	v_add_f32_e32 v25, v6, v24
.LBB522_160:
	s_or_b64 exec, exec, s[0:1]
	v_bfe_u32 v6, v25, 16, 1
	v_add3_u32 v6, v25, v6, s5
	v_lshrrev_b32_e32 v6, 16, v6
	v_mov_b32_e32 v24, 0x7fc0
	v_cmp_o_f32_e32 vcc, v25, v25
	v_cndmask_b32_e32 v6, v24, v6, vcc
	v_lshlrev_b32_e32 v26, 16, v6
	v_max_f32_e32 v25, v26, v26
	v_min_f32_e32 v27, v25, v43
	v_cmp_u_f32_e32 vcc, v26, v26
	v_max_f32_e32 v25, v25, v43
	v_cndmask_b32_e32 v27, v27, v26, vcc
	v_cndmask_b32_e32 v25, v25, v26, vcc
	v_cndmask_b32_e64 v27, v27, v39, s[82:83]
	v_cndmask_b32_e64 v25, v25, v39, s[82:83]
	v_cmp_neq_f32_e32 vcc, v27, v25
	v_cmp_class_f32_e64 s[0:1], v27, s4
	s_or_b64 s[2:3], vcc, s[0:1]
	s_and_saveexec_b64 s[0:1], s[2:3]
	s_cbranch_execz .LBB522_162
; %bb.161:
	v_sub_f32_e32 v26, v27, v25
	s_mov_b32 s2, 0x3fb8aa3b
	v_mul_f32_e32 v27, 0x3fb8aa3b, v26
	v_fma_f32 v28, v26, s2, -v27
	v_rndne_f32_e32 v29, v27
	v_fmac_f32_e32 v28, 0x32a5705f, v26
	v_sub_f32_e32 v27, v27, v29
	v_add_f32_e32 v27, v27, v28
	v_exp_f32_e32 v27, v27
	v_cvt_i32_f32_e32 v28, v29
	s_mov_b32 s2, 0xc2ce8ed0
	v_cmp_ngt_f32_e32 vcc, s2, v26
	s_mov_b32 s2, 0x42b17218
	v_ldexp_f32 v27, v27, v28
	v_cndmask_b32_e32 v27, 0, v27, vcc
	v_mov_b32_e32 v28, 0x7f800000
	v_cmp_nlt_f32_e32 vcc, s2, v26
	v_cndmask_b32_e32 v43, v28, v27, vcc
	v_add_f32_e32 v28, 1.0, v43
	v_add_f32_e32 v26, -1.0, v28
	v_sub_f32_e32 v27, v26, v28
	v_add_f32_e32 v27, 1.0, v27
	v_sub_f32_e32 v26, v43, v26
	v_add_f32_e32 v29, v26, v27
	v_frexp_mant_f32_e32 v30, v28
	s_mov_b32 s2, 0x3f2aaaab
	v_cvt_f64_f32_e32 v[26:27], v28
	v_frexp_exp_i32_f64_e32 v26, v[26:27]
	v_cmp_gt_f32_e32 vcc, s2, v30
	v_subbrev_co_u32_e32 v34, vcc, 0, v26, vcc
	v_sub_u32_e32 v26, 0, v34
	v_ldexp_f32 v27, v28, v26
	v_add_f32_e32 v28, -1.0, v27
	v_add_f32_e32 v30, 1.0, v27
	v_ldexp_f32 v26, v29, v26
	v_add_f32_e32 v29, 1.0, v28
	v_add_f32_e32 v31, -1.0, v30
	v_sub_f32_e32 v29, v27, v29
	v_sub_f32_e32 v27, v27, v31
	v_add_f32_e32 v29, v26, v29
	v_add_f32_e32 v26, v26, v27
	;; [unrolled: 1-line block ×3, first 2 shown]
	v_rcp_f32_e32 v37, v35
	v_sub_f32_e32 v27, v30, v35
	v_add_f32_e32 v36, v26, v27
	v_add_f32_e32 v27, v28, v29
	v_mul_f32_e32 v39, v27, v37
	v_sub_f32_e32 v26, v28, v27
	v_mul_f32_e32 v28, v35, v39
	v_fma_f32 v30, v39, v35, -v28
	v_fmac_f32_e32 v30, v39, v36
	v_add_f32_e32 v38, v29, v26
	v_add_f32_e32 v26, v28, v30
	v_sub_f32_e32 v29, v27, v26
	v_pk_add_f32 v[32:33], v[26:27], v[28:29] neg_lo:[0,1] neg_hi:[0,1]
	v_mov_b32_e32 v31, v26
	v_pk_add_f32 v[26:27], v[32:33], v[30:31] neg_lo:[0,1] neg_hi:[0,1]
	v_add_f32_e32 v27, v38, v27
	v_add_f32_e32 v26, v26, v27
	;; [unrolled: 1-line block ×3, first 2 shown]
	v_mul_f32_e32 v38, v37, v27
	v_mul_f32_e32 v28, v35, v38
	v_fma_f32 v30, v38, v35, -v28
	v_fmac_f32_e32 v30, v38, v36
	v_sub_f32_e32 v29, v29, v27
	v_add_f32_e32 v35, v26, v29
	v_add_f32_e32 v26, v28, v30
	v_sub_f32_e32 v29, v27, v26
	v_pk_add_f32 v[32:33], v[26:27], v[28:29] neg_lo:[0,1] neg_hi:[0,1]
	v_mov_b32_e32 v31, v26
	v_pk_add_f32 v[26:27], v[32:33], v[30:31] neg_lo:[0,1] neg_hi:[0,1]
	v_add_f32_e32 v27, v35, v27
	v_add_f32_e32 v26, v26, v27
	;; [unrolled: 1-line block ×4, first 2 shown]
	v_sub_f32_e32 v27, v29, v39
	v_mul_f32_e32 v26, v37, v26
	v_sub_f32_e32 v27, v38, v27
	v_add_f32_e32 v26, v27, v26
	v_add_f32_e32 v30, v29, v26
	v_mul_f32_e32 v32, v30, v30
	v_mov_b32_e32 v28, 0x3ecc95a3
	v_fmac_f32_e32 v28, 0x3e9b6dac, v32
	v_mov_b32_e32 v27, 0x3f2aaada
	v_fmac_f32_e32 v27, v32, v28
	v_cvt_f32_i32_e32 v28, v34
	v_sub_f32_e32 v29, v30, v29
	v_sub_f32_e32 v26, v26, v29
	v_ldexp_f32 v33, v26, 1
	v_mul_f32_e32 v29, v30, v32
	v_mov_b32_e32 v26, 0x3f317218
	s_mov_b32 s2, 0x3f317218
	v_pk_mul_f32 v[26:27], v[28:29], v[26:27]
	v_ldexp_f32 v31, v30, 1
	v_fma_f32 v30, v28, s2, -v26
	v_fmac_f32_e32 v30, 0xb102e308, v28
	v_pk_add_f32 v[28:29], v[26:27], v[30:31]
	v_sub_f32_e32 v31, v29, v31
	v_sub_f32_e32 v31, v27, v31
	v_add_f32_e32 v33, v33, v31
	v_mov_b32_e32 v32, v26
	v_pk_add_f32 v[26:27], v[28:29], v[26:27] neg_lo:[0,1] neg_hi:[0,1]
	v_pk_add_f32 v[34:35], v[28:29], v[32:33]
	v_mov_b32_e32 v27, v35
	v_mov_b32_e32 v31, v28
	v_pk_add_f32 v[36:37], v[30:31], v[26:27] neg_lo:[0,1] neg_hi:[0,1]
	v_pk_add_f32 v[26:27], v[30:31], v[26:27]
	v_mov_b32_e32 v30, v27
	v_pk_add_f32 v[38:39], v[30:31], v[28:29] neg_lo:[0,1] neg_hi:[0,1]
	v_mov_b32_e32 v31, v38
	v_pk_add_f32 v[40:41], v[34:35], v[30:31] neg_lo:[0,1] neg_hi:[0,1]
	v_mov_b32_e32 v26, v35
	v_mov_b32_e32 v34, v29
	;; [unrolled: 1-line block ×4, first 2 shown]
	v_pk_add_f32 v[26:27], v[26:27], v[34:35] neg_lo:[0,1] neg_hi:[0,1]
	v_mov_b32_e32 v32, v33
	v_mov_b32_e32 v33, v28
	v_pk_add_f32 v[26:27], v[32:33], v[26:27] neg_lo:[0,1] neg_hi:[0,1]
	v_mov_b32_e32 v40, v36
	v_pk_add_f32 v[28:29], v[40:41], v[26:27]
	v_mov_b32_e32 v32, v29
	v_pk_add_f32 v[32:33], v[28:29], v[32:33]
	v_pk_add_f32 v[30:31], v[30:31], v[32:33]
	v_mov_b32_e32 v29, v30
	v_pk_add_f32 v[34:35], v[28:29], v[36:37] neg_lo:[0,1] neg_hi:[0,1]
	v_mov_b32_e32 v27, v32
	v_sub_f32_e32 v28, v28, v34
	v_pk_add_f32 v[26:27], v[26:27], v[34:35] neg_lo:[0,1] neg_hi:[0,1]
	v_sub_f32_e32 v28, v36, v28
	s_mov_b32 s3, 0x7f800000
	v_add_f32_e32 v26, v26, v28
	s_mov_b32 s2, 0x33800000
	v_add_f32_e32 v26, v26, v27
	v_cmp_eq_f32_e32 vcc, s3, v43
	v_cmp_lt_f32_e64 s[2:3], |v43|, s2
	v_add_f32_e32 v26, v30, v26
	s_or_b64 vcc, vcc, s[2:3]
	v_cndmask_b32_e32 v26, v26, v43, vcc
	v_add_f32_e32 v26, v25, v26
.LBB522_162:
	s_or_b64 exec, exec, s[0:1]
	v_bfe_u32 v25, v26, 16, 1
	v_add3_u32 v25, v26, v25, s5
	v_lshrrev_b32_e32 v25, 16, v25
	v_cmp_o_f32_e32 vcc, v26, v26
	v_cndmask_b32_e32 v24, v24, v25, vcc
	v_lshlrev_b32_e32 v26, 16, v24
	v_max_f32_e32 v27, v26, v26
	v_min_f32_e32 v25, v27, v44
	v_cmp_u_f32_e32 vcc, v26, v26
	v_max_f32_e32 v27, v27, v44
	v_cndmask_b32_e32 v25, v25, v26, vcc
	v_cndmask_b32_e32 v27, v27, v26, vcc
	v_cndmask_b32_e64 v25, v25, v7, s[84:85]
	v_cndmask_b32_e64 v7, v27, v7, s[84:85]
	v_cmp_neq_f32_e32 vcc, v25, v7
	v_cmp_class_f32_e64 s[0:1], v25, s4
	s_or_b64 s[2:3], vcc, s[0:1]
	s_and_saveexec_b64 s[0:1], s[2:3]
	s_cbranch_execz .LBB522_164
; %bb.163:
	v_sub_f32_e32 v25, v25, v7
	s_mov_b32 s2, 0x3fb8aa3b
	v_mul_f32_e32 v26, 0x3fb8aa3b, v25
	v_fma_f32 v27, v25, s2, -v26
	v_rndne_f32_e32 v28, v26
	v_fmac_f32_e32 v27, 0x32a5705f, v25
	v_sub_f32_e32 v26, v26, v28
	v_add_f32_e32 v26, v26, v27
	v_exp_f32_e32 v26, v26
	v_cvt_i32_f32_e32 v27, v28
	s_mov_b32 s2, 0xc2ce8ed0
	v_cmp_ngt_f32_e32 vcc, s2, v25
	s_mov_b32 s2, 0x42b17218
	v_ldexp_f32 v26, v26, v27
	v_cndmask_b32_e32 v26, 0, v26, vcc
	v_mov_b32_e32 v27, 0x7f800000
	v_cmp_nlt_f32_e32 vcc, s2, v25
	v_cndmask_b32_e32 v43, v27, v26, vcc
	v_add_f32_e32 v25, 1.0, v43
	v_add_f32_e32 v26, -1.0, v25
	v_sub_f32_e32 v27, v26, v25
	v_add_f32_e32 v27, 1.0, v27
	v_sub_f32_e32 v26, v43, v26
	v_add_f32_e32 v28, v26, v27
	v_frexp_mant_f32_e32 v29, v25
	s_mov_b32 s2, 0x3f2aaaab
	v_cvt_f64_f32_e32 v[26:27], v25
	v_frexp_exp_i32_f64_e32 v26, v[26:27]
	v_cmp_gt_f32_e32 vcc, s2, v29
	v_subbrev_co_u32_e32 v34, vcc, 0, v26, vcc
	v_sub_u32_e32 v26, 0, v34
	v_ldexp_f32 v25, v25, v26
	v_ldexp_f32 v26, v28, v26
	v_add_f32_e32 v28, -1.0, v25
	v_add_f32_e32 v27, 1.0, v28
	v_sub_f32_e32 v27, v25, v27
	v_add_f32_e32 v29, v26, v27
	v_add_f32_e32 v27, 1.0, v25
	v_add_f32_e32 v30, -1.0, v27
	v_sub_f32_e32 v25, v25, v30
	v_add_f32_e32 v25, v26, v25
	v_add_f32_e32 v35, v27, v25
	v_rcp_f32_e32 v36, v35
	v_sub_f32_e32 v26, v27, v35
	v_add_f32_e32 v27, v28, v29
	v_add_f32_e32 v25, v25, v26
	v_mul_f32_e32 v38, v27, v36
	v_sub_f32_e32 v26, v28, v27
	v_mul_f32_e32 v28, v35, v38
	v_fma_f32 v30, v38, v35, -v28
	v_fmac_f32_e32 v30, v38, v25
	v_add_f32_e32 v37, v29, v26
	v_add_f32_e32 v26, v28, v30
	v_sub_f32_e32 v29, v27, v26
	v_pk_add_f32 v[32:33], v[26:27], v[28:29] neg_lo:[0,1] neg_hi:[0,1]
	v_mov_b32_e32 v31, v26
	v_pk_add_f32 v[26:27], v[32:33], v[30:31] neg_lo:[0,1] neg_hi:[0,1]
	v_add_f32_e32 v27, v37, v27
	v_add_f32_e32 v26, v26, v27
	;; [unrolled: 1-line block ×3, first 2 shown]
	v_mul_f32_e32 v37, v36, v27
	v_mul_f32_e32 v28, v35, v37
	v_fma_f32 v30, v37, v35, -v28
	v_fmac_f32_e32 v30, v37, v25
	v_sub_f32_e32 v25, v29, v27
	v_add_f32_e32 v25, v26, v25
	v_add_f32_e32 v26, v28, v30
	v_sub_f32_e32 v29, v27, v26
	v_pk_add_f32 v[32:33], v[26:27], v[28:29] neg_lo:[0,1] neg_hi:[0,1]
	v_mov_b32_e32 v31, v26
	v_pk_add_f32 v[26:27], v[32:33], v[30:31] neg_lo:[0,1] neg_hi:[0,1]
	v_add_f32_e32 v25, v25, v27
	v_add_f32_e32 v25, v26, v25
	;; [unrolled: 1-line block ×4, first 2 shown]
	v_sub_f32_e32 v27, v26, v38
	v_mul_f32_e32 v25, v36, v25
	v_sub_f32_e32 v27, v37, v27
	v_add_f32_e32 v25, v27, v25
	v_add_f32_e32 v29, v26, v25
	v_mul_f32_e32 v30, v29, v29
	v_mov_b32_e32 v28, 0x3ecc95a3
	v_fmac_f32_e32 v28, 0x3e9b6dac, v30
	v_mov_b32_e32 v27, 0x3f2aaada
	v_fmac_f32_e32 v27, v30, v28
	v_cvt_f32_i32_e32 v28, v34
	v_sub_f32_e32 v26, v29, v26
	v_sub_f32_e32 v25, v25, v26
	v_ldexp_f32 v31, v29, 1
	v_mul_f32_e32 v29, v29, v30
	v_mov_b32_e32 v26, 0x3f317218
	s_mov_b32 s2, 0x3f317218
	v_pk_mul_f32 v[26:27], v[28:29], v[26:27]
	v_fma_f32 v30, v28, s2, -v26
	v_fmac_f32_e32 v30, 0xb102e308, v28
	v_pk_add_f32 v[28:29], v[26:27], v[30:31]
	v_sub_f32_e32 v31, v29, v31
	v_ldexp_f32 v25, v25, 1
	v_sub_f32_e32 v31, v27, v31
	v_add_f32_e32 v33, v25, v31
	v_mov_b32_e32 v32, v26
	v_pk_add_f32 v[26:27], v[28:29], v[26:27] neg_lo:[0,1] neg_hi:[0,1]
	v_pk_add_f32 v[34:35], v[28:29], v[32:33]
	v_mov_b32_e32 v27, v35
	v_mov_b32_e32 v31, v28
	v_pk_add_f32 v[36:37], v[30:31], v[26:27] neg_lo:[0,1] neg_hi:[0,1]
	v_pk_add_f32 v[26:27], v[30:31], v[26:27]
	v_mov_b32_e32 v30, v27
	v_pk_add_f32 v[38:39], v[30:31], v[28:29] neg_lo:[0,1] neg_hi:[0,1]
	v_mov_b32_e32 v25, v38
	v_pk_add_f32 v[40:41], v[34:35], v[24:25] neg_lo:[0,1] neg_hi:[0,1]
	v_mov_b32_e32 v26, v35
	v_mov_b32_e32 v34, v29
	v_mov_b32_e32 v35, v38
	v_mov_b32_e32 v37, v27
	v_pk_add_f32 v[26:27], v[26:27], v[34:35] neg_lo:[0,1] neg_hi:[0,1]
	v_mov_b32_e32 v32, v33
	v_mov_b32_e32 v33, v28
	v_pk_add_f32 v[26:27], v[32:33], v[26:27] neg_lo:[0,1] neg_hi:[0,1]
	v_mov_b32_e32 v40, v36
	v_pk_add_f32 v[28:29], v[40:41], v[26:27]
	v_mov_b32_e32 v32, v29
	v_pk_add_f32 v[32:33], v[28:29], v[32:33]
	v_pk_add_f32 v[30:31], v[30:31], v[32:33]
	v_mov_b32_e32 v29, v30
	v_pk_add_f32 v[34:35], v[28:29], v[36:37] neg_lo:[0,1] neg_hi:[0,1]
	v_mov_b32_e32 v27, v32
	v_sub_f32_e32 v25, v28, v34
	v_pk_add_f32 v[26:27], v[26:27], v[34:35] neg_lo:[0,1] neg_hi:[0,1]
	v_sub_f32_e32 v25, v36, v25
	s_mov_b32 s3, 0x7f800000
	v_add_f32_e32 v25, v26, v25
	s_mov_b32 s2, 0x33800000
	v_add_f32_e32 v25, v25, v27
	v_cmp_eq_f32_e32 vcc, s3, v43
	v_cmp_lt_f32_e64 s[2:3], |v43|, s2
	v_add_f32_e32 v25, v30, v25
	s_or_b64 vcc, vcc, s[2:3]
	v_cndmask_b32_e32 v25, v25, v43, vcc
	v_add_f32_e32 v26, v7, v25
.LBB522_164:
	s_or_b64 exec, exec, s[0:1]
	v_bfe_u32 v7, v26, 16, 1
	v_add3_u32 v7, v26, v7, s5
	v_lshrrev_b32_e32 v7, 16, v7
	v_mov_b32_e32 v25, 0x7fc0
	v_cmp_o_f32_e32 vcc, v26, v26
	v_cndmask_b32_e32 v7, v25, v7, vcc
	v_lshlrev_b32_e32 v27, 16, v7
	v_max_f32_e32 v26, v27, v27
	v_min_f32_e32 v28, v26, v46
	v_cmp_u_f32_e32 vcc, v27, v27
	v_max_f32_e32 v26, v26, v46
	v_cndmask_b32_e32 v28, v28, v27, vcc
	v_cndmask_b32_e32 v26, v26, v27, vcc
	v_cndmask_b32_e64 v28, v28, v42, s[86:87]
	v_cndmask_b32_e64 v26, v26, v42, s[86:87]
	v_cmp_neq_f32_e32 vcc, v28, v26
	v_cmp_class_f32_e64 s[0:1], v28, s4
	s_or_b64 s[2:3], vcc, s[0:1]
	s_and_saveexec_b64 s[0:1], s[2:3]
	s_cbranch_execz .LBB522_166
; %bb.165:
	v_sub_f32_e32 v27, v28, v26
	s_mov_b32 s2, 0x3fb8aa3b
	v_mul_f32_e32 v28, 0x3fb8aa3b, v27
	v_fma_f32 v29, v27, s2, -v28
	v_rndne_f32_e32 v30, v28
	v_fmac_f32_e32 v29, 0x32a5705f, v27
	v_sub_f32_e32 v28, v28, v30
	v_add_f32_e32 v28, v28, v29
	v_exp_f32_e32 v28, v28
	v_cvt_i32_f32_e32 v29, v30
	s_mov_b32 s2, 0xc2ce8ed0
	v_cmp_ngt_f32_e32 vcc, s2, v27
	s_mov_b32 s2, 0x42b17218
	v_ldexp_f32 v28, v28, v29
	v_cndmask_b32_e32 v28, 0, v28, vcc
	v_mov_b32_e32 v29, 0x7f800000
	v_cmp_nlt_f32_e32 vcc, s2, v27
	v_cndmask_b32_e32 v44, v29, v28, vcc
	v_add_f32_e32 v27, 1.0, v44
	v_add_f32_e32 v28, -1.0, v27
	v_sub_f32_e32 v29, v28, v27
	v_add_f32_e32 v29, 1.0, v29
	v_sub_f32_e32 v28, v44, v28
	v_add_f32_e32 v30, v28, v29
	v_frexp_mant_f32_e32 v31, v27
	s_mov_b32 s2, 0x3f2aaaab
	v_cvt_f64_f32_e32 v[28:29], v27
	v_frexp_exp_i32_f64_e32 v28, v[28:29]
	v_cmp_gt_f32_e32 vcc, s2, v31
	v_subbrev_co_u32_e32 v36, vcc, 0, v28, vcc
	v_sub_u32_e32 v28, 0, v36
	v_ldexp_f32 v27, v27, v28
	v_ldexp_f32 v28, v30, v28
	v_add_f32_e32 v30, -1.0, v27
	v_add_f32_e32 v29, 1.0, v30
	v_sub_f32_e32 v29, v27, v29
	v_add_f32_e32 v31, v28, v29
	v_add_f32_e32 v29, 1.0, v27
	v_add_f32_e32 v32, -1.0, v29
	v_sub_f32_e32 v27, v27, v32
	v_add_f32_e32 v27, v28, v27
	v_add_f32_e32 v37, v29, v27
	v_rcp_f32_e32 v38, v37
	v_sub_f32_e32 v28, v29, v37
	v_add_f32_e32 v29, v30, v31
	v_add_f32_e32 v27, v27, v28
	v_mul_f32_e32 v40, v29, v38
	v_sub_f32_e32 v28, v30, v29
	v_mul_f32_e32 v30, v37, v40
	v_fma_f32 v32, v40, v37, -v30
	v_fmac_f32_e32 v32, v40, v27
	v_add_f32_e32 v39, v31, v28
	v_add_f32_e32 v28, v30, v32
	v_sub_f32_e32 v31, v29, v28
	v_pk_add_f32 v[34:35], v[28:29], v[30:31] neg_lo:[0,1] neg_hi:[0,1]
	v_mov_b32_e32 v33, v28
	v_pk_add_f32 v[28:29], v[34:35], v[32:33] neg_lo:[0,1] neg_hi:[0,1]
	v_add_f32_e32 v29, v39, v29
	v_add_f32_e32 v28, v28, v29
	;; [unrolled: 1-line block ×3, first 2 shown]
	v_mul_f32_e32 v39, v38, v29
	v_mul_f32_e32 v30, v37, v39
	v_fma_f32 v32, v39, v37, -v30
	v_fmac_f32_e32 v32, v39, v27
	v_sub_f32_e32 v27, v31, v29
	v_add_f32_e32 v27, v28, v27
	v_add_f32_e32 v28, v30, v32
	v_sub_f32_e32 v31, v29, v28
	v_pk_add_f32 v[34:35], v[28:29], v[30:31] neg_lo:[0,1] neg_hi:[0,1]
	v_mov_b32_e32 v33, v28
	v_pk_add_f32 v[28:29], v[34:35], v[32:33] neg_lo:[0,1] neg_hi:[0,1]
	v_add_f32_e32 v27, v27, v29
	v_add_f32_e32 v27, v28, v27
	;; [unrolled: 1-line block ×4, first 2 shown]
	v_sub_f32_e32 v29, v28, v40
	v_mul_f32_e32 v27, v38, v27
	v_sub_f32_e32 v29, v39, v29
	v_add_f32_e32 v27, v29, v27
	v_add_f32_e32 v31, v28, v27
	v_mul_f32_e32 v32, v31, v31
	v_mov_b32_e32 v30, 0x3ecc95a3
	v_fmac_f32_e32 v30, 0x3e9b6dac, v32
	v_mov_b32_e32 v29, 0x3f2aaada
	v_fmac_f32_e32 v29, v32, v30
	v_cvt_f32_i32_e32 v30, v36
	v_sub_f32_e32 v28, v31, v28
	v_sub_f32_e32 v27, v27, v28
	v_ldexp_f32 v33, v31, 1
	v_mul_f32_e32 v31, v31, v32
	v_mov_b32_e32 v28, 0x3f317218
	s_mov_b32 s2, 0x3f317218
	v_pk_mul_f32 v[28:29], v[30:31], v[28:29]
	v_fma_f32 v32, v30, s2, -v28
	v_fmac_f32_e32 v32, 0xb102e308, v30
	v_pk_add_f32 v[30:31], v[28:29], v[32:33]
	v_sub_f32_e32 v33, v31, v33
	v_ldexp_f32 v27, v27, 1
	v_sub_f32_e32 v33, v29, v33
	v_add_f32_e32 v35, v27, v33
	v_mov_b32_e32 v34, v28
	v_pk_add_f32 v[28:29], v[30:31], v[28:29] neg_lo:[0,1] neg_hi:[0,1]
	v_pk_add_f32 v[36:37], v[30:31], v[34:35]
	v_mov_b32_e32 v29, v37
	v_mov_b32_e32 v33, v30
	v_pk_add_f32 v[38:39], v[32:33], v[28:29] neg_lo:[0,1] neg_hi:[0,1]
	v_pk_add_f32 v[28:29], v[32:33], v[28:29]
	v_mov_b32_e32 v32, v29
	v_pk_add_f32 v[40:41], v[32:33], v[30:31] neg_lo:[0,1] neg_hi:[0,1]
	v_mov_b32_e32 v27, v40
	v_pk_add_f32 v[42:43], v[36:37], v[26:27] neg_lo:[0,1] neg_hi:[0,1]
	v_mov_b32_e32 v28, v37
	v_mov_b32_e32 v36, v31
	;; [unrolled: 1-line block ×4, first 2 shown]
	v_pk_add_f32 v[28:29], v[28:29], v[36:37] neg_lo:[0,1] neg_hi:[0,1]
	v_mov_b32_e32 v34, v35
	v_mov_b32_e32 v35, v30
	v_pk_add_f32 v[28:29], v[34:35], v[28:29] neg_lo:[0,1] neg_hi:[0,1]
	v_mov_b32_e32 v42, v38
	v_pk_add_f32 v[30:31], v[42:43], v[28:29]
	v_mov_b32_e32 v34, v31
	v_pk_add_f32 v[34:35], v[30:31], v[34:35]
	v_pk_add_f32 v[32:33], v[32:33], v[34:35]
	v_mov_b32_e32 v31, v32
	v_pk_add_f32 v[36:37], v[30:31], v[38:39] neg_lo:[0,1] neg_hi:[0,1]
	v_mov_b32_e32 v29, v34
	v_sub_f32_e32 v27, v30, v36
	v_pk_add_f32 v[28:29], v[28:29], v[36:37] neg_lo:[0,1] neg_hi:[0,1]
	v_sub_f32_e32 v27, v38, v27
	s_mov_b32 s3, 0x7f800000
	v_add_f32_e32 v27, v28, v27
	s_mov_b32 s2, 0x33800000
	v_add_f32_e32 v27, v27, v29
	v_cmp_eq_f32_e32 vcc, s3, v44
	v_cmp_lt_f32_e64 s[2:3], |v44|, s2
	v_add_f32_e32 v27, v32, v27
	s_or_b64 vcc, vcc, s[2:3]
	v_cndmask_b32_e32 v27, v27, v44, vcc
	v_add_f32_e32 v27, v26, v27
.LBB522_166:
	s_or_b64 exec, exec, s[0:1]
	v_bfe_u32 v26, v27, 16, 1
	v_add3_u32 v26, v27, v26, s5
	v_lshrrev_b32_e32 v26, 16, v26
	v_cmp_o_f32_e32 vcc, v27, v27
	v_cndmask_b32_e32 v25, v25, v26, vcc
	v_lshlrev_b32_e32 v27, 16, v25
	v_max_f32_e32 v28, v27, v27
	v_min_f32_e32 v26, v28, v47
	v_cmp_u_f32_e32 vcc, v27, v27
	v_max_f32_e32 v28, v28, v47
	v_cndmask_b32_e32 v26, v26, v27, vcc
	v_cndmask_b32_e32 v28, v28, v27, vcc
	v_cndmask_b32_e64 v26, v26, v8, s[88:89]
	v_cndmask_b32_e64 v8, v28, v8, s[88:89]
	v_cmp_neq_f32_e32 vcc, v26, v8
	v_cmp_class_f32_e64 s[0:1], v26, s4
	s_or_b64 s[2:3], vcc, s[0:1]
	s_and_saveexec_b64 s[0:1], s[2:3]
	s_cbranch_execz .LBB522_168
; %bb.167:
	v_sub_f32_e32 v26, v26, v8
	s_mov_b32 s2, 0x3fb8aa3b
	v_mul_f32_e32 v27, 0x3fb8aa3b, v26
	v_fma_f32 v28, v26, s2, -v27
	v_rndne_f32_e32 v29, v27
	v_fmac_f32_e32 v28, 0x32a5705f, v26
	v_sub_f32_e32 v27, v27, v29
	v_add_f32_e32 v27, v27, v28
	v_exp_f32_e32 v27, v27
	v_cvt_i32_f32_e32 v28, v29
	s_mov_b32 s2, 0xc2ce8ed0
	v_cmp_ngt_f32_e32 vcc, s2, v26
	s_mov_b32 s2, 0x42b17218
	v_ldexp_f32 v27, v27, v28
	v_cndmask_b32_e32 v27, 0, v27, vcc
	v_mov_b32_e32 v28, 0x7f800000
	v_cmp_nlt_f32_e32 vcc, s2, v26
	v_cndmask_b32_e32 v42, v28, v27, vcc
	v_add_f32_e32 v28, 1.0, v42
	v_add_f32_e32 v26, -1.0, v28
	v_sub_f32_e32 v27, v26, v28
	v_add_f32_e32 v27, 1.0, v27
	v_sub_f32_e32 v26, v42, v26
	v_add_f32_e32 v29, v26, v27
	v_frexp_mant_f32_e32 v30, v28
	s_mov_b32 s2, 0x3f2aaaab
	v_cvt_f64_f32_e32 v[26:27], v28
	v_frexp_exp_i32_f64_e32 v26, v[26:27]
	v_cmp_gt_f32_e32 vcc, s2, v30
	v_subbrev_co_u32_e32 v34, vcc, 0, v26, vcc
	v_sub_u32_e32 v26, 0, v34
	v_ldexp_f32 v27, v28, v26
	v_add_f32_e32 v28, -1.0, v27
	v_add_f32_e32 v30, 1.0, v27
	v_ldexp_f32 v26, v29, v26
	v_add_f32_e32 v29, 1.0, v28
	v_add_f32_e32 v31, -1.0, v30
	v_sub_f32_e32 v29, v27, v29
	v_sub_f32_e32 v27, v27, v31
	v_add_f32_e32 v29, v26, v29
	v_add_f32_e32 v26, v26, v27
	;; [unrolled: 1-line block ×3, first 2 shown]
	v_rcp_f32_e32 v37, v35
	v_sub_f32_e32 v27, v30, v35
	v_add_f32_e32 v36, v26, v27
	v_add_f32_e32 v27, v28, v29
	v_mul_f32_e32 v39, v27, v37
	v_sub_f32_e32 v26, v28, v27
	v_mul_f32_e32 v28, v35, v39
	v_fma_f32 v30, v39, v35, -v28
	v_fmac_f32_e32 v30, v39, v36
	v_add_f32_e32 v38, v29, v26
	v_add_f32_e32 v26, v28, v30
	v_sub_f32_e32 v29, v27, v26
	v_pk_add_f32 v[32:33], v[26:27], v[28:29] neg_lo:[0,1] neg_hi:[0,1]
	v_mov_b32_e32 v31, v26
	v_pk_add_f32 v[26:27], v[32:33], v[30:31] neg_lo:[0,1] neg_hi:[0,1]
	v_add_f32_e32 v27, v38, v27
	v_add_f32_e32 v26, v26, v27
	;; [unrolled: 1-line block ×3, first 2 shown]
	v_mul_f32_e32 v38, v37, v27
	v_mul_f32_e32 v28, v35, v38
	v_fma_f32 v30, v38, v35, -v28
	v_fmac_f32_e32 v30, v38, v36
	v_sub_f32_e32 v29, v29, v27
	v_add_f32_e32 v35, v26, v29
	v_add_f32_e32 v26, v28, v30
	v_sub_f32_e32 v29, v27, v26
	v_pk_add_f32 v[32:33], v[26:27], v[28:29] neg_lo:[0,1] neg_hi:[0,1]
	v_mov_b32_e32 v31, v26
	v_pk_add_f32 v[26:27], v[32:33], v[30:31] neg_lo:[0,1] neg_hi:[0,1]
	v_add_f32_e32 v27, v35, v27
	v_add_f32_e32 v26, v26, v27
	;; [unrolled: 1-line block ×4, first 2 shown]
	v_sub_f32_e32 v27, v29, v39
	v_mul_f32_e32 v26, v37, v26
	v_sub_f32_e32 v27, v38, v27
	v_add_f32_e32 v26, v27, v26
	v_add_f32_e32 v30, v29, v26
	v_mul_f32_e32 v32, v30, v30
	v_mov_b32_e32 v28, 0x3ecc95a3
	v_fmac_f32_e32 v28, 0x3e9b6dac, v32
	v_mov_b32_e32 v27, 0x3f2aaada
	v_fmac_f32_e32 v27, v32, v28
	v_cvt_f32_i32_e32 v28, v34
	v_sub_f32_e32 v29, v30, v29
	v_sub_f32_e32 v26, v26, v29
	v_ldexp_f32 v33, v26, 1
	v_mul_f32_e32 v29, v30, v32
	v_mov_b32_e32 v26, 0x3f317218
	s_mov_b32 s2, 0x3f317218
	v_pk_mul_f32 v[26:27], v[28:29], v[26:27]
	v_ldexp_f32 v31, v30, 1
	v_fma_f32 v30, v28, s2, -v26
	v_fmac_f32_e32 v30, 0xb102e308, v28
	v_pk_add_f32 v[28:29], v[26:27], v[30:31]
	v_sub_f32_e32 v31, v29, v31
	v_sub_f32_e32 v31, v27, v31
	v_add_f32_e32 v33, v33, v31
	v_mov_b32_e32 v32, v26
	v_pk_add_f32 v[26:27], v[28:29], v[26:27] neg_lo:[0,1] neg_hi:[0,1]
	v_pk_add_f32 v[34:35], v[28:29], v[32:33]
	v_mov_b32_e32 v27, v35
	v_mov_b32_e32 v31, v28
	v_pk_add_f32 v[36:37], v[30:31], v[26:27] neg_lo:[0,1] neg_hi:[0,1]
	v_pk_add_f32 v[26:27], v[30:31], v[26:27]
	v_mov_b32_e32 v30, v27
	v_pk_add_f32 v[38:39], v[30:31], v[28:29] neg_lo:[0,1] neg_hi:[0,1]
	v_mov_b32_e32 v31, v38
	v_pk_add_f32 v[40:41], v[34:35], v[30:31] neg_lo:[0,1] neg_hi:[0,1]
	v_mov_b32_e32 v26, v35
	v_mov_b32_e32 v34, v29
	;; [unrolled: 1-line block ×4, first 2 shown]
	v_pk_add_f32 v[26:27], v[26:27], v[34:35] neg_lo:[0,1] neg_hi:[0,1]
	v_mov_b32_e32 v32, v33
	v_mov_b32_e32 v33, v28
	v_pk_add_f32 v[26:27], v[32:33], v[26:27] neg_lo:[0,1] neg_hi:[0,1]
	v_mov_b32_e32 v40, v36
	v_pk_add_f32 v[28:29], v[40:41], v[26:27]
	v_mov_b32_e32 v32, v29
	v_pk_add_f32 v[32:33], v[28:29], v[32:33]
	v_pk_add_f32 v[30:31], v[30:31], v[32:33]
	v_mov_b32_e32 v29, v30
	v_pk_add_f32 v[34:35], v[28:29], v[36:37] neg_lo:[0,1] neg_hi:[0,1]
	v_mov_b32_e32 v27, v32
	v_sub_f32_e32 v28, v28, v34
	v_pk_add_f32 v[26:27], v[26:27], v[34:35] neg_lo:[0,1] neg_hi:[0,1]
	v_sub_f32_e32 v28, v36, v28
	s_mov_b32 s3, 0x7f800000
	v_add_f32_e32 v26, v26, v28
	s_mov_b32 s2, 0x33800000
	v_add_f32_e32 v26, v26, v27
	v_cmp_eq_f32_e32 vcc, s3, v42
	v_cmp_lt_f32_e64 s[2:3], |v42|, s2
	v_add_f32_e32 v26, v30, v26
	s_or_b64 vcc, vcc, s[2:3]
	v_cndmask_b32_e32 v26, v26, v42, vcc
	v_add_f32_e32 v27, v8, v26
.LBB522_168:
	s_or_b64 exec, exec, s[0:1]
	v_bfe_u32 v8, v27, 16, 1
	v_add3_u32 v8, v27, v8, s5
	v_lshrrev_b32_e32 v8, 16, v8
	v_mov_b32_e32 v26, 0x7fc0
	v_cmp_o_f32_e32 vcc, v27, v27
	v_cndmask_b32_e32 v8, v26, v8, vcc
	v_lshlrev_b32_e32 v28, 16, v8
	v_max_f32_e32 v27, v28, v28
	v_min_f32_e32 v29, v27, v48
	v_cmp_u_f32_e32 vcc, v28, v28
	v_max_f32_e32 v27, v27, v48
	v_cndmask_b32_e32 v29, v29, v28, vcc
	v_cndmask_b32_e32 v27, v27, v28, vcc
	v_cndmask_b32_e64 v29, v29, v45, s[90:91]
	v_cndmask_b32_e64 v27, v27, v45, s[90:91]
	v_cmp_neq_f32_e32 vcc, v29, v27
	v_cmp_class_f32_e64 s[0:1], v29, s4
	s_or_b64 s[2:3], vcc, s[0:1]
	s_and_saveexec_b64 s[0:1], s[2:3]
	s_cbranch_execz .LBB522_170
; %bb.169:
	v_sub_f32_e32 v28, v29, v27
	s_mov_b32 s2, 0x3fb8aa3b
	v_mul_f32_e32 v29, 0x3fb8aa3b, v28
	v_fma_f32 v30, v28, s2, -v29
	v_rndne_f32_e32 v31, v29
	v_fmac_f32_e32 v30, 0x32a5705f, v28
	v_sub_f32_e32 v29, v29, v31
	v_add_f32_e32 v29, v29, v30
	v_exp_f32_e32 v29, v29
	v_cvt_i32_f32_e32 v30, v31
	s_mov_b32 s2, 0xc2ce8ed0
	v_cmp_ngt_f32_e32 vcc, s2, v28
	s_mov_b32 s2, 0x42b17218
	v_ldexp_f32 v29, v29, v30
	v_cndmask_b32_e32 v29, 0, v29, vcc
	v_mov_b32_e32 v30, 0x7f800000
	v_cmp_nlt_f32_e32 vcc, s2, v28
	v_cndmask_b32_e32 v44, v30, v29, vcc
	v_add_f32_e32 v30, 1.0, v44
	v_add_f32_e32 v28, -1.0, v30
	v_sub_f32_e32 v29, v28, v30
	v_add_f32_e32 v29, 1.0, v29
	v_sub_f32_e32 v28, v44, v28
	v_add_f32_e32 v31, v28, v29
	v_frexp_mant_f32_e32 v32, v30
	s_mov_b32 s2, 0x3f2aaaab
	v_cvt_f64_f32_e32 v[28:29], v30
	v_frexp_exp_i32_f64_e32 v28, v[28:29]
	v_cmp_gt_f32_e32 vcc, s2, v32
	v_subbrev_co_u32_e32 v36, vcc, 0, v28, vcc
	v_sub_u32_e32 v28, 0, v36
	v_ldexp_f32 v29, v30, v28
	v_add_f32_e32 v30, -1.0, v29
	v_add_f32_e32 v32, 1.0, v29
	v_ldexp_f32 v28, v31, v28
	v_add_f32_e32 v31, 1.0, v30
	v_add_f32_e32 v33, -1.0, v32
	v_sub_f32_e32 v31, v29, v31
	v_sub_f32_e32 v29, v29, v33
	v_add_f32_e32 v31, v28, v31
	v_add_f32_e32 v28, v28, v29
	;; [unrolled: 1-line block ×3, first 2 shown]
	v_rcp_f32_e32 v39, v37
	v_sub_f32_e32 v29, v32, v37
	v_add_f32_e32 v38, v28, v29
	v_add_f32_e32 v29, v30, v31
	v_mul_f32_e32 v41, v29, v39
	v_sub_f32_e32 v28, v30, v29
	v_mul_f32_e32 v30, v37, v41
	v_fma_f32 v32, v41, v37, -v30
	v_fmac_f32_e32 v32, v41, v38
	v_add_f32_e32 v40, v31, v28
	v_add_f32_e32 v28, v30, v32
	v_sub_f32_e32 v31, v29, v28
	v_pk_add_f32 v[34:35], v[28:29], v[30:31] neg_lo:[0,1] neg_hi:[0,1]
	v_mov_b32_e32 v33, v28
	v_pk_add_f32 v[28:29], v[34:35], v[32:33] neg_lo:[0,1] neg_hi:[0,1]
	v_add_f32_e32 v29, v40, v29
	v_add_f32_e32 v28, v28, v29
	;; [unrolled: 1-line block ×3, first 2 shown]
	v_mul_f32_e32 v40, v39, v29
	v_mul_f32_e32 v30, v37, v40
	v_fma_f32 v32, v40, v37, -v30
	v_fmac_f32_e32 v32, v40, v38
	v_sub_f32_e32 v31, v31, v29
	v_add_f32_e32 v37, v28, v31
	v_add_f32_e32 v28, v30, v32
	v_sub_f32_e32 v31, v29, v28
	v_pk_add_f32 v[34:35], v[28:29], v[30:31] neg_lo:[0,1] neg_hi:[0,1]
	v_mov_b32_e32 v33, v28
	v_pk_add_f32 v[28:29], v[34:35], v[32:33] neg_lo:[0,1] neg_hi:[0,1]
	v_add_f32_e32 v29, v37, v29
	v_add_f32_e32 v28, v28, v29
	v_add_f32_e32 v28, v31, v28
	v_add_f32_e32 v31, v41, v40
	v_sub_f32_e32 v29, v31, v41
	v_mul_f32_e32 v28, v39, v28
	v_sub_f32_e32 v29, v40, v29
	v_add_f32_e32 v28, v29, v28
	v_add_f32_e32 v32, v31, v28
	v_mul_f32_e32 v34, v32, v32
	v_mov_b32_e32 v30, 0x3ecc95a3
	v_fmac_f32_e32 v30, 0x3e9b6dac, v34
	v_mov_b32_e32 v29, 0x3f2aaada
	v_fmac_f32_e32 v29, v34, v30
	v_cvt_f32_i32_e32 v30, v36
	v_sub_f32_e32 v31, v32, v31
	v_sub_f32_e32 v28, v28, v31
	v_ldexp_f32 v35, v28, 1
	v_mul_f32_e32 v31, v32, v34
	v_mov_b32_e32 v28, 0x3f317218
	s_mov_b32 s2, 0x3f317218
	v_pk_mul_f32 v[28:29], v[30:31], v[28:29]
	v_ldexp_f32 v33, v32, 1
	v_fma_f32 v32, v30, s2, -v28
	v_fmac_f32_e32 v32, 0xb102e308, v30
	v_pk_add_f32 v[30:31], v[28:29], v[32:33]
	v_sub_f32_e32 v33, v31, v33
	v_sub_f32_e32 v33, v29, v33
	v_add_f32_e32 v35, v35, v33
	v_mov_b32_e32 v34, v28
	v_pk_add_f32 v[28:29], v[30:31], v[28:29] neg_lo:[0,1] neg_hi:[0,1]
	v_pk_add_f32 v[36:37], v[30:31], v[34:35]
	v_mov_b32_e32 v29, v37
	v_mov_b32_e32 v33, v30
	v_pk_add_f32 v[38:39], v[32:33], v[28:29] neg_lo:[0,1] neg_hi:[0,1]
	v_pk_add_f32 v[28:29], v[32:33], v[28:29]
	v_mov_b32_e32 v32, v29
	v_pk_add_f32 v[40:41], v[32:33], v[30:31] neg_lo:[0,1] neg_hi:[0,1]
	v_mov_b32_e32 v33, v40
	v_pk_add_f32 v[42:43], v[36:37], v[32:33] neg_lo:[0,1] neg_hi:[0,1]
	v_mov_b32_e32 v28, v37
	v_mov_b32_e32 v36, v31
	;; [unrolled: 1-line block ×4, first 2 shown]
	v_pk_add_f32 v[28:29], v[28:29], v[36:37] neg_lo:[0,1] neg_hi:[0,1]
	v_mov_b32_e32 v34, v35
	v_mov_b32_e32 v35, v30
	v_pk_add_f32 v[28:29], v[34:35], v[28:29] neg_lo:[0,1] neg_hi:[0,1]
	v_mov_b32_e32 v42, v38
	v_pk_add_f32 v[30:31], v[42:43], v[28:29]
	v_mov_b32_e32 v34, v31
	v_pk_add_f32 v[34:35], v[30:31], v[34:35]
	v_pk_add_f32 v[32:33], v[32:33], v[34:35]
	v_mov_b32_e32 v31, v32
	v_pk_add_f32 v[36:37], v[30:31], v[38:39] neg_lo:[0,1] neg_hi:[0,1]
	v_mov_b32_e32 v29, v34
	v_sub_f32_e32 v30, v30, v36
	v_pk_add_f32 v[28:29], v[28:29], v[36:37] neg_lo:[0,1] neg_hi:[0,1]
	v_sub_f32_e32 v30, v38, v30
	s_mov_b32 s3, 0x7f800000
	v_add_f32_e32 v28, v28, v30
	s_mov_b32 s2, 0x33800000
	v_add_f32_e32 v28, v28, v29
	v_cmp_eq_f32_e32 vcc, s3, v44
	v_cmp_lt_f32_e64 s[2:3], |v44|, s2
	v_add_f32_e32 v28, v32, v28
	s_or_b64 vcc, vcc, s[2:3]
	v_cndmask_b32_e32 v28, v28, v44, vcc
	v_add_f32_e32 v28, v27, v28
.LBB522_170:
	s_or_b64 exec, exec, s[0:1]
	v_bfe_u32 v27, v28, 16, 1
	v_add3_u32 v27, v28, v27, s5
	v_lshrrev_b32_e32 v27, 16, v27
	v_cmp_o_f32_e32 vcc, v28, v28
	v_cndmask_b32_e32 v26, v26, v27, vcc
	v_lshlrev_b32_e32 v27, 16, v26
	v_max_f32_e32 v29, v27, v27
	v_min_f32_e32 v28, v29, v49
	v_cmp_u_f32_e32 vcc, v27, v27
	v_max_f32_e32 v29, v29, v49
	v_cndmask_b32_e32 v28, v28, v27, vcc
	v_cndmask_b32_e32 v29, v29, v27, vcc
	v_cndmask_b32_e64 v28, v28, v9, s[92:93]
	v_cndmask_b32_e64 v9, v29, v9, s[92:93]
	s_movk_i32 s0, 0x1f8
	v_cmp_neq_f32_e32 vcc, v28, v9
	v_cmp_class_f32_e64 s[0:1], v28, s0
	s_or_b64 s[2:3], vcc, s[0:1]
	s_and_saveexec_b64 s[0:1], s[2:3]
	s_cbranch_execz .LBB522_172
; %bb.171:
	v_sub_f32_e32 v27, v28, v9
	s_mov_b32 s2, 0x3fb8aa3b
	v_mul_f32_e32 v28, 0x3fb8aa3b, v27
	v_fma_f32 v29, v27, s2, -v28
	v_rndne_f32_e32 v30, v28
	v_fmac_f32_e32 v29, 0x32a5705f, v27
	v_sub_f32_e32 v28, v28, v30
	v_add_f32_e32 v28, v28, v29
	v_exp_f32_e32 v28, v28
	v_cvt_i32_f32_e32 v29, v30
	s_mov_b32 s2, 0xc2ce8ed0
	v_cmp_ngt_f32_e32 vcc, s2, v27
	s_mov_b32 s2, 0x42b17218
	v_ldexp_f32 v28, v28, v29
	v_cndmask_b32_e32 v28, 0, v28, vcc
	v_mov_b32_e32 v29, 0x7f800000
	v_cmp_nlt_f32_e32 vcc, s2, v27
	v_cndmask_b32_e32 v44, v29, v28, vcc
	v_add_f32_e32 v27, 1.0, v44
	v_add_f32_e32 v28, -1.0, v27
	v_sub_f32_e32 v29, v28, v27
	v_add_f32_e32 v29, 1.0, v29
	v_sub_f32_e32 v28, v44, v28
	v_add_f32_e32 v30, v28, v29
	v_frexp_mant_f32_e32 v31, v27
	s_mov_b32 s2, 0x3f2aaaab
	v_cvt_f64_f32_e32 v[28:29], v27
	v_frexp_exp_i32_f64_e32 v28, v[28:29]
	v_cmp_gt_f32_e32 vcc, s2, v31
	v_subbrev_co_u32_e32 v36, vcc, 0, v28, vcc
	v_sub_u32_e32 v28, 0, v36
	v_ldexp_f32 v27, v27, v28
	v_ldexp_f32 v28, v30, v28
	v_add_f32_e32 v30, -1.0, v27
	v_add_f32_e32 v29, 1.0, v30
	v_sub_f32_e32 v29, v27, v29
	v_add_f32_e32 v31, v28, v29
	v_add_f32_e32 v29, 1.0, v27
	v_add_f32_e32 v32, -1.0, v29
	v_sub_f32_e32 v27, v27, v32
	v_add_f32_e32 v27, v28, v27
	v_add_f32_e32 v37, v29, v27
	v_rcp_f32_e32 v38, v37
	v_sub_f32_e32 v28, v29, v37
	v_add_f32_e32 v29, v30, v31
	v_add_f32_e32 v27, v27, v28
	v_mul_f32_e32 v40, v29, v38
	v_sub_f32_e32 v28, v30, v29
	v_mul_f32_e32 v30, v37, v40
	v_fma_f32 v32, v40, v37, -v30
	v_fmac_f32_e32 v32, v40, v27
	v_add_f32_e32 v39, v31, v28
	v_add_f32_e32 v28, v30, v32
	v_sub_f32_e32 v31, v29, v28
	v_pk_add_f32 v[34:35], v[28:29], v[30:31] neg_lo:[0,1] neg_hi:[0,1]
	v_mov_b32_e32 v33, v28
	v_pk_add_f32 v[28:29], v[34:35], v[32:33] neg_lo:[0,1] neg_hi:[0,1]
	v_add_f32_e32 v29, v39, v29
	v_add_f32_e32 v28, v28, v29
	;; [unrolled: 1-line block ×3, first 2 shown]
	v_mul_f32_e32 v39, v38, v29
	v_mul_f32_e32 v30, v37, v39
	v_fma_f32 v32, v39, v37, -v30
	v_fmac_f32_e32 v32, v39, v27
	v_sub_f32_e32 v27, v31, v29
	v_add_f32_e32 v27, v28, v27
	v_add_f32_e32 v28, v30, v32
	v_sub_f32_e32 v31, v29, v28
	v_pk_add_f32 v[34:35], v[28:29], v[30:31] neg_lo:[0,1] neg_hi:[0,1]
	v_mov_b32_e32 v33, v28
	v_pk_add_f32 v[28:29], v[34:35], v[32:33] neg_lo:[0,1] neg_hi:[0,1]
	v_add_f32_e32 v27, v27, v29
	v_add_f32_e32 v27, v28, v27
	;; [unrolled: 1-line block ×4, first 2 shown]
	v_sub_f32_e32 v29, v28, v40
	v_mul_f32_e32 v27, v38, v27
	v_sub_f32_e32 v29, v39, v29
	v_add_f32_e32 v27, v29, v27
	v_add_f32_e32 v31, v28, v27
	v_mul_f32_e32 v32, v31, v31
	v_mov_b32_e32 v30, 0x3ecc95a3
	v_fmac_f32_e32 v30, 0x3e9b6dac, v32
	v_mov_b32_e32 v29, 0x3f2aaada
	v_fmac_f32_e32 v29, v32, v30
	v_cvt_f32_i32_e32 v30, v36
	v_sub_f32_e32 v28, v31, v28
	v_sub_f32_e32 v27, v27, v28
	v_ldexp_f32 v33, v31, 1
	v_mul_f32_e32 v31, v31, v32
	v_mov_b32_e32 v28, 0x3f317218
	s_mov_b32 s2, 0x3f317218
	v_pk_mul_f32 v[28:29], v[30:31], v[28:29]
	v_fma_f32 v32, v30, s2, -v28
	v_fmac_f32_e32 v32, 0xb102e308, v30
	v_pk_add_f32 v[30:31], v[28:29], v[32:33]
	v_sub_f32_e32 v33, v31, v33
	v_ldexp_f32 v27, v27, 1
	v_sub_f32_e32 v33, v29, v33
	v_add_f32_e32 v35, v27, v33
	v_mov_b32_e32 v34, v28
	v_pk_add_f32 v[28:29], v[30:31], v[28:29] neg_lo:[0,1] neg_hi:[0,1]
	v_pk_add_f32 v[36:37], v[30:31], v[34:35]
	v_mov_b32_e32 v29, v37
	v_mov_b32_e32 v33, v30
	v_pk_add_f32 v[38:39], v[32:33], v[28:29] neg_lo:[0,1] neg_hi:[0,1]
	v_pk_add_f32 v[28:29], v[32:33], v[28:29]
	v_mov_b32_e32 v32, v29
	v_pk_add_f32 v[40:41], v[32:33], v[30:31] neg_lo:[0,1] neg_hi:[0,1]
	v_mov_b32_e32 v27, v40
	v_pk_add_f32 v[42:43], v[36:37], v[26:27] neg_lo:[0,1] neg_hi:[0,1]
	v_mov_b32_e32 v28, v37
	v_mov_b32_e32 v36, v31
	;; [unrolled: 1-line block ×4, first 2 shown]
	v_pk_add_f32 v[28:29], v[28:29], v[36:37] neg_lo:[0,1] neg_hi:[0,1]
	v_mov_b32_e32 v34, v35
	v_mov_b32_e32 v35, v30
	v_pk_add_f32 v[28:29], v[34:35], v[28:29] neg_lo:[0,1] neg_hi:[0,1]
	v_mov_b32_e32 v42, v38
	v_pk_add_f32 v[30:31], v[42:43], v[28:29]
	v_mov_b32_e32 v34, v31
	v_pk_add_f32 v[34:35], v[30:31], v[34:35]
	v_pk_add_f32 v[32:33], v[32:33], v[34:35]
	v_mov_b32_e32 v31, v32
	v_pk_add_f32 v[36:37], v[30:31], v[38:39] neg_lo:[0,1] neg_hi:[0,1]
	v_mov_b32_e32 v29, v34
	v_sub_f32_e32 v27, v30, v36
	v_pk_add_f32 v[28:29], v[28:29], v[36:37] neg_lo:[0,1] neg_hi:[0,1]
	v_sub_f32_e32 v27, v38, v27
	s_mov_b32 s3, 0x7f800000
	v_add_f32_e32 v27, v28, v27
	s_mov_b32 s2, 0x33800000
	v_add_f32_e32 v27, v27, v29
	v_cmp_eq_f32_e32 vcc, s3, v44
	v_cmp_lt_f32_e64 s[2:3], |v44|, s2
	v_add_f32_e32 v27, v32, v27
	s_or_b64 vcc, vcc, s[2:3]
	v_cndmask_b32_e32 v27, v27, v44, vcc
	v_add_f32_e32 v27, v9, v27
.LBB522_172:
	s_or_b64 exec, exec, s[0:1]
	v_bfe_u32 v9, v27, 16, 1
	s_movk_i32 s0, 0x7fff
	v_add3_u32 v9, v27, v9, s0
	s_mov_b32 s0, 0x5040100
	v_lshrrev_b32_e32 v9, 16, v9
	v_mov_b32_e32 v28, 0x7fc0
	v_cmp_o_f32_e32 vcc, v27, v27
	v_add_u32_e32 v27, v14, v54
	v_perm_b32 v5, v5, v18, s0
	v_perm_b32 v4, v4, v17, s0
	;; [unrolled: 1-line block ×4, first 2 shown]
	v_cndmask_b32_e32 v9, v28, v9, vcc
	s_waitcnt lgkmcnt(0)
	; wave barrier
	ds_write_b128 v27, v[2:5]
	v_perm_b32 v5, v13, v22, s0
	v_perm_b32 v4, v12, v21, s0
	v_perm_b32 v3, v11, v20, s0
	v_perm_b32 v2, v10, v19, s0
	ds_write_b128 v27, v[2:5] offset:16
	v_perm_b32 v4, v8, v25, s0
	v_perm_b32 v3, v7, v24, s0
	;; [unrolled: 1-line block ×4, first 2 shown]
	ds_write_b128 v27, v[2:5] offset:32
	s_waitcnt lgkmcnt(0)
	; wave barrier
	s_waitcnt lgkmcnt(0)
	ds_read_u16 v25, v14 offset:128
	ds_read_u16 v24, v14 offset:256
	;; [unrolled: 1-line block ×23, first 2 shown]
	v_readlane_b32 s0, v75, 8
	v_lshlrev_b64 v[0:1], 1, v[0:1]
	v_readlane_b32 s1, v75, 9
	v_mov_b32_e32 v26, s1
	v_add_co_u32_e32 v0, vcc, s0, v0
	v_addc_co_u32_e32 v1, vcc, v26, v1, vcc
	s_mov_b64 s[0:1], exec
	v_readlane_b32 s2, v75, 0
	v_readlane_b32 s3, v75, 1
	s_and_b64 s[2:3], s[0:1], s[2:3]
	s_mov_b64 exec, s[2:3]
	s_cbranch_execz .LBB522_174
; %bb.173:
	ds_read_u16 v14, v14
	s_waitcnt lgkmcnt(0)
	global_store_short v[0:1], v14, off
.LBB522_174:
	s_or_b64 exec, exec, s[0:1]
	s_mov_b64 s[0:1], exec
	v_readlane_b32 s2, v75, 2
	v_readlane_b32 s3, v75, 3
	s_and_b64 s[2:3], s[0:1], s[2:3]
	s_mov_b64 exec, s[2:3]
	s_cbranch_execz .LBB522_176
; %bb.175:
	s_waitcnt lgkmcnt(14)
	global_store_short v[0:1], v25, off offset:128
.LBB522_176:
	s_or_b64 exec, exec, s[0:1]
	s_mov_b64 s[0:1], exec
	v_readlane_b32 s2, v75, 4
	v_readlane_b32 s3, v75, 5
	s_and_b64 s[2:3], s[0:1], s[2:3]
	s_mov_b64 exec, s[2:3]
	s_cbranch_execnz .LBB522_201
; %bb.177:
	s_or_b64 exec, exec, s[0:1]
	s_and_saveexec_b64 s[0:1], s[46:47]
	s_cbranch_execnz .LBB522_202
.LBB522_178:
	s_or_b64 exec, exec, s[0:1]
	s_and_saveexec_b64 s[0:1], s[6:7]
	s_cbranch_execnz .LBB522_203
.LBB522_179:
	s_or_b64 exec, exec, s[0:1]
	s_and_saveexec_b64 s[0:1], s[8:9]
	s_cbranch_execnz .LBB522_204
.LBB522_180:
	s_or_b64 exec, exec, s[0:1]
	s_and_saveexec_b64 s[0:1], s[10:11]
	s_cbranch_execnz .LBB522_205
.LBB522_181:
	s_or_b64 exec, exec, s[0:1]
	s_and_saveexec_b64 s[0:1], s[12:13]
	s_cbranch_execnz .LBB522_206
.LBB522_182:
	s_or_b64 exec, exec, s[0:1]
	s_and_saveexec_b64 s[0:1], s[14:15]
	s_cbranch_execnz .LBB522_207
.LBB522_183:
	s_or_b64 exec, exec, s[0:1]
	s_and_saveexec_b64 s[0:1], s[16:17]
	s_cbranch_execnz .LBB522_208
.LBB522_184:
	s_or_b64 exec, exec, s[0:1]
	s_and_saveexec_b64 s[0:1], s[18:19]
	s_cbranch_execnz .LBB522_209
.LBB522_185:
	s_or_b64 exec, exec, s[0:1]
	s_and_saveexec_b64 s[0:1], s[20:21]
	s_cbranch_execnz .LBB522_210
.LBB522_186:
	s_or_b64 exec, exec, s[0:1]
	s_and_saveexec_b64 s[0:1], s[22:23]
	s_cbranch_execnz .LBB522_211
.LBB522_187:
	s_or_b64 exec, exec, s[0:1]
	s_and_saveexec_b64 s[0:1], s[24:25]
	s_cbranch_execnz .LBB522_212
.LBB522_188:
	s_or_b64 exec, exec, s[0:1]
	s_and_saveexec_b64 s[0:1], s[26:27]
	s_cbranch_execnz .LBB522_213
.LBB522_189:
	s_or_b64 exec, exec, s[0:1]
	s_and_saveexec_b64 s[0:1], s[28:29]
	s_cbranch_execnz .LBB522_214
.LBB522_190:
	s_or_b64 exec, exec, s[0:1]
	s_and_saveexec_b64 s[0:1], s[30:31]
	s_cbranch_execnz .LBB522_215
.LBB522_191:
	s_or_b64 exec, exec, s[0:1]
	s_and_saveexec_b64 s[0:1], s[34:35]
	s_cbranch_execnz .LBB522_216
.LBB522_192:
	s_or_b64 exec, exec, s[0:1]
	s_and_saveexec_b64 s[0:1], s[36:37]
	s_cbranch_execnz .LBB522_217
.LBB522_193:
	s_or_b64 exec, exec, s[0:1]
	s_and_saveexec_b64 s[0:1], s[38:39]
	s_cbranch_execnz .LBB522_218
.LBB522_194:
	s_or_b64 exec, exec, s[0:1]
	s_and_saveexec_b64 s[0:1], s[40:41]
	s_cbranch_execnz .LBB522_219
.LBB522_195:
	s_or_b64 exec, exec, s[0:1]
	s_and_saveexec_b64 s[0:1], s[42:43]
	s_cbranch_execnz .LBB522_220
.LBB522_196:
	s_or_b64 exec, exec, s[0:1]
	s_and_saveexec_b64 s[0:1], s[44:45]
	s_cbranch_execz .LBB522_198
.LBB522_197:
	s_waitcnt lgkmcnt(1)
	global_store_short v[0:1], v3, off offset:2816
.LBB522_198:
	s_or_b64 exec, exec, s[0:1]
	v_readlane_b32 s2, v75, 6
	v_readlane_b32 s3, v75, 7
	s_and_saveexec_b64 s[0:1], s[2:3]
	s_cbranch_execz .LBB522_200
; %bb.199:
	s_waitcnt lgkmcnt(0)
	global_store_short v[0:1], v2, off offset:2944
.LBB522_200:
	s_endpgm
.LBB522_201:
	s_waitcnt lgkmcnt(14)
	global_store_short v[0:1], v24, off offset:256
	s_or_b64 exec, exec, s[0:1]
	s_and_saveexec_b64 s[0:1], s[46:47]
	s_cbranch_execz .LBB522_178
.LBB522_202:
	s_waitcnt lgkmcnt(14)
	global_store_short v[0:1], v23, off offset:384
	s_or_b64 exec, exec, s[0:1]
	s_and_saveexec_b64 s[0:1], s[6:7]
	s_cbranch_execz .LBB522_179
.LBB522_203:
	s_waitcnt lgkmcnt(14)
	global_store_short v[0:1], v22, off offset:512
	s_or_b64 exec, exec, s[0:1]
	s_and_saveexec_b64 s[0:1], s[8:9]
	s_cbranch_execz .LBB522_180
.LBB522_204:
	s_waitcnt lgkmcnt(14)
	global_store_short v[0:1], v21, off offset:640
	s_or_b64 exec, exec, s[0:1]
	s_and_saveexec_b64 s[0:1], s[10:11]
	s_cbranch_execz .LBB522_181
.LBB522_205:
	s_waitcnt lgkmcnt(14)
	global_store_short v[0:1], v20, off offset:768
	s_or_b64 exec, exec, s[0:1]
	s_and_saveexec_b64 s[0:1], s[12:13]
	s_cbranch_execz .LBB522_182
.LBB522_206:
	s_waitcnt lgkmcnt(14)
	global_store_short v[0:1], v19, off offset:896
	s_or_b64 exec, exec, s[0:1]
	s_and_saveexec_b64 s[0:1], s[14:15]
	s_cbranch_execz .LBB522_183
.LBB522_207:
	s_waitcnt lgkmcnt(14)
	global_store_short v[0:1], v18, off offset:1024
	s_or_b64 exec, exec, s[0:1]
	s_and_saveexec_b64 s[0:1], s[16:17]
	s_cbranch_execz .LBB522_184
.LBB522_208:
	s_waitcnt lgkmcnt(14)
	global_store_short v[0:1], v17, off offset:1152
	s_or_b64 exec, exec, s[0:1]
	s_and_saveexec_b64 s[0:1], s[18:19]
	s_cbranch_execz .LBB522_185
.LBB522_209:
	s_waitcnt lgkmcnt(13)
	global_store_short v[0:1], v16, off offset:1280
	s_or_b64 exec, exec, s[0:1]
	s_and_saveexec_b64 s[0:1], s[20:21]
	s_cbranch_execz .LBB522_186
.LBB522_210:
	s_waitcnt lgkmcnt(12)
	global_store_short v[0:1], v15, off offset:1408
	s_or_b64 exec, exec, s[0:1]
	s_and_saveexec_b64 s[0:1], s[22:23]
	s_cbranch_execz .LBB522_187
.LBB522_211:
	s_waitcnt lgkmcnt(11)
	global_store_short v[0:1], v13, off offset:1536
	s_or_b64 exec, exec, s[0:1]
	s_and_saveexec_b64 s[0:1], s[24:25]
	s_cbranch_execz .LBB522_188
.LBB522_212:
	s_waitcnt lgkmcnt(10)
	global_store_short v[0:1], v12, off offset:1664
	s_or_b64 exec, exec, s[0:1]
	s_and_saveexec_b64 s[0:1], s[26:27]
	s_cbranch_execz .LBB522_189
.LBB522_213:
	s_waitcnt lgkmcnt(9)
	global_store_short v[0:1], v11, off offset:1792
	s_or_b64 exec, exec, s[0:1]
	s_and_saveexec_b64 s[0:1], s[28:29]
	s_cbranch_execz .LBB522_190
.LBB522_214:
	s_waitcnt lgkmcnt(8)
	global_store_short v[0:1], v10, off offset:1920
	s_or_b64 exec, exec, s[0:1]
	s_and_saveexec_b64 s[0:1], s[30:31]
	s_cbranch_execz .LBB522_191
.LBB522_215:
	s_waitcnt lgkmcnt(7)
	global_store_short v[0:1], v9, off offset:2048
	s_or_b64 exec, exec, s[0:1]
	s_and_saveexec_b64 s[0:1], s[34:35]
	s_cbranch_execz .LBB522_192
.LBB522_216:
	s_waitcnt lgkmcnt(6)
	global_store_short v[0:1], v8, off offset:2176
	s_or_b64 exec, exec, s[0:1]
	s_and_saveexec_b64 s[0:1], s[36:37]
	s_cbranch_execz .LBB522_193
.LBB522_217:
	s_waitcnt lgkmcnt(5)
	global_store_short v[0:1], v7, off offset:2304
	s_or_b64 exec, exec, s[0:1]
	s_and_saveexec_b64 s[0:1], s[38:39]
	s_cbranch_execz .LBB522_194
.LBB522_218:
	s_waitcnt lgkmcnt(4)
	global_store_short v[0:1], v6, off offset:2432
	s_or_b64 exec, exec, s[0:1]
	s_and_saveexec_b64 s[0:1], s[40:41]
	s_cbranch_execz .LBB522_195
.LBB522_219:
	s_waitcnt lgkmcnt(3)
	global_store_short v[0:1], v5, off offset:2560
	s_or_b64 exec, exec, s[0:1]
	s_and_saveexec_b64 s[0:1], s[42:43]
	s_cbranch_execz .LBB522_196
.LBB522_220:
	s_waitcnt lgkmcnt(2)
	global_store_short v[0:1], v4, off offset:2688
	s_or_b64 exec, exec, s[0:1]
	s_and_saveexec_b64 s[0:1], s[44:45]
	s_cbranch_execnz .LBB522_197
	s_branch .LBB522_198
	.section	.rodata,"a",@progbits
	.p2align	6, 0x0
	.amdhsa_kernel _ZN7rocprim17ROCPRIM_400000_NS6detail17trampoline_kernelINS0_14default_configENS1_20scan_config_selectorIN3c108BFloat16EEEZZNS1_9scan_implILNS1_25lookback_scan_determinismE0ELb0ELb0ES3_PKS6_PS6_S6_ZZZN2at6native31launch_logcumsumexp_cuda_kernelERKNSD_10TensorBaseESH_lENKUlvE_clEvENKUlvE4_clEvEUlS6_S6_E_S6_EEDaPvRmT3_T4_T5_mT6_P12ihipStream_tbENKUlT_T0_E_clISt17integral_constantIbLb0EESX_IbLb1EEEEDaST_SU_EUlST_E0_NS1_11comp_targetILNS1_3genE4ELNS1_11target_archE910ELNS1_3gpuE8ELNS1_3repE0EEENS1_30default_config_static_selectorELNS0_4arch9wavefront6targetE1EEEvT1_
		.amdhsa_group_segment_fixed_size 3072
		.amdhsa_private_segment_fixed_size 0
		.amdhsa_kernarg_size 32
		.amdhsa_user_sgpr_count 6
		.amdhsa_user_sgpr_private_segment_buffer 1
		.amdhsa_user_sgpr_dispatch_ptr 0
		.amdhsa_user_sgpr_queue_ptr 0
		.amdhsa_user_sgpr_kernarg_segment_ptr 1
		.amdhsa_user_sgpr_dispatch_id 0
		.amdhsa_user_sgpr_flat_scratch_init 0
		.amdhsa_user_sgpr_kernarg_preload_length 0
		.amdhsa_user_sgpr_kernarg_preload_offset 0
		.amdhsa_user_sgpr_private_segment_size 0
		.amdhsa_uses_dynamic_stack 0
		.amdhsa_system_sgpr_private_segment_wavefront_offset 0
		.amdhsa_system_sgpr_workgroup_id_x 1
		.amdhsa_system_sgpr_workgroup_id_y 0
		.amdhsa_system_sgpr_workgroup_id_z 0
		.amdhsa_system_sgpr_workgroup_info 0
		.amdhsa_system_vgpr_workitem_id 0
		.amdhsa_next_free_vgpr 76
		.amdhsa_next_free_sgpr 96
		.amdhsa_accum_offset 76
		.amdhsa_reserve_vcc 1
		.amdhsa_reserve_flat_scratch 0
		.amdhsa_float_round_mode_32 0
		.amdhsa_float_round_mode_16_64 0
		.amdhsa_float_denorm_mode_32 3
		.amdhsa_float_denorm_mode_16_64 3
		.amdhsa_dx10_clamp 1
		.amdhsa_ieee_mode 1
		.amdhsa_fp16_overflow 0
		.amdhsa_tg_split 0
		.amdhsa_exception_fp_ieee_invalid_op 0
		.amdhsa_exception_fp_denorm_src 0
		.amdhsa_exception_fp_ieee_div_zero 0
		.amdhsa_exception_fp_ieee_overflow 0
		.amdhsa_exception_fp_ieee_underflow 0
		.amdhsa_exception_fp_ieee_inexact 0
		.amdhsa_exception_int_div_zero 0
	.end_amdhsa_kernel
	.section	.text._ZN7rocprim17ROCPRIM_400000_NS6detail17trampoline_kernelINS0_14default_configENS1_20scan_config_selectorIN3c108BFloat16EEEZZNS1_9scan_implILNS1_25lookback_scan_determinismE0ELb0ELb0ES3_PKS6_PS6_S6_ZZZN2at6native31launch_logcumsumexp_cuda_kernelERKNSD_10TensorBaseESH_lENKUlvE_clEvENKUlvE4_clEvEUlS6_S6_E_S6_EEDaPvRmT3_T4_T5_mT6_P12ihipStream_tbENKUlT_T0_E_clISt17integral_constantIbLb0EESX_IbLb1EEEEDaST_SU_EUlST_E0_NS1_11comp_targetILNS1_3genE4ELNS1_11target_archE910ELNS1_3gpuE8ELNS1_3repE0EEENS1_30default_config_static_selectorELNS0_4arch9wavefront6targetE1EEEvT1_,"axG",@progbits,_ZN7rocprim17ROCPRIM_400000_NS6detail17trampoline_kernelINS0_14default_configENS1_20scan_config_selectorIN3c108BFloat16EEEZZNS1_9scan_implILNS1_25lookback_scan_determinismE0ELb0ELb0ES3_PKS6_PS6_S6_ZZZN2at6native31launch_logcumsumexp_cuda_kernelERKNSD_10TensorBaseESH_lENKUlvE_clEvENKUlvE4_clEvEUlS6_S6_E_S6_EEDaPvRmT3_T4_T5_mT6_P12ihipStream_tbENKUlT_T0_E_clISt17integral_constantIbLb0EESX_IbLb1EEEEDaST_SU_EUlST_E0_NS1_11comp_targetILNS1_3genE4ELNS1_11target_archE910ELNS1_3gpuE8ELNS1_3repE0EEENS1_30default_config_static_selectorELNS0_4arch9wavefront6targetE1EEEvT1_,comdat
.Lfunc_end522:
	.size	_ZN7rocprim17ROCPRIM_400000_NS6detail17trampoline_kernelINS0_14default_configENS1_20scan_config_selectorIN3c108BFloat16EEEZZNS1_9scan_implILNS1_25lookback_scan_determinismE0ELb0ELb0ES3_PKS6_PS6_S6_ZZZN2at6native31launch_logcumsumexp_cuda_kernelERKNSD_10TensorBaseESH_lENKUlvE_clEvENKUlvE4_clEvEUlS6_S6_E_S6_EEDaPvRmT3_T4_T5_mT6_P12ihipStream_tbENKUlT_T0_E_clISt17integral_constantIbLb0EESX_IbLb1EEEEDaST_SU_EUlST_E0_NS1_11comp_targetILNS1_3genE4ELNS1_11target_archE910ELNS1_3gpuE8ELNS1_3repE0EEENS1_30default_config_static_selectorELNS0_4arch9wavefront6targetE1EEEvT1_, .Lfunc_end522-_ZN7rocprim17ROCPRIM_400000_NS6detail17trampoline_kernelINS0_14default_configENS1_20scan_config_selectorIN3c108BFloat16EEEZZNS1_9scan_implILNS1_25lookback_scan_determinismE0ELb0ELb0ES3_PKS6_PS6_S6_ZZZN2at6native31launch_logcumsumexp_cuda_kernelERKNSD_10TensorBaseESH_lENKUlvE_clEvENKUlvE4_clEvEUlS6_S6_E_S6_EEDaPvRmT3_T4_T5_mT6_P12ihipStream_tbENKUlT_T0_E_clISt17integral_constantIbLb0EESX_IbLb1EEEEDaST_SU_EUlST_E0_NS1_11comp_targetILNS1_3genE4ELNS1_11target_archE910ELNS1_3gpuE8ELNS1_3repE0EEENS1_30default_config_static_selectorELNS0_4arch9wavefront6targetE1EEEvT1_
                                        ; -- End function
	.section	.AMDGPU.csdata,"",@progbits
; Kernel info:
; codeLenInByte = 49384
; NumSgprs: 100
; NumVgprs: 76
; NumAgprs: 0
; TotalNumVgprs: 76
; ScratchSize: 0
; MemoryBound: 0
; FloatMode: 240
; IeeeMode: 1
; LDSByteSize: 3072 bytes/workgroup (compile time only)
; SGPRBlocks: 12
; VGPRBlocks: 9
; NumSGPRsForWavesPerEU: 100
; NumVGPRsForWavesPerEU: 76
; AccumOffset: 76
; Occupancy: 6
; WaveLimiterHint : 0
; COMPUTE_PGM_RSRC2:SCRATCH_EN: 0
; COMPUTE_PGM_RSRC2:USER_SGPR: 6
; COMPUTE_PGM_RSRC2:TRAP_HANDLER: 0
; COMPUTE_PGM_RSRC2:TGID_X_EN: 1
; COMPUTE_PGM_RSRC2:TGID_Y_EN: 0
; COMPUTE_PGM_RSRC2:TGID_Z_EN: 0
; COMPUTE_PGM_RSRC2:TIDIG_COMP_CNT: 0
; COMPUTE_PGM_RSRC3_GFX90A:ACCUM_OFFSET: 18
; COMPUTE_PGM_RSRC3_GFX90A:TG_SPLIT: 0
	.section	.text._ZN7rocprim17ROCPRIM_400000_NS6detail17trampoline_kernelINS0_14default_configENS1_20scan_config_selectorIN3c108BFloat16EEEZZNS1_9scan_implILNS1_25lookback_scan_determinismE0ELb0ELb0ES3_PKS6_PS6_S6_ZZZN2at6native31launch_logcumsumexp_cuda_kernelERKNSD_10TensorBaseESH_lENKUlvE_clEvENKUlvE4_clEvEUlS6_S6_E_S6_EEDaPvRmT3_T4_T5_mT6_P12ihipStream_tbENKUlT_T0_E_clISt17integral_constantIbLb0EESX_IbLb1EEEEDaST_SU_EUlST_E0_NS1_11comp_targetILNS1_3genE3ELNS1_11target_archE908ELNS1_3gpuE7ELNS1_3repE0EEENS1_30default_config_static_selectorELNS0_4arch9wavefront6targetE1EEEvT1_,"axG",@progbits,_ZN7rocprim17ROCPRIM_400000_NS6detail17trampoline_kernelINS0_14default_configENS1_20scan_config_selectorIN3c108BFloat16EEEZZNS1_9scan_implILNS1_25lookback_scan_determinismE0ELb0ELb0ES3_PKS6_PS6_S6_ZZZN2at6native31launch_logcumsumexp_cuda_kernelERKNSD_10TensorBaseESH_lENKUlvE_clEvENKUlvE4_clEvEUlS6_S6_E_S6_EEDaPvRmT3_T4_T5_mT6_P12ihipStream_tbENKUlT_T0_E_clISt17integral_constantIbLb0EESX_IbLb1EEEEDaST_SU_EUlST_E0_NS1_11comp_targetILNS1_3genE3ELNS1_11target_archE908ELNS1_3gpuE7ELNS1_3repE0EEENS1_30default_config_static_selectorELNS0_4arch9wavefront6targetE1EEEvT1_,comdat
	.globl	_ZN7rocprim17ROCPRIM_400000_NS6detail17trampoline_kernelINS0_14default_configENS1_20scan_config_selectorIN3c108BFloat16EEEZZNS1_9scan_implILNS1_25lookback_scan_determinismE0ELb0ELb0ES3_PKS6_PS6_S6_ZZZN2at6native31launch_logcumsumexp_cuda_kernelERKNSD_10TensorBaseESH_lENKUlvE_clEvENKUlvE4_clEvEUlS6_S6_E_S6_EEDaPvRmT3_T4_T5_mT6_P12ihipStream_tbENKUlT_T0_E_clISt17integral_constantIbLb0EESX_IbLb1EEEEDaST_SU_EUlST_E0_NS1_11comp_targetILNS1_3genE3ELNS1_11target_archE908ELNS1_3gpuE7ELNS1_3repE0EEENS1_30default_config_static_selectorELNS0_4arch9wavefront6targetE1EEEvT1_ ; -- Begin function _ZN7rocprim17ROCPRIM_400000_NS6detail17trampoline_kernelINS0_14default_configENS1_20scan_config_selectorIN3c108BFloat16EEEZZNS1_9scan_implILNS1_25lookback_scan_determinismE0ELb0ELb0ES3_PKS6_PS6_S6_ZZZN2at6native31launch_logcumsumexp_cuda_kernelERKNSD_10TensorBaseESH_lENKUlvE_clEvENKUlvE4_clEvEUlS6_S6_E_S6_EEDaPvRmT3_T4_T5_mT6_P12ihipStream_tbENKUlT_T0_E_clISt17integral_constantIbLb0EESX_IbLb1EEEEDaST_SU_EUlST_E0_NS1_11comp_targetILNS1_3genE3ELNS1_11target_archE908ELNS1_3gpuE7ELNS1_3repE0EEENS1_30default_config_static_selectorELNS0_4arch9wavefront6targetE1EEEvT1_
	.p2align	8
	.type	_ZN7rocprim17ROCPRIM_400000_NS6detail17trampoline_kernelINS0_14default_configENS1_20scan_config_selectorIN3c108BFloat16EEEZZNS1_9scan_implILNS1_25lookback_scan_determinismE0ELb0ELb0ES3_PKS6_PS6_S6_ZZZN2at6native31launch_logcumsumexp_cuda_kernelERKNSD_10TensorBaseESH_lENKUlvE_clEvENKUlvE4_clEvEUlS6_S6_E_S6_EEDaPvRmT3_T4_T5_mT6_P12ihipStream_tbENKUlT_T0_E_clISt17integral_constantIbLb0EESX_IbLb1EEEEDaST_SU_EUlST_E0_NS1_11comp_targetILNS1_3genE3ELNS1_11target_archE908ELNS1_3gpuE7ELNS1_3repE0EEENS1_30default_config_static_selectorELNS0_4arch9wavefront6targetE1EEEvT1_,@function
_ZN7rocprim17ROCPRIM_400000_NS6detail17trampoline_kernelINS0_14default_configENS1_20scan_config_selectorIN3c108BFloat16EEEZZNS1_9scan_implILNS1_25lookback_scan_determinismE0ELb0ELb0ES3_PKS6_PS6_S6_ZZZN2at6native31launch_logcumsumexp_cuda_kernelERKNSD_10TensorBaseESH_lENKUlvE_clEvENKUlvE4_clEvEUlS6_S6_E_S6_EEDaPvRmT3_T4_T5_mT6_P12ihipStream_tbENKUlT_T0_E_clISt17integral_constantIbLb0EESX_IbLb1EEEEDaST_SU_EUlST_E0_NS1_11comp_targetILNS1_3genE3ELNS1_11target_archE908ELNS1_3gpuE7ELNS1_3repE0EEENS1_30default_config_static_selectorELNS0_4arch9wavefront6targetE1EEEvT1_: ; @_ZN7rocprim17ROCPRIM_400000_NS6detail17trampoline_kernelINS0_14default_configENS1_20scan_config_selectorIN3c108BFloat16EEEZZNS1_9scan_implILNS1_25lookback_scan_determinismE0ELb0ELb0ES3_PKS6_PS6_S6_ZZZN2at6native31launch_logcumsumexp_cuda_kernelERKNSD_10TensorBaseESH_lENKUlvE_clEvENKUlvE4_clEvEUlS6_S6_E_S6_EEDaPvRmT3_T4_T5_mT6_P12ihipStream_tbENKUlT_T0_E_clISt17integral_constantIbLb0EESX_IbLb1EEEEDaST_SU_EUlST_E0_NS1_11comp_targetILNS1_3genE3ELNS1_11target_archE908ELNS1_3gpuE7ELNS1_3repE0EEENS1_30default_config_static_selectorELNS0_4arch9wavefront6targetE1EEEvT1_
; %bb.0:
	.section	.rodata,"a",@progbits
	.p2align	6, 0x0
	.amdhsa_kernel _ZN7rocprim17ROCPRIM_400000_NS6detail17trampoline_kernelINS0_14default_configENS1_20scan_config_selectorIN3c108BFloat16EEEZZNS1_9scan_implILNS1_25lookback_scan_determinismE0ELb0ELb0ES3_PKS6_PS6_S6_ZZZN2at6native31launch_logcumsumexp_cuda_kernelERKNSD_10TensorBaseESH_lENKUlvE_clEvENKUlvE4_clEvEUlS6_S6_E_S6_EEDaPvRmT3_T4_T5_mT6_P12ihipStream_tbENKUlT_T0_E_clISt17integral_constantIbLb0EESX_IbLb1EEEEDaST_SU_EUlST_E0_NS1_11comp_targetILNS1_3genE3ELNS1_11target_archE908ELNS1_3gpuE7ELNS1_3repE0EEENS1_30default_config_static_selectorELNS0_4arch9wavefront6targetE1EEEvT1_
		.amdhsa_group_segment_fixed_size 0
		.amdhsa_private_segment_fixed_size 0
		.amdhsa_kernarg_size 32
		.amdhsa_user_sgpr_count 6
		.amdhsa_user_sgpr_private_segment_buffer 1
		.amdhsa_user_sgpr_dispatch_ptr 0
		.amdhsa_user_sgpr_queue_ptr 0
		.amdhsa_user_sgpr_kernarg_segment_ptr 1
		.amdhsa_user_sgpr_dispatch_id 0
		.amdhsa_user_sgpr_flat_scratch_init 0
		.amdhsa_user_sgpr_kernarg_preload_length 0
		.amdhsa_user_sgpr_kernarg_preload_offset 0
		.amdhsa_user_sgpr_private_segment_size 0
		.amdhsa_uses_dynamic_stack 0
		.amdhsa_system_sgpr_private_segment_wavefront_offset 0
		.amdhsa_system_sgpr_workgroup_id_x 1
		.amdhsa_system_sgpr_workgroup_id_y 0
		.amdhsa_system_sgpr_workgroup_id_z 0
		.amdhsa_system_sgpr_workgroup_info 0
		.amdhsa_system_vgpr_workitem_id 0
		.amdhsa_next_free_vgpr 1
		.amdhsa_next_free_sgpr 0
		.amdhsa_accum_offset 4
		.amdhsa_reserve_vcc 0
		.amdhsa_reserve_flat_scratch 0
		.amdhsa_float_round_mode_32 0
		.amdhsa_float_round_mode_16_64 0
		.amdhsa_float_denorm_mode_32 3
		.amdhsa_float_denorm_mode_16_64 3
		.amdhsa_dx10_clamp 1
		.amdhsa_ieee_mode 1
		.amdhsa_fp16_overflow 0
		.amdhsa_tg_split 0
		.amdhsa_exception_fp_ieee_invalid_op 0
		.amdhsa_exception_fp_denorm_src 0
		.amdhsa_exception_fp_ieee_div_zero 0
		.amdhsa_exception_fp_ieee_overflow 0
		.amdhsa_exception_fp_ieee_underflow 0
		.amdhsa_exception_fp_ieee_inexact 0
		.amdhsa_exception_int_div_zero 0
	.end_amdhsa_kernel
	.section	.text._ZN7rocprim17ROCPRIM_400000_NS6detail17trampoline_kernelINS0_14default_configENS1_20scan_config_selectorIN3c108BFloat16EEEZZNS1_9scan_implILNS1_25lookback_scan_determinismE0ELb0ELb0ES3_PKS6_PS6_S6_ZZZN2at6native31launch_logcumsumexp_cuda_kernelERKNSD_10TensorBaseESH_lENKUlvE_clEvENKUlvE4_clEvEUlS6_S6_E_S6_EEDaPvRmT3_T4_T5_mT6_P12ihipStream_tbENKUlT_T0_E_clISt17integral_constantIbLb0EESX_IbLb1EEEEDaST_SU_EUlST_E0_NS1_11comp_targetILNS1_3genE3ELNS1_11target_archE908ELNS1_3gpuE7ELNS1_3repE0EEENS1_30default_config_static_selectorELNS0_4arch9wavefront6targetE1EEEvT1_,"axG",@progbits,_ZN7rocprim17ROCPRIM_400000_NS6detail17trampoline_kernelINS0_14default_configENS1_20scan_config_selectorIN3c108BFloat16EEEZZNS1_9scan_implILNS1_25lookback_scan_determinismE0ELb0ELb0ES3_PKS6_PS6_S6_ZZZN2at6native31launch_logcumsumexp_cuda_kernelERKNSD_10TensorBaseESH_lENKUlvE_clEvENKUlvE4_clEvEUlS6_S6_E_S6_EEDaPvRmT3_T4_T5_mT6_P12ihipStream_tbENKUlT_T0_E_clISt17integral_constantIbLb0EESX_IbLb1EEEEDaST_SU_EUlST_E0_NS1_11comp_targetILNS1_3genE3ELNS1_11target_archE908ELNS1_3gpuE7ELNS1_3repE0EEENS1_30default_config_static_selectorELNS0_4arch9wavefront6targetE1EEEvT1_,comdat
.Lfunc_end523:
	.size	_ZN7rocprim17ROCPRIM_400000_NS6detail17trampoline_kernelINS0_14default_configENS1_20scan_config_selectorIN3c108BFloat16EEEZZNS1_9scan_implILNS1_25lookback_scan_determinismE0ELb0ELb0ES3_PKS6_PS6_S6_ZZZN2at6native31launch_logcumsumexp_cuda_kernelERKNSD_10TensorBaseESH_lENKUlvE_clEvENKUlvE4_clEvEUlS6_S6_E_S6_EEDaPvRmT3_T4_T5_mT6_P12ihipStream_tbENKUlT_T0_E_clISt17integral_constantIbLb0EESX_IbLb1EEEEDaST_SU_EUlST_E0_NS1_11comp_targetILNS1_3genE3ELNS1_11target_archE908ELNS1_3gpuE7ELNS1_3repE0EEENS1_30default_config_static_selectorELNS0_4arch9wavefront6targetE1EEEvT1_, .Lfunc_end523-_ZN7rocprim17ROCPRIM_400000_NS6detail17trampoline_kernelINS0_14default_configENS1_20scan_config_selectorIN3c108BFloat16EEEZZNS1_9scan_implILNS1_25lookback_scan_determinismE0ELb0ELb0ES3_PKS6_PS6_S6_ZZZN2at6native31launch_logcumsumexp_cuda_kernelERKNSD_10TensorBaseESH_lENKUlvE_clEvENKUlvE4_clEvEUlS6_S6_E_S6_EEDaPvRmT3_T4_T5_mT6_P12ihipStream_tbENKUlT_T0_E_clISt17integral_constantIbLb0EESX_IbLb1EEEEDaST_SU_EUlST_E0_NS1_11comp_targetILNS1_3genE3ELNS1_11target_archE908ELNS1_3gpuE7ELNS1_3repE0EEENS1_30default_config_static_selectorELNS0_4arch9wavefront6targetE1EEEvT1_
                                        ; -- End function
	.section	.AMDGPU.csdata,"",@progbits
; Kernel info:
; codeLenInByte = 0
; NumSgprs: 4
; NumVgprs: 0
; NumAgprs: 0
; TotalNumVgprs: 0
; ScratchSize: 0
; MemoryBound: 0
; FloatMode: 240
; IeeeMode: 1
; LDSByteSize: 0 bytes/workgroup (compile time only)
; SGPRBlocks: 0
; VGPRBlocks: 0
; NumSGPRsForWavesPerEU: 4
; NumVGPRsForWavesPerEU: 1
; AccumOffset: 4
; Occupancy: 8
; WaveLimiterHint : 0
; COMPUTE_PGM_RSRC2:SCRATCH_EN: 0
; COMPUTE_PGM_RSRC2:USER_SGPR: 6
; COMPUTE_PGM_RSRC2:TRAP_HANDLER: 0
; COMPUTE_PGM_RSRC2:TGID_X_EN: 1
; COMPUTE_PGM_RSRC2:TGID_Y_EN: 0
; COMPUTE_PGM_RSRC2:TGID_Z_EN: 0
; COMPUTE_PGM_RSRC2:TIDIG_COMP_CNT: 0
; COMPUTE_PGM_RSRC3_GFX90A:ACCUM_OFFSET: 0
; COMPUTE_PGM_RSRC3_GFX90A:TG_SPLIT: 0
	.section	.text._ZN7rocprim17ROCPRIM_400000_NS6detail17trampoline_kernelINS0_14default_configENS1_20scan_config_selectorIN3c108BFloat16EEEZZNS1_9scan_implILNS1_25lookback_scan_determinismE0ELb0ELb0ES3_PKS6_PS6_S6_ZZZN2at6native31launch_logcumsumexp_cuda_kernelERKNSD_10TensorBaseESH_lENKUlvE_clEvENKUlvE4_clEvEUlS6_S6_E_S6_EEDaPvRmT3_T4_T5_mT6_P12ihipStream_tbENKUlT_T0_E_clISt17integral_constantIbLb0EESX_IbLb1EEEEDaST_SU_EUlST_E0_NS1_11comp_targetILNS1_3genE2ELNS1_11target_archE906ELNS1_3gpuE6ELNS1_3repE0EEENS1_30default_config_static_selectorELNS0_4arch9wavefront6targetE1EEEvT1_,"axG",@progbits,_ZN7rocprim17ROCPRIM_400000_NS6detail17trampoline_kernelINS0_14default_configENS1_20scan_config_selectorIN3c108BFloat16EEEZZNS1_9scan_implILNS1_25lookback_scan_determinismE0ELb0ELb0ES3_PKS6_PS6_S6_ZZZN2at6native31launch_logcumsumexp_cuda_kernelERKNSD_10TensorBaseESH_lENKUlvE_clEvENKUlvE4_clEvEUlS6_S6_E_S6_EEDaPvRmT3_T4_T5_mT6_P12ihipStream_tbENKUlT_T0_E_clISt17integral_constantIbLb0EESX_IbLb1EEEEDaST_SU_EUlST_E0_NS1_11comp_targetILNS1_3genE2ELNS1_11target_archE906ELNS1_3gpuE6ELNS1_3repE0EEENS1_30default_config_static_selectorELNS0_4arch9wavefront6targetE1EEEvT1_,comdat
	.globl	_ZN7rocprim17ROCPRIM_400000_NS6detail17trampoline_kernelINS0_14default_configENS1_20scan_config_selectorIN3c108BFloat16EEEZZNS1_9scan_implILNS1_25lookback_scan_determinismE0ELb0ELb0ES3_PKS6_PS6_S6_ZZZN2at6native31launch_logcumsumexp_cuda_kernelERKNSD_10TensorBaseESH_lENKUlvE_clEvENKUlvE4_clEvEUlS6_S6_E_S6_EEDaPvRmT3_T4_T5_mT6_P12ihipStream_tbENKUlT_T0_E_clISt17integral_constantIbLb0EESX_IbLb1EEEEDaST_SU_EUlST_E0_NS1_11comp_targetILNS1_3genE2ELNS1_11target_archE906ELNS1_3gpuE6ELNS1_3repE0EEENS1_30default_config_static_selectorELNS0_4arch9wavefront6targetE1EEEvT1_ ; -- Begin function _ZN7rocprim17ROCPRIM_400000_NS6detail17trampoline_kernelINS0_14default_configENS1_20scan_config_selectorIN3c108BFloat16EEEZZNS1_9scan_implILNS1_25lookback_scan_determinismE0ELb0ELb0ES3_PKS6_PS6_S6_ZZZN2at6native31launch_logcumsumexp_cuda_kernelERKNSD_10TensorBaseESH_lENKUlvE_clEvENKUlvE4_clEvEUlS6_S6_E_S6_EEDaPvRmT3_T4_T5_mT6_P12ihipStream_tbENKUlT_T0_E_clISt17integral_constantIbLb0EESX_IbLb1EEEEDaST_SU_EUlST_E0_NS1_11comp_targetILNS1_3genE2ELNS1_11target_archE906ELNS1_3gpuE6ELNS1_3repE0EEENS1_30default_config_static_selectorELNS0_4arch9wavefront6targetE1EEEvT1_
	.p2align	8
	.type	_ZN7rocprim17ROCPRIM_400000_NS6detail17trampoline_kernelINS0_14default_configENS1_20scan_config_selectorIN3c108BFloat16EEEZZNS1_9scan_implILNS1_25lookback_scan_determinismE0ELb0ELb0ES3_PKS6_PS6_S6_ZZZN2at6native31launch_logcumsumexp_cuda_kernelERKNSD_10TensorBaseESH_lENKUlvE_clEvENKUlvE4_clEvEUlS6_S6_E_S6_EEDaPvRmT3_T4_T5_mT6_P12ihipStream_tbENKUlT_T0_E_clISt17integral_constantIbLb0EESX_IbLb1EEEEDaST_SU_EUlST_E0_NS1_11comp_targetILNS1_3genE2ELNS1_11target_archE906ELNS1_3gpuE6ELNS1_3repE0EEENS1_30default_config_static_selectorELNS0_4arch9wavefront6targetE1EEEvT1_,@function
_ZN7rocprim17ROCPRIM_400000_NS6detail17trampoline_kernelINS0_14default_configENS1_20scan_config_selectorIN3c108BFloat16EEEZZNS1_9scan_implILNS1_25lookback_scan_determinismE0ELb0ELb0ES3_PKS6_PS6_S6_ZZZN2at6native31launch_logcumsumexp_cuda_kernelERKNSD_10TensorBaseESH_lENKUlvE_clEvENKUlvE4_clEvEUlS6_S6_E_S6_EEDaPvRmT3_T4_T5_mT6_P12ihipStream_tbENKUlT_T0_E_clISt17integral_constantIbLb0EESX_IbLb1EEEEDaST_SU_EUlST_E0_NS1_11comp_targetILNS1_3genE2ELNS1_11target_archE906ELNS1_3gpuE6ELNS1_3repE0EEENS1_30default_config_static_selectorELNS0_4arch9wavefront6targetE1EEEvT1_: ; @_ZN7rocprim17ROCPRIM_400000_NS6detail17trampoline_kernelINS0_14default_configENS1_20scan_config_selectorIN3c108BFloat16EEEZZNS1_9scan_implILNS1_25lookback_scan_determinismE0ELb0ELb0ES3_PKS6_PS6_S6_ZZZN2at6native31launch_logcumsumexp_cuda_kernelERKNSD_10TensorBaseESH_lENKUlvE_clEvENKUlvE4_clEvEUlS6_S6_E_S6_EEDaPvRmT3_T4_T5_mT6_P12ihipStream_tbENKUlT_T0_E_clISt17integral_constantIbLb0EESX_IbLb1EEEEDaST_SU_EUlST_E0_NS1_11comp_targetILNS1_3genE2ELNS1_11target_archE906ELNS1_3gpuE6ELNS1_3repE0EEENS1_30default_config_static_selectorELNS0_4arch9wavefront6targetE1EEEvT1_
; %bb.0:
	.section	.rodata,"a",@progbits
	.p2align	6, 0x0
	.amdhsa_kernel _ZN7rocprim17ROCPRIM_400000_NS6detail17trampoline_kernelINS0_14default_configENS1_20scan_config_selectorIN3c108BFloat16EEEZZNS1_9scan_implILNS1_25lookback_scan_determinismE0ELb0ELb0ES3_PKS6_PS6_S6_ZZZN2at6native31launch_logcumsumexp_cuda_kernelERKNSD_10TensorBaseESH_lENKUlvE_clEvENKUlvE4_clEvEUlS6_S6_E_S6_EEDaPvRmT3_T4_T5_mT6_P12ihipStream_tbENKUlT_T0_E_clISt17integral_constantIbLb0EESX_IbLb1EEEEDaST_SU_EUlST_E0_NS1_11comp_targetILNS1_3genE2ELNS1_11target_archE906ELNS1_3gpuE6ELNS1_3repE0EEENS1_30default_config_static_selectorELNS0_4arch9wavefront6targetE1EEEvT1_
		.amdhsa_group_segment_fixed_size 0
		.amdhsa_private_segment_fixed_size 0
		.amdhsa_kernarg_size 32
		.amdhsa_user_sgpr_count 6
		.amdhsa_user_sgpr_private_segment_buffer 1
		.amdhsa_user_sgpr_dispatch_ptr 0
		.amdhsa_user_sgpr_queue_ptr 0
		.amdhsa_user_sgpr_kernarg_segment_ptr 1
		.amdhsa_user_sgpr_dispatch_id 0
		.amdhsa_user_sgpr_flat_scratch_init 0
		.amdhsa_user_sgpr_kernarg_preload_length 0
		.amdhsa_user_sgpr_kernarg_preload_offset 0
		.amdhsa_user_sgpr_private_segment_size 0
		.amdhsa_uses_dynamic_stack 0
		.amdhsa_system_sgpr_private_segment_wavefront_offset 0
		.amdhsa_system_sgpr_workgroup_id_x 1
		.amdhsa_system_sgpr_workgroup_id_y 0
		.amdhsa_system_sgpr_workgroup_id_z 0
		.amdhsa_system_sgpr_workgroup_info 0
		.amdhsa_system_vgpr_workitem_id 0
		.amdhsa_next_free_vgpr 1
		.amdhsa_next_free_sgpr 0
		.amdhsa_accum_offset 4
		.amdhsa_reserve_vcc 0
		.amdhsa_reserve_flat_scratch 0
		.amdhsa_float_round_mode_32 0
		.amdhsa_float_round_mode_16_64 0
		.amdhsa_float_denorm_mode_32 3
		.amdhsa_float_denorm_mode_16_64 3
		.amdhsa_dx10_clamp 1
		.amdhsa_ieee_mode 1
		.amdhsa_fp16_overflow 0
		.amdhsa_tg_split 0
		.amdhsa_exception_fp_ieee_invalid_op 0
		.amdhsa_exception_fp_denorm_src 0
		.amdhsa_exception_fp_ieee_div_zero 0
		.amdhsa_exception_fp_ieee_overflow 0
		.amdhsa_exception_fp_ieee_underflow 0
		.amdhsa_exception_fp_ieee_inexact 0
		.amdhsa_exception_int_div_zero 0
	.end_amdhsa_kernel
	.section	.text._ZN7rocprim17ROCPRIM_400000_NS6detail17trampoline_kernelINS0_14default_configENS1_20scan_config_selectorIN3c108BFloat16EEEZZNS1_9scan_implILNS1_25lookback_scan_determinismE0ELb0ELb0ES3_PKS6_PS6_S6_ZZZN2at6native31launch_logcumsumexp_cuda_kernelERKNSD_10TensorBaseESH_lENKUlvE_clEvENKUlvE4_clEvEUlS6_S6_E_S6_EEDaPvRmT3_T4_T5_mT6_P12ihipStream_tbENKUlT_T0_E_clISt17integral_constantIbLb0EESX_IbLb1EEEEDaST_SU_EUlST_E0_NS1_11comp_targetILNS1_3genE2ELNS1_11target_archE906ELNS1_3gpuE6ELNS1_3repE0EEENS1_30default_config_static_selectorELNS0_4arch9wavefront6targetE1EEEvT1_,"axG",@progbits,_ZN7rocprim17ROCPRIM_400000_NS6detail17trampoline_kernelINS0_14default_configENS1_20scan_config_selectorIN3c108BFloat16EEEZZNS1_9scan_implILNS1_25lookback_scan_determinismE0ELb0ELb0ES3_PKS6_PS6_S6_ZZZN2at6native31launch_logcumsumexp_cuda_kernelERKNSD_10TensorBaseESH_lENKUlvE_clEvENKUlvE4_clEvEUlS6_S6_E_S6_EEDaPvRmT3_T4_T5_mT6_P12ihipStream_tbENKUlT_T0_E_clISt17integral_constantIbLb0EESX_IbLb1EEEEDaST_SU_EUlST_E0_NS1_11comp_targetILNS1_3genE2ELNS1_11target_archE906ELNS1_3gpuE6ELNS1_3repE0EEENS1_30default_config_static_selectorELNS0_4arch9wavefront6targetE1EEEvT1_,comdat
.Lfunc_end524:
	.size	_ZN7rocprim17ROCPRIM_400000_NS6detail17trampoline_kernelINS0_14default_configENS1_20scan_config_selectorIN3c108BFloat16EEEZZNS1_9scan_implILNS1_25lookback_scan_determinismE0ELb0ELb0ES3_PKS6_PS6_S6_ZZZN2at6native31launch_logcumsumexp_cuda_kernelERKNSD_10TensorBaseESH_lENKUlvE_clEvENKUlvE4_clEvEUlS6_S6_E_S6_EEDaPvRmT3_T4_T5_mT6_P12ihipStream_tbENKUlT_T0_E_clISt17integral_constantIbLb0EESX_IbLb1EEEEDaST_SU_EUlST_E0_NS1_11comp_targetILNS1_3genE2ELNS1_11target_archE906ELNS1_3gpuE6ELNS1_3repE0EEENS1_30default_config_static_selectorELNS0_4arch9wavefront6targetE1EEEvT1_, .Lfunc_end524-_ZN7rocprim17ROCPRIM_400000_NS6detail17trampoline_kernelINS0_14default_configENS1_20scan_config_selectorIN3c108BFloat16EEEZZNS1_9scan_implILNS1_25lookback_scan_determinismE0ELb0ELb0ES3_PKS6_PS6_S6_ZZZN2at6native31launch_logcumsumexp_cuda_kernelERKNSD_10TensorBaseESH_lENKUlvE_clEvENKUlvE4_clEvEUlS6_S6_E_S6_EEDaPvRmT3_T4_T5_mT6_P12ihipStream_tbENKUlT_T0_E_clISt17integral_constantIbLb0EESX_IbLb1EEEEDaST_SU_EUlST_E0_NS1_11comp_targetILNS1_3genE2ELNS1_11target_archE906ELNS1_3gpuE6ELNS1_3repE0EEENS1_30default_config_static_selectorELNS0_4arch9wavefront6targetE1EEEvT1_
                                        ; -- End function
	.section	.AMDGPU.csdata,"",@progbits
; Kernel info:
; codeLenInByte = 0
; NumSgprs: 4
; NumVgprs: 0
; NumAgprs: 0
; TotalNumVgprs: 0
; ScratchSize: 0
; MemoryBound: 0
; FloatMode: 240
; IeeeMode: 1
; LDSByteSize: 0 bytes/workgroup (compile time only)
; SGPRBlocks: 0
; VGPRBlocks: 0
; NumSGPRsForWavesPerEU: 4
; NumVGPRsForWavesPerEU: 1
; AccumOffset: 4
; Occupancy: 8
; WaveLimiterHint : 0
; COMPUTE_PGM_RSRC2:SCRATCH_EN: 0
; COMPUTE_PGM_RSRC2:USER_SGPR: 6
; COMPUTE_PGM_RSRC2:TRAP_HANDLER: 0
; COMPUTE_PGM_RSRC2:TGID_X_EN: 1
; COMPUTE_PGM_RSRC2:TGID_Y_EN: 0
; COMPUTE_PGM_RSRC2:TGID_Z_EN: 0
; COMPUTE_PGM_RSRC2:TIDIG_COMP_CNT: 0
; COMPUTE_PGM_RSRC3_GFX90A:ACCUM_OFFSET: 0
; COMPUTE_PGM_RSRC3_GFX90A:TG_SPLIT: 0
	.section	.text._ZN7rocprim17ROCPRIM_400000_NS6detail17trampoline_kernelINS0_14default_configENS1_20scan_config_selectorIN3c108BFloat16EEEZZNS1_9scan_implILNS1_25lookback_scan_determinismE0ELb0ELb0ES3_PKS6_PS6_S6_ZZZN2at6native31launch_logcumsumexp_cuda_kernelERKNSD_10TensorBaseESH_lENKUlvE_clEvENKUlvE4_clEvEUlS6_S6_E_S6_EEDaPvRmT3_T4_T5_mT6_P12ihipStream_tbENKUlT_T0_E_clISt17integral_constantIbLb0EESX_IbLb1EEEEDaST_SU_EUlST_E0_NS1_11comp_targetILNS1_3genE10ELNS1_11target_archE1201ELNS1_3gpuE5ELNS1_3repE0EEENS1_30default_config_static_selectorELNS0_4arch9wavefront6targetE1EEEvT1_,"axG",@progbits,_ZN7rocprim17ROCPRIM_400000_NS6detail17trampoline_kernelINS0_14default_configENS1_20scan_config_selectorIN3c108BFloat16EEEZZNS1_9scan_implILNS1_25lookback_scan_determinismE0ELb0ELb0ES3_PKS6_PS6_S6_ZZZN2at6native31launch_logcumsumexp_cuda_kernelERKNSD_10TensorBaseESH_lENKUlvE_clEvENKUlvE4_clEvEUlS6_S6_E_S6_EEDaPvRmT3_T4_T5_mT6_P12ihipStream_tbENKUlT_T0_E_clISt17integral_constantIbLb0EESX_IbLb1EEEEDaST_SU_EUlST_E0_NS1_11comp_targetILNS1_3genE10ELNS1_11target_archE1201ELNS1_3gpuE5ELNS1_3repE0EEENS1_30default_config_static_selectorELNS0_4arch9wavefront6targetE1EEEvT1_,comdat
	.globl	_ZN7rocprim17ROCPRIM_400000_NS6detail17trampoline_kernelINS0_14default_configENS1_20scan_config_selectorIN3c108BFloat16EEEZZNS1_9scan_implILNS1_25lookback_scan_determinismE0ELb0ELb0ES3_PKS6_PS6_S6_ZZZN2at6native31launch_logcumsumexp_cuda_kernelERKNSD_10TensorBaseESH_lENKUlvE_clEvENKUlvE4_clEvEUlS6_S6_E_S6_EEDaPvRmT3_T4_T5_mT6_P12ihipStream_tbENKUlT_T0_E_clISt17integral_constantIbLb0EESX_IbLb1EEEEDaST_SU_EUlST_E0_NS1_11comp_targetILNS1_3genE10ELNS1_11target_archE1201ELNS1_3gpuE5ELNS1_3repE0EEENS1_30default_config_static_selectorELNS0_4arch9wavefront6targetE1EEEvT1_ ; -- Begin function _ZN7rocprim17ROCPRIM_400000_NS6detail17trampoline_kernelINS0_14default_configENS1_20scan_config_selectorIN3c108BFloat16EEEZZNS1_9scan_implILNS1_25lookback_scan_determinismE0ELb0ELb0ES3_PKS6_PS6_S6_ZZZN2at6native31launch_logcumsumexp_cuda_kernelERKNSD_10TensorBaseESH_lENKUlvE_clEvENKUlvE4_clEvEUlS6_S6_E_S6_EEDaPvRmT3_T4_T5_mT6_P12ihipStream_tbENKUlT_T0_E_clISt17integral_constantIbLb0EESX_IbLb1EEEEDaST_SU_EUlST_E0_NS1_11comp_targetILNS1_3genE10ELNS1_11target_archE1201ELNS1_3gpuE5ELNS1_3repE0EEENS1_30default_config_static_selectorELNS0_4arch9wavefront6targetE1EEEvT1_
	.p2align	8
	.type	_ZN7rocprim17ROCPRIM_400000_NS6detail17trampoline_kernelINS0_14default_configENS1_20scan_config_selectorIN3c108BFloat16EEEZZNS1_9scan_implILNS1_25lookback_scan_determinismE0ELb0ELb0ES3_PKS6_PS6_S6_ZZZN2at6native31launch_logcumsumexp_cuda_kernelERKNSD_10TensorBaseESH_lENKUlvE_clEvENKUlvE4_clEvEUlS6_S6_E_S6_EEDaPvRmT3_T4_T5_mT6_P12ihipStream_tbENKUlT_T0_E_clISt17integral_constantIbLb0EESX_IbLb1EEEEDaST_SU_EUlST_E0_NS1_11comp_targetILNS1_3genE10ELNS1_11target_archE1201ELNS1_3gpuE5ELNS1_3repE0EEENS1_30default_config_static_selectorELNS0_4arch9wavefront6targetE1EEEvT1_,@function
_ZN7rocprim17ROCPRIM_400000_NS6detail17trampoline_kernelINS0_14default_configENS1_20scan_config_selectorIN3c108BFloat16EEEZZNS1_9scan_implILNS1_25lookback_scan_determinismE0ELb0ELb0ES3_PKS6_PS6_S6_ZZZN2at6native31launch_logcumsumexp_cuda_kernelERKNSD_10TensorBaseESH_lENKUlvE_clEvENKUlvE4_clEvEUlS6_S6_E_S6_EEDaPvRmT3_T4_T5_mT6_P12ihipStream_tbENKUlT_T0_E_clISt17integral_constantIbLb0EESX_IbLb1EEEEDaST_SU_EUlST_E0_NS1_11comp_targetILNS1_3genE10ELNS1_11target_archE1201ELNS1_3gpuE5ELNS1_3repE0EEENS1_30default_config_static_selectorELNS0_4arch9wavefront6targetE1EEEvT1_: ; @_ZN7rocprim17ROCPRIM_400000_NS6detail17trampoline_kernelINS0_14default_configENS1_20scan_config_selectorIN3c108BFloat16EEEZZNS1_9scan_implILNS1_25lookback_scan_determinismE0ELb0ELb0ES3_PKS6_PS6_S6_ZZZN2at6native31launch_logcumsumexp_cuda_kernelERKNSD_10TensorBaseESH_lENKUlvE_clEvENKUlvE4_clEvEUlS6_S6_E_S6_EEDaPvRmT3_T4_T5_mT6_P12ihipStream_tbENKUlT_T0_E_clISt17integral_constantIbLb0EESX_IbLb1EEEEDaST_SU_EUlST_E0_NS1_11comp_targetILNS1_3genE10ELNS1_11target_archE1201ELNS1_3gpuE5ELNS1_3repE0EEENS1_30default_config_static_selectorELNS0_4arch9wavefront6targetE1EEEvT1_
; %bb.0:
	.section	.rodata,"a",@progbits
	.p2align	6, 0x0
	.amdhsa_kernel _ZN7rocprim17ROCPRIM_400000_NS6detail17trampoline_kernelINS0_14default_configENS1_20scan_config_selectorIN3c108BFloat16EEEZZNS1_9scan_implILNS1_25lookback_scan_determinismE0ELb0ELb0ES3_PKS6_PS6_S6_ZZZN2at6native31launch_logcumsumexp_cuda_kernelERKNSD_10TensorBaseESH_lENKUlvE_clEvENKUlvE4_clEvEUlS6_S6_E_S6_EEDaPvRmT3_T4_T5_mT6_P12ihipStream_tbENKUlT_T0_E_clISt17integral_constantIbLb0EESX_IbLb1EEEEDaST_SU_EUlST_E0_NS1_11comp_targetILNS1_3genE10ELNS1_11target_archE1201ELNS1_3gpuE5ELNS1_3repE0EEENS1_30default_config_static_selectorELNS0_4arch9wavefront6targetE1EEEvT1_
		.amdhsa_group_segment_fixed_size 0
		.amdhsa_private_segment_fixed_size 0
		.amdhsa_kernarg_size 32
		.amdhsa_user_sgpr_count 6
		.amdhsa_user_sgpr_private_segment_buffer 1
		.amdhsa_user_sgpr_dispatch_ptr 0
		.amdhsa_user_sgpr_queue_ptr 0
		.amdhsa_user_sgpr_kernarg_segment_ptr 1
		.amdhsa_user_sgpr_dispatch_id 0
		.amdhsa_user_sgpr_flat_scratch_init 0
		.amdhsa_user_sgpr_kernarg_preload_length 0
		.amdhsa_user_sgpr_kernarg_preload_offset 0
		.amdhsa_user_sgpr_private_segment_size 0
		.amdhsa_uses_dynamic_stack 0
		.amdhsa_system_sgpr_private_segment_wavefront_offset 0
		.amdhsa_system_sgpr_workgroup_id_x 1
		.amdhsa_system_sgpr_workgroup_id_y 0
		.amdhsa_system_sgpr_workgroup_id_z 0
		.amdhsa_system_sgpr_workgroup_info 0
		.amdhsa_system_vgpr_workitem_id 0
		.amdhsa_next_free_vgpr 1
		.amdhsa_next_free_sgpr 0
		.amdhsa_accum_offset 4
		.amdhsa_reserve_vcc 0
		.amdhsa_reserve_flat_scratch 0
		.amdhsa_float_round_mode_32 0
		.amdhsa_float_round_mode_16_64 0
		.amdhsa_float_denorm_mode_32 3
		.amdhsa_float_denorm_mode_16_64 3
		.amdhsa_dx10_clamp 1
		.amdhsa_ieee_mode 1
		.amdhsa_fp16_overflow 0
		.amdhsa_tg_split 0
		.amdhsa_exception_fp_ieee_invalid_op 0
		.amdhsa_exception_fp_denorm_src 0
		.amdhsa_exception_fp_ieee_div_zero 0
		.amdhsa_exception_fp_ieee_overflow 0
		.amdhsa_exception_fp_ieee_underflow 0
		.amdhsa_exception_fp_ieee_inexact 0
		.amdhsa_exception_int_div_zero 0
	.end_amdhsa_kernel
	.section	.text._ZN7rocprim17ROCPRIM_400000_NS6detail17trampoline_kernelINS0_14default_configENS1_20scan_config_selectorIN3c108BFloat16EEEZZNS1_9scan_implILNS1_25lookback_scan_determinismE0ELb0ELb0ES3_PKS6_PS6_S6_ZZZN2at6native31launch_logcumsumexp_cuda_kernelERKNSD_10TensorBaseESH_lENKUlvE_clEvENKUlvE4_clEvEUlS6_S6_E_S6_EEDaPvRmT3_T4_T5_mT6_P12ihipStream_tbENKUlT_T0_E_clISt17integral_constantIbLb0EESX_IbLb1EEEEDaST_SU_EUlST_E0_NS1_11comp_targetILNS1_3genE10ELNS1_11target_archE1201ELNS1_3gpuE5ELNS1_3repE0EEENS1_30default_config_static_selectorELNS0_4arch9wavefront6targetE1EEEvT1_,"axG",@progbits,_ZN7rocprim17ROCPRIM_400000_NS6detail17trampoline_kernelINS0_14default_configENS1_20scan_config_selectorIN3c108BFloat16EEEZZNS1_9scan_implILNS1_25lookback_scan_determinismE0ELb0ELb0ES3_PKS6_PS6_S6_ZZZN2at6native31launch_logcumsumexp_cuda_kernelERKNSD_10TensorBaseESH_lENKUlvE_clEvENKUlvE4_clEvEUlS6_S6_E_S6_EEDaPvRmT3_T4_T5_mT6_P12ihipStream_tbENKUlT_T0_E_clISt17integral_constantIbLb0EESX_IbLb1EEEEDaST_SU_EUlST_E0_NS1_11comp_targetILNS1_3genE10ELNS1_11target_archE1201ELNS1_3gpuE5ELNS1_3repE0EEENS1_30default_config_static_selectorELNS0_4arch9wavefront6targetE1EEEvT1_,comdat
.Lfunc_end525:
	.size	_ZN7rocprim17ROCPRIM_400000_NS6detail17trampoline_kernelINS0_14default_configENS1_20scan_config_selectorIN3c108BFloat16EEEZZNS1_9scan_implILNS1_25lookback_scan_determinismE0ELb0ELb0ES3_PKS6_PS6_S6_ZZZN2at6native31launch_logcumsumexp_cuda_kernelERKNSD_10TensorBaseESH_lENKUlvE_clEvENKUlvE4_clEvEUlS6_S6_E_S6_EEDaPvRmT3_T4_T5_mT6_P12ihipStream_tbENKUlT_T0_E_clISt17integral_constantIbLb0EESX_IbLb1EEEEDaST_SU_EUlST_E0_NS1_11comp_targetILNS1_3genE10ELNS1_11target_archE1201ELNS1_3gpuE5ELNS1_3repE0EEENS1_30default_config_static_selectorELNS0_4arch9wavefront6targetE1EEEvT1_, .Lfunc_end525-_ZN7rocprim17ROCPRIM_400000_NS6detail17trampoline_kernelINS0_14default_configENS1_20scan_config_selectorIN3c108BFloat16EEEZZNS1_9scan_implILNS1_25lookback_scan_determinismE0ELb0ELb0ES3_PKS6_PS6_S6_ZZZN2at6native31launch_logcumsumexp_cuda_kernelERKNSD_10TensorBaseESH_lENKUlvE_clEvENKUlvE4_clEvEUlS6_S6_E_S6_EEDaPvRmT3_T4_T5_mT6_P12ihipStream_tbENKUlT_T0_E_clISt17integral_constantIbLb0EESX_IbLb1EEEEDaST_SU_EUlST_E0_NS1_11comp_targetILNS1_3genE10ELNS1_11target_archE1201ELNS1_3gpuE5ELNS1_3repE0EEENS1_30default_config_static_selectorELNS0_4arch9wavefront6targetE1EEEvT1_
                                        ; -- End function
	.section	.AMDGPU.csdata,"",@progbits
; Kernel info:
; codeLenInByte = 0
; NumSgprs: 4
; NumVgprs: 0
; NumAgprs: 0
; TotalNumVgprs: 0
; ScratchSize: 0
; MemoryBound: 0
; FloatMode: 240
; IeeeMode: 1
; LDSByteSize: 0 bytes/workgroup (compile time only)
; SGPRBlocks: 0
; VGPRBlocks: 0
; NumSGPRsForWavesPerEU: 4
; NumVGPRsForWavesPerEU: 1
; AccumOffset: 4
; Occupancy: 8
; WaveLimiterHint : 0
; COMPUTE_PGM_RSRC2:SCRATCH_EN: 0
; COMPUTE_PGM_RSRC2:USER_SGPR: 6
; COMPUTE_PGM_RSRC2:TRAP_HANDLER: 0
; COMPUTE_PGM_RSRC2:TGID_X_EN: 1
; COMPUTE_PGM_RSRC2:TGID_Y_EN: 0
; COMPUTE_PGM_RSRC2:TGID_Z_EN: 0
; COMPUTE_PGM_RSRC2:TIDIG_COMP_CNT: 0
; COMPUTE_PGM_RSRC3_GFX90A:ACCUM_OFFSET: 0
; COMPUTE_PGM_RSRC3_GFX90A:TG_SPLIT: 0
	.section	.text._ZN7rocprim17ROCPRIM_400000_NS6detail17trampoline_kernelINS0_14default_configENS1_20scan_config_selectorIN3c108BFloat16EEEZZNS1_9scan_implILNS1_25lookback_scan_determinismE0ELb0ELb0ES3_PKS6_PS6_S6_ZZZN2at6native31launch_logcumsumexp_cuda_kernelERKNSD_10TensorBaseESH_lENKUlvE_clEvENKUlvE4_clEvEUlS6_S6_E_S6_EEDaPvRmT3_T4_T5_mT6_P12ihipStream_tbENKUlT_T0_E_clISt17integral_constantIbLb0EESX_IbLb1EEEEDaST_SU_EUlST_E0_NS1_11comp_targetILNS1_3genE10ELNS1_11target_archE1200ELNS1_3gpuE4ELNS1_3repE0EEENS1_30default_config_static_selectorELNS0_4arch9wavefront6targetE1EEEvT1_,"axG",@progbits,_ZN7rocprim17ROCPRIM_400000_NS6detail17trampoline_kernelINS0_14default_configENS1_20scan_config_selectorIN3c108BFloat16EEEZZNS1_9scan_implILNS1_25lookback_scan_determinismE0ELb0ELb0ES3_PKS6_PS6_S6_ZZZN2at6native31launch_logcumsumexp_cuda_kernelERKNSD_10TensorBaseESH_lENKUlvE_clEvENKUlvE4_clEvEUlS6_S6_E_S6_EEDaPvRmT3_T4_T5_mT6_P12ihipStream_tbENKUlT_T0_E_clISt17integral_constantIbLb0EESX_IbLb1EEEEDaST_SU_EUlST_E0_NS1_11comp_targetILNS1_3genE10ELNS1_11target_archE1200ELNS1_3gpuE4ELNS1_3repE0EEENS1_30default_config_static_selectorELNS0_4arch9wavefront6targetE1EEEvT1_,comdat
	.globl	_ZN7rocprim17ROCPRIM_400000_NS6detail17trampoline_kernelINS0_14default_configENS1_20scan_config_selectorIN3c108BFloat16EEEZZNS1_9scan_implILNS1_25lookback_scan_determinismE0ELb0ELb0ES3_PKS6_PS6_S6_ZZZN2at6native31launch_logcumsumexp_cuda_kernelERKNSD_10TensorBaseESH_lENKUlvE_clEvENKUlvE4_clEvEUlS6_S6_E_S6_EEDaPvRmT3_T4_T5_mT6_P12ihipStream_tbENKUlT_T0_E_clISt17integral_constantIbLb0EESX_IbLb1EEEEDaST_SU_EUlST_E0_NS1_11comp_targetILNS1_3genE10ELNS1_11target_archE1200ELNS1_3gpuE4ELNS1_3repE0EEENS1_30default_config_static_selectorELNS0_4arch9wavefront6targetE1EEEvT1_ ; -- Begin function _ZN7rocprim17ROCPRIM_400000_NS6detail17trampoline_kernelINS0_14default_configENS1_20scan_config_selectorIN3c108BFloat16EEEZZNS1_9scan_implILNS1_25lookback_scan_determinismE0ELb0ELb0ES3_PKS6_PS6_S6_ZZZN2at6native31launch_logcumsumexp_cuda_kernelERKNSD_10TensorBaseESH_lENKUlvE_clEvENKUlvE4_clEvEUlS6_S6_E_S6_EEDaPvRmT3_T4_T5_mT6_P12ihipStream_tbENKUlT_T0_E_clISt17integral_constantIbLb0EESX_IbLb1EEEEDaST_SU_EUlST_E0_NS1_11comp_targetILNS1_3genE10ELNS1_11target_archE1200ELNS1_3gpuE4ELNS1_3repE0EEENS1_30default_config_static_selectorELNS0_4arch9wavefront6targetE1EEEvT1_
	.p2align	8
	.type	_ZN7rocprim17ROCPRIM_400000_NS6detail17trampoline_kernelINS0_14default_configENS1_20scan_config_selectorIN3c108BFloat16EEEZZNS1_9scan_implILNS1_25lookback_scan_determinismE0ELb0ELb0ES3_PKS6_PS6_S6_ZZZN2at6native31launch_logcumsumexp_cuda_kernelERKNSD_10TensorBaseESH_lENKUlvE_clEvENKUlvE4_clEvEUlS6_S6_E_S6_EEDaPvRmT3_T4_T5_mT6_P12ihipStream_tbENKUlT_T0_E_clISt17integral_constantIbLb0EESX_IbLb1EEEEDaST_SU_EUlST_E0_NS1_11comp_targetILNS1_3genE10ELNS1_11target_archE1200ELNS1_3gpuE4ELNS1_3repE0EEENS1_30default_config_static_selectorELNS0_4arch9wavefront6targetE1EEEvT1_,@function
_ZN7rocprim17ROCPRIM_400000_NS6detail17trampoline_kernelINS0_14default_configENS1_20scan_config_selectorIN3c108BFloat16EEEZZNS1_9scan_implILNS1_25lookback_scan_determinismE0ELb0ELb0ES3_PKS6_PS6_S6_ZZZN2at6native31launch_logcumsumexp_cuda_kernelERKNSD_10TensorBaseESH_lENKUlvE_clEvENKUlvE4_clEvEUlS6_S6_E_S6_EEDaPvRmT3_T4_T5_mT6_P12ihipStream_tbENKUlT_T0_E_clISt17integral_constantIbLb0EESX_IbLb1EEEEDaST_SU_EUlST_E0_NS1_11comp_targetILNS1_3genE10ELNS1_11target_archE1200ELNS1_3gpuE4ELNS1_3repE0EEENS1_30default_config_static_selectorELNS0_4arch9wavefront6targetE1EEEvT1_: ; @_ZN7rocprim17ROCPRIM_400000_NS6detail17trampoline_kernelINS0_14default_configENS1_20scan_config_selectorIN3c108BFloat16EEEZZNS1_9scan_implILNS1_25lookback_scan_determinismE0ELb0ELb0ES3_PKS6_PS6_S6_ZZZN2at6native31launch_logcumsumexp_cuda_kernelERKNSD_10TensorBaseESH_lENKUlvE_clEvENKUlvE4_clEvEUlS6_S6_E_S6_EEDaPvRmT3_T4_T5_mT6_P12ihipStream_tbENKUlT_T0_E_clISt17integral_constantIbLb0EESX_IbLb1EEEEDaST_SU_EUlST_E0_NS1_11comp_targetILNS1_3genE10ELNS1_11target_archE1200ELNS1_3gpuE4ELNS1_3repE0EEENS1_30default_config_static_selectorELNS0_4arch9wavefront6targetE1EEEvT1_
; %bb.0:
	.section	.rodata,"a",@progbits
	.p2align	6, 0x0
	.amdhsa_kernel _ZN7rocprim17ROCPRIM_400000_NS6detail17trampoline_kernelINS0_14default_configENS1_20scan_config_selectorIN3c108BFloat16EEEZZNS1_9scan_implILNS1_25lookback_scan_determinismE0ELb0ELb0ES3_PKS6_PS6_S6_ZZZN2at6native31launch_logcumsumexp_cuda_kernelERKNSD_10TensorBaseESH_lENKUlvE_clEvENKUlvE4_clEvEUlS6_S6_E_S6_EEDaPvRmT3_T4_T5_mT6_P12ihipStream_tbENKUlT_T0_E_clISt17integral_constantIbLb0EESX_IbLb1EEEEDaST_SU_EUlST_E0_NS1_11comp_targetILNS1_3genE10ELNS1_11target_archE1200ELNS1_3gpuE4ELNS1_3repE0EEENS1_30default_config_static_selectorELNS0_4arch9wavefront6targetE1EEEvT1_
		.amdhsa_group_segment_fixed_size 0
		.amdhsa_private_segment_fixed_size 0
		.amdhsa_kernarg_size 32
		.amdhsa_user_sgpr_count 6
		.amdhsa_user_sgpr_private_segment_buffer 1
		.amdhsa_user_sgpr_dispatch_ptr 0
		.amdhsa_user_sgpr_queue_ptr 0
		.amdhsa_user_sgpr_kernarg_segment_ptr 1
		.amdhsa_user_sgpr_dispatch_id 0
		.amdhsa_user_sgpr_flat_scratch_init 0
		.amdhsa_user_sgpr_kernarg_preload_length 0
		.amdhsa_user_sgpr_kernarg_preload_offset 0
		.amdhsa_user_sgpr_private_segment_size 0
		.amdhsa_uses_dynamic_stack 0
		.amdhsa_system_sgpr_private_segment_wavefront_offset 0
		.amdhsa_system_sgpr_workgroup_id_x 1
		.amdhsa_system_sgpr_workgroup_id_y 0
		.amdhsa_system_sgpr_workgroup_id_z 0
		.amdhsa_system_sgpr_workgroup_info 0
		.amdhsa_system_vgpr_workitem_id 0
		.amdhsa_next_free_vgpr 1
		.amdhsa_next_free_sgpr 0
		.amdhsa_accum_offset 4
		.amdhsa_reserve_vcc 0
		.amdhsa_reserve_flat_scratch 0
		.amdhsa_float_round_mode_32 0
		.amdhsa_float_round_mode_16_64 0
		.amdhsa_float_denorm_mode_32 3
		.amdhsa_float_denorm_mode_16_64 3
		.amdhsa_dx10_clamp 1
		.amdhsa_ieee_mode 1
		.amdhsa_fp16_overflow 0
		.amdhsa_tg_split 0
		.amdhsa_exception_fp_ieee_invalid_op 0
		.amdhsa_exception_fp_denorm_src 0
		.amdhsa_exception_fp_ieee_div_zero 0
		.amdhsa_exception_fp_ieee_overflow 0
		.amdhsa_exception_fp_ieee_underflow 0
		.amdhsa_exception_fp_ieee_inexact 0
		.amdhsa_exception_int_div_zero 0
	.end_amdhsa_kernel
	.section	.text._ZN7rocprim17ROCPRIM_400000_NS6detail17trampoline_kernelINS0_14default_configENS1_20scan_config_selectorIN3c108BFloat16EEEZZNS1_9scan_implILNS1_25lookback_scan_determinismE0ELb0ELb0ES3_PKS6_PS6_S6_ZZZN2at6native31launch_logcumsumexp_cuda_kernelERKNSD_10TensorBaseESH_lENKUlvE_clEvENKUlvE4_clEvEUlS6_S6_E_S6_EEDaPvRmT3_T4_T5_mT6_P12ihipStream_tbENKUlT_T0_E_clISt17integral_constantIbLb0EESX_IbLb1EEEEDaST_SU_EUlST_E0_NS1_11comp_targetILNS1_3genE10ELNS1_11target_archE1200ELNS1_3gpuE4ELNS1_3repE0EEENS1_30default_config_static_selectorELNS0_4arch9wavefront6targetE1EEEvT1_,"axG",@progbits,_ZN7rocprim17ROCPRIM_400000_NS6detail17trampoline_kernelINS0_14default_configENS1_20scan_config_selectorIN3c108BFloat16EEEZZNS1_9scan_implILNS1_25lookback_scan_determinismE0ELb0ELb0ES3_PKS6_PS6_S6_ZZZN2at6native31launch_logcumsumexp_cuda_kernelERKNSD_10TensorBaseESH_lENKUlvE_clEvENKUlvE4_clEvEUlS6_S6_E_S6_EEDaPvRmT3_T4_T5_mT6_P12ihipStream_tbENKUlT_T0_E_clISt17integral_constantIbLb0EESX_IbLb1EEEEDaST_SU_EUlST_E0_NS1_11comp_targetILNS1_3genE10ELNS1_11target_archE1200ELNS1_3gpuE4ELNS1_3repE0EEENS1_30default_config_static_selectorELNS0_4arch9wavefront6targetE1EEEvT1_,comdat
.Lfunc_end526:
	.size	_ZN7rocprim17ROCPRIM_400000_NS6detail17trampoline_kernelINS0_14default_configENS1_20scan_config_selectorIN3c108BFloat16EEEZZNS1_9scan_implILNS1_25lookback_scan_determinismE0ELb0ELb0ES3_PKS6_PS6_S6_ZZZN2at6native31launch_logcumsumexp_cuda_kernelERKNSD_10TensorBaseESH_lENKUlvE_clEvENKUlvE4_clEvEUlS6_S6_E_S6_EEDaPvRmT3_T4_T5_mT6_P12ihipStream_tbENKUlT_T0_E_clISt17integral_constantIbLb0EESX_IbLb1EEEEDaST_SU_EUlST_E0_NS1_11comp_targetILNS1_3genE10ELNS1_11target_archE1200ELNS1_3gpuE4ELNS1_3repE0EEENS1_30default_config_static_selectorELNS0_4arch9wavefront6targetE1EEEvT1_, .Lfunc_end526-_ZN7rocprim17ROCPRIM_400000_NS6detail17trampoline_kernelINS0_14default_configENS1_20scan_config_selectorIN3c108BFloat16EEEZZNS1_9scan_implILNS1_25lookback_scan_determinismE0ELb0ELb0ES3_PKS6_PS6_S6_ZZZN2at6native31launch_logcumsumexp_cuda_kernelERKNSD_10TensorBaseESH_lENKUlvE_clEvENKUlvE4_clEvEUlS6_S6_E_S6_EEDaPvRmT3_T4_T5_mT6_P12ihipStream_tbENKUlT_T0_E_clISt17integral_constantIbLb0EESX_IbLb1EEEEDaST_SU_EUlST_E0_NS1_11comp_targetILNS1_3genE10ELNS1_11target_archE1200ELNS1_3gpuE4ELNS1_3repE0EEENS1_30default_config_static_selectorELNS0_4arch9wavefront6targetE1EEEvT1_
                                        ; -- End function
	.section	.AMDGPU.csdata,"",@progbits
; Kernel info:
; codeLenInByte = 0
; NumSgprs: 4
; NumVgprs: 0
; NumAgprs: 0
; TotalNumVgprs: 0
; ScratchSize: 0
; MemoryBound: 0
; FloatMode: 240
; IeeeMode: 1
; LDSByteSize: 0 bytes/workgroup (compile time only)
; SGPRBlocks: 0
; VGPRBlocks: 0
; NumSGPRsForWavesPerEU: 4
; NumVGPRsForWavesPerEU: 1
; AccumOffset: 4
; Occupancy: 8
; WaveLimiterHint : 0
; COMPUTE_PGM_RSRC2:SCRATCH_EN: 0
; COMPUTE_PGM_RSRC2:USER_SGPR: 6
; COMPUTE_PGM_RSRC2:TRAP_HANDLER: 0
; COMPUTE_PGM_RSRC2:TGID_X_EN: 1
; COMPUTE_PGM_RSRC2:TGID_Y_EN: 0
; COMPUTE_PGM_RSRC2:TGID_Z_EN: 0
; COMPUTE_PGM_RSRC2:TIDIG_COMP_CNT: 0
; COMPUTE_PGM_RSRC3_GFX90A:ACCUM_OFFSET: 0
; COMPUTE_PGM_RSRC3_GFX90A:TG_SPLIT: 0
	.section	.text._ZN7rocprim17ROCPRIM_400000_NS6detail17trampoline_kernelINS0_14default_configENS1_20scan_config_selectorIN3c108BFloat16EEEZZNS1_9scan_implILNS1_25lookback_scan_determinismE0ELb0ELb0ES3_PKS6_PS6_S6_ZZZN2at6native31launch_logcumsumexp_cuda_kernelERKNSD_10TensorBaseESH_lENKUlvE_clEvENKUlvE4_clEvEUlS6_S6_E_S6_EEDaPvRmT3_T4_T5_mT6_P12ihipStream_tbENKUlT_T0_E_clISt17integral_constantIbLb0EESX_IbLb1EEEEDaST_SU_EUlST_E0_NS1_11comp_targetILNS1_3genE9ELNS1_11target_archE1100ELNS1_3gpuE3ELNS1_3repE0EEENS1_30default_config_static_selectorELNS0_4arch9wavefront6targetE1EEEvT1_,"axG",@progbits,_ZN7rocprim17ROCPRIM_400000_NS6detail17trampoline_kernelINS0_14default_configENS1_20scan_config_selectorIN3c108BFloat16EEEZZNS1_9scan_implILNS1_25lookback_scan_determinismE0ELb0ELb0ES3_PKS6_PS6_S6_ZZZN2at6native31launch_logcumsumexp_cuda_kernelERKNSD_10TensorBaseESH_lENKUlvE_clEvENKUlvE4_clEvEUlS6_S6_E_S6_EEDaPvRmT3_T4_T5_mT6_P12ihipStream_tbENKUlT_T0_E_clISt17integral_constantIbLb0EESX_IbLb1EEEEDaST_SU_EUlST_E0_NS1_11comp_targetILNS1_3genE9ELNS1_11target_archE1100ELNS1_3gpuE3ELNS1_3repE0EEENS1_30default_config_static_selectorELNS0_4arch9wavefront6targetE1EEEvT1_,comdat
	.globl	_ZN7rocprim17ROCPRIM_400000_NS6detail17trampoline_kernelINS0_14default_configENS1_20scan_config_selectorIN3c108BFloat16EEEZZNS1_9scan_implILNS1_25lookback_scan_determinismE0ELb0ELb0ES3_PKS6_PS6_S6_ZZZN2at6native31launch_logcumsumexp_cuda_kernelERKNSD_10TensorBaseESH_lENKUlvE_clEvENKUlvE4_clEvEUlS6_S6_E_S6_EEDaPvRmT3_T4_T5_mT6_P12ihipStream_tbENKUlT_T0_E_clISt17integral_constantIbLb0EESX_IbLb1EEEEDaST_SU_EUlST_E0_NS1_11comp_targetILNS1_3genE9ELNS1_11target_archE1100ELNS1_3gpuE3ELNS1_3repE0EEENS1_30default_config_static_selectorELNS0_4arch9wavefront6targetE1EEEvT1_ ; -- Begin function _ZN7rocprim17ROCPRIM_400000_NS6detail17trampoline_kernelINS0_14default_configENS1_20scan_config_selectorIN3c108BFloat16EEEZZNS1_9scan_implILNS1_25lookback_scan_determinismE0ELb0ELb0ES3_PKS6_PS6_S6_ZZZN2at6native31launch_logcumsumexp_cuda_kernelERKNSD_10TensorBaseESH_lENKUlvE_clEvENKUlvE4_clEvEUlS6_S6_E_S6_EEDaPvRmT3_T4_T5_mT6_P12ihipStream_tbENKUlT_T0_E_clISt17integral_constantIbLb0EESX_IbLb1EEEEDaST_SU_EUlST_E0_NS1_11comp_targetILNS1_3genE9ELNS1_11target_archE1100ELNS1_3gpuE3ELNS1_3repE0EEENS1_30default_config_static_selectorELNS0_4arch9wavefront6targetE1EEEvT1_
	.p2align	8
	.type	_ZN7rocprim17ROCPRIM_400000_NS6detail17trampoline_kernelINS0_14default_configENS1_20scan_config_selectorIN3c108BFloat16EEEZZNS1_9scan_implILNS1_25lookback_scan_determinismE0ELb0ELb0ES3_PKS6_PS6_S6_ZZZN2at6native31launch_logcumsumexp_cuda_kernelERKNSD_10TensorBaseESH_lENKUlvE_clEvENKUlvE4_clEvEUlS6_S6_E_S6_EEDaPvRmT3_T4_T5_mT6_P12ihipStream_tbENKUlT_T0_E_clISt17integral_constantIbLb0EESX_IbLb1EEEEDaST_SU_EUlST_E0_NS1_11comp_targetILNS1_3genE9ELNS1_11target_archE1100ELNS1_3gpuE3ELNS1_3repE0EEENS1_30default_config_static_selectorELNS0_4arch9wavefront6targetE1EEEvT1_,@function
_ZN7rocprim17ROCPRIM_400000_NS6detail17trampoline_kernelINS0_14default_configENS1_20scan_config_selectorIN3c108BFloat16EEEZZNS1_9scan_implILNS1_25lookback_scan_determinismE0ELb0ELb0ES3_PKS6_PS6_S6_ZZZN2at6native31launch_logcumsumexp_cuda_kernelERKNSD_10TensorBaseESH_lENKUlvE_clEvENKUlvE4_clEvEUlS6_S6_E_S6_EEDaPvRmT3_T4_T5_mT6_P12ihipStream_tbENKUlT_T0_E_clISt17integral_constantIbLb0EESX_IbLb1EEEEDaST_SU_EUlST_E0_NS1_11comp_targetILNS1_3genE9ELNS1_11target_archE1100ELNS1_3gpuE3ELNS1_3repE0EEENS1_30default_config_static_selectorELNS0_4arch9wavefront6targetE1EEEvT1_: ; @_ZN7rocprim17ROCPRIM_400000_NS6detail17trampoline_kernelINS0_14default_configENS1_20scan_config_selectorIN3c108BFloat16EEEZZNS1_9scan_implILNS1_25lookback_scan_determinismE0ELb0ELb0ES3_PKS6_PS6_S6_ZZZN2at6native31launch_logcumsumexp_cuda_kernelERKNSD_10TensorBaseESH_lENKUlvE_clEvENKUlvE4_clEvEUlS6_S6_E_S6_EEDaPvRmT3_T4_T5_mT6_P12ihipStream_tbENKUlT_T0_E_clISt17integral_constantIbLb0EESX_IbLb1EEEEDaST_SU_EUlST_E0_NS1_11comp_targetILNS1_3genE9ELNS1_11target_archE1100ELNS1_3gpuE3ELNS1_3repE0EEENS1_30default_config_static_selectorELNS0_4arch9wavefront6targetE1EEEvT1_
; %bb.0:
	.section	.rodata,"a",@progbits
	.p2align	6, 0x0
	.amdhsa_kernel _ZN7rocprim17ROCPRIM_400000_NS6detail17trampoline_kernelINS0_14default_configENS1_20scan_config_selectorIN3c108BFloat16EEEZZNS1_9scan_implILNS1_25lookback_scan_determinismE0ELb0ELb0ES3_PKS6_PS6_S6_ZZZN2at6native31launch_logcumsumexp_cuda_kernelERKNSD_10TensorBaseESH_lENKUlvE_clEvENKUlvE4_clEvEUlS6_S6_E_S6_EEDaPvRmT3_T4_T5_mT6_P12ihipStream_tbENKUlT_T0_E_clISt17integral_constantIbLb0EESX_IbLb1EEEEDaST_SU_EUlST_E0_NS1_11comp_targetILNS1_3genE9ELNS1_11target_archE1100ELNS1_3gpuE3ELNS1_3repE0EEENS1_30default_config_static_selectorELNS0_4arch9wavefront6targetE1EEEvT1_
		.amdhsa_group_segment_fixed_size 0
		.amdhsa_private_segment_fixed_size 0
		.amdhsa_kernarg_size 32
		.amdhsa_user_sgpr_count 6
		.amdhsa_user_sgpr_private_segment_buffer 1
		.amdhsa_user_sgpr_dispatch_ptr 0
		.amdhsa_user_sgpr_queue_ptr 0
		.amdhsa_user_sgpr_kernarg_segment_ptr 1
		.amdhsa_user_sgpr_dispatch_id 0
		.amdhsa_user_sgpr_flat_scratch_init 0
		.amdhsa_user_sgpr_kernarg_preload_length 0
		.amdhsa_user_sgpr_kernarg_preload_offset 0
		.amdhsa_user_sgpr_private_segment_size 0
		.amdhsa_uses_dynamic_stack 0
		.amdhsa_system_sgpr_private_segment_wavefront_offset 0
		.amdhsa_system_sgpr_workgroup_id_x 1
		.amdhsa_system_sgpr_workgroup_id_y 0
		.amdhsa_system_sgpr_workgroup_id_z 0
		.amdhsa_system_sgpr_workgroup_info 0
		.amdhsa_system_vgpr_workitem_id 0
		.amdhsa_next_free_vgpr 1
		.amdhsa_next_free_sgpr 0
		.amdhsa_accum_offset 4
		.amdhsa_reserve_vcc 0
		.amdhsa_reserve_flat_scratch 0
		.amdhsa_float_round_mode_32 0
		.amdhsa_float_round_mode_16_64 0
		.amdhsa_float_denorm_mode_32 3
		.amdhsa_float_denorm_mode_16_64 3
		.amdhsa_dx10_clamp 1
		.amdhsa_ieee_mode 1
		.amdhsa_fp16_overflow 0
		.amdhsa_tg_split 0
		.amdhsa_exception_fp_ieee_invalid_op 0
		.amdhsa_exception_fp_denorm_src 0
		.amdhsa_exception_fp_ieee_div_zero 0
		.amdhsa_exception_fp_ieee_overflow 0
		.amdhsa_exception_fp_ieee_underflow 0
		.amdhsa_exception_fp_ieee_inexact 0
		.amdhsa_exception_int_div_zero 0
	.end_amdhsa_kernel
	.section	.text._ZN7rocprim17ROCPRIM_400000_NS6detail17trampoline_kernelINS0_14default_configENS1_20scan_config_selectorIN3c108BFloat16EEEZZNS1_9scan_implILNS1_25lookback_scan_determinismE0ELb0ELb0ES3_PKS6_PS6_S6_ZZZN2at6native31launch_logcumsumexp_cuda_kernelERKNSD_10TensorBaseESH_lENKUlvE_clEvENKUlvE4_clEvEUlS6_S6_E_S6_EEDaPvRmT3_T4_T5_mT6_P12ihipStream_tbENKUlT_T0_E_clISt17integral_constantIbLb0EESX_IbLb1EEEEDaST_SU_EUlST_E0_NS1_11comp_targetILNS1_3genE9ELNS1_11target_archE1100ELNS1_3gpuE3ELNS1_3repE0EEENS1_30default_config_static_selectorELNS0_4arch9wavefront6targetE1EEEvT1_,"axG",@progbits,_ZN7rocprim17ROCPRIM_400000_NS6detail17trampoline_kernelINS0_14default_configENS1_20scan_config_selectorIN3c108BFloat16EEEZZNS1_9scan_implILNS1_25lookback_scan_determinismE0ELb0ELb0ES3_PKS6_PS6_S6_ZZZN2at6native31launch_logcumsumexp_cuda_kernelERKNSD_10TensorBaseESH_lENKUlvE_clEvENKUlvE4_clEvEUlS6_S6_E_S6_EEDaPvRmT3_T4_T5_mT6_P12ihipStream_tbENKUlT_T0_E_clISt17integral_constantIbLb0EESX_IbLb1EEEEDaST_SU_EUlST_E0_NS1_11comp_targetILNS1_3genE9ELNS1_11target_archE1100ELNS1_3gpuE3ELNS1_3repE0EEENS1_30default_config_static_selectorELNS0_4arch9wavefront6targetE1EEEvT1_,comdat
.Lfunc_end527:
	.size	_ZN7rocprim17ROCPRIM_400000_NS6detail17trampoline_kernelINS0_14default_configENS1_20scan_config_selectorIN3c108BFloat16EEEZZNS1_9scan_implILNS1_25lookback_scan_determinismE0ELb0ELb0ES3_PKS6_PS6_S6_ZZZN2at6native31launch_logcumsumexp_cuda_kernelERKNSD_10TensorBaseESH_lENKUlvE_clEvENKUlvE4_clEvEUlS6_S6_E_S6_EEDaPvRmT3_T4_T5_mT6_P12ihipStream_tbENKUlT_T0_E_clISt17integral_constantIbLb0EESX_IbLb1EEEEDaST_SU_EUlST_E0_NS1_11comp_targetILNS1_3genE9ELNS1_11target_archE1100ELNS1_3gpuE3ELNS1_3repE0EEENS1_30default_config_static_selectorELNS0_4arch9wavefront6targetE1EEEvT1_, .Lfunc_end527-_ZN7rocprim17ROCPRIM_400000_NS6detail17trampoline_kernelINS0_14default_configENS1_20scan_config_selectorIN3c108BFloat16EEEZZNS1_9scan_implILNS1_25lookback_scan_determinismE0ELb0ELb0ES3_PKS6_PS6_S6_ZZZN2at6native31launch_logcumsumexp_cuda_kernelERKNSD_10TensorBaseESH_lENKUlvE_clEvENKUlvE4_clEvEUlS6_S6_E_S6_EEDaPvRmT3_T4_T5_mT6_P12ihipStream_tbENKUlT_T0_E_clISt17integral_constantIbLb0EESX_IbLb1EEEEDaST_SU_EUlST_E0_NS1_11comp_targetILNS1_3genE9ELNS1_11target_archE1100ELNS1_3gpuE3ELNS1_3repE0EEENS1_30default_config_static_selectorELNS0_4arch9wavefront6targetE1EEEvT1_
                                        ; -- End function
	.section	.AMDGPU.csdata,"",@progbits
; Kernel info:
; codeLenInByte = 0
; NumSgprs: 4
; NumVgprs: 0
; NumAgprs: 0
; TotalNumVgprs: 0
; ScratchSize: 0
; MemoryBound: 0
; FloatMode: 240
; IeeeMode: 1
; LDSByteSize: 0 bytes/workgroup (compile time only)
; SGPRBlocks: 0
; VGPRBlocks: 0
; NumSGPRsForWavesPerEU: 4
; NumVGPRsForWavesPerEU: 1
; AccumOffset: 4
; Occupancy: 8
; WaveLimiterHint : 0
; COMPUTE_PGM_RSRC2:SCRATCH_EN: 0
; COMPUTE_PGM_RSRC2:USER_SGPR: 6
; COMPUTE_PGM_RSRC2:TRAP_HANDLER: 0
; COMPUTE_PGM_RSRC2:TGID_X_EN: 1
; COMPUTE_PGM_RSRC2:TGID_Y_EN: 0
; COMPUTE_PGM_RSRC2:TGID_Z_EN: 0
; COMPUTE_PGM_RSRC2:TIDIG_COMP_CNT: 0
; COMPUTE_PGM_RSRC3_GFX90A:ACCUM_OFFSET: 0
; COMPUTE_PGM_RSRC3_GFX90A:TG_SPLIT: 0
	.section	.text._ZN7rocprim17ROCPRIM_400000_NS6detail17trampoline_kernelINS0_14default_configENS1_20scan_config_selectorIN3c108BFloat16EEEZZNS1_9scan_implILNS1_25lookback_scan_determinismE0ELb0ELb0ES3_PKS6_PS6_S6_ZZZN2at6native31launch_logcumsumexp_cuda_kernelERKNSD_10TensorBaseESH_lENKUlvE_clEvENKUlvE4_clEvEUlS6_S6_E_S6_EEDaPvRmT3_T4_T5_mT6_P12ihipStream_tbENKUlT_T0_E_clISt17integral_constantIbLb0EESX_IbLb1EEEEDaST_SU_EUlST_E0_NS1_11comp_targetILNS1_3genE8ELNS1_11target_archE1030ELNS1_3gpuE2ELNS1_3repE0EEENS1_30default_config_static_selectorELNS0_4arch9wavefront6targetE1EEEvT1_,"axG",@progbits,_ZN7rocprim17ROCPRIM_400000_NS6detail17trampoline_kernelINS0_14default_configENS1_20scan_config_selectorIN3c108BFloat16EEEZZNS1_9scan_implILNS1_25lookback_scan_determinismE0ELb0ELb0ES3_PKS6_PS6_S6_ZZZN2at6native31launch_logcumsumexp_cuda_kernelERKNSD_10TensorBaseESH_lENKUlvE_clEvENKUlvE4_clEvEUlS6_S6_E_S6_EEDaPvRmT3_T4_T5_mT6_P12ihipStream_tbENKUlT_T0_E_clISt17integral_constantIbLb0EESX_IbLb1EEEEDaST_SU_EUlST_E0_NS1_11comp_targetILNS1_3genE8ELNS1_11target_archE1030ELNS1_3gpuE2ELNS1_3repE0EEENS1_30default_config_static_selectorELNS0_4arch9wavefront6targetE1EEEvT1_,comdat
	.globl	_ZN7rocprim17ROCPRIM_400000_NS6detail17trampoline_kernelINS0_14default_configENS1_20scan_config_selectorIN3c108BFloat16EEEZZNS1_9scan_implILNS1_25lookback_scan_determinismE0ELb0ELb0ES3_PKS6_PS6_S6_ZZZN2at6native31launch_logcumsumexp_cuda_kernelERKNSD_10TensorBaseESH_lENKUlvE_clEvENKUlvE4_clEvEUlS6_S6_E_S6_EEDaPvRmT3_T4_T5_mT6_P12ihipStream_tbENKUlT_T0_E_clISt17integral_constantIbLb0EESX_IbLb1EEEEDaST_SU_EUlST_E0_NS1_11comp_targetILNS1_3genE8ELNS1_11target_archE1030ELNS1_3gpuE2ELNS1_3repE0EEENS1_30default_config_static_selectorELNS0_4arch9wavefront6targetE1EEEvT1_ ; -- Begin function _ZN7rocprim17ROCPRIM_400000_NS6detail17trampoline_kernelINS0_14default_configENS1_20scan_config_selectorIN3c108BFloat16EEEZZNS1_9scan_implILNS1_25lookback_scan_determinismE0ELb0ELb0ES3_PKS6_PS6_S6_ZZZN2at6native31launch_logcumsumexp_cuda_kernelERKNSD_10TensorBaseESH_lENKUlvE_clEvENKUlvE4_clEvEUlS6_S6_E_S6_EEDaPvRmT3_T4_T5_mT6_P12ihipStream_tbENKUlT_T0_E_clISt17integral_constantIbLb0EESX_IbLb1EEEEDaST_SU_EUlST_E0_NS1_11comp_targetILNS1_3genE8ELNS1_11target_archE1030ELNS1_3gpuE2ELNS1_3repE0EEENS1_30default_config_static_selectorELNS0_4arch9wavefront6targetE1EEEvT1_
	.p2align	8
	.type	_ZN7rocprim17ROCPRIM_400000_NS6detail17trampoline_kernelINS0_14default_configENS1_20scan_config_selectorIN3c108BFloat16EEEZZNS1_9scan_implILNS1_25lookback_scan_determinismE0ELb0ELb0ES3_PKS6_PS6_S6_ZZZN2at6native31launch_logcumsumexp_cuda_kernelERKNSD_10TensorBaseESH_lENKUlvE_clEvENKUlvE4_clEvEUlS6_S6_E_S6_EEDaPvRmT3_T4_T5_mT6_P12ihipStream_tbENKUlT_T0_E_clISt17integral_constantIbLb0EESX_IbLb1EEEEDaST_SU_EUlST_E0_NS1_11comp_targetILNS1_3genE8ELNS1_11target_archE1030ELNS1_3gpuE2ELNS1_3repE0EEENS1_30default_config_static_selectorELNS0_4arch9wavefront6targetE1EEEvT1_,@function
_ZN7rocprim17ROCPRIM_400000_NS6detail17trampoline_kernelINS0_14default_configENS1_20scan_config_selectorIN3c108BFloat16EEEZZNS1_9scan_implILNS1_25lookback_scan_determinismE0ELb0ELb0ES3_PKS6_PS6_S6_ZZZN2at6native31launch_logcumsumexp_cuda_kernelERKNSD_10TensorBaseESH_lENKUlvE_clEvENKUlvE4_clEvEUlS6_S6_E_S6_EEDaPvRmT3_T4_T5_mT6_P12ihipStream_tbENKUlT_T0_E_clISt17integral_constantIbLb0EESX_IbLb1EEEEDaST_SU_EUlST_E0_NS1_11comp_targetILNS1_3genE8ELNS1_11target_archE1030ELNS1_3gpuE2ELNS1_3repE0EEENS1_30default_config_static_selectorELNS0_4arch9wavefront6targetE1EEEvT1_: ; @_ZN7rocprim17ROCPRIM_400000_NS6detail17trampoline_kernelINS0_14default_configENS1_20scan_config_selectorIN3c108BFloat16EEEZZNS1_9scan_implILNS1_25lookback_scan_determinismE0ELb0ELb0ES3_PKS6_PS6_S6_ZZZN2at6native31launch_logcumsumexp_cuda_kernelERKNSD_10TensorBaseESH_lENKUlvE_clEvENKUlvE4_clEvEUlS6_S6_E_S6_EEDaPvRmT3_T4_T5_mT6_P12ihipStream_tbENKUlT_T0_E_clISt17integral_constantIbLb0EESX_IbLb1EEEEDaST_SU_EUlST_E0_NS1_11comp_targetILNS1_3genE8ELNS1_11target_archE1030ELNS1_3gpuE2ELNS1_3repE0EEENS1_30default_config_static_selectorELNS0_4arch9wavefront6targetE1EEEvT1_
; %bb.0:
	.section	.rodata,"a",@progbits
	.p2align	6, 0x0
	.amdhsa_kernel _ZN7rocprim17ROCPRIM_400000_NS6detail17trampoline_kernelINS0_14default_configENS1_20scan_config_selectorIN3c108BFloat16EEEZZNS1_9scan_implILNS1_25lookback_scan_determinismE0ELb0ELb0ES3_PKS6_PS6_S6_ZZZN2at6native31launch_logcumsumexp_cuda_kernelERKNSD_10TensorBaseESH_lENKUlvE_clEvENKUlvE4_clEvEUlS6_S6_E_S6_EEDaPvRmT3_T4_T5_mT6_P12ihipStream_tbENKUlT_T0_E_clISt17integral_constantIbLb0EESX_IbLb1EEEEDaST_SU_EUlST_E0_NS1_11comp_targetILNS1_3genE8ELNS1_11target_archE1030ELNS1_3gpuE2ELNS1_3repE0EEENS1_30default_config_static_selectorELNS0_4arch9wavefront6targetE1EEEvT1_
		.amdhsa_group_segment_fixed_size 0
		.amdhsa_private_segment_fixed_size 0
		.amdhsa_kernarg_size 32
		.amdhsa_user_sgpr_count 6
		.amdhsa_user_sgpr_private_segment_buffer 1
		.amdhsa_user_sgpr_dispatch_ptr 0
		.amdhsa_user_sgpr_queue_ptr 0
		.amdhsa_user_sgpr_kernarg_segment_ptr 1
		.amdhsa_user_sgpr_dispatch_id 0
		.amdhsa_user_sgpr_flat_scratch_init 0
		.amdhsa_user_sgpr_kernarg_preload_length 0
		.amdhsa_user_sgpr_kernarg_preload_offset 0
		.amdhsa_user_sgpr_private_segment_size 0
		.amdhsa_uses_dynamic_stack 0
		.amdhsa_system_sgpr_private_segment_wavefront_offset 0
		.amdhsa_system_sgpr_workgroup_id_x 1
		.amdhsa_system_sgpr_workgroup_id_y 0
		.amdhsa_system_sgpr_workgroup_id_z 0
		.amdhsa_system_sgpr_workgroup_info 0
		.amdhsa_system_vgpr_workitem_id 0
		.amdhsa_next_free_vgpr 1
		.amdhsa_next_free_sgpr 0
		.amdhsa_accum_offset 4
		.amdhsa_reserve_vcc 0
		.amdhsa_reserve_flat_scratch 0
		.amdhsa_float_round_mode_32 0
		.amdhsa_float_round_mode_16_64 0
		.amdhsa_float_denorm_mode_32 3
		.amdhsa_float_denorm_mode_16_64 3
		.amdhsa_dx10_clamp 1
		.amdhsa_ieee_mode 1
		.amdhsa_fp16_overflow 0
		.amdhsa_tg_split 0
		.amdhsa_exception_fp_ieee_invalid_op 0
		.amdhsa_exception_fp_denorm_src 0
		.amdhsa_exception_fp_ieee_div_zero 0
		.amdhsa_exception_fp_ieee_overflow 0
		.amdhsa_exception_fp_ieee_underflow 0
		.amdhsa_exception_fp_ieee_inexact 0
		.amdhsa_exception_int_div_zero 0
	.end_amdhsa_kernel
	.section	.text._ZN7rocprim17ROCPRIM_400000_NS6detail17trampoline_kernelINS0_14default_configENS1_20scan_config_selectorIN3c108BFloat16EEEZZNS1_9scan_implILNS1_25lookback_scan_determinismE0ELb0ELb0ES3_PKS6_PS6_S6_ZZZN2at6native31launch_logcumsumexp_cuda_kernelERKNSD_10TensorBaseESH_lENKUlvE_clEvENKUlvE4_clEvEUlS6_S6_E_S6_EEDaPvRmT3_T4_T5_mT6_P12ihipStream_tbENKUlT_T0_E_clISt17integral_constantIbLb0EESX_IbLb1EEEEDaST_SU_EUlST_E0_NS1_11comp_targetILNS1_3genE8ELNS1_11target_archE1030ELNS1_3gpuE2ELNS1_3repE0EEENS1_30default_config_static_selectorELNS0_4arch9wavefront6targetE1EEEvT1_,"axG",@progbits,_ZN7rocprim17ROCPRIM_400000_NS6detail17trampoline_kernelINS0_14default_configENS1_20scan_config_selectorIN3c108BFloat16EEEZZNS1_9scan_implILNS1_25lookback_scan_determinismE0ELb0ELb0ES3_PKS6_PS6_S6_ZZZN2at6native31launch_logcumsumexp_cuda_kernelERKNSD_10TensorBaseESH_lENKUlvE_clEvENKUlvE4_clEvEUlS6_S6_E_S6_EEDaPvRmT3_T4_T5_mT6_P12ihipStream_tbENKUlT_T0_E_clISt17integral_constantIbLb0EESX_IbLb1EEEEDaST_SU_EUlST_E0_NS1_11comp_targetILNS1_3genE8ELNS1_11target_archE1030ELNS1_3gpuE2ELNS1_3repE0EEENS1_30default_config_static_selectorELNS0_4arch9wavefront6targetE1EEEvT1_,comdat
.Lfunc_end528:
	.size	_ZN7rocprim17ROCPRIM_400000_NS6detail17trampoline_kernelINS0_14default_configENS1_20scan_config_selectorIN3c108BFloat16EEEZZNS1_9scan_implILNS1_25lookback_scan_determinismE0ELb0ELb0ES3_PKS6_PS6_S6_ZZZN2at6native31launch_logcumsumexp_cuda_kernelERKNSD_10TensorBaseESH_lENKUlvE_clEvENKUlvE4_clEvEUlS6_S6_E_S6_EEDaPvRmT3_T4_T5_mT6_P12ihipStream_tbENKUlT_T0_E_clISt17integral_constantIbLb0EESX_IbLb1EEEEDaST_SU_EUlST_E0_NS1_11comp_targetILNS1_3genE8ELNS1_11target_archE1030ELNS1_3gpuE2ELNS1_3repE0EEENS1_30default_config_static_selectorELNS0_4arch9wavefront6targetE1EEEvT1_, .Lfunc_end528-_ZN7rocprim17ROCPRIM_400000_NS6detail17trampoline_kernelINS0_14default_configENS1_20scan_config_selectorIN3c108BFloat16EEEZZNS1_9scan_implILNS1_25lookback_scan_determinismE0ELb0ELb0ES3_PKS6_PS6_S6_ZZZN2at6native31launch_logcumsumexp_cuda_kernelERKNSD_10TensorBaseESH_lENKUlvE_clEvENKUlvE4_clEvEUlS6_S6_E_S6_EEDaPvRmT3_T4_T5_mT6_P12ihipStream_tbENKUlT_T0_E_clISt17integral_constantIbLb0EESX_IbLb1EEEEDaST_SU_EUlST_E0_NS1_11comp_targetILNS1_3genE8ELNS1_11target_archE1030ELNS1_3gpuE2ELNS1_3repE0EEENS1_30default_config_static_selectorELNS0_4arch9wavefront6targetE1EEEvT1_
                                        ; -- End function
	.section	.AMDGPU.csdata,"",@progbits
; Kernel info:
; codeLenInByte = 0
; NumSgprs: 4
; NumVgprs: 0
; NumAgprs: 0
; TotalNumVgprs: 0
; ScratchSize: 0
; MemoryBound: 0
; FloatMode: 240
; IeeeMode: 1
; LDSByteSize: 0 bytes/workgroup (compile time only)
; SGPRBlocks: 0
; VGPRBlocks: 0
; NumSGPRsForWavesPerEU: 4
; NumVGPRsForWavesPerEU: 1
; AccumOffset: 4
; Occupancy: 8
; WaveLimiterHint : 0
; COMPUTE_PGM_RSRC2:SCRATCH_EN: 0
; COMPUTE_PGM_RSRC2:USER_SGPR: 6
; COMPUTE_PGM_RSRC2:TRAP_HANDLER: 0
; COMPUTE_PGM_RSRC2:TGID_X_EN: 1
; COMPUTE_PGM_RSRC2:TGID_Y_EN: 0
; COMPUTE_PGM_RSRC2:TGID_Z_EN: 0
; COMPUTE_PGM_RSRC2:TIDIG_COMP_CNT: 0
; COMPUTE_PGM_RSRC3_GFX90A:ACCUM_OFFSET: 0
; COMPUTE_PGM_RSRC3_GFX90A:TG_SPLIT: 0
	.section	.text._ZN2at6native32tensor_kernel_scan_innermost_dimIN3c108BFloat16EZZZNS0_31launch_logcumsumexp_cuda_kernelERKNS_10TensorBaseES6_lENKUlvE_clEvENKUlvE4_clEvEUlS3_S3_E_EEvPT_PKSA_jjjSA_T0_,"axG",@progbits,_ZN2at6native32tensor_kernel_scan_innermost_dimIN3c108BFloat16EZZZNS0_31launch_logcumsumexp_cuda_kernelERKNS_10TensorBaseES6_lENKUlvE_clEvENKUlvE4_clEvEUlS3_S3_E_EEvPT_PKSA_jjjSA_T0_,comdat
	.globl	_ZN2at6native32tensor_kernel_scan_innermost_dimIN3c108BFloat16EZZZNS0_31launch_logcumsumexp_cuda_kernelERKNS_10TensorBaseES6_lENKUlvE_clEvENKUlvE4_clEvEUlS3_S3_E_EEvPT_PKSA_jjjSA_T0_ ; -- Begin function _ZN2at6native32tensor_kernel_scan_innermost_dimIN3c108BFloat16EZZZNS0_31launch_logcumsumexp_cuda_kernelERKNS_10TensorBaseES6_lENKUlvE_clEvENKUlvE4_clEvEUlS3_S3_E_EEvPT_PKSA_jjjSA_T0_
	.p2align	8
	.type	_ZN2at6native32tensor_kernel_scan_innermost_dimIN3c108BFloat16EZZZNS0_31launch_logcumsumexp_cuda_kernelERKNS_10TensorBaseES6_lENKUlvE_clEvENKUlvE4_clEvEUlS3_S3_E_EEvPT_PKSA_jjjSA_T0_,@function
_ZN2at6native32tensor_kernel_scan_innermost_dimIN3c108BFloat16EZZZNS0_31launch_logcumsumexp_cuda_kernelERKNS_10TensorBaseES6_lENKUlvE_clEvENKUlvE4_clEvEUlS3_S3_E_EEvPT_PKSA_jjjSA_T0_: ; @_ZN2at6native32tensor_kernel_scan_innermost_dimIN3c108BFloat16EZZZNS0_31launch_logcumsumexp_cuda_kernelERKNS_10TensorBaseES6_lENKUlvE_clEvENKUlvE4_clEvEUlS3_S3_E_EEvPT_PKSA_jjjSA_T0_
; %bb.0:
	s_load_dwordx8 s[16:23], s[4:5], 0x0
	v_bfe_u32 v2, v0, 10, 10
	s_waitcnt lgkmcnt(0)
	s_lshl_b32 s7, 2, s22
	v_mul_lo_u32 v1, s7, v2
	s_mul_hi_u32 s0, s20, s21
	s_mov_b32 s14, s20
	v_lshl_add_u32 v3, v1, 1, 0
	s_cmp_lg_u32 s0, 0
	s_mov_b64 s[0:1], -1
	s_cbranch_scc1 .LBB529_30
; %bb.1:
	s_load_dword s2, s[4:5], 0x2c
	s_add_u32 s0, s4, 32
	s_addc_u32 s1, s5, 0
	s_waitcnt lgkmcnt(0)
	s_lshr_b32 s2, s2, 16
	s_mul_i32 s15, s6, s2
	s_cmp_ge_u32 s15, s20
	s_cbranch_scc1 .LBB529_29
; %bb.2:
	s_load_dword s29, s[0:1], 0x0
	s_lshl_b32 s28, 1, s22
	s_cmp_lg_u32 s21, 0
	v_and_b32_e32 v1, 0x3ff, v0
	v_lshl_add_u32 v10, v1, 1, v3
	s_waitcnt lgkmcnt(0)
	s_mul_i32 s29, s29, s2
	s_cselect_b64 s[2:3], -1, 0
	v_add_u32_e32 v12, -2, v3
	v_cndmask_b32_e64 v4, 0, 1, s[2:3]
	v_lshl_add_u32 v11, s28, 1, v10
	v_cmp_eq_u32_e64 s[0:1], 0, v1
	v_lshl_add_u32 v13, s7, 1, v12
	s_add_i32 s30, s22, 1
	v_cmp_ne_u32_e64 s[2:3], 1, v4
	v_mov_b32_e32 v5, 0
	s_movk_i32 s31, 0x1f8
	s_mov_b32 s33, 0x3fb8aa3b
	s_mov_b32 s34, 0xc2ce8ed0
	s_mov_b32 s35, 0x42b17218
	s_mov_b32 s36, 0x7f800000
	s_mov_b32 s37, 0x3f2aaaab
	v_mov_b32_e32 v14, 0x3f2aaada
	s_mov_b32 s38, 0x3f317218
	s_mov_b32 s39, 0x33800000
	s_movk_i32 s40, 0x7fff
	v_mov_b32_e32 v15, 0x7f800000
	v_mov_b32_e32 v6, 0x3f317218
	;; [unrolled: 1-line block ×3, first 2 shown]
	s_branch .LBB529_4
.LBB529_3:                              ;   in Loop: Header=BB529_4 Depth=1
	s_add_i32 s15, s15, s29
	s_cmp_ge_u32 s15, s20
	s_cbranch_scc1 .LBB529_29
.LBB529_4:                              ; =>This Loop Header: Depth=1
                                        ;     Child Loop BB529_7 Depth 2
                                        ;       Child Loop BB529_19 Depth 3
	s_and_b64 vcc, exec, s[2:3]
	s_cbranch_vccnz .LBB529_3
; %bb.5:                                ;   in Loop: Header=BB529_4 Depth=1
	v_add_u32_e32 v7, s15, v2
	v_mul_lo_u32 v4, v7, s21
	v_lshlrev_b64 v[8:9], 1, v[4:5]
	v_mov_b32_e32 v4, s19
	v_add_co_u32_e32 v17, vcc, s18, v8
	v_addc_co_u32_e32 v18, vcc, v4, v9, vcc
	v_mov_b32_e32 v4, s17
	v_add_co_u32_e32 v19, vcc, s16, v8
	v_addc_co_u32_e32 v20, vcc, v4, v9, vcc
	v_cmp_gt_u32_e32 vcc, s20, v7
	v_cmp_le_u32_e64 s[8:9], s20, v7
	s_mov_b32 s41, 0
	v_mov_b32_e32 v7, s23
	s_branch .LBB529_7
.LBB529_6:                              ;   in Loop: Header=BB529_7 Depth=2
	s_or_b64 exec, exec, s[12:13]
	ds_read_u16 v7, v13
	s_add_i32 s41, s41, s7
	s_cmp_ge_u32 s41, s21
	s_waitcnt lgkmcnt(0)
	s_barrier
	s_cbranch_scc1 .LBB529_3
.LBB529_7:                              ;   Parent Loop BB529_4 Depth=1
                                        ; =>  This Loop Header: Depth=2
                                        ;       Child Loop BB529_19 Depth 3
	v_add_u32_e32 v4, s41, v1
	v_add_u32_e32 v8, s28, v4
	s_and_saveexec_b64 s[24:25], vcc
	s_cbranch_execz .LBB529_16
; %bb.8:                                ;   in Loop: Header=BB529_7 Depth=2
	v_cmp_gt_u32_e64 s[10:11], s21, v4
	v_mov_b32_e32 v9, s23
	s_and_saveexec_b64 s[12:13], s[10:11]
	s_cbranch_execz .LBB529_10
; %bb.9:                                ;   in Loop: Header=BB529_7 Depth=2
	v_lshlrev_b64 v[22:23], 1, v[4:5]
	v_add_co_u32_e64 v22, s[10:11], v17, v22
	v_addc_co_u32_e64 v23, s[10:11], v18, v23, s[10:11]
	global_load_ushort v9, v[22:23], off
.LBB529_10:                             ;   in Loop: Header=BB529_7 Depth=2
	s_or_b64 exec, exec, s[12:13]
	s_waitcnt vmcnt(0)
	ds_write_b16 v10, v9
	v_cmp_gt_u32_e64 s[10:11], s21, v8
	v_mov_b32_e32 v9, s23
	s_and_saveexec_b64 s[12:13], s[10:11]
	s_cbranch_execz .LBB529_12
; %bb.11:                               ;   in Loop: Header=BB529_7 Depth=2
	v_mov_b32_e32 v9, v5
	v_lshlrev_b64 v[22:23], 1, v[8:9]
	v_add_co_u32_e64 v22, s[10:11], v17, v22
	v_addc_co_u32_e64 v23, s[10:11], v18, v23, s[10:11]
	global_load_ushort v9, v[22:23], off
.LBB529_12:                             ;   in Loop: Header=BB529_7 Depth=2
	s_or_b64 exec, exec, s[12:13]
	s_waitcnt vmcnt(0)
	ds_write_b16 v11, v9
	s_and_b64 exec, exec, s[0:1]
	s_cbranch_execz .LBB529_16
; %bb.13:                               ;   in Loop: Header=BB529_7 Depth=2
	ds_read_u16 v9, v3
	v_lshlrev_b32_e32 v22, 16, v7
	v_max_f32_e32 v23, v22, v22
	v_cmp_u_f32_e64 s[12:13], v22, v22
	s_waitcnt lgkmcnt(0)
	v_lshlrev_b32_e32 v7, 16, v9
	v_max_f32_e32 v9, v7, v7
	v_min_f32_e32 v21, v9, v23
	v_cmp_u_f32_e64 s[10:11], v7, v7
	v_max_f32_e32 v9, v9, v23
	v_cndmask_b32_e64 v21, v21, v7, s[10:11]
	v_cndmask_b32_e64 v9, v9, v7, s[10:11]
	;; [unrolled: 1-line block ×4, first 2 shown]
	v_cmp_neq_f32_e64 s[10:11], v21, v9
	v_cmp_class_f32_e64 s[12:13], v21, s31
	s_or_b64 s[10:11], s[10:11], s[12:13]
	s_and_saveexec_b64 s[12:13], s[10:11]
	s_cbranch_execz .LBB529_15
; %bb.14:                               ;   in Loop: Header=BB529_7 Depth=2
	v_sub_f32_e32 v7, v21, v9
	v_mul_f32_e32 v21, 0x3fb8aa3b, v7
	v_fma_f32 v22, v7, s33, -v21
	v_rndne_f32_e32 v23, v21
	v_fmac_f32_e32 v22, 0x32a5705f, v7
	v_sub_f32_e32 v21, v21, v23
	v_add_f32_e32 v21, v21, v22
	v_cvt_i32_f32_e32 v22, v23
	v_exp_f32_e32 v21, v21
	v_cmp_ngt_f32_e64 s[10:11], s34, v7
	v_ldexp_f32 v21, v21, v22
	v_cndmask_b32_e64 v21, 0, v21, s[10:11]
	v_cmp_nlt_f32_e64 s[10:11], s35, v7
	v_cndmask_b32_e64 v21, v15, v21, s[10:11]
	v_add_f32_e32 v7, 1.0, v21
	v_add_f32_e32 v22, -1.0, v7
	v_sub_f32_e32 v23, v22, v7
	v_add_f32_e32 v23, 1.0, v23
	v_sub_f32_e32 v22, v21, v22
	v_add_f32_e32 v24, v22, v23
	v_frexp_mant_f32_e32 v25, v7
	v_cvt_f64_f32_e32 v[22:23], v7
	v_frexp_exp_i32_f64_e32 v22, v[22:23]
	v_cmp_gt_f32_e64 s[10:11], s37, v25
	v_subbrev_co_u32_e64 v30, s[10:11], 0, v22, s[10:11]
	v_sub_u32_e32 v22, 0, v30
	v_ldexp_f32 v7, v7, v22
	v_ldexp_f32 v22, v24, v22
	v_add_f32_e32 v24, -1.0, v7
	v_add_f32_e32 v23, 1.0, v24
	v_sub_f32_e32 v23, v7, v23
	v_add_f32_e32 v25, v22, v23
	v_add_f32_e32 v23, 1.0, v7
	v_add_f32_e32 v26, -1.0, v23
	v_sub_f32_e32 v7, v7, v26
	v_add_f32_e32 v7, v22, v7
	v_add_f32_e32 v31, v23, v7
	v_rcp_f32_e32 v32, v31
	v_sub_f32_e32 v22, v23, v31
	v_add_f32_e32 v23, v24, v25
	v_add_f32_e32 v7, v7, v22
	v_mul_f32_e32 v34, v23, v32
	v_sub_f32_e32 v22, v24, v23
	v_mul_f32_e32 v24, v31, v34
	v_fma_f32 v26, v34, v31, -v24
	v_fmac_f32_e32 v26, v34, v7
	v_add_f32_e32 v33, v25, v22
	v_add_f32_e32 v22, v24, v26
	v_sub_f32_e32 v25, v23, v22
	v_pk_add_f32 v[28:29], v[22:23], v[24:25] neg_lo:[0,1] neg_hi:[0,1]
	v_mov_b32_e32 v27, v22
	v_pk_add_f32 v[22:23], v[28:29], v[26:27] neg_lo:[0,1] neg_hi:[0,1]
	v_add_f32_e32 v23, v33, v23
	v_add_f32_e32 v22, v22, v23
	;; [unrolled: 1-line block ×3, first 2 shown]
	v_mul_f32_e32 v33, v32, v23
	v_mul_f32_e32 v24, v31, v33
	v_fma_f32 v26, v33, v31, -v24
	v_fmac_f32_e32 v26, v33, v7
	v_sub_f32_e32 v7, v25, v23
	v_add_f32_e32 v7, v22, v7
	v_add_f32_e32 v22, v24, v26
	v_sub_f32_e32 v25, v23, v22
	v_pk_add_f32 v[28:29], v[22:23], v[24:25] neg_lo:[0,1] neg_hi:[0,1]
	v_mov_b32_e32 v27, v22
	v_pk_add_f32 v[22:23], v[28:29], v[26:27] neg_lo:[0,1] neg_hi:[0,1]
	v_add_f32_e32 v7, v7, v23
	v_add_f32_e32 v7, v22, v7
	;; [unrolled: 1-line block ×4, first 2 shown]
	v_sub_f32_e32 v22, v23, v34
	v_mul_f32_e32 v7, v32, v7
	v_sub_f32_e32 v22, v33, v22
	v_add_f32_e32 v24, v22, v7
	v_add_f32_e32 v26, v23, v24
	v_cvt_f32_i32_e32 v22, v30
	v_mul_f32_e32 v27, v26, v26
	v_mov_b32_e32 v7, 0x3ecc95a3
	v_sub_f32_e32 v23, v26, v23
	v_fmac_f32_e32 v7, 0x3e9b6dac, v27
	v_sub_f32_e32 v23, v24, v23
	v_fma_f32 v7, v27, v7, v14
	v_ldexp_f32 v28, v23, 1
	v_mul_f32_e32 v23, v26, v27
	v_ldexp_f32 v25, v26, 1
	v_pk_mul_f32 v[26:27], v[22:23], v[6:7]
	v_fma_f32 v24, v22, s38, -v26
	v_fmac_f32_e32 v24, 0xb102e308, v22
	v_pk_add_f32 v[22:23], v[26:27], v[24:25]
	v_sub_f32_e32 v7, v23, v25
	v_sub_f32_e32 v7, v27, v7
	v_add_f32_e32 v29, v28, v7
	v_mov_b32_e32 v28, v26
	v_pk_add_f32 v[26:27], v[22:23], v[26:27] neg_lo:[0,1] neg_hi:[0,1]
	v_pk_add_f32 v[30:31], v[22:23], v[28:29]
	v_mov_b32_e32 v27, v31
	v_mov_b32_e32 v25, v22
	v_pk_add_f32 v[32:33], v[24:25], v[26:27] neg_lo:[0,1] neg_hi:[0,1]
	v_pk_add_f32 v[24:25], v[24:25], v[26:27]
	v_mov_b32_e32 v26, v25
	v_pk_add_f32 v[34:35], v[26:27], v[22:23] neg_lo:[0,1] neg_hi:[0,1]
	v_mov_b32_e32 v7, v34
	v_pk_add_f32 v[36:37], v[30:31], v[6:7] neg_lo:[0,1] neg_hi:[0,1]
	v_mov_b32_e32 v24, v31
	v_mov_b32_e32 v30, v23
	;; [unrolled: 1-line block ×4, first 2 shown]
	v_pk_add_f32 v[24:25], v[24:25], v[30:31] neg_lo:[0,1] neg_hi:[0,1]
	v_mov_b32_e32 v28, v29
	v_mov_b32_e32 v29, v22
	v_pk_add_f32 v[22:23], v[28:29], v[24:25] neg_lo:[0,1] neg_hi:[0,1]
	v_mov_b32_e32 v36, v32
	v_pk_add_f32 v[24:25], v[36:37], v[22:23]
	v_mov_b32_e32 v28, v25
	v_pk_add_f32 v[28:29], v[24:25], v[28:29]
	v_pk_add_f32 v[26:27], v[26:27], v[28:29]
	v_mov_b32_e32 v25, v26
	v_pk_add_f32 v[30:31], v[24:25], v[32:33] neg_lo:[0,1] neg_hi:[0,1]
	v_mov_b32_e32 v23, v28
	v_sub_f32_e32 v7, v24, v30
	v_pk_add_f32 v[22:23], v[22:23], v[30:31] neg_lo:[0,1] neg_hi:[0,1]
	v_sub_f32_e32 v7, v32, v7
	v_add_f32_e32 v7, v22, v7
	v_add_f32_e32 v7, v7, v23
	v_cmp_eq_f32_e64 s[10:11], s36, v21
	v_cmp_lt_f32_e64 s[26:27], |v21|, s39
	v_add_f32_e32 v7, v26, v7
	s_or_b64 s[10:11], s[10:11], s[26:27]
	v_cndmask_b32_e64 v7, v7, v21, s[10:11]
	v_add_f32_e32 v7, v9, v7
.LBB529_15:                             ;   in Loop: Header=BB529_7 Depth=2
	s_or_b64 exec, exec, s[12:13]
	v_bfe_u32 v9, v7, 16, 1
	v_add3_u32 v9, v7, v9, s40
	v_lshrrev_b32_e32 v9, 16, v9
	v_cmp_o_f32_e64 s[10:11], v7, v7
	v_cndmask_b32_e64 v7, v16, v9, s[10:11]
	ds_write_b16 v3, v7
.LBB529_16:                             ;   in Loop: Header=BB529_7 Depth=2
	s_or_b64 exec, exec, s[24:25]
	s_mov_b64 s[24:25], 0
	v_mov_b32_e32 v7, 0
	s_waitcnt lgkmcnt(0)
	s_barrier
	s_branch .LBB529_19
.LBB529_17:                             ;   in Loop: Header=BB529_19 Depth=3
	s_or_b64 exec, exec, s[12:13]
	v_bfe_u32 v22, v7, 16, 1
	v_add3_u32 v22, v7, v22, s40
	v_lshrrev_b32_e32 v22, 16, v22
	v_cmp_o_f32_e64 s[10:11], v7, v7
	v_cndmask_b32_e64 v7, v16, v22, s[10:11]
	ds_write_b16 v21, v7
.LBB529_18:                             ;   in Loop: Header=BB529_19 Depth=3
	s_or_b64 exec, exec, s[26:27]
	v_cmp_eq_u32_e64 s[10:11], s30, v9
	s_or_b64 s[24:25], s[10:11], s[24:25]
	v_mov_b32_e32 v7, v9
	s_waitcnt lgkmcnt(0)
	s_barrier
	s_andn2_b64 exec, exec, s[24:25]
	s_cbranch_execz .LBB529_24
.LBB529_19:                             ;   Parent Loop BB529_4 Depth=1
                                        ;     Parent Loop BB529_7 Depth=2
                                        ; =>    This Inner Loop Header: Depth=3
	v_add_u32_e32 v9, 1, v7
	s_and_saveexec_b64 s[10:11], s[8:9]
	s_xor_b64 s[10:11], exec, s[10:11]
; %bb.20:                               ;   in Loop: Header=BB529_19 Depth=3
	v_add_u32_e32 v9, 1, v7
                                        ; implicit-def: $vgpr7
; %bb.21:                               ;   in Loop: Header=BB529_19 Depth=3
	s_andn2_saveexec_b64 s[26:27], s[10:11]
	s_cbranch_execz .LBB529_18
; %bb.22:                               ;   in Loop: Header=BB529_19 Depth=3
	v_lshlrev_b32_e64 v21, v7, 1
	v_lshrrev_b32_e32 v22, v7, v1
	v_bfm_b32 v7, v7, 0
	v_lshl_or_b32 v21, v22, v9, v21
	v_and_b32_e32 v7, v7, v1
	v_lshlrev_b32_e32 v22, 1, v21
	v_lshlrev_b32_e32 v7, 1, v7
	v_add3_u32 v21, v3, v22, v7
	v_add_u32_e32 v7, v12, v22
	ds_read_u16 v22, v21
	ds_read_u16 v23, v7
	s_waitcnt lgkmcnt(1)
	v_lshlrev_b32_e32 v7, 16, v22
	s_waitcnt lgkmcnt(0)
	v_lshlrev_b32_e32 v22, 16, v23
	v_max_f32_e32 v24, v22, v22
	v_max_f32_e32 v25, v7, v7
	v_min_f32_e32 v23, v25, v24
	v_cmp_u_f32_e64 s[10:11], v7, v7
	v_max_f32_e32 v24, v25, v24
	v_cndmask_b32_e64 v23, v23, v7, s[10:11]
	v_cmp_u_f32_e64 s[12:13], v22, v22
	v_cndmask_b32_e64 v24, v24, v7, s[10:11]
	v_cndmask_b32_e64 v23, v23, v22, s[12:13]
	;; [unrolled: 1-line block ×3, first 2 shown]
	v_cmp_neq_f32_e64 s[10:11], v23, v22
	v_cmp_class_f32_e64 s[12:13], v23, s31
	s_or_b64 s[10:11], s[10:11], s[12:13]
	s_and_saveexec_b64 s[12:13], s[10:11]
	s_cbranch_execz .LBB529_17
; %bb.23:                               ;   in Loop: Header=BB529_19 Depth=3
	v_sub_f32_e32 v7, v23, v22
	v_mul_f32_e32 v23, 0x3fb8aa3b, v7
	v_fma_f32 v24, v7, s33, -v23
	v_rndne_f32_e32 v25, v23
	v_fmac_f32_e32 v24, 0x32a5705f, v7
	v_sub_f32_e32 v23, v23, v25
	v_add_f32_e32 v23, v23, v24
	v_cvt_i32_f32_e32 v24, v25
	v_exp_f32_e32 v23, v23
	v_cmp_ngt_f32_e64 s[10:11], s34, v7
	v_ldexp_f32 v23, v23, v24
	v_cndmask_b32_e64 v23, 0, v23, s[10:11]
	v_cmp_nlt_f32_e64 s[10:11], s35, v7
	v_cndmask_b32_e64 v23, v15, v23, s[10:11]
	v_add_f32_e32 v7, 1.0, v23
	v_add_f32_e32 v24, -1.0, v7
	v_sub_f32_e32 v25, v24, v7
	v_add_f32_e32 v25, 1.0, v25
	v_sub_f32_e32 v24, v23, v24
	v_add_f32_e32 v26, v24, v25
	v_frexp_mant_f32_e32 v27, v7
	v_cvt_f64_f32_e32 v[24:25], v7
	v_frexp_exp_i32_f64_e32 v24, v[24:25]
	v_cmp_gt_f32_e64 s[10:11], s37, v27
	v_subbrev_co_u32_e64 v32, s[10:11], 0, v24, s[10:11]
	v_sub_u32_e32 v24, 0, v32
	v_ldexp_f32 v7, v7, v24
	v_ldexp_f32 v24, v26, v24
	v_add_f32_e32 v26, -1.0, v7
	v_add_f32_e32 v25, 1.0, v26
	v_sub_f32_e32 v25, v7, v25
	v_add_f32_e32 v27, v24, v25
	v_add_f32_e32 v25, 1.0, v7
	v_add_f32_e32 v28, -1.0, v25
	v_sub_f32_e32 v7, v7, v28
	v_add_f32_e32 v7, v24, v7
	v_add_f32_e32 v33, v25, v7
	v_rcp_f32_e32 v34, v33
	v_sub_f32_e32 v24, v25, v33
	v_add_f32_e32 v25, v26, v27
	v_add_f32_e32 v7, v7, v24
	v_mul_f32_e32 v36, v25, v34
	v_sub_f32_e32 v24, v26, v25
	v_mul_f32_e32 v26, v33, v36
	v_fma_f32 v28, v36, v33, -v26
	v_fmac_f32_e32 v28, v36, v7
	v_add_f32_e32 v35, v27, v24
	v_add_f32_e32 v24, v26, v28
	v_sub_f32_e32 v27, v25, v24
	v_pk_add_f32 v[30:31], v[24:25], v[26:27] neg_lo:[0,1] neg_hi:[0,1]
	v_mov_b32_e32 v29, v24
	v_pk_add_f32 v[24:25], v[30:31], v[28:29] neg_lo:[0,1] neg_hi:[0,1]
	v_add_f32_e32 v25, v35, v25
	v_add_f32_e32 v24, v24, v25
	v_add_f32_e32 v25, v27, v24
	v_mul_f32_e32 v35, v34, v25
	v_mul_f32_e32 v26, v33, v35
	v_fma_f32 v28, v35, v33, -v26
	v_fmac_f32_e32 v28, v35, v7
	v_sub_f32_e32 v7, v27, v25
	v_add_f32_e32 v7, v24, v7
	v_add_f32_e32 v24, v26, v28
	v_sub_f32_e32 v27, v25, v24
	v_pk_add_f32 v[30:31], v[24:25], v[26:27] neg_lo:[0,1] neg_hi:[0,1]
	v_mov_b32_e32 v29, v24
	v_pk_add_f32 v[24:25], v[30:31], v[28:29] neg_lo:[0,1] neg_hi:[0,1]
	v_add_f32_e32 v7, v7, v25
	v_add_f32_e32 v7, v24, v7
	;; [unrolled: 1-line block ×4, first 2 shown]
	v_sub_f32_e32 v24, v25, v36
	v_mul_f32_e32 v7, v34, v7
	v_sub_f32_e32 v24, v35, v24
	v_add_f32_e32 v26, v24, v7
	v_add_f32_e32 v28, v25, v26
	v_cvt_f32_i32_e32 v24, v32
	v_mul_f32_e32 v29, v28, v28
	v_mov_b32_e32 v7, 0x3ecc95a3
	v_sub_f32_e32 v25, v28, v25
	v_fmac_f32_e32 v7, 0x3e9b6dac, v29
	v_sub_f32_e32 v25, v26, v25
	v_fma_f32 v7, v29, v7, v14
	v_ldexp_f32 v30, v25, 1
	v_mul_f32_e32 v25, v28, v29
	v_ldexp_f32 v27, v28, 1
	v_pk_mul_f32 v[28:29], v[24:25], v[6:7]
	v_fma_f32 v26, v24, s38, -v28
	v_fmac_f32_e32 v26, 0xb102e308, v24
	v_pk_add_f32 v[24:25], v[28:29], v[26:27]
	v_sub_f32_e32 v7, v25, v27
	v_sub_f32_e32 v7, v29, v7
	v_add_f32_e32 v31, v30, v7
	v_mov_b32_e32 v30, v28
	v_pk_add_f32 v[28:29], v[24:25], v[28:29] neg_lo:[0,1] neg_hi:[0,1]
	v_pk_add_f32 v[32:33], v[24:25], v[30:31]
	v_mov_b32_e32 v29, v33
	v_mov_b32_e32 v27, v24
	v_pk_add_f32 v[34:35], v[26:27], v[28:29] neg_lo:[0,1] neg_hi:[0,1]
	v_pk_add_f32 v[26:27], v[26:27], v[28:29]
	v_mov_b32_e32 v28, v27
	v_pk_add_f32 v[36:37], v[28:29], v[24:25] neg_lo:[0,1] neg_hi:[0,1]
	v_mov_b32_e32 v7, v36
	v_pk_add_f32 v[38:39], v[32:33], v[6:7] neg_lo:[0,1] neg_hi:[0,1]
	v_mov_b32_e32 v26, v33
	v_mov_b32_e32 v32, v25
	;; [unrolled: 1-line block ×4, first 2 shown]
	v_pk_add_f32 v[26:27], v[26:27], v[32:33] neg_lo:[0,1] neg_hi:[0,1]
	v_mov_b32_e32 v30, v31
	v_mov_b32_e32 v31, v24
	v_pk_add_f32 v[24:25], v[30:31], v[26:27] neg_lo:[0,1] neg_hi:[0,1]
	v_mov_b32_e32 v38, v34
	v_pk_add_f32 v[26:27], v[38:39], v[24:25]
	v_mov_b32_e32 v30, v27
	v_pk_add_f32 v[30:31], v[26:27], v[30:31]
	v_pk_add_f32 v[28:29], v[28:29], v[30:31]
	v_mov_b32_e32 v27, v28
	v_pk_add_f32 v[32:33], v[26:27], v[34:35] neg_lo:[0,1] neg_hi:[0,1]
	v_mov_b32_e32 v25, v30
	v_sub_f32_e32 v7, v26, v32
	v_pk_add_f32 v[24:25], v[24:25], v[32:33] neg_lo:[0,1] neg_hi:[0,1]
	v_sub_f32_e32 v7, v34, v7
	v_add_f32_e32 v7, v24, v7
	v_add_f32_e32 v7, v7, v25
	v_cmp_eq_f32_e64 s[10:11], s36, v23
	v_cmp_lt_f32_e64 s[42:43], |v23|, s39
	v_add_f32_e32 v7, v28, v7
	s_or_b64 s[10:11], s[10:11], s[42:43]
	v_cndmask_b32_e64 v7, v7, v23, s[10:11]
	v_add_f32_e32 v7, v22, v7
	s_branch .LBB529_17
.LBB529_24:                             ;   in Loop: Header=BB529_7 Depth=2
	s_or_b64 exec, exec, s[24:25]
	s_and_saveexec_b64 s[12:13], vcc
	s_cbranch_execz .LBB529_6
; %bb.25:                               ;   in Loop: Header=BB529_7 Depth=2
	v_cmp_gt_u32_e64 s[10:11], s21, v4
	s_and_saveexec_b64 s[24:25], s[10:11]
	s_cbranch_execz .LBB529_27
; %bb.26:                               ;   in Loop: Header=BB529_7 Depth=2
	v_lshlrev_b64 v[22:23], 1, v[4:5]
	ds_read_u16 v4, v10
	v_add_co_u32_e64 v22, s[10:11], v19, v22
	v_addc_co_u32_e64 v23, s[10:11], v20, v23, s[10:11]
	s_waitcnt lgkmcnt(0)
	global_store_short v[22:23], v4, off
.LBB529_27:                             ;   in Loop: Header=BB529_7 Depth=2
	s_or_b64 exec, exec, s[24:25]
	v_cmp_gt_u32_e64 s[10:11], s21, v8
	s_and_b64 exec, exec, s[10:11]
	s_cbranch_execz .LBB529_6
; %bb.28:                               ;   in Loop: Header=BB529_7 Depth=2
	ds_read_u16 v4, v11
	v_mov_b32_e32 v9, v5
	v_lshlrev_b64 v[8:9], 1, v[8:9]
	v_add_co_u32_e64 v8, s[10:11], v19, v8
	v_addc_co_u32_e64 v9, s[10:11], v20, v9, s[10:11]
	s_waitcnt lgkmcnt(0)
	global_store_short v[8:9], v4, off
	s_branch .LBB529_6
.LBB529_29:
	s_mov_b64 s[0:1], 0
.LBB529_30:
	s_andn2_b64 vcc, exec, s[0:1]
	s_cbranch_vccnz .LBB529_61
; %bb.31:
	s_load_dword s0, s[4:5], 0x2c
	s_add_u32 s2, s4, 32
	s_mov_b32 s15, 0
	s_addc_u32 s3, s5, 0
	v_pk_mov_b32 v[4:5], s[14:15], s[14:15] op_sel:[0,1]
	s_waitcnt lgkmcnt(0)
	s_lshr_b32 s0, s0, 16
	s_mul_hi_u32 s11, s0, s6
	s_mul_i32 s10, s0, s6
	v_cmp_ge_u64_e32 vcc, s[10:11], v[4:5]
	s_cbranch_vccnz .LBB529_61
; %bb.32:
	s_lshl_b32 s12, 1, s22
	s_load_dword s5, s[2:3], 0x0
	s_and_b32 s4, 0xffff, s0
	s_ashr_i32 s13, s12, 31
	s_cmp_lg_u32 s21, 0
	s_mov_b32 s24, s21
	v_and_b32_e32 v0, 0x3ff, v0
	s_cselect_b64 s[2:3], -1, 0
	s_lshl_b64 s[20:21], s[12:13], 1
	v_lshl_add_u32 v14, v0, 1, v3
	s_lshl_b32 s6, s20, 1
	v_cndmask_b32_e64 v4, 0, 1, s[2:3]
	v_mov_b32_e32 v1, 0
	s_mov_b32 s25, s15
	v_lshl_add_u32 v15, s12, 1, v14
	v_cmp_eq_u32_e64 s[0:1], 0, v0
	v_add3_u32 v16, v3, s6, -2
	s_waitcnt lgkmcnt(0)
	s_mul_i32 s33, s5, s4
	s_add_i32 s22, s22, 1
	v_cmp_ne_u32_e64 s[2:3], 1, v4
	s_movk_i32 s34, 0x1f8
	s_mov_b32 s35, 0x3fb8aa3b
	s_mov_b32 s36, 0xc2ce8ed0
	;; [unrolled: 1-line block ×5, first 2 shown]
	v_mov_b32_e32 v17, 0x3f2aaada
	s_mov_b32 s40, 0x3f317218
	s_mov_b32 s41, 0x33800000
	s_movk_i32 s42, 0x7fff
	v_mov_b32_e32 v18, 0x7f800000
	v_mov_b32_e32 v4, 0x3f317218
	v_mov_b32_e32 v19, 0x7fc0
	s_branch .LBB529_34
.LBB529_33:                             ;   in Loop: Header=BB529_34 Depth=1
	s_add_u32 s10, s10, s33
	s_addc_u32 s11, s11, 0
	v_pk_mov_b32 v[6:7], s[14:15], s[14:15] op_sel:[0,1]
	v_cmp_ge_u64_e32 vcc, s[10:11], v[6:7]
	s_cbranch_vccnz .LBB529_61
.LBB529_34:                             ; =>This Loop Header: Depth=1
                                        ;     Child Loop BB529_37 Depth 2
                                        ;       Child Loop BB529_49 Depth 3
	s_and_b64 vcc, exec, s[2:3]
	s_cbranch_vccnz .LBB529_33
; %bb.35:                               ;   in Loop: Header=BB529_34 Depth=1
	v_add_co_u32_e32 v6, vcc, s10, v2
	v_mov_b32_e32 v5, s11
	v_mad_u64_u32 v[8:9], s[4:5], v6, s24, 0
	v_addc_co_u32_e32 v7, vcc, 0, v5, vcc
	v_mov_b32_e32 v10, v9
	v_mad_u64_u32 v[10:11], s[4:5], v7, s24, v[10:11]
	v_mov_b32_e32 v9, v10
	v_lshlrev_b64 v[8:9], 1, v[8:9]
	v_mov_b32_e32 v5, s19
	v_add_co_u32_e32 v20, vcc, s18, v8
	v_addc_co_u32_e32 v21, vcc, v5, v9, vcc
	v_mov_b32_e32 v5, s17
	v_add_co_u32_e32 v22, vcc, s16, v8
	v_addc_co_u32_e32 v23, vcc, v5, v9, vcc
	v_cmp_gt_u64_e64 s[4:5], s[14:15], v[6:7]
	v_cmp_le_u64_e64 s[6:7], s[14:15], v[6:7]
	s_mov_b64 s[26:27], 0
	v_mov_b32_e32 v5, s23
	s_branch .LBB529_37
.LBB529_36:                             ;   in Loop: Header=BB529_37 Depth=2
	s_or_b64 exec, exec, s[8:9]
	ds_read_u16 v5, v16
	s_add_u32 s26, s26, s20
	s_addc_u32 s27, s27, s21
	v_pk_mov_b32 v[6:7], s[24:25], s[24:25] op_sel:[0,1]
	v_cmp_ge_u64_e32 vcc, s[26:27], v[6:7]
	s_waitcnt lgkmcnt(0)
	s_barrier
	s_cbranch_vccnz .LBB529_33
.LBB529_37:                             ;   Parent Loop BB529_34 Depth=1
                                        ; =>  This Loop Header: Depth=2
                                        ;       Child Loop BB529_49 Depth 3
	v_mov_b32_e32 v6, s27
	v_add_co_u32_e32 v8, vcc, s26, v0
	v_addc_co_u32_e32 v9, vcc, 0, v6, vcc
	v_mov_b32_e32 v7, s13
	v_add_co_u32_e32 v6, vcc, s12, v8
	v_addc_co_u32_e32 v7, vcc, v9, v7, vcc
	s_and_saveexec_b64 s[28:29], s[4:5]
	s_cbranch_execz .LBB529_46
; %bb.38:                               ;   in Loop: Header=BB529_37 Depth=2
	v_cmp_gt_u64_e32 vcc, s[24:25], v[8:9]
	v_mov_b32_e32 v10, s23
	s_and_saveexec_b64 s[8:9], vcc
	s_cbranch_execz .LBB529_40
; %bb.39:                               ;   in Loop: Header=BB529_37 Depth=2
	v_lshlrev_b64 v[10:11], 1, v[8:9]
	v_add_co_u32_e32 v10, vcc, v20, v10
	v_addc_co_u32_e32 v11, vcc, v21, v11, vcc
	global_load_ushort v10, v[10:11], off
.LBB529_40:                             ;   in Loop: Header=BB529_37 Depth=2
	s_or_b64 exec, exec, s[8:9]
	s_waitcnt vmcnt(0)
	ds_write_b16 v14, v10
	v_cmp_gt_u64_e32 vcc, s[24:25], v[6:7]
	v_mov_b32_e32 v10, s23
	s_and_saveexec_b64 s[8:9], vcc
	s_cbranch_execz .LBB529_42
; %bb.41:                               ;   in Loop: Header=BB529_37 Depth=2
	v_lshlrev_b64 v[10:11], 1, v[6:7]
	v_add_co_u32_e32 v10, vcc, v20, v10
	v_addc_co_u32_e32 v11, vcc, v21, v11, vcc
	global_load_ushort v10, v[10:11], off
.LBB529_42:                             ;   in Loop: Header=BB529_37 Depth=2
	s_or_b64 exec, exec, s[8:9]
	s_waitcnt vmcnt(0)
	ds_write_b16 v15, v10
	s_and_b64 exec, exec, s[0:1]
	s_cbranch_execz .LBB529_46
; %bb.43:                               ;   in Loop: Header=BB529_37 Depth=2
	ds_read_u16 v10, v3
	v_lshlrev_b32_e32 v12, 16, v5
	v_max_f32_e32 v13, v12, v12
	v_cmp_u_f32_e64 s[8:9], v12, v12
	s_waitcnt lgkmcnt(0)
	v_lshlrev_b32_e32 v5, 16, v10
	v_max_f32_e32 v10, v5, v5
	v_min_f32_e32 v11, v10, v13
	v_cmp_u_f32_e32 vcc, v5, v5
	v_max_f32_e32 v10, v10, v13
	v_cndmask_b32_e32 v11, v11, v5, vcc
	v_cndmask_b32_e32 v10, v10, v5, vcc
	v_cndmask_b32_e64 v11, v11, v12, s[8:9]
	v_cndmask_b32_e64 v10, v10, v12, s[8:9]
	v_cmp_neq_f32_e32 vcc, v11, v10
	v_cmp_class_f32_e64 s[8:9], v11, s34
	s_or_b64 s[30:31], vcc, s[8:9]
	s_and_saveexec_b64 s[8:9], s[30:31]
	s_cbranch_execz .LBB529_45
; %bb.44:                               ;   in Loop: Header=BB529_37 Depth=2
	v_sub_f32_e32 v5, v11, v10
	v_mul_f32_e32 v11, 0x3fb8aa3b, v5
	v_fma_f32 v12, v5, s35, -v11
	v_rndne_f32_e32 v13, v11
	v_fmac_f32_e32 v12, 0x32a5705f, v5
	v_sub_f32_e32 v11, v11, v13
	v_add_f32_e32 v11, v11, v12
	v_cvt_i32_f32_e32 v12, v13
	v_exp_f32_e32 v11, v11
	v_cmp_ngt_f32_e32 vcc, s36, v5
	v_ldexp_f32 v11, v11, v12
	v_cndmask_b32_e32 v11, 0, v11, vcc
	v_cmp_nlt_f32_e32 vcc, s37, v5
	v_cndmask_b32_e32 v11, v18, v11, vcc
	v_add_f32_e32 v5, 1.0, v11
	v_add_f32_e32 v12, -1.0, v5
	v_sub_f32_e32 v13, v12, v5
	v_add_f32_e32 v13, 1.0, v13
	v_sub_f32_e32 v12, v11, v12
	v_add_f32_e32 v24, v12, v13
	v_frexp_mant_f32_e32 v25, v5
	v_cvt_f64_f32_e32 v[12:13], v5
	v_frexp_exp_i32_f64_e32 v12, v[12:13]
	v_cmp_gt_f32_e32 vcc, s39, v25
	v_subbrev_co_u32_e32 v30, vcc, 0, v12, vcc
	v_sub_u32_e32 v12, 0, v30
	v_ldexp_f32 v5, v5, v12
	v_ldexp_f32 v12, v24, v12
	v_add_f32_e32 v24, -1.0, v5
	v_add_f32_e32 v13, 1.0, v24
	v_sub_f32_e32 v13, v5, v13
	v_add_f32_e32 v25, v12, v13
	v_add_f32_e32 v13, 1.0, v5
	v_add_f32_e32 v26, -1.0, v13
	v_sub_f32_e32 v5, v5, v26
	v_add_f32_e32 v5, v12, v5
	v_add_f32_e32 v31, v13, v5
	v_rcp_f32_e32 v32, v31
	v_sub_f32_e32 v12, v13, v31
	v_add_f32_e32 v13, v24, v25
	v_add_f32_e32 v5, v5, v12
	v_mul_f32_e32 v34, v13, v32
	v_sub_f32_e32 v12, v24, v13
	v_mul_f32_e32 v24, v31, v34
	v_fma_f32 v26, v34, v31, -v24
	v_fmac_f32_e32 v26, v34, v5
	v_add_f32_e32 v33, v25, v12
	v_add_f32_e32 v12, v24, v26
	v_sub_f32_e32 v25, v13, v12
	v_pk_add_f32 v[28:29], v[12:13], v[24:25] neg_lo:[0,1] neg_hi:[0,1]
	v_mov_b32_e32 v27, v12
	v_pk_add_f32 v[12:13], v[28:29], v[26:27] neg_lo:[0,1] neg_hi:[0,1]
	v_add_f32_e32 v13, v33, v13
	v_add_f32_e32 v12, v12, v13
	;; [unrolled: 1-line block ×3, first 2 shown]
	v_mul_f32_e32 v33, v32, v13
	v_mul_f32_e32 v24, v31, v33
	v_fma_f32 v26, v33, v31, -v24
	v_fmac_f32_e32 v26, v33, v5
	v_sub_f32_e32 v5, v25, v13
	v_add_f32_e32 v5, v12, v5
	v_add_f32_e32 v12, v24, v26
	v_sub_f32_e32 v25, v13, v12
	v_pk_add_f32 v[28:29], v[12:13], v[24:25] neg_lo:[0,1] neg_hi:[0,1]
	v_mov_b32_e32 v27, v12
	v_pk_add_f32 v[12:13], v[28:29], v[26:27] neg_lo:[0,1] neg_hi:[0,1]
	v_add_f32_e32 v5, v5, v13
	v_add_f32_e32 v5, v12, v5
	;; [unrolled: 1-line block ×4, first 2 shown]
	v_sub_f32_e32 v12, v13, v34
	v_mul_f32_e32 v5, v32, v5
	v_sub_f32_e32 v12, v33, v12
	v_add_f32_e32 v24, v12, v5
	v_add_f32_e32 v26, v13, v24
	v_cvt_f32_i32_e32 v12, v30
	v_mul_f32_e32 v27, v26, v26
	v_mov_b32_e32 v5, 0x3ecc95a3
	v_sub_f32_e32 v13, v26, v13
	v_fmac_f32_e32 v5, 0x3e9b6dac, v27
	v_sub_f32_e32 v13, v24, v13
	v_fma_f32 v5, v27, v5, v17
	v_ldexp_f32 v28, v13, 1
	v_mul_f32_e32 v13, v26, v27
	v_ldexp_f32 v25, v26, 1
	v_pk_mul_f32 v[26:27], v[12:13], v[4:5]
	v_fma_f32 v24, v12, s40, -v26
	v_fmac_f32_e32 v24, 0xb102e308, v12
	v_pk_add_f32 v[12:13], v[26:27], v[24:25]
	v_sub_f32_e32 v5, v13, v25
	v_sub_f32_e32 v5, v27, v5
	v_add_f32_e32 v29, v28, v5
	v_mov_b32_e32 v28, v26
	v_pk_add_f32 v[26:27], v[12:13], v[26:27] neg_lo:[0,1] neg_hi:[0,1]
	v_pk_add_f32 v[30:31], v[12:13], v[28:29]
	v_mov_b32_e32 v27, v31
	v_mov_b32_e32 v25, v12
	v_pk_add_f32 v[32:33], v[24:25], v[26:27] neg_lo:[0,1] neg_hi:[0,1]
	v_pk_add_f32 v[24:25], v[24:25], v[26:27]
	v_mov_b32_e32 v26, v25
	v_pk_add_f32 v[34:35], v[26:27], v[12:13] neg_lo:[0,1] neg_hi:[0,1]
	v_mov_b32_e32 v5, v34
	v_pk_add_f32 v[36:37], v[30:31], v[4:5] neg_lo:[0,1] neg_hi:[0,1]
	v_mov_b32_e32 v24, v31
	v_mov_b32_e32 v30, v13
	;; [unrolled: 1-line block ×4, first 2 shown]
	v_pk_add_f32 v[24:25], v[24:25], v[30:31] neg_lo:[0,1] neg_hi:[0,1]
	v_mov_b32_e32 v28, v29
	v_mov_b32_e32 v29, v12
	v_pk_add_f32 v[12:13], v[28:29], v[24:25] neg_lo:[0,1] neg_hi:[0,1]
	v_mov_b32_e32 v36, v32
	v_pk_add_f32 v[24:25], v[36:37], v[12:13]
	v_mov_b32_e32 v28, v25
	v_pk_add_f32 v[28:29], v[24:25], v[28:29]
	v_pk_add_f32 v[26:27], v[26:27], v[28:29]
	v_mov_b32_e32 v25, v26
	v_pk_add_f32 v[30:31], v[24:25], v[32:33] neg_lo:[0,1] neg_hi:[0,1]
	v_mov_b32_e32 v13, v28
	v_sub_f32_e32 v5, v24, v30
	v_pk_add_f32 v[12:13], v[12:13], v[30:31] neg_lo:[0,1] neg_hi:[0,1]
	v_sub_f32_e32 v5, v32, v5
	v_add_f32_e32 v5, v12, v5
	v_add_f32_e32 v5, v5, v13
	v_cmp_eq_f32_e32 vcc, s38, v11
	v_cmp_lt_f32_e64 s[30:31], |v11|, s41
	v_add_f32_e32 v5, v26, v5
	s_or_b64 vcc, vcc, s[30:31]
	v_cndmask_b32_e32 v5, v5, v11, vcc
	v_add_f32_e32 v5, v10, v5
.LBB529_45:                             ;   in Loop: Header=BB529_37 Depth=2
	s_or_b64 exec, exec, s[8:9]
	v_bfe_u32 v10, v5, 16, 1
	v_add3_u32 v10, v5, v10, s42
	v_lshrrev_b32_e32 v10, 16, v10
	v_cmp_o_f32_e32 vcc, v5, v5
	v_cndmask_b32_e32 v5, v19, v10, vcc
	ds_write_b16 v3, v5
.LBB529_46:                             ;   in Loop: Header=BB529_37 Depth=2
	s_or_b64 exec, exec, s[28:29]
	s_mov_b64 s[28:29], 0
	v_mov_b32_e32 v5, 0
	s_waitcnt lgkmcnt(0)
	s_barrier
	s_branch .LBB529_49
.LBB529_47:                             ;   in Loop: Header=BB529_49 Depth=3
	s_or_b64 exec, exec, s[8:9]
	v_bfe_u32 v11, v5, 16, 1
	v_add3_u32 v11, v5, v11, s42
	v_lshrrev_b32_e32 v11, 16, v11
	v_cmp_o_f32_e32 vcc, v5, v5
	v_cndmask_b32_e32 v5, v19, v11, vcc
	ds_write_b16 v10, v5
.LBB529_48:                             ;   in Loop: Header=BB529_49 Depth=3
	s_or_b64 exec, exec, s[30:31]
	v_cmp_eq_u32_e32 vcc, s22, v24
	s_or_b64 s[28:29], vcc, s[28:29]
	v_mov_b32_e32 v5, v24
	s_waitcnt lgkmcnt(0)
	s_barrier
	s_andn2_b64 exec, exec, s[28:29]
	s_cbranch_execz .LBB529_56
.LBB529_49:                             ;   Parent Loop BB529_34 Depth=1
                                        ;     Parent Loop BB529_37 Depth=2
                                        ; =>    This Inner Loop Header: Depth=3
	v_add_u32_e32 v24, 1, v5
	s_and_saveexec_b64 s[8:9], s[6:7]
	s_xor_b64 s[8:9], exec, s[8:9]
; %bb.50:                               ;   in Loop: Header=BB529_49 Depth=3
	v_add_u32_e32 v24, 1, v5
                                        ; implicit-def: $vgpr5
; %bb.51:                               ;   in Loop: Header=BB529_49 Depth=3
	s_andn2_saveexec_b64 s[30:31], s[8:9]
	s_cbranch_execz .LBB529_48
; %bb.52:                               ;   in Loop: Header=BB529_49 Depth=3
	v_lshlrev_b32_e64 v10, v5, 1
	v_ashrrev_i32_e32 v11, 31, v10
	v_cmp_ge_u64_e32 vcc, v[0:1], v[10:11]
	v_pk_mov_b32 v[12:13], v[0:1], v[0:1] op_sel:[0,1]
	s_and_saveexec_b64 s[8:9], vcc
	s_cbranch_execz .LBB529_54
; %bb.53:                               ;   in Loop: Header=BB529_49 Depth=3
	v_cvt_f32_u32_e32 v11, v10
	v_sub_u32_e32 v12, 0, v10
	v_rcp_iflag_f32_e32 v11, v11
	v_mul_f32_e32 v11, 0x4f7ffffe, v11
	v_cvt_u32_f32_e32 v11, v11
	v_mul_lo_u32 v12, v12, v11
	v_mul_hi_u32 v12, v11, v12
	v_add_u32_e32 v11, v11, v12
	v_mul_hi_u32 v11, v0, v11
	v_mul_lo_u32 v11, v11, v10
	v_sub_u32_e32 v11, v0, v11
	v_sub_u32_e32 v12, v11, v10
	v_cmp_ge_u32_e32 vcc, v11, v10
	v_cndmask_b32_e32 v11, v11, v12, vcc
	v_sub_u32_e32 v12, v11, v10
	v_cmp_ge_u32_e32 vcc, v11, v10
	v_cndmask_b32_e32 v12, v11, v12, vcc
.LBB529_54:                             ;   in Loop: Header=BB529_49 Depth=3
	s_or_b64 exec, exec, s[8:9]
	v_lshrrev_b32_e32 v5, v5, v0
	v_lshl_or_b32 v5, v5, v24, v10
	v_lshl_add_u32 v5, v5, 1, v3
	v_lshl_add_u32 v10, v12, 1, v5
	v_add_u32_e32 v5, -2, v5
	ds_read_u16 v11, v10
	ds_read_u16 v12, v5
	s_waitcnt lgkmcnt(1)
	v_lshlrev_b32_e32 v5, 16, v11
	s_waitcnt lgkmcnt(0)
	v_lshlrev_b32_e32 v11, 16, v12
	v_max_f32_e32 v13, v11, v11
	v_max_f32_e32 v25, v5, v5
	v_min_f32_e32 v12, v25, v13
	v_cmp_u_f32_e32 vcc, v5, v5
	v_max_f32_e32 v13, v25, v13
	v_cndmask_b32_e32 v12, v12, v5, vcc
	v_cmp_u_f32_e64 s[8:9], v11, v11
	v_cndmask_b32_e32 v13, v13, v5, vcc
	v_cndmask_b32_e64 v12, v12, v11, s[8:9]
	v_cndmask_b32_e64 v11, v13, v11, s[8:9]
	v_cmp_neq_f32_e32 vcc, v12, v11
	v_cmp_class_f32_e64 s[8:9], v12, s34
	s_or_b64 s[44:45], vcc, s[8:9]
	s_and_saveexec_b64 s[8:9], s[44:45]
	s_cbranch_execz .LBB529_47
; %bb.55:                               ;   in Loop: Header=BB529_49 Depth=3
	v_sub_f32_e32 v5, v12, v11
	v_mul_f32_e32 v12, 0x3fb8aa3b, v5
	v_fma_f32 v13, v5, s35, -v12
	v_rndne_f32_e32 v25, v12
	v_fmac_f32_e32 v13, 0x32a5705f, v5
	v_sub_f32_e32 v12, v12, v25
	v_add_f32_e32 v12, v12, v13
	v_cvt_i32_f32_e32 v13, v25
	v_exp_f32_e32 v12, v12
	v_cmp_ngt_f32_e32 vcc, s36, v5
	v_ldexp_f32 v12, v12, v13
	v_cndmask_b32_e32 v12, 0, v12, vcc
	v_cmp_nlt_f32_e32 vcc, s37, v5
	v_cndmask_b32_e32 v25, v18, v12, vcc
	v_add_f32_e32 v5, 1.0, v25
	v_add_f32_e32 v12, -1.0, v5
	v_sub_f32_e32 v13, v12, v5
	v_add_f32_e32 v13, 1.0, v13
	v_sub_f32_e32 v12, v25, v12
	v_add_f32_e32 v26, v12, v13
	v_frexp_mant_f32_e32 v27, v5
	v_cvt_f64_f32_e32 v[12:13], v5
	v_frexp_exp_i32_f64_e32 v12, v[12:13]
	v_cmp_gt_f32_e32 vcc, s39, v27
	v_subbrev_co_u32_e32 v32, vcc, 0, v12, vcc
	v_sub_u32_e32 v12, 0, v32
	v_ldexp_f32 v5, v5, v12
	v_ldexp_f32 v12, v26, v12
	v_add_f32_e32 v26, -1.0, v5
	v_add_f32_e32 v13, 1.0, v26
	v_sub_f32_e32 v13, v5, v13
	v_add_f32_e32 v27, v12, v13
	v_add_f32_e32 v13, 1.0, v5
	v_add_f32_e32 v28, -1.0, v13
	v_sub_f32_e32 v5, v5, v28
	v_add_f32_e32 v5, v12, v5
	v_add_f32_e32 v33, v13, v5
	v_rcp_f32_e32 v34, v33
	v_sub_f32_e32 v12, v13, v33
	v_add_f32_e32 v13, v26, v27
	v_add_f32_e32 v5, v5, v12
	v_mul_f32_e32 v36, v13, v34
	v_sub_f32_e32 v12, v26, v13
	v_mul_f32_e32 v26, v33, v36
	v_fma_f32 v28, v36, v33, -v26
	v_fmac_f32_e32 v28, v36, v5
	v_add_f32_e32 v35, v27, v12
	v_add_f32_e32 v12, v26, v28
	v_sub_f32_e32 v27, v13, v12
	v_pk_add_f32 v[30:31], v[12:13], v[26:27] neg_lo:[0,1] neg_hi:[0,1]
	v_mov_b32_e32 v29, v12
	v_pk_add_f32 v[12:13], v[30:31], v[28:29] neg_lo:[0,1] neg_hi:[0,1]
	v_add_f32_e32 v13, v35, v13
	v_add_f32_e32 v12, v12, v13
	;; [unrolled: 1-line block ×3, first 2 shown]
	v_mul_f32_e32 v35, v34, v13
	v_mul_f32_e32 v26, v33, v35
	v_fma_f32 v28, v35, v33, -v26
	v_fmac_f32_e32 v28, v35, v5
	v_sub_f32_e32 v5, v27, v13
	v_add_f32_e32 v5, v12, v5
	v_add_f32_e32 v12, v26, v28
	v_sub_f32_e32 v27, v13, v12
	v_pk_add_f32 v[30:31], v[12:13], v[26:27] neg_lo:[0,1] neg_hi:[0,1]
	v_mov_b32_e32 v29, v12
	v_pk_add_f32 v[12:13], v[30:31], v[28:29] neg_lo:[0,1] neg_hi:[0,1]
	v_add_f32_e32 v5, v5, v13
	v_add_f32_e32 v5, v12, v5
	;; [unrolled: 1-line block ×4, first 2 shown]
	v_sub_f32_e32 v12, v13, v36
	v_mul_f32_e32 v5, v34, v5
	v_sub_f32_e32 v12, v35, v12
	v_add_f32_e32 v26, v12, v5
	v_add_f32_e32 v28, v13, v26
	v_cvt_f32_i32_e32 v12, v32
	v_mul_f32_e32 v29, v28, v28
	v_mov_b32_e32 v5, 0x3ecc95a3
	v_sub_f32_e32 v13, v28, v13
	v_fmac_f32_e32 v5, 0x3e9b6dac, v29
	v_sub_f32_e32 v13, v26, v13
	v_fma_f32 v5, v29, v5, v17
	v_ldexp_f32 v30, v13, 1
	v_mul_f32_e32 v13, v28, v29
	v_ldexp_f32 v27, v28, 1
	v_pk_mul_f32 v[28:29], v[12:13], v[4:5]
	v_fma_f32 v26, v12, s40, -v28
	v_fmac_f32_e32 v26, 0xb102e308, v12
	v_pk_add_f32 v[12:13], v[28:29], v[26:27]
	v_sub_f32_e32 v5, v13, v27
	v_sub_f32_e32 v5, v29, v5
	v_add_f32_e32 v31, v30, v5
	v_mov_b32_e32 v30, v28
	v_pk_add_f32 v[28:29], v[12:13], v[28:29] neg_lo:[0,1] neg_hi:[0,1]
	v_pk_add_f32 v[32:33], v[12:13], v[30:31]
	v_mov_b32_e32 v29, v33
	v_mov_b32_e32 v27, v12
	v_pk_add_f32 v[34:35], v[26:27], v[28:29] neg_lo:[0,1] neg_hi:[0,1]
	v_pk_add_f32 v[26:27], v[26:27], v[28:29]
	v_mov_b32_e32 v28, v27
	v_pk_add_f32 v[36:37], v[28:29], v[12:13] neg_lo:[0,1] neg_hi:[0,1]
	v_mov_b32_e32 v5, v36
	v_pk_add_f32 v[38:39], v[32:33], v[4:5] neg_lo:[0,1] neg_hi:[0,1]
	v_mov_b32_e32 v26, v33
	v_mov_b32_e32 v32, v13
	v_mov_b32_e32 v33, v36
	v_mov_b32_e32 v35, v27
	v_pk_add_f32 v[26:27], v[26:27], v[32:33] neg_lo:[0,1] neg_hi:[0,1]
	v_mov_b32_e32 v30, v31
	v_mov_b32_e32 v31, v12
	v_pk_add_f32 v[12:13], v[30:31], v[26:27] neg_lo:[0,1] neg_hi:[0,1]
	v_mov_b32_e32 v38, v34
	v_pk_add_f32 v[26:27], v[38:39], v[12:13]
	v_mov_b32_e32 v30, v27
	v_pk_add_f32 v[30:31], v[26:27], v[30:31]
	v_pk_add_f32 v[28:29], v[28:29], v[30:31]
	v_mov_b32_e32 v27, v28
	v_pk_add_f32 v[32:33], v[26:27], v[34:35] neg_lo:[0,1] neg_hi:[0,1]
	v_mov_b32_e32 v13, v30
	v_sub_f32_e32 v5, v26, v32
	v_pk_add_f32 v[12:13], v[12:13], v[32:33] neg_lo:[0,1] neg_hi:[0,1]
	v_sub_f32_e32 v5, v34, v5
	v_add_f32_e32 v5, v12, v5
	v_add_f32_e32 v5, v5, v13
	v_cmp_eq_f32_e32 vcc, s38, v25
	v_cmp_lt_f32_e64 s[44:45], |v25|, s41
	v_add_f32_e32 v5, v28, v5
	s_or_b64 vcc, vcc, s[44:45]
	v_cndmask_b32_e32 v5, v5, v25, vcc
	v_add_f32_e32 v5, v11, v5
	s_branch .LBB529_47
.LBB529_56:                             ;   in Loop: Header=BB529_37 Depth=2
	s_or_b64 exec, exec, s[28:29]
	s_and_saveexec_b64 s[8:9], s[4:5]
	s_cbranch_execz .LBB529_36
; %bb.57:                               ;   in Loop: Header=BB529_37 Depth=2
	v_cmp_gt_u64_e32 vcc, s[24:25], v[8:9]
	s_and_saveexec_b64 s[28:29], vcc
	s_cbranch_execz .LBB529_59
; %bb.58:                               ;   in Loop: Header=BB529_37 Depth=2
	ds_read_u16 v5, v14
	v_lshlrev_b64 v[8:9], 1, v[8:9]
	v_add_co_u32_e32 v8, vcc, v22, v8
	v_addc_co_u32_e32 v9, vcc, v23, v9, vcc
	s_waitcnt lgkmcnt(0)
	global_store_short v[8:9], v5, off
.LBB529_59:                             ;   in Loop: Header=BB529_37 Depth=2
	s_or_b64 exec, exec, s[28:29]
	v_cmp_gt_u64_e32 vcc, s[24:25], v[6:7]
	s_and_b64 exec, exec, vcc
	s_cbranch_execz .LBB529_36
; %bb.60:                               ;   in Loop: Header=BB529_37 Depth=2
	ds_read_u16 v5, v15
	v_lshlrev_b64 v[6:7], 1, v[6:7]
	v_add_co_u32_e32 v6, vcc, v22, v6
	v_addc_co_u32_e32 v7, vcc, v23, v7, vcc
	s_waitcnt lgkmcnt(0)
	global_store_short v[6:7], v5, off
	s_branch .LBB529_36
.LBB529_61:
	s_endpgm
	.section	.rodata,"a",@progbits
	.p2align	6, 0x0
	.amdhsa_kernel _ZN2at6native32tensor_kernel_scan_innermost_dimIN3c108BFloat16EZZZNS0_31launch_logcumsumexp_cuda_kernelERKNS_10TensorBaseES6_lENKUlvE_clEvENKUlvE4_clEvEUlS3_S3_E_EEvPT_PKSA_jjjSA_T0_
		.amdhsa_group_segment_fixed_size 0
		.amdhsa_private_segment_fixed_size 0
		.amdhsa_kernarg_size 288
		.amdhsa_user_sgpr_count 6
		.amdhsa_user_sgpr_private_segment_buffer 1
		.amdhsa_user_sgpr_dispatch_ptr 0
		.amdhsa_user_sgpr_queue_ptr 0
		.amdhsa_user_sgpr_kernarg_segment_ptr 1
		.amdhsa_user_sgpr_dispatch_id 0
		.amdhsa_user_sgpr_flat_scratch_init 0
		.amdhsa_user_sgpr_kernarg_preload_length 0
		.amdhsa_user_sgpr_kernarg_preload_offset 0
		.amdhsa_user_sgpr_private_segment_size 0
		.amdhsa_uses_dynamic_stack 0
		.amdhsa_system_sgpr_private_segment_wavefront_offset 0
		.amdhsa_system_sgpr_workgroup_id_x 1
		.amdhsa_system_sgpr_workgroup_id_y 0
		.amdhsa_system_sgpr_workgroup_id_z 0
		.amdhsa_system_sgpr_workgroup_info 0
		.amdhsa_system_vgpr_workitem_id 1
		.amdhsa_next_free_vgpr 40
		.amdhsa_next_free_sgpr 46
		.amdhsa_accum_offset 40
		.amdhsa_reserve_vcc 1
		.amdhsa_reserve_flat_scratch 0
		.amdhsa_float_round_mode_32 0
		.amdhsa_float_round_mode_16_64 0
		.amdhsa_float_denorm_mode_32 3
		.amdhsa_float_denorm_mode_16_64 3
		.amdhsa_dx10_clamp 1
		.amdhsa_ieee_mode 1
		.amdhsa_fp16_overflow 0
		.amdhsa_tg_split 0
		.amdhsa_exception_fp_ieee_invalid_op 0
		.amdhsa_exception_fp_denorm_src 0
		.amdhsa_exception_fp_ieee_div_zero 0
		.amdhsa_exception_fp_ieee_overflow 0
		.amdhsa_exception_fp_ieee_underflow 0
		.amdhsa_exception_fp_ieee_inexact 0
		.amdhsa_exception_int_div_zero 0
	.end_amdhsa_kernel
	.section	.text._ZN2at6native32tensor_kernel_scan_innermost_dimIN3c108BFloat16EZZZNS0_31launch_logcumsumexp_cuda_kernelERKNS_10TensorBaseES6_lENKUlvE_clEvENKUlvE4_clEvEUlS3_S3_E_EEvPT_PKSA_jjjSA_T0_,"axG",@progbits,_ZN2at6native32tensor_kernel_scan_innermost_dimIN3c108BFloat16EZZZNS0_31launch_logcumsumexp_cuda_kernelERKNS_10TensorBaseES6_lENKUlvE_clEvENKUlvE4_clEvEUlS3_S3_E_EEvPT_PKSA_jjjSA_T0_,comdat
.Lfunc_end529:
	.size	_ZN2at6native32tensor_kernel_scan_innermost_dimIN3c108BFloat16EZZZNS0_31launch_logcumsumexp_cuda_kernelERKNS_10TensorBaseES6_lENKUlvE_clEvENKUlvE4_clEvEUlS3_S3_E_EEvPT_PKSA_jjjSA_T0_, .Lfunc_end529-_ZN2at6native32tensor_kernel_scan_innermost_dimIN3c108BFloat16EZZZNS0_31launch_logcumsumexp_cuda_kernelERKNS_10TensorBaseES6_lENKUlvE_clEvENKUlvE4_clEvEUlS3_S3_E_EEvPT_PKSA_jjjSA_T0_
                                        ; -- End function
	.section	.AMDGPU.csdata,"",@progbits
; Kernel info:
; codeLenInByte = 5148
; NumSgprs: 50
; NumVgprs: 40
; NumAgprs: 0
; TotalNumVgprs: 40
; ScratchSize: 0
; MemoryBound: 0
; FloatMode: 240
; IeeeMode: 1
; LDSByteSize: 0 bytes/workgroup (compile time only)
; SGPRBlocks: 6
; VGPRBlocks: 4
; NumSGPRsForWavesPerEU: 50
; NumVGPRsForWavesPerEU: 40
; AccumOffset: 40
; Occupancy: 8
; WaveLimiterHint : 0
; COMPUTE_PGM_RSRC2:SCRATCH_EN: 0
; COMPUTE_PGM_RSRC2:USER_SGPR: 6
; COMPUTE_PGM_RSRC2:TRAP_HANDLER: 0
; COMPUTE_PGM_RSRC2:TGID_X_EN: 1
; COMPUTE_PGM_RSRC2:TGID_Y_EN: 0
; COMPUTE_PGM_RSRC2:TGID_Z_EN: 0
; COMPUTE_PGM_RSRC2:TIDIG_COMP_CNT: 1
; COMPUTE_PGM_RSRC3_GFX90A:ACCUM_OFFSET: 9
; COMPUTE_PGM_RSRC3_GFX90A:TG_SPLIT: 0
	.section	.text._ZN2at6native28tensor_kernel_scan_outer_dimIN3c108BFloat16EjZZZNS0_31launch_logcumsumexp_cuda_kernelERKNS_10TensorBaseES6_lENKUlvE_clEvENKUlvE4_clEvEUlS3_S3_E_EEvPT_PKSA_jjjSA_T1_,"axG",@progbits,_ZN2at6native28tensor_kernel_scan_outer_dimIN3c108BFloat16EjZZZNS0_31launch_logcumsumexp_cuda_kernelERKNS_10TensorBaseES6_lENKUlvE_clEvENKUlvE4_clEvEUlS3_S3_E_EEvPT_PKSA_jjjSA_T1_,comdat
	.globl	_ZN2at6native28tensor_kernel_scan_outer_dimIN3c108BFloat16EjZZZNS0_31launch_logcumsumexp_cuda_kernelERKNS_10TensorBaseES6_lENKUlvE_clEvENKUlvE4_clEvEUlS3_S3_E_EEvPT_PKSA_jjjSA_T1_ ; -- Begin function _ZN2at6native28tensor_kernel_scan_outer_dimIN3c108BFloat16EjZZZNS0_31launch_logcumsumexp_cuda_kernelERKNS_10TensorBaseES6_lENKUlvE_clEvENKUlvE4_clEvEUlS3_S3_E_EEvPT_PKSA_jjjSA_T1_
	.p2align	8
	.type	_ZN2at6native28tensor_kernel_scan_outer_dimIN3c108BFloat16EjZZZNS0_31launch_logcumsumexp_cuda_kernelERKNS_10TensorBaseES6_lENKUlvE_clEvENKUlvE4_clEvEUlS3_S3_E_EEvPT_PKSA_jjjSA_T1_,@function
_ZN2at6native28tensor_kernel_scan_outer_dimIN3c108BFloat16EjZZZNS0_31launch_logcumsumexp_cuda_kernelERKNS_10TensorBaseES6_lENKUlvE_clEvENKUlvE4_clEvEUlS3_S3_E_EEvPT_PKSA_jjjSA_T1_: ; @_ZN2at6native28tensor_kernel_scan_outer_dimIN3c108BFloat16EjZZZNS0_31launch_logcumsumexp_cuda_kernelERKNS_10TensorBaseES6_lENKUlvE_clEvENKUlvE4_clEvEUlS3_S3_E_EEvPT_PKSA_jjjSA_T1_
; %bb.0:
	s_load_dwordx4 s[8:11], s[4:5], 0x10
	s_waitcnt lgkmcnt(0)
	s_cmp_ge_u32 s6, s8
	s_cbranch_scc1 .LBB530_11
; %bb.1:
	s_load_dword s0, s[4:5], 0x2c
	s_load_dwordx4 s[12:15], s[4:5], 0x0
	s_load_dword s28, s[4:5], 0x20
	s_add_u32 s4, s4, 32
	s_addc_u32 s5, s5, 0
	s_waitcnt lgkmcnt(0)
	s_and_b32 s29, s0, 0xffff
	s_cmp_lg_u32 s10, 0
	s_mul_i32 s2, s6, s10
	s_mul_i32 s7, s7, s29
	;; [unrolled: 1-line block ×3, first 2 shown]
	s_cselect_b64 s[2:3], -1, 0
	v_add_u32_e32 v6, s7, v0
	s_mov_b32 s17, 0
	s_mov_b32 s16, s9
	s_mul_i32 s7, s28, s10
	v_cndmask_b32_e64 v0, 0, 1, s[2:3]
	v_cmp_gt_u32_e64 s[0:1], s9, v6
	s_mul_i32 s7, s7, s9
	s_lshl_b64 s[18:19], s[16:17], 1
	v_cmp_ne_u32_e64 s[2:3], 1, v0
	v_mov_b32_e32 v1, 0
	s_movk_i32 s30, 0x1f8
	s_mov_b32 s31, 0x3fb8aa3b
	s_mov_b32 s33, 0xc2ce8ed0
	;; [unrolled: 1-line block ×5, first 2 shown]
	v_mov_b32_e32 v7, 0x3f2aaada
	s_mov_b32 s37, 0x3f317218
	s_mov_b32 s38, 0x33800000
	s_movk_i32 s39, 0x7fff
	v_mov_b32_e32 v8, 0x7f800000
	v_mov_b32_e32 v2, 0x3f317218
	;; [unrolled: 1-line block ×3, first 2 shown]
	s_mov_b32 s16, s20
	s_branch .LBB530_3
.LBB530_2:                              ;   in Loop: Header=BB530_3 Depth=1
	s_or_b64 exec, exec, s[20:21]
	s_add_i32 s6, s28, s6
	s_add_i32 s16, s16, s7
	s_cmp_ge_u32 s6, s8
	s_cbranch_scc1 .LBB530_11
.LBB530_3:                              ; =>This Loop Header: Depth=1
                                        ;     Child Loop BB530_6 Depth 2
                                        ;       Child Loop BB530_9 Depth 3
	s_and_saveexec_b64 s[20:21], s[0:1]
	s_cbranch_execz .LBB530_2
; %bb.4:                                ;   in Loop: Header=BB530_3 Depth=1
	s_load_dword s40, s[4:5], 0x4
	s_lshl_b64 s[22:23], s[16:17], 1
	s_mov_b64 s[24:25], 0
	v_mov_b32_e32 v0, v6
	s_waitcnt lgkmcnt(0)
	s_mul_i32 s40, s40, s29
	s_branch .LBB530_6
.LBB530_5:                              ;   in Loop: Header=BB530_6 Depth=2
	v_add_u32_e32 v0, s40, v0
	v_cmp_le_u32_e32 vcc, s9, v0
	s_or_b64 s[24:25], vcc, s[24:25]
	s_andn2_b64 exec, exec, s[24:25]
	s_cbranch_execz .LBB530_2
.LBB530_6:                              ;   Parent Loop BB530_3 Depth=1
                                        ; =>  This Loop Header: Depth=2
                                        ;       Child Loop BB530_9 Depth 3
	s_and_b64 vcc, exec, s[2:3]
	s_cbranch_vccnz .LBB530_5
; %bb.7:                                ;   in Loop: Header=BB530_6 Depth=2
	v_lshlrev_b64 v[4:5], 1, v[0:1]
	v_mov_b32_e32 v3, s23
	v_add_co_u32_e32 v4, vcc, s22, v4
	v_addc_co_u32_e32 v5, vcc, v3, v5, vcc
	v_mov_b32_e32 v3, s11
	s_mov_b32 s41, s10
	s_branch .LBB530_9
.LBB530_8:                              ;   in Loop: Header=BB530_9 Depth=3
	s_or_b64 exec, exec, s[26:27]
	v_mov_b32_e32 v11, s13
	v_add_co_u32_e32 v10, vcc, s12, v4
	v_bfe_u32 v12, v3, 16, 1
	v_addc_co_u32_e32 v11, vcc, v11, v5, vcc
	v_add3_u32 v12, v3, v12, s39
	v_lshrrev_b32_e32 v12, 16, v12
	v_cmp_o_f32_e32 vcc, v3, v3
	v_cndmask_b32_e32 v3, v9, v12, vcc
	global_store_short v[10:11], v3, off
	s_add_i32 s41, s41, -1
	v_mov_b32_e32 v10, s19
	v_add_co_u32_e32 v4, vcc, s18, v4
	s_cmp_eq_u32 s41, 0
	v_addc_co_u32_e32 v5, vcc, v5, v10, vcc
	s_cbranch_scc1 .LBB530_5
.LBB530_9:                              ;   Parent Loop BB530_3 Depth=1
                                        ;     Parent Loop BB530_6 Depth=2
                                        ; =>    This Inner Loop Header: Depth=3
	v_mov_b32_e32 v11, s15
	v_add_co_u32_e32 v10, vcc, s14, v4
	v_addc_co_u32_e32 v11, vcc, v11, v5, vcc
	global_load_ushort v10, v[10:11], off
	v_lshlrev_b32_e32 v3, 16, v3
	v_max_f32_e32 v11, v3, v3
	v_cmp_u_f32_e32 vcc, v3, v3
	s_waitcnt vmcnt(0)
	v_lshlrev_b32_e32 v10, 16, v10
	v_max_f32_e32 v12, v10, v10
	v_min_f32_e32 v13, v11, v12
	v_max_f32_e32 v11, v11, v12
	v_cndmask_b32_e32 v12, v13, v3, vcc
	v_cndmask_b32_e32 v13, v11, v3, vcc
	v_cmp_u_f32_e32 vcc, v10, v10
	v_cndmask_b32_e32 v11, v12, v10, vcc
	v_cndmask_b32_e32 v10, v13, v10, vcc
	v_cmp_neq_f32_e32 vcc, v11, v10
	v_cmp_class_f32_e64 s[26:27], v11, s30
	s_or_b64 s[42:43], vcc, s[26:27]
	s_and_saveexec_b64 s[26:27], s[42:43]
	s_cbranch_execz .LBB530_8
; %bb.10:                               ;   in Loop: Header=BB530_9 Depth=3
	v_sub_f32_e32 v3, v11, v10
	v_mul_f32_e32 v11, 0x3fb8aa3b, v3
	v_fma_f32 v12, v3, s31, -v11
	v_rndne_f32_e32 v13, v11
	v_fmac_f32_e32 v12, 0x32a5705f, v3
	v_sub_f32_e32 v11, v11, v13
	v_add_f32_e32 v11, v11, v12
	v_cvt_i32_f32_e32 v12, v13
	v_exp_f32_e32 v11, v11
	v_cmp_ngt_f32_e32 vcc, s33, v3
	v_ldexp_f32 v11, v11, v12
	v_cndmask_b32_e32 v11, 0, v11, vcc
	v_cmp_nlt_f32_e32 vcc, s34, v3
	v_cndmask_b32_e32 v11, v8, v11, vcc
	v_add_f32_e32 v3, 1.0, v11
	v_add_f32_e32 v12, -1.0, v3
	v_sub_f32_e32 v13, v12, v3
	v_add_f32_e32 v13, 1.0, v13
	v_sub_f32_e32 v12, v11, v12
	v_add_f32_e32 v14, v12, v13
	v_frexp_mant_f32_e32 v15, v3
	v_cvt_f64_f32_e32 v[12:13], v3
	v_frexp_exp_i32_f64_e32 v12, v[12:13]
	v_cmp_gt_f32_e32 vcc, s36, v15
	v_subbrev_co_u32_e32 v20, vcc, 0, v12, vcc
	v_sub_u32_e32 v12, 0, v20
	v_ldexp_f32 v3, v3, v12
	v_ldexp_f32 v12, v14, v12
	v_add_f32_e32 v14, -1.0, v3
	v_add_f32_e32 v13, 1.0, v14
	v_sub_f32_e32 v13, v3, v13
	v_add_f32_e32 v15, v12, v13
	v_add_f32_e32 v13, 1.0, v3
	v_add_f32_e32 v16, -1.0, v13
	v_sub_f32_e32 v3, v3, v16
	v_add_f32_e32 v3, v12, v3
	v_add_f32_e32 v21, v13, v3
	v_rcp_f32_e32 v22, v21
	v_sub_f32_e32 v12, v13, v21
	v_add_f32_e32 v13, v14, v15
	v_add_f32_e32 v3, v3, v12
	v_mul_f32_e32 v24, v13, v22
	v_sub_f32_e32 v12, v14, v13
	v_mul_f32_e32 v14, v21, v24
	v_fma_f32 v16, v24, v21, -v14
	v_fmac_f32_e32 v16, v24, v3
	v_add_f32_e32 v23, v15, v12
	v_add_f32_e32 v12, v14, v16
	v_sub_f32_e32 v15, v13, v12
	v_pk_add_f32 v[18:19], v[12:13], v[14:15] neg_lo:[0,1] neg_hi:[0,1]
	v_mov_b32_e32 v17, v12
	v_pk_add_f32 v[12:13], v[18:19], v[16:17] neg_lo:[0,1] neg_hi:[0,1]
	v_add_f32_e32 v13, v23, v13
	v_add_f32_e32 v12, v12, v13
	v_add_f32_e32 v13, v15, v12
	v_mul_f32_e32 v23, v22, v13
	v_mul_f32_e32 v14, v21, v23
	v_fma_f32 v16, v23, v21, -v14
	v_fmac_f32_e32 v16, v23, v3
	v_sub_f32_e32 v3, v15, v13
	v_add_f32_e32 v3, v12, v3
	v_add_f32_e32 v12, v14, v16
	v_sub_f32_e32 v15, v13, v12
	v_pk_add_f32 v[18:19], v[12:13], v[14:15] neg_lo:[0,1] neg_hi:[0,1]
	v_mov_b32_e32 v17, v12
	v_pk_add_f32 v[12:13], v[18:19], v[16:17] neg_lo:[0,1] neg_hi:[0,1]
	v_add_f32_e32 v3, v3, v13
	v_add_f32_e32 v3, v12, v3
	;; [unrolled: 1-line block ×4, first 2 shown]
	v_sub_f32_e32 v12, v13, v24
	v_mul_f32_e32 v3, v22, v3
	v_sub_f32_e32 v12, v23, v12
	v_add_f32_e32 v14, v12, v3
	v_add_f32_e32 v16, v13, v14
	v_cvt_f32_i32_e32 v12, v20
	v_mul_f32_e32 v17, v16, v16
	v_mov_b32_e32 v3, 0x3ecc95a3
	v_sub_f32_e32 v13, v16, v13
	v_fmac_f32_e32 v3, 0x3e9b6dac, v17
	v_sub_f32_e32 v13, v14, v13
	v_fma_f32 v3, v17, v3, v7
	v_ldexp_f32 v18, v13, 1
	v_mul_f32_e32 v13, v16, v17
	v_ldexp_f32 v15, v16, 1
	v_pk_mul_f32 v[16:17], v[12:13], v[2:3]
	v_fma_f32 v14, v12, s37, -v16
	v_fmac_f32_e32 v14, 0xb102e308, v12
	v_pk_add_f32 v[12:13], v[16:17], v[14:15]
	v_sub_f32_e32 v3, v13, v15
	v_sub_f32_e32 v3, v17, v3
	v_add_f32_e32 v19, v18, v3
	v_mov_b32_e32 v18, v16
	v_pk_add_f32 v[16:17], v[12:13], v[16:17] neg_lo:[0,1] neg_hi:[0,1]
	v_pk_add_f32 v[20:21], v[12:13], v[18:19]
	v_mov_b32_e32 v17, v21
	v_mov_b32_e32 v15, v12
	v_pk_add_f32 v[22:23], v[14:15], v[16:17] neg_lo:[0,1] neg_hi:[0,1]
	v_pk_add_f32 v[14:15], v[14:15], v[16:17]
	v_mov_b32_e32 v16, v15
	v_pk_add_f32 v[24:25], v[16:17], v[12:13] neg_lo:[0,1] neg_hi:[0,1]
	v_mov_b32_e32 v3, v24
	v_pk_add_f32 v[26:27], v[20:21], v[2:3] neg_lo:[0,1] neg_hi:[0,1]
	v_mov_b32_e32 v14, v21
	v_mov_b32_e32 v20, v13
	;; [unrolled: 1-line block ×4, first 2 shown]
	v_pk_add_f32 v[14:15], v[14:15], v[20:21] neg_lo:[0,1] neg_hi:[0,1]
	v_mov_b32_e32 v18, v19
	v_mov_b32_e32 v19, v12
	v_pk_add_f32 v[12:13], v[18:19], v[14:15] neg_lo:[0,1] neg_hi:[0,1]
	v_mov_b32_e32 v26, v22
	v_pk_add_f32 v[14:15], v[26:27], v[12:13]
	v_mov_b32_e32 v18, v15
	v_pk_add_f32 v[18:19], v[14:15], v[18:19]
	v_pk_add_f32 v[16:17], v[16:17], v[18:19]
	v_mov_b32_e32 v15, v16
	v_pk_add_f32 v[20:21], v[14:15], v[22:23] neg_lo:[0,1] neg_hi:[0,1]
	v_mov_b32_e32 v13, v18
	v_sub_f32_e32 v3, v14, v20
	v_pk_add_f32 v[12:13], v[12:13], v[20:21] neg_lo:[0,1] neg_hi:[0,1]
	v_sub_f32_e32 v3, v22, v3
	v_add_f32_e32 v3, v12, v3
	v_add_f32_e32 v3, v3, v13
	v_cmp_eq_f32_e32 vcc, s35, v11
	v_cmp_lt_f32_e64 s[42:43], |v11|, s38
	v_add_f32_e32 v3, v16, v3
	s_or_b64 vcc, vcc, s[42:43]
	v_cndmask_b32_e32 v3, v3, v11, vcc
	v_add_f32_e32 v3, v10, v3
	s_branch .LBB530_8
.LBB530_11:
	s_endpgm
	.section	.rodata,"a",@progbits
	.p2align	6, 0x0
	.amdhsa_kernel _ZN2at6native28tensor_kernel_scan_outer_dimIN3c108BFloat16EjZZZNS0_31launch_logcumsumexp_cuda_kernelERKNS_10TensorBaseES6_lENKUlvE_clEvENKUlvE4_clEvEUlS3_S3_E_EEvPT_PKSA_jjjSA_T1_
		.amdhsa_group_segment_fixed_size 0
		.amdhsa_private_segment_fixed_size 0
		.amdhsa_kernarg_size 288
		.amdhsa_user_sgpr_count 6
		.amdhsa_user_sgpr_private_segment_buffer 1
		.amdhsa_user_sgpr_dispatch_ptr 0
		.amdhsa_user_sgpr_queue_ptr 0
		.amdhsa_user_sgpr_kernarg_segment_ptr 1
		.amdhsa_user_sgpr_dispatch_id 0
		.amdhsa_user_sgpr_flat_scratch_init 0
		.amdhsa_user_sgpr_kernarg_preload_length 0
		.amdhsa_user_sgpr_kernarg_preload_offset 0
		.amdhsa_user_sgpr_private_segment_size 0
		.amdhsa_uses_dynamic_stack 0
		.amdhsa_system_sgpr_private_segment_wavefront_offset 0
		.amdhsa_system_sgpr_workgroup_id_x 1
		.amdhsa_system_sgpr_workgroup_id_y 1
		.amdhsa_system_sgpr_workgroup_id_z 0
		.amdhsa_system_sgpr_workgroup_info 0
		.amdhsa_system_vgpr_workitem_id 0
		.amdhsa_next_free_vgpr 28
		.amdhsa_next_free_sgpr 44
		.amdhsa_accum_offset 28
		.amdhsa_reserve_vcc 1
		.amdhsa_reserve_flat_scratch 0
		.amdhsa_float_round_mode_32 0
		.amdhsa_float_round_mode_16_64 0
		.amdhsa_float_denorm_mode_32 3
		.amdhsa_float_denorm_mode_16_64 3
		.amdhsa_dx10_clamp 1
		.amdhsa_ieee_mode 1
		.amdhsa_fp16_overflow 0
		.amdhsa_tg_split 0
		.amdhsa_exception_fp_ieee_invalid_op 0
		.amdhsa_exception_fp_denorm_src 0
		.amdhsa_exception_fp_ieee_div_zero 0
		.amdhsa_exception_fp_ieee_overflow 0
		.amdhsa_exception_fp_ieee_underflow 0
		.amdhsa_exception_fp_ieee_inexact 0
		.amdhsa_exception_int_div_zero 0
	.end_amdhsa_kernel
	.section	.text._ZN2at6native28tensor_kernel_scan_outer_dimIN3c108BFloat16EjZZZNS0_31launch_logcumsumexp_cuda_kernelERKNS_10TensorBaseES6_lENKUlvE_clEvENKUlvE4_clEvEUlS3_S3_E_EEvPT_PKSA_jjjSA_T1_,"axG",@progbits,_ZN2at6native28tensor_kernel_scan_outer_dimIN3c108BFloat16EjZZZNS0_31launch_logcumsumexp_cuda_kernelERKNS_10TensorBaseES6_lENKUlvE_clEvENKUlvE4_clEvEUlS3_S3_E_EEvPT_PKSA_jjjSA_T1_,comdat
.Lfunc_end530:
	.size	_ZN2at6native28tensor_kernel_scan_outer_dimIN3c108BFloat16EjZZZNS0_31launch_logcumsumexp_cuda_kernelERKNS_10TensorBaseES6_lENKUlvE_clEvENKUlvE4_clEvEUlS3_S3_E_EEvPT_PKSA_jjjSA_T1_, .Lfunc_end530-_ZN2at6native28tensor_kernel_scan_outer_dimIN3c108BFloat16EjZZZNS0_31launch_logcumsumexp_cuda_kernelERKNS_10TensorBaseES6_lENKUlvE_clEvENKUlvE4_clEvEUlS3_S3_E_EEvPT_PKSA_jjjSA_T1_
                                        ; -- End function
	.section	.AMDGPU.csdata,"",@progbits
; Kernel info:
; codeLenInByte = 1200
; NumSgprs: 48
; NumVgprs: 28
; NumAgprs: 0
; TotalNumVgprs: 28
; ScratchSize: 0
; MemoryBound: 0
; FloatMode: 240
; IeeeMode: 1
; LDSByteSize: 0 bytes/workgroup (compile time only)
; SGPRBlocks: 5
; VGPRBlocks: 3
; NumSGPRsForWavesPerEU: 48
; NumVGPRsForWavesPerEU: 28
; AccumOffset: 28
; Occupancy: 8
; WaveLimiterHint : 0
; COMPUTE_PGM_RSRC2:SCRATCH_EN: 0
; COMPUTE_PGM_RSRC2:USER_SGPR: 6
; COMPUTE_PGM_RSRC2:TRAP_HANDLER: 0
; COMPUTE_PGM_RSRC2:TGID_X_EN: 1
; COMPUTE_PGM_RSRC2:TGID_Y_EN: 1
; COMPUTE_PGM_RSRC2:TGID_Z_EN: 0
; COMPUTE_PGM_RSRC2:TIDIG_COMP_CNT: 0
; COMPUTE_PGM_RSRC3_GFX90A:ACCUM_OFFSET: 6
; COMPUTE_PGM_RSRC3_GFX90A:TG_SPLIT: 0
	.section	.text._ZN2at6native28tensor_kernel_scan_outer_dimIN3c108BFloat16EmZZZNS0_31launch_logcumsumexp_cuda_kernelERKNS_10TensorBaseES6_lENKUlvE_clEvENKUlvE4_clEvEUlS3_S3_E_EEvPT_PKSA_jjjSA_T1_,"axG",@progbits,_ZN2at6native28tensor_kernel_scan_outer_dimIN3c108BFloat16EmZZZNS0_31launch_logcumsumexp_cuda_kernelERKNS_10TensorBaseES6_lENKUlvE_clEvENKUlvE4_clEvEUlS3_S3_E_EEvPT_PKSA_jjjSA_T1_,comdat
	.globl	_ZN2at6native28tensor_kernel_scan_outer_dimIN3c108BFloat16EmZZZNS0_31launch_logcumsumexp_cuda_kernelERKNS_10TensorBaseES6_lENKUlvE_clEvENKUlvE4_clEvEUlS3_S3_E_EEvPT_PKSA_jjjSA_T1_ ; -- Begin function _ZN2at6native28tensor_kernel_scan_outer_dimIN3c108BFloat16EmZZZNS0_31launch_logcumsumexp_cuda_kernelERKNS_10TensorBaseES6_lENKUlvE_clEvENKUlvE4_clEvEUlS3_S3_E_EEvPT_PKSA_jjjSA_T1_
	.p2align	8
	.type	_ZN2at6native28tensor_kernel_scan_outer_dimIN3c108BFloat16EmZZZNS0_31launch_logcumsumexp_cuda_kernelERKNS_10TensorBaseES6_lENKUlvE_clEvENKUlvE4_clEvEUlS3_S3_E_EEvPT_PKSA_jjjSA_T1_,@function
_ZN2at6native28tensor_kernel_scan_outer_dimIN3c108BFloat16EmZZZNS0_31launch_logcumsumexp_cuda_kernelERKNS_10TensorBaseES6_lENKUlvE_clEvENKUlvE4_clEvEUlS3_S3_E_EEvPT_PKSA_jjjSA_T1_: ; @_ZN2at6native28tensor_kernel_scan_outer_dimIN3c108BFloat16EmZZZNS0_31launch_logcumsumexp_cuda_kernelERKNS_10TensorBaseES6_lENKUlvE_clEvENKUlvE4_clEvEUlS3_S3_E_EEvPT_PKSA_jjjSA_T1_
; %bb.0:
	s_load_dwordx4 s[8:11], s[4:5], 0x10
	s_waitcnt lgkmcnt(0)
	s_cmp_ge_u32 s6, s8
	s_cbranch_scc1 .LBB531_11
; %bb.1:
	s_load_dword s0, s[4:5], 0x2c
	s_load_dwordx4 s[12:15], s[4:5], 0x0
	s_load_dword s26, s[4:5], 0x20
	s_add_u32 s4, s4, 32
	s_addc_u32 s5, s5, 0
	s_waitcnt lgkmcnt(0)
	s_and_b32 s27, s0, 0xffff
	s_cmp_lg_u32 s10, 0
	s_mul_i32 s7, s7, s27
	s_cselect_b64 s[20:21], -1, 0
	v_add_u32_e32 v6, s7, v0
	s_mov_b32 s3, 0
	s_mov_b32 s2, s9
	s_mul_hi_u32 s17, s10, s9
	s_mul_i32 s16, s10, s9
	v_cndmask_b32_e64 v0, 0, 1, s[20:21]
	v_cmp_gt_u32_e64 s[0:1], s9, v6
	s_lshl_b64 s[16:17], s[16:17], 1
	s_lshl_b64 s[18:19], s[2:3], 1
	v_cmp_ne_u32_e64 s[2:3], 1, v0
	v_mov_b32_e32 v1, 0
	s_movk_i32 s7, 0x1f8
	s_mov_b32 s28, 0x3fb8aa3b
	s_mov_b32 s29, 0xc2ce8ed0
	;; [unrolled: 1-line block ×5, first 2 shown]
	v_mov_b32_e32 v7, 0x3f2aaada
	s_mov_b32 s34, 0x3f317218
	s_mov_b32 s35, 0x33800000
	s_movk_i32 s36, 0x7fff
	v_mov_b32_e32 v8, 0x7f800000
	v_mov_b32_e32 v2, 0x3f317218
	;; [unrolled: 1-line block ×3, first 2 shown]
	s_branch .LBB531_3
.LBB531_2:                              ;   in Loop: Header=BB531_3 Depth=1
	s_or_b64 exec, exec, s[20:21]
	s_add_i32 s6, s6, s26
	s_cmp_ge_u32 s6, s8
	s_cbranch_scc1 .LBB531_11
.LBB531_3:                              ; =>This Loop Header: Depth=1
                                        ;     Child Loop BB531_6 Depth 2
                                        ;       Child Loop BB531_9 Depth 3
	s_and_saveexec_b64 s[20:21], s[0:1]
	s_cbranch_execz .LBB531_2
; %bb.4:                                ;   in Loop: Header=BB531_3 Depth=1
	s_load_dword s39, s[4:5], 0x4
	s_mul_i32 s22, s17, s6
	s_mul_hi_u32 s23, s16, s6
	s_mul_i32 s37, s16, s6
	s_add_i32 s38, s23, s22
	s_waitcnt lgkmcnt(0)
	s_mul_i32 s39, s39, s27
	s_mov_b64 s[22:23], 0
	v_mov_b32_e32 v0, v6
	s_branch .LBB531_6
.LBB531_5:                              ;   in Loop: Header=BB531_6 Depth=2
	v_add_u32_e32 v0, s39, v0
	v_cmp_le_u32_e32 vcc, s9, v0
	s_or_b64 s[22:23], vcc, s[22:23]
	s_andn2_b64 exec, exec, s[22:23]
	s_cbranch_execz .LBB531_2
.LBB531_6:                              ;   Parent Loop BB531_3 Depth=1
                                        ; =>  This Loop Header: Depth=2
                                        ;       Child Loop BB531_9 Depth 3
	s_and_b64 vcc, exec, s[2:3]
	s_cbranch_vccnz .LBB531_5
; %bb.7:                                ;   in Loop: Header=BB531_6 Depth=2
	v_lshlrev_b64 v[4:5], 1, v[0:1]
	v_mov_b32_e32 v3, s38
	v_add_co_u32_e32 v4, vcc, s37, v4
	v_addc_co_u32_e32 v5, vcc, v3, v5, vcc
	v_mov_b32_e32 v3, s11
	s_mov_b32 s40, s10
	s_branch .LBB531_9
.LBB531_8:                              ;   in Loop: Header=BB531_9 Depth=3
	s_or_b64 exec, exec, s[24:25]
	v_mov_b32_e32 v11, s13
	v_add_co_u32_e32 v10, vcc, s12, v4
	v_bfe_u32 v12, v3, 16, 1
	v_addc_co_u32_e32 v11, vcc, v11, v5, vcc
	v_add3_u32 v12, v3, v12, s36
	v_lshrrev_b32_e32 v12, 16, v12
	v_cmp_o_f32_e32 vcc, v3, v3
	v_cndmask_b32_e32 v3, v9, v12, vcc
	global_store_short v[10:11], v3, off
	s_add_i32 s40, s40, -1
	v_mov_b32_e32 v10, s19
	v_add_co_u32_e32 v4, vcc, s18, v4
	s_cmp_eq_u32 s40, 0
	v_addc_co_u32_e32 v5, vcc, v5, v10, vcc
	s_cbranch_scc1 .LBB531_5
.LBB531_9:                              ;   Parent Loop BB531_3 Depth=1
                                        ;     Parent Loop BB531_6 Depth=2
                                        ; =>    This Inner Loop Header: Depth=3
	v_mov_b32_e32 v11, s15
	v_add_co_u32_e32 v10, vcc, s14, v4
	v_addc_co_u32_e32 v11, vcc, v11, v5, vcc
	global_load_ushort v10, v[10:11], off
	v_lshlrev_b32_e32 v3, 16, v3
	v_max_f32_e32 v11, v3, v3
	v_cmp_u_f32_e32 vcc, v3, v3
	s_waitcnt vmcnt(0)
	v_lshlrev_b32_e32 v10, 16, v10
	v_max_f32_e32 v12, v10, v10
	v_min_f32_e32 v13, v11, v12
	v_max_f32_e32 v11, v11, v12
	v_cndmask_b32_e32 v12, v13, v3, vcc
	v_cndmask_b32_e32 v13, v11, v3, vcc
	v_cmp_u_f32_e32 vcc, v10, v10
	v_cndmask_b32_e32 v11, v12, v10, vcc
	v_cndmask_b32_e32 v10, v13, v10, vcc
	v_cmp_neq_f32_e32 vcc, v11, v10
	v_cmp_class_f32_e64 s[24:25], v11, s7
	s_or_b64 s[42:43], vcc, s[24:25]
	s_and_saveexec_b64 s[24:25], s[42:43]
	s_cbranch_execz .LBB531_8
; %bb.10:                               ;   in Loop: Header=BB531_9 Depth=3
	v_sub_f32_e32 v3, v11, v10
	v_mul_f32_e32 v11, 0x3fb8aa3b, v3
	v_fma_f32 v12, v3, s28, -v11
	v_rndne_f32_e32 v13, v11
	v_fmac_f32_e32 v12, 0x32a5705f, v3
	v_sub_f32_e32 v11, v11, v13
	v_add_f32_e32 v11, v11, v12
	v_cvt_i32_f32_e32 v12, v13
	v_exp_f32_e32 v11, v11
	v_cmp_ngt_f32_e32 vcc, s29, v3
	v_ldexp_f32 v11, v11, v12
	v_cndmask_b32_e32 v11, 0, v11, vcc
	v_cmp_nlt_f32_e32 vcc, s30, v3
	v_cndmask_b32_e32 v11, v8, v11, vcc
	v_add_f32_e32 v3, 1.0, v11
	v_add_f32_e32 v12, -1.0, v3
	v_sub_f32_e32 v13, v12, v3
	v_add_f32_e32 v13, 1.0, v13
	v_sub_f32_e32 v12, v11, v12
	v_add_f32_e32 v14, v12, v13
	v_frexp_mant_f32_e32 v15, v3
	v_cvt_f64_f32_e32 v[12:13], v3
	v_frexp_exp_i32_f64_e32 v12, v[12:13]
	v_cmp_gt_f32_e32 vcc, s33, v15
	v_subbrev_co_u32_e32 v20, vcc, 0, v12, vcc
	v_sub_u32_e32 v12, 0, v20
	v_ldexp_f32 v3, v3, v12
	v_ldexp_f32 v12, v14, v12
	v_add_f32_e32 v14, -1.0, v3
	v_add_f32_e32 v13, 1.0, v14
	v_sub_f32_e32 v13, v3, v13
	v_add_f32_e32 v15, v12, v13
	v_add_f32_e32 v13, 1.0, v3
	v_add_f32_e32 v16, -1.0, v13
	v_sub_f32_e32 v3, v3, v16
	v_add_f32_e32 v3, v12, v3
	v_add_f32_e32 v21, v13, v3
	v_rcp_f32_e32 v22, v21
	v_sub_f32_e32 v12, v13, v21
	v_add_f32_e32 v13, v14, v15
	v_add_f32_e32 v3, v3, v12
	v_mul_f32_e32 v24, v13, v22
	v_sub_f32_e32 v12, v14, v13
	v_mul_f32_e32 v14, v21, v24
	v_fma_f32 v16, v24, v21, -v14
	v_fmac_f32_e32 v16, v24, v3
	v_add_f32_e32 v23, v15, v12
	v_add_f32_e32 v12, v14, v16
	v_sub_f32_e32 v15, v13, v12
	v_pk_add_f32 v[18:19], v[12:13], v[14:15] neg_lo:[0,1] neg_hi:[0,1]
	v_mov_b32_e32 v17, v12
	v_pk_add_f32 v[12:13], v[18:19], v[16:17] neg_lo:[0,1] neg_hi:[0,1]
	v_add_f32_e32 v13, v23, v13
	v_add_f32_e32 v12, v12, v13
	;; [unrolled: 1-line block ×3, first 2 shown]
	v_mul_f32_e32 v23, v22, v13
	v_mul_f32_e32 v14, v21, v23
	v_fma_f32 v16, v23, v21, -v14
	v_fmac_f32_e32 v16, v23, v3
	v_sub_f32_e32 v3, v15, v13
	v_add_f32_e32 v3, v12, v3
	v_add_f32_e32 v12, v14, v16
	v_sub_f32_e32 v15, v13, v12
	v_pk_add_f32 v[18:19], v[12:13], v[14:15] neg_lo:[0,1] neg_hi:[0,1]
	v_mov_b32_e32 v17, v12
	v_pk_add_f32 v[12:13], v[18:19], v[16:17] neg_lo:[0,1] neg_hi:[0,1]
	v_add_f32_e32 v3, v3, v13
	v_add_f32_e32 v3, v12, v3
	;; [unrolled: 1-line block ×4, first 2 shown]
	v_sub_f32_e32 v12, v13, v24
	v_mul_f32_e32 v3, v22, v3
	v_sub_f32_e32 v12, v23, v12
	v_add_f32_e32 v14, v12, v3
	v_add_f32_e32 v16, v13, v14
	v_cvt_f32_i32_e32 v12, v20
	v_mul_f32_e32 v17, v16, v16
	v_mov_b32_e32 v3, 0x3ecc95a3
	v_sub_f32_e32 v13, v16, v13
	v_fmac_f32_e32 v3, 0x3e9b6dac, v17
	v_sub_f32_e32 v13, v14, v13
	v_fma_f32 v3, v17, v3, v7
	v_ldexp_f32 v18, v13, 1
	v_mul_f32_e32 v13, v16, v17
	v_ldexp_f32 v15, v16, 1
	v_pk_mul_f32 v[16:17], v[12:13], v[2:3]
	v_fma_f32 v14, v12, s34, -v16
	v_fmac_f32_e32 v14, 0xb102e308, v12
	v_pk_add_f32 v[12:13], v[16:17], v[14:15]
	v_sub_f32_e32 v3, v13, v15
	v_sub_f32_e32 v3, v17, v3
	v_add_f32_e32 v19, v18, v3
	v_mov_b32_e32 v18, v16
	v_pk_add_f32 v[16:17], v[12:13], v[16:17] neg_lo:[0,1] neg_hi:[0,1]
	v_pk_add_f32 v[20:21], v[12:13], v[18:19]
	v_mov_b32_e32 v17, v21
	v_mov_b32_e32 v15, v12
	v_pk_add_f32 v[22:23], v[14:15], v[16:17] neg_lo:[0,1] neg_hi:[0,1]
	v_pk_add_f32 v[14:15], v[14:15], v[16:17]
	v_mov_b32_e32 v16, v15
	v_pk_add_f32 v[24:25], v[16:17], v[12:13] neg_lo:[0,1] neg_hi:[0,1]
	v_mov_b32_e32 v3, v24
	v_pk_add_f32 v[26:27], v[20:21], v[2:3] neg_lo:[0,1] neg_hi:[0,1]
	v_mov_b32_e32 v14, v21
	v_mov_b32_e32 v20, v13
	;; [unrolled: 1-line block ×4, first 2 shown]
	v_pk_add_f32 v[14:15], v[14:15], v[20:21] neg_lo:[0,1] neg_hi:[0,1]
	v_mov_b32_e32 v18, v19
	v_mov_b32_e32 v19, v12
	v_pk_add_f32 v[12:13], v[18:19], v[14:15] neg_lo:[0,1] neg_hi:[0,1]
	v_mov_b32_e32 v26, v22
	v_pk_add_f32 v[14:15], v[26:27], v[12:13]
	v_mov_b32_e32 v18, v15
	v_pk_add_f32 v[18:19], v[14:15], v[18:19]
	v_pk_add_f32 v[16:17], v[16:17], v[18:19]
	v_mov_b32_e32 v15, v16
	v_pk_add_f32 v[20:21], v[14:15], v[22:23] neg_lo:[0,1] neg_hi:[0,1]
	v_mov_b32_e32 v13, v18
	v_sub_f32_e32 v3, v14, v20
	v_pk_add_f32 v[12:13], v[12:13], v[20:21] neg_lo:[0,1] neg_hi:[0,1]
	v_sub_f32_e32 v3, v22, v3
	v_add_f32_e32 v3, v12, v3
	v_add_f32_e32 v3, v3, v13
	v_cmp_eq_f32_e32 vcc, s31, v11
	v_cmp_lt_f32_e64 s[42:43], |v11|, s35
	v_add_f32_e32 v3, v16, v3
	s_or_b64 vcc, vcc, s[42:43]
	v_cndmask_b32_e32 v3, v3, v11, vcc
	v_add_f32_e32 v3, v10, v3
	s_branch .LBB531_8
.LBB531_11:
	s_endpgm
	.section	.rodata,"a",@progbits
	.p2align	6, 0x0
	.amdhsa_kernel _ZN2at6native28tensor_kernel_scan_outer_dimIN3c108BFloat16EmZZZNS0_31launch_logcumsumexp_cuda_kernelERKNS_10TensorBaseES6_lENKUlvE_clEvENKUlvE4_clEvEUlS3_S3_E_EEvPT_PKSA_jjjSA_T1_
		.amdhsa_group_segment_fixed_size 0
		.amdhsa_private_segment_fixed_size 0
		.amdhsa_kernarg_size 288
		.amdhsa_user_sgpr_count 6
		.amdhsa_user_sgpr_private_segment_buffer 1
		.amdhsa_user_sgpr_dispatch_ptr 0
		.amdhsa_user_sgpr_queue_ptr 0
		.amdhsa_user_sgpr_kernarg_segment_ptr 1
		.amdhsa_user_sgpr_dispatch_id 0
		.amdhsa_user_sgpr_flat_scratch_init 0
		.amdhsa_user_sgpr_kernarg_preload_length 0
		.amdhsa_user_sgpr_kernarg_preload_offset 0
		.amdhsa_user_sgpr_private_segment_size 0
		.amdhsa_uses_dynamic_stack 0
		.amdhsa_system_sgpr_private_segment_wavefront_offset 0
		.amdhsa_system_sgpr_workgroup_id_x 1
		.amdhsa_system_sgpr_workgroup_id_y 1
		.amdhsa_system_sgpr_workgroup_id_z 0
		.amdhsa_system_sgpr_workgroup_info 0
		.amdhsa_system_vgpr_workitem_id 0
		.amdhsa_next_free_vgpr 28
		.amdhsa_next_free_sgpr 44
		.amdhsa_accum_offset 28
		.amdhsa_reserve_vcc 1
		.amdhsa_reserve_flat_scratch 0
		.amdhsa_float_round_mode_32 0
		.amdhsa_float_round_mode_16_64 0
		.amdhsa_float_denorm_mode_32 3
		.amdhsa_float_denorm_mode_16_64 3
		.amdhsa_dx10_clamp 1
		.amdhsa_ieee_mode 1
		.amdhsa_fp16_overflow 0
		.amdhsa_tg_split 0
		.amdhsa_exception_fp_ieee_invalid_op 0
		.amdhsa_exception_fp_denorm_src 0
		.amdhsa_exception_fp_ieee_div_zero 0
		.amdhsa_exception_fp_ieee_overflow 0
		.amdhsa_exception_fp_ieee_underflow 0
		.amdhsa_exception_fp_ieee_inexact 0
		.amdhsa_exception_int_div_zero 0
	.end_amdhsa_kernel
	.section	.text._ZN2at6native28tensor_kernel_scan_outer_dimIN3c108BFloat16EmZZZNS0_31launch_logcumsumexp_cuda_kernelERKNS_10TensorBaseES6_lENKUlvE_clEvENKUlvE4_clEvEUlS3_S3_E_EEvPT_PKSA_jjjSA_T1_,"axG",@progbits,_ZN2at6native28tensor_kernel_scan_outer_dimIN3c108BFloat16EmZZZNS0_31launch_logcumsumexp_cuda_kernelERKNS_10TensorBaseES6_lENKUlvE_clEvENKUlvE4_clEvEUlS3_S3_E_EEvPT_PKSA_jjjSA_T1_,comdat
.Lfunc_end531:
	.size	_ZN2at6native28tensor_kernel_scan_outer_dimIN3c108BFloat16EmZZZNS0_31launch_logcumsumexp_cuda_kernelERKNS_10TensorBaseES6_lENKUlvE_clEvENKUlvE4_clEvEUlS3_S3_E_EEvPT_PKSA_jjjSA_T1_, .Lfunc_end531-_ZN2at6native28tensor_kernel_scan_outer_dimIN3c108BFloat16EmZZZNS0_31launch_logcumsumexp_cuda_kernelERKNS_10TensorBaseES6_lENKUlvE_clEvENKUlvE4_clEvEUlS3_S3_E_EEvPT_PKSA_jjjSA_T1_
                                        ; -- End function
	.section	.AMDGPU.csdata,"",@progbits
; Kernel info:
; codeLenInByte = 1200
; NumSgprs: 48
; NumVgprs: 28
; NumAgprs: 0
; TotalNumVgprs: 28
; ScratchSize: 0
; MemoryBound: 0
; FloatMode: 240
; IeeeMode: 1
; LDSByteSize: 0 bytes/workgroup (compile time only)
; SGPRBlocks: 5
; VGPRBlocks: 3
; NumSGPRsForWavesPerEU: 48
; NumVGPRsForWavesPerEU: 28
; AccumOffset: 28
; Occupancy: 8
; WaveLimiterHint : 0
; COMPUTE_PGM_RSRC2:SCRATCH_EN: 0
; COMPUTE_PGM_RSRC2:USER_SGPR: 6
; COMPUTE_PGM_RSRC2:TRAP_HANDLER: 0
; COMPUTE_PGM_RSRC2:TGID_X_EN: 1
; COMPUTE_PGM_RSRC2:TGID_Y_EN: 1
; COMPUTE_PGM_RSRC2:TGID_Z_EN: 0
; COMPUTE_PGM_RSRC2:TIDIG_COMP_CNT: 0
; COMPUTE_PGM_RSRC3_GFX90A:ACCUM_OFFSET: 6
; COMPUTE_PGM_RSRC3_GFX90A:TG_SPLIT: 0
	.text
	.p2alignl 6, 3212836864
	.fill 256, 4, 3212836864
	.type	__hip_cuid_63db1841f762c91,@object ; @__hip_cuid_63db1841f762c91
	.section	.bss,"aw",@nobits
	.globl	__hip_cuid_63db1841f762c91
__hip_cuid_63db1841f762c91:
	.byte	0                               ; 0x0
	.size	__hip_cuid_63db1841f762c91, 1

	.ident	"AMD clang version 19.0.0git (https://github.com/RadeonOpenCompute/llvm-project roc-6.4.0 25133 c7fe45cf4b819c5991fe208aaa96edf142730f1d)"
	.section	".note.GNU-stack","",@progbits
	.addrsig
	.addrsig_sym __hip_cuid_63db1841f762c91
	.amdgpu_metadata
---
amdhsa.kernels:
  - .agpr_count:     0
    .args:
      - .address_space:  global
        .offset:         0
        .size:           8
        .value_kind:     global_buffer
      - .offset:         8
        .size:           4
        .value_kind:     by_value
      - .offset:         12
        .size:           1
        .value_kind:     by_value
      - .offset:         16
        .size:           4
        .value_kind:     by_value
      - .address_space:  global
        .offset:         24
        .size:           8
        .value_kind:     global_buffer
      - .offset:         32
        .size:           4
        .value_kind:     hidden_block_count_x
      - .offset:         36
        .size:           4
        .value_kind:     hidden_block_count_y
      - .offset:         40
        .size:           4
        .value_kind:     hidden_block_count_z
      - .offset:         44
        .size:           2
        .value_kind:     hidden_group_size_x
      - .offset:         46
        .size:           2
        .value_kind:     hidden_group_size_y
      - .offset:         48
        .size:           2
        .value_kind:     hidden_group_size_z
      - .offset:         50
        .size:           2
        .value_kind:     hidden_remainder_x
      - .offset:         52
        .size:           2
        .value_kind:     hidden_remainder_y
      - .offset:         54
        .size:           2
        .value_kind:     hidden_remainder_z
      - .offset:         72
        .size:           8
        .value_kind:     hidden_global_offset_x
      - .offset:         80
        .size:           8
        .value_kind:     hidden_global_offset_y
      - .offset:         88
        .size:           8
        .value_kind:     hidden_global_offset_z
      - .offset:         96
        .size:           2
        .value_kind:     hidden_grid_dims
    .group_segment_fixed_size: 0
    .kernarg_segment_align: 8
    .kernarg_segment_size: 288
    .language:       OpenCL C
    .language_version:
      - 2
      - 0
    .max_flat_workgroup_size: 256
    .name:           _ZN7rocprim17ROCPRIM_400000_NS6detail31init_lookback_scan_state_kernelINS1_19lookback_scan_stateIdLb0ELb1EEENS1_16block_id_wrapperIjLb0EEEEEvT_jT0_jPNS7_10value_typeE
    .private_segment_fixed_size: 0
    .sgpr_count:     17
    .sgpr_spill_count: 0
    .symbol:         _ZN7rocprim17ROCPRIM_400000_NS6detail31init_lookback_scan_state_kernelINS1_19lookback_scan_stateIdLb0ELb1EEENS1_16block_id_wrapperIjLb0EEEEEvT_jT0_jPNS7_10value_typeE.kd
    .uniform_work_group_size: 1
    .uses_dynamic_stack: false
    .vgpr_count:     10
    .vgpr_spill_count: 0
    .wavefront_size: 64
  - .agpr_count:     0
    .args:
      - .offset:         0
        .size:           104
        .value_kind:     by_value
    .group_segment_fixed_size: 0
    .kernarg_segment_align: 8
    .kernarg_segment_size: 104
    .language:       OpenCL C
    .language_version:
      - 2
      - 0
    .max_flat_workgroup_size: 256
    .name:           _ZN7rocprim17ROCPRIM_400000_NS6detail17trampoline_kernelINS0_14default_configENS1_20scan_config_selectorIdEEZZNS1_9scan_implILNS1_25lookback_scan_determinismE0ELb0ELb0ES3_PKdPddZZZN2at6native31launch_logcumsumexp_cuda_kernelERKNSB_10TensorBaseESF_lENKUlvE_clEvENKUlvE_clEvEUlddE_dEEDaPvRmT3_T4_T5_mT6_P12ihipStream_tbENKUlT_T0_E_clISt17integral_constantIbLb0EESW_EEDaSR_SS_EUlSR_E_NS1_11comp_targetILNS1_3genE0ELNS1_11target_archE4294967295ELNS1_3gpuE0ELNS1_3repE0EEENS1_30default_config_static_selectorELNS0_4arch9wavefront6targetE1EEEvT1_
    .private_segment_fixed_size: 0
    .sgpr_count:     4
    .sgpr_spill_count: 0
    .symbol:         _ZN7rocprim17ROCPRIM_400000_NS6detail17trampoline_kernelINS0_14default_configENS1_20scan_config_selectorIdEEZZNS1_9scan_implILNS1_25lookback_scan_determinismE0ELb0ELb0ES3_PKdPddZZZN2at6native31launch_logcumsumexp_cuda_kernelERKNSB_10TensorBaseESF_lENKUlvE_clEvENKUlvE_clEvEUlddE_dEEDaPvRmT3_T4_T5_mT6_P12ihipStream_tbENKUlT_T0_E_clISt17integral_constantIbLb0EESW_EEDaSR_SS_EUlSR_E_NS1_11comp_targetILNS1_3genE0ELNS1_11target_archE4294967295ELNS1_3gpuE0ELNS1_3repE0EEENS1_30default_config_static_selectorELNS0_4arch9wavefront6targetE1EEEvT1_.kd
    .uniform_work_group_size: 1
    .uses_dynamic_stack: false
    .vgpr_count:     0
    .vgpr_spill_count: 0
    .wavefront_size: 64
  - .agpr_count:     0
    .args:
      - .offset:         0
        .size:           104
        .value_kind:     by_value
    .group_segment_fixed_size: 0
    .kernarg_segment_align: 8
    .kernarg_segment_size: 104
    .language:       OpenCL C
    .language_version:
      - 2
      - 0
    .max_flat_workgroup_size: 256
    .name:           _ZN7rocprim17ROCPRIM_400000_NS6detail17trampoline_kernelINS0_14default_configENS1_20scan_config_selectorIdEEZZNS1_9scan_implILNS1_25lookback_scan_determinismE0ELb0ELb0ES3_PKdPddZZZN2at6native31launch_logcumsumexp_cuda_kernelERKNSB_10TensorBaseESF_lENKUlvE_clEvENKUlvE_clEvEUlddE_dEEDaPvRmT3_T4_T5_mT6_P12ihipStream_tbENKUlT_T0_E_clISt17integral_constantIbLb0EESW_EEDaSR_SS_EUlSR_E_NS1_11comp_targetILNS1_3genE5ELNS1_11target_archE942ELNS1_3gpuE9ELNS1_3repE0EEENS1_30default_config_static_selectorELNS0_4arch9wavefront6targetE1EEEvT1_
    .private_segment_fixed_size: 0
    .sgpr_count:     4
    .sgpr_spill_count: 0
    .symbol:         _ZN7rocprim17ROCPRIM_400000_NS6detail17trampoline_kernelINS0_14default_configENS1_20scan_config_selectorIdEEZZNS1_9scan_implILNS1_25lookback_scan_determinismE0ELb0ELb0ES3_PKdPddZZZN2at6native31launch_logcumsumexp_cuda_kernelERKNSB_10TensorBaseESF_lENKUlvE_clEvENKUlvE_clEvEUlddE_dEEDaPvRmT3_T4_T5_mT6_P12ihipStream_tbENKUlT_T0_E_clISt17integral_constantIbLb0EESW_EEDaSR_SS_EUlSR_E_NS1_11comp_targetILNS1_3genE5ELNS1_11target_archE942ELNS1_3gpuE9ELNS1_3repE0EEENS1_30default_config_static_selectorELNS0_4arch9wavefront6targetE1EEEvT1_.kd
    .uniform_work_group_size: 1
    .uses_dynamic_stack: false
    .vgpr_count:     0
    .vgpr_spill_count: 0
    .wavefront_size: 64
  - .agpr_count:     0
    .args:
      - .offset:         0
        .size:           104
        .value_kind:     by_value
    .group_segment_fixed_size: 10240
    .kernarg_segment_align: 8
    .kernarg_segment_size: 104
    .language:       OpenCL C
    .language_version:
      - 2
      - 0
    .max_flat_workgroup_size: 128
    .name:           _ZN7rocprim17ROCPRIM_400000_NS6detail17trampoline_kernelINS0_14default_configENS1_20scan_config_selectorIdEEZZNS1_9scan_implILNS1_25lookback_scan_determinismE0ELb0ELb0ES3_PKdPddZZZN2at6native31launch_logcumsumexp_cuda_kernelERKNSB_10TensorBaseESF_lENKUlvE_clEvENKUlvE_clEvEUlddE_dEEDaPvRmT3_T4_T5_mT6_P12ihipStream_tbENKUlT_T0_E_clISt17integral_constantIbLb0EESW_EEDaSR_SS_EUlSR_E_NS1_11comp_targetILNS1_3genE4ELNS1_11target_archE910ELNS1_3gpuE8ELNS1_3repE0EEENS1_30default_config_static_selectorELNS0_4arch9wavefront6targetE1EEEvT1_
    .private_segment_fixed_size: 0
    .sgpr_count:     73
    .sgpr_spill_count: 0
    .symbol:         _ZN7rocprim17ROCPRIM_400000_NS6detail17trampoline_kernelINS0_14default_configENS1_20scan_config_selectorIdEEZZNS1_9scan_implILNS1_25lookback_scan_determinismE0ELb0ELb0ES3_PKdPddZZZN2at6native31launch_logcumsumexp_cuda_kernelERKNSB_10TensorBaseESF_lENKUlvE_clEvENKUlvE_clEvEUlddE_dEEDaPvRmT3_T4_T5_mT6_P12ihipStream_tbENKUlT_T0_E_clISt17integral_constantIbLb0EESW_EEDaSR_SS_EUlSR_E_NS1_11comp_targetILNS1_3genE4ELNS1_11target_archE910ELNS1_3gpuE8ELNS1_3repE0EEENS1_30default_config_static_selectorELNS0_4arch9wavefront6targetE1EEEvT1_.kd
    .uniform_work_group_size: 1
    .uses_dynamic_stack: false
    .vgpr_count:     129
    .vgpr_spill_count: 0
    .wavefront_size: 64
  - .agpr_count:     0
    .args:
      - .offset:         0
        .size:           104
        .value_kind:     by_value
    .group_segment_fixed_size: 0
    .kernarg_segment_align: 8
    .kernarg_segment_size: 104
    .language:       OpenCL C
    .language_version:
      - 2
      - 0
    .max_flat_workgroup_size: 256
    .name:           _ZN7rocprim17ROCPRIM_400000_NS6detail17trampoline_kernelINS0_14default_configENS1_20scan_config_selectorIdEEZZNS1_9scan_implILNS1_25lookback_scan_determinismE0ELb0ELb0ES3_PKdPddZZZN2at6native31launch_logcumsumexp_cuda_kernelERKNSB_10TensorBaseESF_lENKUlvE_clEvENKUlvE_clEvEUlddE_dEEDaPvRmT3_T4_T5_mT6_P12ihipStream_tbENKUlT_T0_E_clISt17integral_constantIbLb0EESW_EEDaSR_SS_EUlSR_E_NS1_11comp_targetILNS1_3genE3ELNS1_11target_archE908ELNS1_3gpuE7ELNS1_3repE0EEENS1_30default_config_static_selectorELNS0_4arch9wavefront6targetE1EEEvT1_
    .private_segment_fixed_size: 0
    .sgpr_count:     4
    .sgpr_spill_count: 0
    .symbol:         _ZN7rocprim17ROCPRIM_400000_NS6detail17trampoline_kernelINS0_14default_configENS1_20scan_config_selectorIdEEZZNS1_9scan_implILNS1_25lookback_scan_determinismE0ELb0ELb0ES3_PKdPddZZZN2at6native31launch_logcumsumexp_cuda_kernelERKNSB_10TensorBaseESF_lENKUlvE_clEvENKUlvE_clEvEUlddE_dEEDaPvRmT3_T4_T5_mT6_P12ihipStream_tbENKUlT_T0_E_clISt17integral_constantIbLb0EESW_EEDaSR_SS_EUlSR_E_NS1_11comp_targetILNS1_3genE3ELNS1_11target_archE908ELNS1_3gpuE7ELNS1_3repE0EEENS1_30default_config_static_selectorELNS0_4arch9wavefront6targetE1EEEvT1_.kd
    .uniform_work_group_size: 1
    .uses_dynamic_stack: false
    .vgpr_count:     0
    .vgpr_spill_count: 0
    .wavefront_size: 64
  - .agpr_count:     0
    .args:
      - .offset:         0
        .size:           104
        .value_kind:     by_value
    .group_segment_fixed_size: 0
    .kernarg_segment_align: 8
    .kernarg_segment_size: 104
    .language:       OpenCL C
    .language_version:
      - 2
      - 0
    .max_flat_workgroup_size: 128
    .name:           _ZN7rocprim17ROCPRIM_400000_NS6detail17trampoline_kernelINS0_14default_configENS1_20scan_config_selectorIdEEZZNS1_9scan_implILNS1_25lookback_scan_determinismE0ELb0ELb0ES3_PKdPddZZZN2at6native31launch_logcumsumexp_cuda_kernelERKNSB_10TensorBaseESF_lENKUlvE_clEvENKUlvE_clEvEUlddE_dEEDaPvRmT3_T4_T5_mT6_P12ihipStream_tbENKUlT_T0_E_clISt17integral_constantIbLb0EESW_EEDaSR_SS_EUlSR_E_NS1_11comp_targetILNS1_3genE2ELNS1_11target_archE906ELNS1_3gpuE6ELNS1_3repE0EEENS1_30default_config_static_selectorELNS0_4arch9wavefront6targetE1EEEvT1_
    .private_segment_fixed_size: 0
    .sgpr_count:     4
    .sgpr_spill_count: 0
    .symbol:         _ZN7rocprim17ROCPRIM_400000_NS6detail17trampoline_kernelINS0_14default_configENS1_20scan_config_selectorIdEEZZNS1_9scan_implILNS1_25lookback_scan_determinismE0ELb0ELb0ES3_PKdPddZZZN2at6native31launch_logcumsumexp_cuda_kernelERKNSB_10TensorBaseESF_lENKUlvE_clEvENKUlvE_clEvEUlddE_dEEDaPvRmT3_T4_T5_mT6_P12ihipStream_tbENKUlT_T0_E_clISt17integral_constantIbLb0EESW_EEDaSR_SS_EUlSR_E_NS1_11comp_targetILNS1_3genE2ELNS1_11target_archE906ELNS1_3gpuE6ELNS1_3repE0EEENS1_30default_config_static_selectorELNS0_4arch9wavefront6targetE1EEEvT1_.kd
    .uniform_work_group_size: 1
    .uses_dynamic_stack: false
    .vgpr_count:     0
    .vgpr_spill_count: 0
    .wavefront_size: 64
  - .agpr_count:     0
    .args:
      - .offset:         0
        .size:           104
        .value_kind:     by_value
    .group_segment_fixed_size: 0
    .kernarg_segment_align: 8
    .kernarg_segment_size: 104
    .language:       OpenCL C
    .language_version:
      - 2
      - 0
    .max_flat_workgroup_size: 256
    .name:           _ZN7rocprim17ROCPRIM_400000_NS6detail17trampoline_kernelINS0_14default_configENS1_20scan_config_selectorIdEEZZNS1_9scan_implILNS1_25lookback_scan_determinismE0ELb0ELb0ES3_PKdPddZZZN2at6native31launch_logcumsumexp_cuda_kernelERKNSB_10TensorBaseESF_lENKUlvE_clEvENKUlvE_clEvEUlddE_dEEDaPvRmT3_T4_T5_mT6_P12ihipStream_tbENKUlT_T0_E_clISt17integral_constantIbLb0EESW_EEDaSR_SS_EUlSR_E_NS1_11comp_targetILNS1_3genE10ELNS1_11target_archE1201ELNS1_3gpuE5ELNS1_3repE0EEENS1_30default_config_static_selectorELNS0_4arch9wavefront6targetE1EEEvT1_
    .private_segment_fixed_size: 0
    .sgpr_count:     4
    .sgpr_spill_count: 0
    .symbol:         _ZN7rocprim17ROCPRIM_400000_NS6detail17trampoline_kernelINS0_14default_configENS1_20scan_config_selectorIdEEZZNS1_9scan_implILNS1_25lookback_scan_determinismE0ELb0ELb0ES3_PKdPddZZZN2at6native31launch_logcumsumexp_cuda_kernelERKNSB_10TensorBaseESF_lENKUlvE_clEvENKUlvE_clEvEUlddE_dEEDaPvRmT3_T4_T5_mT6_P12ihipStream_tbENKUlT_T0_E_clISt17integral_constantIbLb0EESW_EEDaSR_SS_EUlSR_E_NS1_11comp_targetILNS1_3genE10ELNS1_11target_archE1201ELNS1_3gpuE5ELNS1_3repE0EEENS1_30default_config_static_selectorELNS0_4arch9wavefront6targetE1EEEvT1_.kd
    .uniform_work_group_size: 1
    .uses_dynamic_stack: false
    .vgpr_count:     0
    .vgpr_spill_count: 0
    .wavefront_size: 64
  - .agpr_count:     0
    .args:
      - .offset:         0
        .size:           104
        .value_kind:     by_value
    .group_segment_fixed_size: 0
    .kernarg_segment_align: 8
    .kernarg_segment_size: 104
    .language:       OpenCL C
    .language_version:
      - 2
      - 0
    .max_flat_workgroup_size: 256
    .name:           _ZN7rocprim17ROCPRIM_400000_NS6detail17trampoline_kernelINS0_14default_configENS1_20scan_config_selectorIdEEZZNS1_9scan_implILNS1_25lookback_scan_determinismE0ELb0ELb0ES3_PKdPddZZZN2at6native31launch_logcumsumexp_cuda_kernelERKNSB_10TensorBaseESF_lENKUlvE_clEvENKUlvE_clEvEUlddE_dEEDaPvRmT3_T4_T5_mT6_P12ihipStream_tbENKUlT_T0_E_clISt17integral_constantIbLb0EESW_EEDaSR_SS_EUlSR_E_NS1_11comp_targetILNS1_3genE10ELNS1_11target_archE1200ELNS1_3gpuE4ELNS1_3repE0EEENS1_30default_config_static_selectorELNS0_4arch9wavefront6targetE1EEEvT1_
    .private_segment_fixed_size: 0
    .sgpr_count:     4
    .sgpr_spill_count: 0
    .symbol:         _ZN7rocprim17ROCPRIM_400000_NS6detail17trampoline_kernelINS0_14default_configENS1_20scan_config_selectorIdEEZZNS1_9scan_implILNS1_25lookback_scan_determinismE0ELb0ELb0ES3_PKdPddZZZN2at6native31launch_logcumsumexp_cuda_kernelERKNSB_10TensorBaseESF_lENKUlvE_clEvENKUlvE_clEvEUlddE_dEEDaPvRmT3_T4_T5_mT6_P12ihipStream_tbENKUlT_T0_E_clISt17integral_constantIbLb0EESW_EEDaSR_SS_EUlSR_E_NS1_11comp_targetILNS1_3genE10ELNS1_11target_archE1200ELNS1_3gpuE4ELNS1_3repE0EEENS1_30default_config_static_selectorELNS0_4arch9wavefront6targetE1EEEvT1_.kd
    .uniform_work_group_size: 1
    .uses_dynamic_stack: false
    .vgpr_count:     0
    .vgpr_spill_count: 0
    .wavefront_size: 64
  - .agpr_count:     0
    .args:
      - .offset:         0
        .size:           104
        .value_kind:     by_value
    .group_segment_fixed_size: 0
    .kernarg_segment_align: 8
    .kernarg_segment_size: 104
    .language:       OpenCL C
    .language_version:
      - 2
      - 0
    .max_flat_workgroup_size: 256
    .name:           _ZN7rocprim17ROCPRIM_400000_NS6detail17trampoline_kernelINS0_14default_configENS1_20scan_config_selectorIdEEZZNS1_9scan_implILNS1_25lookback_scan_determinismE0ELb0ELb0ES3_PKdPddZZZN2at6native31launch_logcumsumexp_cuda_kernelERKNSB_10TensorBaseESF_lENKUlvE_clEvENKUlvE_clEvEUlddE_dEEDaPvRmT3_T4_T5_mT6_P12ihipStream_tbENKUlT_T0_E_clISt17integral_constantIbLb0EESW_EEDaSR_SS_EUlSR_E_NS1_11comp_targetILNS1_3genE9ELNS1_11target_archE1100ELNS1_3gpuE3ELNS1_3repE0EEENS1_30default_config_static_selectorELNS0_4arch9wavefront6targetE1EEEvT1_
    .private_segment_fixed_size: 0
    .sgpr_count:     4
    .sgpr_spill_count: 0
    .symbol:         _ZN7rocprim17ROCPRIM_400000_NS6detail17trampoline_kernelINS0_14default_configENS1_20scan_config_selectorIdEEZZNS1_9scan_implILNS1_25lookback_scan_determinismE0ELb0ELb0ES3_PKdPddZZZN2at6native31launch_logcumsumexp_cuda_kernelERKNSB_10TensorBaseESF_lENKUlvE_clEvENKUlvE_clEvEUlddE_dEEDaPvRmT3_T4_T5_mT6_P12ihipStream_tbENKUlT_T0_E_clISt17integral_constantIbLb0EESW_EEDaSR_SS_EUlSR_E_NS1_11comp_targetILNS1_3genE9ELNS1_11target_archE1100ELNS1_3gpuE3ELNS1_3repE0EEENS1_30default_config_static_selectorELNS0_4arch9wavefront6targetE1EEEvT1_.kd
    .uniform_work_group_size: 1
    .uses_dynamic_stack: false
    .vgpr_count:     0
    .vgpr_spill_count: 0
    .wavefront_size: 64
  - .agpr_count:     0
    .args:
      - .offset:         0
        .size:           104
        .value_kind:     by_value
    .group_segment_fixed_size: 0
    .kernarg_segment_align: 8
    .kernarg_segment_size: 104
    .language:       OpenCL C
    .language_version:
      - 2
      - 0
    .max_flat_workgroup_size: 128
    .name:           _ZN7rocprim17ROCPRIM_400000_NS6detail17trampoline_kernelINS0_14default_configENS1_20scan_config_selectorIdEEZZNS1_9scan_implILNS1_25lookback_scan_determinismE0ELb0ELb0ES3_PKdPddZZZN2at6native31launch_logcumsumexp_cuda_kernelERKNSB_10TensorBaseESF_lENKUlvE_clEvENKUlvE_clEvEUlddE_dEEDaPvRmT3_T4_T5_mT6_P12ihipStream_tbENKUlT_T0_E_clISt17integral_constantIbLb0EESW_EEDaSR_SS_EUlSR_E_NS1_11comp_targetILNS1_3genE8ELNS1_11target_archE1030ELNS1_3gpuE2ELNS1_3repE0EEENS1_30default_config_static_selectorELNS0_4arch9wavefront6targetE1EEEvT1_
    .private_segment_fixed_size: 0
    .sgpr_count:     4
    .sgpr_spill_count: 0
    .symbol:         _ZN7rocprim17ROCPRIM_400000_NS6detail17trampoline_kernelINS0_14default_configENS1_20scan_config_selectorIdEEZZNS1_9scan_implILNS1_25lookback_scan_determinismE0ELb0ELb0ES3_PKdPddZZZN2at6native31launch_logcumsumexp_cuda_kernelERKNSB_10TensorBaseESF_lENKUlvE_clEvENKUlvE_clEvEUlddE_dEEDaPvRmT3_T4_T5_mT6_P12ihipStream_tbENKUlT_T0_E_clISt17integral_constantIbLb0EESW_EEDaSR_SS_EUlSR_E_NS1_11comp_targetILNS1_3genE8ELNS1_11target_archE1030ELNS1_3gpuE2ELNS1_3repE0EEENS1_30default_config_static_selectorELNS0_4arch9wavefront6targetE1EEEvT1_.kd
    .uniform_work_group_size: 1
    .uses_dynamic_stack: false
    .vgpr_count:     0
    .vgpr_spill_count: 0
    .wavefront_size: 64
  - .agpr_count:     0
    .args:
      - .offset:         0
        .size:           40
        .value_kind:     by_value
    .group_segment_fixed_size: 0
    .kernarg_segment_align: 8
    .kernarg_segment_size: 40
    .language:       OpenCL C
    .language_version:
      - 2
      - 0
    .max_flat_workgroup_size: 128
    .name:           _ZN7rocprim17ROCPRIM_400000_NS6detail17trampoline_kernelINS0_14default_configENS1_25transform_config_selectorIdLb1EEEZNS1_14transform_implILb1ES3_S5_PdS7_NS0_8identityIdEEEE10hipError_tT2_T3_mT4_P12ihipStream_tbEUlT_E_NS1_11comp_targetILNS1_3genE0ELNS1_11target_archE4294967295ELNS1_3gpuE0ELNS1_3repE0EEENS1_30default_config_static_selectorELNS0_4arch9wavefront6targetE1EEEvT1_
    .private_segment_fixed_size: 0
    .sgpr_count:     4
    .sgpr_spill_count: 0
    .symbol:         _ZN7rocprim17ROCPRIM_400000_NS6detail17trampoline_kernelINS0_14default_configENS1_25transform_config_selectorIdLb1EEEZNS1_14transform_implILb1ES3_S5_PdS7_NS0_8identityIdEEEE10hipError_tT2_T3_mT4_P12ihipStream_tbEUlT_E_NS1_11comp_targetILNS1_3genE0ELNS1_11target_archE4294967295ELNS1_3gpuE0ELNS1_3repE0EEENS1_30default_config_static_selectorELNS0_4arch9wavefront6targetE1EEEvT1_.kd
    .uniform_work_group_size: 1
    .uses_dynamic_stack: false
    .vgpr_count:     0
    .vgpr_spill_count: 0
    .wavefront_size: 64
  - .agpr_count:     0
    .args:
      - .offset:         0
        .size:           40
        .value_kind:     by_value
    .group_segment_fixed_size: 0
    .kernarg_segment_align: 8
    .kernarg_segment_size: 40
    .language:       OpenCL C
    .language_version:
      - 2
      - 0
    .max_flat_workgroup_size: 1024
    .name:           _ZN7rocprim17ROCPRIM_400000_NS6detail17trampoline_kernelINS0_14default_configENS1_25transform_config_selectorIdLb1EEEZNS1_14transform_implILb1ES3_S5_PdS7_NS0_8identityIdEEEE10hipError_tT2_T3_mT4_P12ihipStream_tbEUlT_E_NS1_11comp_targetILNS1_3genE10ELNS1_11target_archE1201ELNS1_3gpuE5ELNS1_3repE0EEENS1_30default_config_static_selectorELNS0_4arch9wavefront6targetE1EEEvT1_
    .private_segment_fixed_size: 0
    .sgpr_count:     4
    .sgpr_spill_count: 0
    .symbol:         _ZN7rocprim17ROCPRIM_400000_NS6detail17trampoline_kernelINS0_14default_configENS1_25transform_config_selectorIdLb1EEEZNS1_14transform_implILb1ES3_S5_PdS7_NS0_8identityIdEEEE10hipError_tT2_T3_mT4_P12ihipStream_tbEUlT_E_NS1_11comp_targetILNS1_3genE10ELNS1_11target_archE1201ELNS1_3gpuE5ELNS1_3repE0EEENS1_30default_config_static_selectorELNS0_4arch9wavefront6targetE1EEEvT1_.kd
    .uniform_work_group_size: 1
    .uses_dynamic_stack: false
    .vgpr_count:     0
    .vgpr_spill_count: 0
    .wavefront_size: 64
  - .agpr_count:     0
    .args:
      - .offset:         0
        .size:           40
        .value_kind:     by_value
    .group_segment_fixed_size: 0
    .kernarg_segment_align: 8
    .kernarg_segment_size: 40
    .language:       OpenCL C
    .language_version:
      - 2
      - 0
    .max_flat_workgroup_size: 1024
    .name:           _ZN7rocprim17ROCPRIM_400000_NS6detail17trampoline_kernelINS0_14default_configENS1_25transform_config_selectorIdLb1EEEZNS1_14transform_implILb1ES3_S5_PdS7_NS0_8identityIdEEEE10hipError_tT2_T3_mT4_P12ihipStream_tbEUlT_E_NS1_11comp_targetILNS1_3genE5ELNS1_11target_archE942ELNS1_3gpuE9ELNS1_3repE0EEENS1_30default_config_static_selectorELNS0_4arch9wavefront6targetE1EEEvT1_
    .private_segment_fixed_size: 0
    .sgpr_count:     4
    .sgpr_spill_count: 0
    .symbol:         _ZN7rocprim17ROCPRIM_400000_NS6detail17trampoline_kernelINS0_14default_configENS1_25transform_config_selectorIdLb1EEEZNS1_14transform_implILb1ES3_S5_PdS7_NS0_8identityIdEEEE10hipError_tT2_T3_mT4_P12ihipStream_tbEUlT_E_NS1_11comp_targetILNS1_3genE5ELNS1_11target_archE942ELNS1_3gpuE9ELNS1_3repE0EEENS1_30default_config_static_selectorELNS0_4arch9wavefront6targetE1EEEvT1_.kd
    .uniform_work_group_size: 1
    .uses_dynamic_stack: false
    .vgpr_count:     0
    .vgpr_spill_count: 0
    .wavefront_size: 64
  - .agpr_count:     0
    .args:
      - .offset:         0
        .size:           40
        .value_kind:     by_value
      - .offset:         40
        .size:           4
        .value_kind:     hidden_block_count_x
      - .offset:         44
        .size:           4
        .value_kind:     hidden_block_count_y
      - .offset:         48
        .size:           4
        .value_kind:     hidden_block_count_z
      - .offset:         52
        .size:           2
        .value_kind:     hidden_group_size_x
      - .offset:         54
        .size:           2
        .value_kind:     hidden_group_size_y
      - .offset:         56
        .size:           2
        .value_kind:     hidden_group_size_z
      - .offset:         58
        .size:           2
        .value_kind:     hidden_remainder_x
      - .offset:         60
        .size:           2
        .value_kind:     hidden_remainder_y
      - .offset:         62
        .size:           2
        .value_kind:     hidden_remainder_z
      - .offset:         80
        .size:           8
        .value_kind:     hidden_global_offset_x
      - .offset:         88
        .size:           8
        .value_kind:     hidden_global_offset_y
      - .offset:         96
        .size:           8
        .value_kind:     hidden_global_offset_z
      - .offset:         104
        .size:           2
        .value_kind:     hidden_grid_dims
    .group_segment_fixed_size: 0
    .kernarg_segment_align: 8
    .kernarg_segment_size: 296
    .language:       OpenCL C
    .language_version:
      - 2
      - 0
    .max_flat_workgroup_size: 1024
    .name:           _ZN7rocprim17ROCPRIM_400000_NS6detail17trampoline_kernelINS0_14default_configENS1_25transform_config_selectorIdLb1EEEZNS1_14transform_implILb1ES3_S5_PdS7_NS0_8identityIdEEEE10hipError_tT2_T3_mT4_P12ihipStream_tbEUlT_E_NS1_11comp_targetILNS1_3genE4ELNS1_11target_archE910ELNS1_3gpuE8ELNS1_3repE0EEENS1_30default_config_static_selectorELNS0_4arch9wavefront6targetE1EEEvT1_
    .private_segment_fixed_size: 0
    .sgpr_count:     20
    .sgpr_spill_count: 0
    .symbol:         _ZN7rocprim17ROCPRIM_400000_NS6detail17trampoline_kernelINS0_14default_configENS1_25transform_config_selectorIdLb1EEEZNS1_14transform_implILb1ES3_S5_PdS7_NS0_8identityIdEEEE10hipError_tT2_T3_mT4_P12ihipStream_tbEUlT_E_NS1_11comp_targetILNS1_3genE4ELNS1_11target_archE910ELNS1_3gpuE8ELNS1_3repE0EEENS1_30default_config_static_selectorELNS0_4arch9wavefront6targetE1EEEvT1_.kd
    .uniform_work_group_size: 1
    .uses_dynamic_stack: false
    .vgpr_count:     7
    .vgpr_spill_count: 0
    .wavefront_size: 64
  - .agpr_count:     0
    .args:
      - .offset:         0
        .size:           40
        .value_kind:     by_value
    .group_segment_fixed_size: 0
    .kernarg_segment_align: 8
    .kernarg_segment_size: 40
    .language:       OpenCL C
    .language_version:
      - 2
      - 0
    .max_flat_workgroup_size: 128
    .name:           _ZN7rocprim17ROCPRIM_400000_NS6detail17trampoline_kernelINS0_14default_configENS1_25transform_config_selectorIdLb1EEEZNS1_14transform_implILb1ES3_S5_PdS7_NS0_8identityIdEEEE10hipError_tT2_T3_mT4_P12ihipStream_tbEUlT_E_NS1_11comp_targetILNS1_3genE3ELNS1_11target_archE908ELNS1_3gpuE7ELNS1_3repE0EEENS1_30default_config_static_selectorELNS0_4arch9wavefront6targetE1EEEvT1_
    .private_segment_fixed_size: 0
    .sgpr_count:     4
    .sgpr_spill_count: 0
    .symbol:         _ZN7rocprim17ROCPRIM_400000_NS6detail17trampoline_kernelINS0_14default_configENS1_25transform_config_selectorIdLb1EEEZNS1_14transform_implILb1ES3_S5_PdS7_NS0_8identityIdEEEE10hipError_tT2_T3_mT4_P12ihipStream_tbEUlT_E_NS1_11comp_targetILNS1_3genE3ELNS1_11target_archE908ELNS1_3gpuE7ELNS1_3repE0EEENS1_30default_config_static_selectorELNS0_4arch9wavefront6targetE1EEEvT1_.kd
    .uniform_work_group_size: 1
    .uses_dynamic_stack: false
    .vgpr_count:     0
    .vgpr_spill_count: 0
    .wavefront_size: 64
  - .agpr_count:     0
    .args:
      - .offset:         0
        .size:           40
        .value_kind:     by_value
    .group_segment_fixed_size: 0
    .kernarg_segment_align: 8
    .kernarg_segment_size: 40
    .language:       OpenCL C
    .language_version:
      - 2
      - 0
    .max_flat_workgroup_size: 1024
    .name:           _ZN7rocprim17ROCPRIM_400000_NS6detail17trampoline_kernelINS0_14default_configENS1_25transform_config_selectorIdLb1EEEZNS1_14transform_implILb1ES3_S5_PdS7_NS0_8identityIdEEEE10hipError_tT2_T3_mT4_P12ihipStream_tbEUlT_E_NS1_11comp_targetILNS1_3genE2ELNS1_11target_archE906ELNS1_3gpuE6ELNS1_3repE0EEENS1_30default_config_static_selectorELNS0_4arch9wavefront6targetE1EEEvT1_
    .private_segment_fixed_size: 0
    .sgpr_count:     4
    .sgpr_spill_count: 0
    .symbol:         _ZN7rocprim17ROCPRIM_400000_NS6detail17trampoline_kernelINS0_14default_configENS1_25transform_config_selectorIdLb1EEEZNS1_14transform_implILb1ES3_S5_PdS7_NS0_8identityIdEEEE10hipError_tT2_T3_mT4_P12ihipStream_tbEUlT_E_NS1_11comp_targetILNS1_3genE2ELNS1_11target_archE906ELNS1_3gpuE6ELNS1_3repE0EEENS1_30default_config_static_selectorELNS0_4arch9wavefront6targetE1EEEvT1_.kd
    .uniform_work_group_size: 1
    .uses_dynamic_stack: false
    .vgpr_count:     0
    .vgpr_spill_count: 0
    .wavefront_size: 64
  - .agpr_count:     0
    .args:
      - .offset:         0
        .size:           40
        .value_kind:     by_value
    .group_segment_fixed_size: 0
    .kernarg_segment_align: 8
    .kernarg_segment_size: 40
    .language:       OpenCL C
    .language_version:
      - 2
      - 0
    .max_flat_workgroup_size: 1024
    .name:           _ZN7rocprim17ROCPRIM_400000_NS6detail17trampoline_kernelINS0_14default_configENS1_25transform_config_selectorIdLb1EEEZNS1_14transform_implILb1ES3_S5_PdS7_NS0_8identityIdEEEE10hipError_tT2_T3_mT4_P12ihipStream_tbEUlT_E_NS1_11comp_targetILNS1_3genE9ELNS1_11target_archE1100ELNS1_3gpuE3ELNS1_3repE0EEENS1_30default_config_static_selectorELNS0_4arch9wavefront6targetE1EEEvT1_
    .private_segment_fixed_size: 0
    .sgpr_count:     4
    .sgpr_spill_count: 0
    .symbol:         _ZN7rocprim17ROCPRIM_400000_NS6detail17trampoline_kernelINS0_14default_configENS1_25transform_config_selectorIdLb1EEEZNS1_14transform_implILb1ES3_S5_PdS7_NS0_8identityIdEEEE10hipError_tT2_T3_mT4_P12ihipStream_tbEUlT_E_NS1_11comp_targetILNS1_3genE9ELNS1_11target_archE1100ELNS1_3gpuE3ELNS1_3repE0EEENS1_30default_config_static_selectorELNS0_4arch9wavefront6targetE1EEEvT1_.kd
    .uniform_work_group_size: 1
    .uses_dynamic_stack: false
    .vgpr_count:     0
    .vgpr_spill_count: 0
    .wavefront_size: 64
  - .agpr_count:     0
    .args:
      - .offset:         0
        .size:           40
        .value_kind:     by_value
    .group_segment_fixed_size: 0
    .kernarg_segment_align: 8
    .kernarg_segment_size: 40
    .language:       OpenCL C
    .language_version:
      - 2
      - 0
    .max_flat_workgroup_size: 1024
    .name:           _ZN7rocprim17ROCPRIM_400000_NS6detail17trampoline_kernelINS0_14default_configENS1_25transform_config_selectorIdLb1EEEZNS1_14transform_implILb1ES3_S5_PdS7_NS0_8identityIdEEEE10hipError_tT2_T3_mT4_P12ihipStream_tbEUlT_E_NS1_11comp_targetILNS1_3genE8ELNS1_11target_archE1030ELNS1_3gpuE2ELNS1_3repE0EEENS1_30default_config_static_selectorELNS0_4arch9wavefront6targetE1EEEvT1_
    .private_segment_fixed_size: 0
    .sgpr_count:     4
    .sgpr_spill_count: 0
    .symbol:         _ZN7rocprim17ROCPRIM_400000_NS6detail17trampoline_kernelINS0_14default_configENS1_25transform_config_selectorIdLb1EEEZNS1_14transform_implILb1ES3_S5_PdS7_NS0_8identityIdEEEE10hipError_tT2_T3_mT4_P12ihipStream_tbEUlT_E_NS1_11comp_targetILNS1_3genE8ELNS1_11target_archE1030ELNS1_3gpuE2ELNS1_3repE0EEENS1_30default_config_static_selectorELNS0_4arch9wavefront6targetE1EEEvT1_.kd
    .uniform_work_group_size: 1
    .uses_dynamic_stack: false
    .vgpr_count:     0
    .vgpr_spill_count: 0
    .wavefront_size: 64
  - .agpr_count:     0
    .args:
      - .offset:         0
        .size:           40
        .value_kind:     by_value
    .group_segment_fixed_size: 0
    .kernarg_segment_align: 8
    .kernarg_segment_size: 40
    .language:       OpenCL C
    .language_version:
      - 2
      - 0
    .max_flat_workgroup_size: 256
    .name:           _ZN7rocprim17ROCPRIM_400000_NS6detail17trampoline_kernelINS0_14default_configENS1_20scan_config_selectorIdEEZZNS1_9scan_implILNS1_25lookback_scan_determinismE0ELb0ELb0ES3_PKdPddZZZN2at6native31launch_logcumsumexp_cuda_kernelERKNSB_10TensorBaseESF_lENKUlvE_clEvENKUlvE_clEvEUlddE_dEEDaPvRmT3_T4_T5_mT6_P12ihipStream_tbENKUlT_T0_E_clISt17integral_constantIbLb0EESW_EEDaSR_SS_EUlSR_E0_NS1_11comp_targetILNS1_3genE0ELNS1_11target_archE4294967295ELNS1_3gpuE0ELNS1_3repE0EEENS1_30default_config_static_selectorELNS0_4arch9wavefront6targetE1EEEvT1_
    .private_segment_fixed_size: 0
    .sgpr_count:     4
    .sgpr_spill_count: 0
    .symbol:         _ZN7rocprim17ROCPRIM_400000_NS6detail17trampoline_kernelINS0_14default_configENS1_20scan_config_selectorIdEEZZNS1_9scan_implILNS1_25lookback_scan_determinismE0ELb0ELb0ES3_PKdPddZZZN2at6native31launch_logcumsumexp_cuda_kernelERKNSB_10TensorBaseESF_lENKUlvE_clEvENKUlvE_clEvEUlddE_dEEDaPvRmT3_T4_T5_mT6_P12ihipStream_tbENKUlT_T0_E_clISt17integral_constantIbLb0EESW_EEDaSR_SS_EUlSR_E0_NS1_11comp_targetILNS1_3genE0ELNS1_11target_archE4294967295ELNS1_3gpuE0ELNS1_3repE0EEENS1_30default_config_static_selectorELNS0_4arch9wavefront6targetE1EEEvT1_.kd
    .uniform_work_group_size: 1
    .uses_dynamic_stack: false
    .vgpr_count:     0
    .vgpr_spill_count: 0
    .wavefront_size: 64
  - .agpr_count:     0
    .args:
      - .offset:         0
        .size:           40
        .value_kind:     by_value
    .group_segment_fixed_size: 0
    .kernarg_segment_align: 8
    .kernarg_segment_size: 40
    .language:       OpenCL C
    .language_version:
      - 2
      - 0
    .max_flat_workgroup_size: 256
    .name:           _ZN7rocprim17ROCPRIM_400000_NS6detail17trampoline_kernelINS0_14default_configENS1_20scan_config_selectorIdEEZZNS1_9scan_implILNS1_25lookback_scan_determinismE0ELb0ELb0ES3_PKdPddZZZN2at6native31launch_logcumsumexp_cuda_kernelERKNSB_10TensorBaseESF_lENKUlvE_clEvENKUlvE_clEvEUlddE_dEEDaPvRmT3_T4_T5_mT6_P12ihipStream_tbENKUlT_T0_E_clISt17integral_constantIbLb0EESW_EEDaSR_SS_EUlSR_E0_NS1_11comp_targetILNS1_3genE5ELNS1_11target_archE942ELNS1_3gpuE9ELNS1_3repE0EEENS1_30default_config_static_selectorELNS0_4arch9wavefront6targetE1EEEvT1_
    .private_segment_fixed_size: 0
    .sgpr_count:     4
    .sgpr_spill_count: 0
    .symbol:         _ZN7rocprim17ROCPRIM_400000_NS6detail17trampoline_kernelINS0_14default_configENS1_20scan_config_selectorIdEEZZNS1_9scan_implILNS1_25lookback_scan_determinismE0ELb0ELb0ES3_PKdPddZZZN2at6native31launch_logcumsumexp_cuda_kernelERKNSB_10TensorBaseESF_lENKUlvE_clEvENKUlvE_clEvEUlddE_dEEDaPvRmT3_T4_T5_mT6_P12ihipStream_tbENKUlT_T0_E_clISt17integral_constantIbLb0EESW_EEDaSR_SS_EUlSR_E0_NS1_11comp_targetILNS1_3genE5ELNS1_11target_archE942ELNS1_3gpuE9ELNS1_3repE0EEENS1_30default_config_static_selectorELNS0_4arch9wavefront6targetE1EEEvT1_.kd
    .uniform_work_group_size: 1
    .uses_dynamic_stack: false
    .vgpr_count:     0
    .vgpr_spill_count: 0
    .wavefront_size: 64
  - .agpr_count:     0
    .args:
      - .offset:         0
        .size:           40
        .value_kind:     by_value
    .group_segment_fixed_size: 10240
    .kernarg_segment_align: 8
    .kernarg_segment_size: 40
    .language:       OpenCL C
    .language_version:
      - 2
      - 0
    .max_flat_workgroup_size: 128
    .name:           _ZN7rocprim17ROCPRIM_400000_NS6detail17trampoline_kernelINS0_14default_configENS1_20scan_config_selectorIdEEZZNS1_9scan_implILNS1_25lookback_scan_determinismE0ELb0ELb0ES3_PKdPddZZZN2at6native31launch_logcumsumexp_cuda_kernelERKNSB_10TensorBaseESF_lENKUlvE_clEvENKUlvE_clEvEUlddE_dEEDaPvRmT3_T4_T5_mT6_P12ihipStream_tbENKUlT_T0_E_clISt17integral_constantIbLb0EESW_EEDaSR_SS_EUlSR_E0_NS1_11comp_targetILNS1_3genE4ELNS1_11target_archE910ELNS1_3gpuE8ELNS1_3repE0EEENS1_30default_config_static_selectorELNS0_4arch9wavefront6targetE1EEEvT1_
    .private_segment_fixed_size: 0
    .sgpr_count:     60
    .sgpr_spill_count: 0
    .symbol:         _ZN7rocprim17ROCPRIM_400000_NS6detail17trampoline_kernelINS0_14default_configENS1_20scan_config_selectorIdEEZZNS1_9scan_implILNS1_25lookback_scan_determinismE0ELb0ELb0ES3_PKdPddZZZN2at6native31launch_logcumsumexp_cuda_kernelERKNSB_10TensorBaseESF_lENKUlvE_clEvENKUlvE_clEvEUlddE_dEEDaPvRmT3_T4_T5_mT6_P12ihipStream_tbENKUlT_T0_E_clISt17integral_constantIbLb0EESW_EEDaSR_SS_EUlSR_E0_NS1_11comp_targetILNS1_3genE4ELNS1_11target_archE910ELNS1_3gpuE8ELNS1_3repE0EEENS1_30default_config_static_selectorELNS0_4arch9wavefront6targetE1EEEvT1_.kd
    .uniform_work_group_size: 1
    .uses_dynamic_stack: false
    .vgpr_count:     76
    .vgpr_spill_count: 0
    .wavefront_size: 64
  - .agpr_count:     0
    .args:
      - .offset:         0
        .size:           40
        .value_kind:     by_value
    .group_segment_fixed_size: 0
    .kernarg_segment_align: 8
    .kernarg_segment_size: 40
    .language:       OpenCL C
    .language_version:
      - 2
      - 0
    .max_flat_workgroup_size: 256
    .name:           _ZN7rocprim17ROCPRIM_400000_NS6detail17trampoline_kernelINS0_14default_configENS1_20scan_config_selectorIdEEZZNS1_9scan_implILNS1_25lookback_scan_determinismE0ELb0ELb0ES3_PKdPddZZZN2at6native31launch_logcumsumexp_cuda_kernelERKNSB_10TensorBaseESF_lENKUlvE_clEvENKUlvE_clEvEUlddE_dEEDaPvRmT3_T4_T5_mT6_P12ihipStream_tbENKUlT_T0_E_clISt17integral_constantIbLb0EESW_EEDaSR_SS_EUlSR_E0_NS1_11comp_targetILNS1_3genE3ELNS1_11target_archE908ELNS1_3gpuE7ELNS1_3repE0EEENS1_30default_config_static_selectorELNS0_4arch9wavefront6targetE1EEEvT1_
    .private_segment_fixed_size: 0
    .sgpr_count:     4
    .sgpr_spill_count: 0
    .symbol:         _ZN7rocprim17ROCPRIM_400000_NS6detail17trampoline_kernelINS0_14default_configENS1_20scan_config_selectorIdEEZZNS1_9scan_implILNS1_25lookback_scan_determinismE0ELb0ELb0ES3_PKdPddZZZN2at6native31launch_logcumsumexp_cuda_kernelERKNSB_10TensorBaseESF_lENKUlvE_clEvENKUlvE_clEvEUlddE_dEEDaPvRmT3_T4_T5_mT6_P12ihipStream_tbENKUlT_T0_E_clISt17integral_constantIbLb0EESW_EEDaSR_SS_EUlSR_E0_NS1_11comp_targetILNS1_3genE3ELNS1_11target_archE908ELNS1_3gpuE7ELNS1_3repE0EEENS1_30default_config_static_selectorELNS0_4arch9wavefront6targetE1EEEvT1_.kd
    .uniform_work_group_size: 1
    .uses_dynamic_stack: false
    .vgpr_count:     0
    .vgpr_spill_count: 0
    .wavefront_size: 64
  - .agpr_count:     0
    .args:
      - .offset:         0
        .size:           40
        .value_kind:     by_value
    .group_segment_fixed_size: 0
    .kernarg_segment_align: 8
    .kernarg_segment_size: 40
    .language:       OpenCL C
    .language_version:
      - 2
      - 0
    .max_flat_workgroup_size: 128
    .name:           _ZN7rocprim17ROCPRIM_400000_NS6detail17trampoline_kernelINS0_14default_configENS1_20scan_config_selectorIdEEZZNS1_9scan_implILNS1_25lookback_scan_determinismE0ELb0ELb0ES3_PKdPddZZZN2at6native31launch_logcumsumexp_cuda_kernelERKNSB_10TensorBaseESF_lENKUlvE_clEvENKUlvE_clEvEUlddE_dEEDaPvRmT3_T4_T5_mT6_P12ihipStream_tbENKUlT_T0_E_clISt17integral_constantIbLb0EESW_EEDaSR_SS_EUlSR_E0_NS1_11comp_targetILNS1_3genE2ELNS1_11target_archE906ELNS1_3gpuE6ELNS1_3repE0EEENS1_30default_config_static_selectorELNS0_4arch9wavefront6targetE1EEEvT1_
    .private_segment_fixed_size: 0
    .sgpr_count:     4
    .sgpr_spill_count: 0
    .symbol:         _ZN7rocprim17ROCPRIM_400000_NS6detail17trampoline_kernelINS0_14default_configENS1_20scan_config_selectorIdEEZZNS1_9scan_implILNS1_25lookback_scan_determinismE0ELb0ELb0ES3_PKdPddZZZN2at6native31launch_logcumsumexp_cuda_kernelERKNSB_10TensorBaseESF_lENKUlvE_clEvENKUlvE_clEvEUlddE_dEEDaPvRmT3_T4_T5_mT6_P12ihipStream_tbENKUlT_T0_E_clISt17integral_constantIbLb0EESW_EEDaSR_SS_EUlSR_E0_NS1_11comp_targetILNS1_3genE2ELNS1_11target_archE906ELNS1_3gpuE6ELNS1_3repE0EEENS1_30default_config_static_selectorELNS0_4arch9wavefront6targetE1EEEvT1_.kd
    .uniform_work_group_size: 1
    .uses_dynamic_stack: false
    .vgpr_count:     0
    .vgpr_spill_count: 0
    .wavefront_size: 64
  - .agpr_count:     0
    .args:
      - .offset:         0
        .size:           40
        .value_kind:     by_value
    .group_segment_fixed_size: 0
    .kernarg_segment_align: 8
    .kernarg_segment_size: 40
    .language:       OpenCL C
    .language_version:
      - 2
      - 0
    .max_flat_workgroup_size: 256
    .name:           _ZN7rocprim17ROCPRIM_400000_NS6detail17trampoline_kernelINS0_14default_configENS1_20scan_config_selectorIdEEZZNS1_9scan_implILNS1_25lookback_scan_determinismE0ELb0ELb0ES3_PKdPddZZZN2at6native31launch_logcumsumexp_cuda_kernelERKNSB_10TensorBaseESF_lENKUlvE_clEvENKUlvE_clEvEUlddE_dEEDaPvRmT3_T4_T5_mT6_P12ihipStream_tbENKUlT_T0_E_clISt17integral_constantIbLb0EESW_EEDaSR_SS_EUlSR_E0_NS1_11comp_targetILNS1_3genE10ELNS1_11target_archE1201ELNS1_3gpuE5ELNS1_3repE0EEENS1_30default_config_static_selectorELNS0_4arch9wavefront6targetE1EEEvT1_
    .private_segment_fixed_size: 0
    .sgpr_count:     4
    .sgpr_spill_count: 0
    .symbol:         _ZN7rocprim17ROCPRIM_400000_NS6detail17trampoline_kernelINS0_14default_configENS1_20scan_config_selectorIdEEZZNS1_9scan_implILNS1_25lookback_scan_determinismE0ELb0ELb0ES3_PKdPddZZZN2at6native31launch_logcumsumexp_cuda_kernelERKNSB_10TensorBaseESF_lENKUlvE_clEvENKUlvE_clEvEUlddE_dEEDaPvRmT3_T4_T5_mT6_P12ihipStream_tbENKUlT_T0_E_clISt17integral_constantIbLb0EESW_EEDaSR_SS_EUlSR_E0_NS1_11comp_targetILNS1_3genE10ELNS1_11target_archE1201ELNS1_3gpuE5ELNS1_3repE0EEENS1_30default_config_static_selectorELNS0_4arch9wavefront6targetE1EEEvT1_.kd
    .uniform_work_group_size: 1
    .uses_dynamic_stack: false
    .vgpr_count:     0
    .vgpr_spill_count: 0
    .wavefront_size: 64
  - .agpr_count:     0
    .args:
      - .offset:         0
        .size:           40
        .value_kind:     by_value
    .group_segment_fixed_size: 0
    .kernarg_segment_align: 8
    .kernarg_segment_size: 40
    .language:       OpenCL C
    .language_version:
      - 2
      - 0
    .max_flat_workgroup_size: 256
    .name:           _ZN7rocprim17ROCPRIM_400000_NS6detail17trampoline_kernelINS0_14default_configENS1_20scan_config_selectorIdEEZZNS1_9scan_implILNS1_25lookback_scan_determinismE0ELb0ELb0ES3_PKdPddZZZN2at6native31launch_logcumsumexp_cuda_kernelERKNSB_10TensorBaseESF_lENKUlvE_clEvENKUlvE_clEvEUlddE_dEEDaPvRmT3_T4_T5_mT6_P12ihipStream_tbENKUlT_T0_E_clISt17integral_constantIbLb0EESW_EEDaSR_SS_EUlSR_E0_NS1_11comp_targetILNS1_3genE10ELNS1_11target_archE1200ELNS1_3gpuE4ELNS1_3repE0EEENS1_30default_config_static_selectorELNS0_4arch9wavefront6targetE1EEEvT1_
    .private_segment_fixed_size: 0
    .sgpr_count:     4
    .sgpr_spill_count: 0
    .symbol:         _ZN7rocprim17ROCPRIM_400000_NS6detail17trampoline_kernelINS0_14default_configENS1_20scan_config_selectorIdEEZZNS1_9scan_implILNS1_25lookback_scan_determinismE0ELb0ELb0ES3_PKdPddZZZN2at6native31launch_logcumsumexp_cuda_kernelERKNSB_10TensorBaseESF_lENKUlvE_clEvENKUlvE_clEvEUlddE_dEEDaPvRmT3_T4_T5_mT6_P12ihipStream_tbENKUlT_T0_E_clISt17integral_constantIbLb0EESW_EEDaSR_SS_EUlSR_E0_NS1_11comp_targetILNS1_3genE10ELNS1_11target_archE1200ELNS1_3gpuE4ELNS1_3repE0EEENS1_30default_config_static_selectorELNS0_4arch9wavefront6targetE1EEEvT1_.kd
    .uniform_work_group_size: 1
    .uses_dynamic_stack: false
    .vgpr_count:     0
    .vgpr_spill_count: 0
    .wavefront_size: 64
  - .agpr_count:     0
    .args:
      - .offset:         0
        .size:           40
        .value_kind:     by_value
    .group_segment_fixed_size: 0
    .kernarg_segment_align: 8
    .kernarg_segment_size: 40
    .language:       OpenCL C
    .language_version:
      - 2
      - 0
    .max_flat_workgroup_size: 256
    .name:           _ZN7rocprim17ROCPRIM_400000_NS6detail17trampoline_kernelINS0_14default_configENS1_20scan_config_selectorIdEEZZNS1_9scan_implILNS1_25lookback_scan_determinismE0ELb0ELb0ES3_PKdPddZZZN2at6native31launch_logcumsumexp_cuda_kernelERKNSB_10TensorBaseESF_lENKUlvE_clEvENKUlvE_clEvEUlddE_dEEDaPvRmT3_T4_T5_mT6_P12ihipStream_tbENKUlT_T0_E_clISt17integral_constantIbLb0EESW_EEDaSR_SS_EUlSR_E0_NS1_11comp_targetILNS1_3genE9ELNS1_11target_archE1100ELNS1_3gpuE3ELNS1_3repE0EEENS1_30default_config_static_selectorELNS0_4arch9wavefront6targetE1EEEvT1_
    .private_segment_fixed_size: 0
    .sgpr_count:     4
    .sgpr_spill_count: 0
    .symbol:         _ZN7rocprim17ROCPRIM_400000_NS6detail17trampoline_kernelINS0_14default_configENS1_20scan_config_selectorIdEEZZNS1_9scan_implILNS1_25lookback_scan_determinismE0ELb0ELb0ES3_PKdPddZZZN2at6native31launch_logcumsumexp_cuda_kernelERKNSB_10TensorBaseESF_lENKUlvE_clEvENKUlvE_clEvEUlddE_dEEDaPvRmT3_T4_T5_mT6_P12ihipStream_tbENKUlT_T0_E_clISt17integral_constantIbLb0EESW_EEDaSR_SS_EUlSR_E0_NS1_11comp_targetILNS1_3genE9ELNS1_11target_archE1100ELNS1_3gpuE3ELNS1_3repE0EEENS1_30default_config_static_selectorELNS0_4arch9wavefront6targetE1EEEvT1_.kd
    .uniform_work_group_size: 1
    .uses_dynamic_stack: false
    .vgpr_count:     0
    .vgpr_spill_count: 0
    .wavefront_size: 64
  - .agpr_count:     0
    .args:
      - .offset:         0
        .size:           40
        .value_kind:     by_value
    .group_segment_fixed_size: 0
    .kernarg_segment_align: 8
    .kernarg_segment_size: 40
    .language:       OpenCL C
    .language_version:
      - 2
      - 0
    .max_flat_workgroup_size: 128
    .name:           _ZN7rocprim17ROCPRIM_400000_NS6detail17trampoline_kernelINS0_14default_configENS1_20scan_config_selectorIdEEZZNS1_9scan_implILNS1_25lookback_scan_determinismE0ELb0ELb0ES3_PKdPddZZZN2at6native31launch_logcumsumexp_cuda_kernelERKNSB_10TensorBaseESF_lENKUlvE_clEvENKUlvE_clEvEUlddE_dEEDaPvRmT3_T4_T5_mT6_P12ihipStream_tbENKUlT_T0_E_clISt17integral_constantIbLb0EESW_EEDaSR_SS_EUlSR_E0_NS1_11comp_targetILNS1_3genE8ELNS1_11target_archE1030ELNS1_3gpuE2ELNS1_3repE0EEENS1_30default_config_static_selectorELNS0_4arch9wavefront6targetE1EEEvT1_
    .private_segment_fixed_size: 0
    .sgpr_count:     4
    .sgpr_spill_count: 0
    .symbol:         _ZN7rocprim17ROCPRIM_400000_NS6detail17trampoline_kernelINS0_14default_configENS1_20scan_config_selectorIdEEZZNS1_9scan_implILNS1_25lookback_scan_determinismE0ELb0ELb0ES3_PKdPddZZZN2at6native31launch_logcumsumexp_cuda_kernelERKNSB_10TensorBaseESF_lENKUlvE_clEvENKUlvE_clEvEUlddE_dEEDaPvRmT3_T4_T5_mT6_P12ihipStream_tbENKUlT_T0_E_clISt17integral_constantIbLb0EESW_EEDaSR_SS_EUlSR_E0_NS1_11comp_targetILNS1_3genE8ELNS1_11target_archE1030ELNS1_3gpuE2ELNS1_3repE0EEENS1_30default_config_static_selectorELNS0_4arch9wavefront6targetE1EEEvT1_.kd
    .uniform_work_group_size: 1
    .uses_dynamic_stack: false
    .vgpr_count:     0
    .vgpr_spill_count: 0
    .wavefront_size: 64
  - .agpr_count:     0
    .args:
      - .address_space:  global
        .offset:         0
        .size:           8
        .value_kind:     global_buffer
      - .offset:         8
        .size:           4
        .value_kind:     by_value
      - .address_space:  global
        .offset:         16
        .size:           8
        .value_kind:     global_buffer
      - .offset:         24
        .size:           4
        .value_kind:     by_value
      - .address_space:  global
        .offset:         32
        .size:           8
        .value_kind:     global_buffer
      - .offset:         40
        .size:           4
        .value_kind:     hidden_block_count_x
      - .offset:         44
        .size:           4
        .value_kind:     hidden_block_count_y
      - .offset:         48
        .size:           4
        .value_kind:     hidden_block_count_z
      - .offset:         52
        .size:           2
        .value_kind:     hidden_group_size_x
      - .offset:         54
        .size:           2
        .value_kind:     hidden_group_size_y
      - .offset:         56
        .size:           2
        .value_kind:     hidden_group_size_z
      - .offset:         58
        .size:           2
        .value_kind:     hidden_remainder_x
      - .offset:         60
        .size:           2
        .value_kind:     hidden_remainder_y
      - .offset:         62
        .size:           2
        .value_kind:     hidden_remainder_z
      - .offset:         80
        .size:           8
        .value_kind:     hidden_global_offset_x
      - .offset:         88
        .size:           8
        .value_kind:     hidden_global_offset_y
      - .offset:         96
        .size:           8
        .value_kind:     hidden_global_offset_z
      - .offset:         104
        .size:           2
        .value_kind:     hidden_grid_dims
    .group_segment_fixed_size: 0
    .kernarg_segment_align: 8
    .kernarg_segment_size: 296
    .language:       OpenCL C
    .language_version:
      - 2
      - 0
    .max_flat_workgroup_size: 256
    .name:           _ZN7rocprim17ROCPRIM_400000_NS6detail31init_lookback_scan_state_kernelINS1_19lookback_scan_stateIdLb1ELb1EEENS1_16block_id_wrapperIjLb1EEEEEvT_jT0_jPNS7_10value_typeE
    .private_segment_fixed_size: 0
    .sgpr_count:     20
    .sgpr_spill_count: 0
    .symbol:         _ZN7rocprim17ROCPRIM_400000_NS6detail31init_lookback_scan_state_kernelINS1_19lookback_scan_stateIdLb1ELb1EEENS1_16block_id_wrapperIjLb1EEEEEvT_jT0_jPNS7_10value_typeE.kd
    .uniform_work_group_size: 1
    .uses_dynamic_stack: false
    .vgpr_count:     10
    .vgpr_spill_count: 0
    .wavefront_size: 64
  - .agpr_count:     0
    .args:
      - .offset:         0
        .size:           104
        .value_kind:     by_value
    .group_segment_fixed_size: 0
    .kernarg_segment_align: 8
    .kernarg_segment_size: 104
    .language:       OpenCL C
    .language_version:
      - 2
      - 0
    .max_flat_workgroup_size: 256
    .name:           _ZN7rocprim17ROCPRIM_400000_NS6detail17trampoline_kernelINS0_14default_configENS1_20scan_config_selectorIdEEZZNS1_9scan_implILNS1_25lookback_scan_determinismE0ELb0ELb0ES3_PKdPddZZZN2at6native31launch_logcumsumexp_cuda_kernelERKNSB_10TensorBaseESF_lENKUlvE_clEvENKUlvE_clEvEUlddE_dEEDaPvRmT3_T4_T5_mT6_P12ihipStream_tbENKUlT_T0_E_clISt17integral_constantIbLb1EESW_EEDaSR_SS_EUlSR_E_NS1_11comp_targetILNS1_3genE0ELNS1_11target_archE4294967295ELNS1_3gpuE0ELNS1_3repE0EEENS1_30default_config_static_selectorELNS0_4arch9wavefront6targetE1EEEvT1_
    .private_segment_fixed_size: 0
    .sgpr_count:     4
    .sgpr_spill_count: 0
    .symbol:         _ZN7rocprim17ROCPRIM_400000_NS6detail17trampoline_kernelINS0_14default_configENS1_20scan_config_selectorIdEEZZNS1_9scan_implILNS1_25lookback_scan_determinismE0ELb0ELb0ES3_PKdPddZZZN2at6native31launch_logcumsumexp_cuda_kernelERKNSB_10TensorBaseESF_lENKUlvE_clEvENKUlvE_clEvEUlddE_dEEDaPvRmT3_T4_T5_mT6_P12ihipStream_tbENKUlT_T0_E_clISt17integral_constantIbLb1EESW_EEDaSR_SS_EUlSR_E_NS1_11comp_targetILNS1_3genE0ELNS1_11target_archE4294967295ELNS1_3gpuE0ELNS1_3repE0EEENS1_30default_config_static_selectorELNS0_4arch9wavefront6targetE1EEEvT1_.kd
    .uniform_work_group_size: 1
    .uses_dynamic_stack: false
    .vgpr_count:     0
    .vgpr_spill_count: 0
    .wavefront_size: 64
  - .agpr_count:     0
    .args:
      - .offset:         0
        .size:           104
        .value_kind:     by_value
    .group_segment_fixed_size: 0
    .kernarg_segment_align: 8
    .kernarg_segment_size: 104
    .language:       OpenCL C
    .language_version:
      - 2
      - 0
    .max_flat_workgroup_size: 256
    .name:           _ZN7rocprim17ROCPRIM_400000_NS6detail17trampoline_kernelINS0_14default_configENS1_20scan_config_selectorIdEEZZNS1_9scan_implILNS1_25lookback_scan_determinismE0ELb0ELb0ES3_PKdPddZZZN2at6native31launch_logcumsumexp_cuda_kernelERKNSB_10TensorBaseESF_lENKUlvE_clEvENKUlvE_clEvEUlddE_dEEDaPvRmT3_T4_T5_mT6_P12ihipStream_tbENKUlT_T0_E_clISt17integral_constantIbLb1EESW_EEDaSR_SS_EUlSR_E_NS1_11comp_targetILNS1_3genE5ELNS1_11target_archE942ELNS1_3gpuE9ELNS1_3repE0EEENS1_30default_config_static_selectorELNS0_4arch9wavefront6targetE1EEEvT1_
    .private_segment_fixed_size: 0
    .sgpr_count:     4
    .sgpr_spill_count: 0
    .symbol:         _ZN7rocprim17ROCPRIM_400000_NS6detail17trampoline_kernelINS0_14default_configENS1_20scan_config_selectorIdEEZZNS1_9scan_implILNS1_25lookback_scan_determinismE0ELb0ELb0ES3_PKdPddZZZN2at6native31launch_logcumsumexp_cuda_kernelERKNSB_10TensorBaseESF_lENKUlvE_clEvENKUlvE_clEvEUlddE_dEEDaPvRmT3_T4_T5_mT6_P12ihipStream_tbENKUlT_T0_E_clISt17integral_constantIbLb1EESW_EEDaSR_SS_EUlSR_E_NS1_11comp_targetILNS1_3genE5ELNS1_11target_archE942ELNS1_3gpuE9ELNS1_3repE0EEENS1_30default_config_static_selectorELNS0_4arch9wavefront6targetE1EEEvT1_.kd
    .uniform_work_group_size: 1
    .uses_dynamic_stack: false
    .vgpr_count:     0
    .vgpr_spill_count: 0
    .wavefront_size: 64
  - .agpr_count:     0
    .args:
      - .offset:         0
        .size:           104
        .value_kind:     by_value
    .group_segment_fixed_size: 10240
    .kernarg_segment_align: 8
    .kernarg_segment_size: 104
    .language:       OpenCL C
    .language_version:
      - 2
      - 0
    .max_flat_workgroup_size: 128
    .name:           _ZN7rocprim17ROCPRIM_400000_NS6detail17trampoline_kernelINS0_14default_configENS1_20scan_config_selectorIdEEZZNS1_9scan_implILNS1_25lookback_scan_determinismE0ELb0ELb0ES3_PKdPddZZZN2at6native31launch_logcumsumexp_cuda_kernelERKNSB_10TensorBaseESF_lENKUlvE_clEvENKUlvE_clEvEUlddE_dEEDaPvRmT3_T4_T5_mT6_P12ihipStream_tbENKUlT_T0_E_clISt17integral_constantIbLb1EESW_EEDaSR_SS_EUlSR_E_NS1_11comp_targetILNS1_3genE4ELNS1_11target_archE910ELNS1_3gpuE8ELNS1_3repE0EEENS1_30default_config_static_selectorELNS0_4arch9wavefront6targetE1EEEvT1_
    .private_segment_fixed_size: 0
    .sgpr_count:     83
    .sgpr_spill_count: 0
    .symbol:         _ZN7rocprim17ROCPRIM_400000_NS6detail17trampoline_kernelINS0_14default_configENS1_20scan_config_selectorIdEEZZNS1_9scan_implILNS1_25lookback_scan_determinismE0ELb0ELb0ES3_PKdPddZZZN2at6native31launch_logcumsumexp_cuda_kernelERKNSB_10TensorBaseESF_lENKUlvE_clEvENKUlvE_clEvEUlddE_dEEDaPvRmT3_T4_T5_mT6_P12ihipStream_tbENKUlT_T0_E_clISt17integral_constantIbLb1EESW_EEDaSR_SS_EUlSR_E_NS1_11comp_targetILNS1_3genE4ELNS1_11target_archE910ELNS1_3gpuE8ELNS1_3repE0EEENS1_30default_config_static_selectorELNS0_4arch9wavefront6targetE1EEEvT1_.kd
    .uniform_work_group_size: 1
    .uses_dynamic_stack: false
    .vgpr_count:     129
    .vgpr_spill_count: 0
    .wavefront_size: 64
  - .agpr_count:     0
    .args:
      - .offset:         0
        .size:           104
        .value_kind:     by_value
    .group_segment_fixed_size: 0
    .kernarg_segment_align: 8
    .kernarg_segment_size: 104
    .language:       OpenCL C
    .language_version:
      - 2
      - 0
    .max_flat_workgroup_size: 256
    .name:           _ZN7rocprim17ROCPRIM_400000_NS6detail17trampoline_kernelINS0_14default_configENS1_20scan_config_selectorIdEEZZNS1_9scan_implILNS1_25lookback_scan_determinismE0ELb0ELb0ES3_PKdPddZZZN2at6native31launch_logcumsumexp_cuda_kernelERKNSB_10TensorBaseESF_lENKUlvE_clEvENKUlvE_clEvEUlddE_dEEDaPvRmT3_T4_T5_mT6_P12ihipStream_tbENKUlT_T0_E_clISt17integral_constantIbLb1EESW_EEDaSR_SS_EUlSR_E_NS1_11comp_targetILNS1_3genE3ELNS1_11target_archE908ELNS1_3gpuE7ELNS1_3repE0EEENS1_30default_config_static_selectorELNS0_4arch9wavefront6targetE1EEEvT1_
    .private_segment_fixed_size: 0
    .sgpr_count:     4
    .sgpr_spill_count: 0
    .symbol:         _ZN7rocprim17ROCPRIM_400000_NS6detail17trampoline_kernelINS0_14default_configENS1_20scan_config_selectorIdEEZZNS1_9scan_implILNS1_25lookback_scan_determinismE0ELb0ELb0ES3_PKdPddZZZN2at6native31launch_logcumsumexp_cuda_kernelERKNSB_10TensorBaseESF_lENKUlvE_clEvENKUlvE_clEvEUlddE_dEEDaPvRmT3_T4_T5_mT6_P12ihipStream_tbENKUlT_T0_E_clISt17integral_constantIbLb1EESW_EEDaSR_SS_EUlSR_E_NS1_11comp_targetILNS1_3genE3ELNS1_11target_archE908ELNS1_3gpuE7ELNS1_3repE0EEENS1_30default_config_static_selectorELNS0_4arch9wavefront6targetE1EEEvT1_.kd
    .uniform_work_group_size: 1
    .uses_dynamic_stack: false
    .vgpr_count:     0
    .vgpr_spill_count: 0
    .wavefront_size: 64
  - .agpr_count:     0
    .args:
      - .offset:         0
        .size:           104
        .value_kind:     by_value
    .group_segment_fixed_size: 0
    .kernarg_segment_align: 8
    .kernarg_segment_size: 104
    .language:       OpenCL C
    .language_version:
      - 2
      - 0
    .max_flat_workgroup_size: 128
    .name:           _ZN7rocprim17ROCPRIM_400000_NS6detail17trampoline_kernelINS0_14default_configENS1_20scan_config_selectorIdEEZZNS1_9scan_implILNS1_25lookback_scan_determinismE0ELb0ELb0ES3_PKdPddZZZN2at6native31launch_logcumsumexp_cuda_kernelERKNSB_10TensorBaseESF_lENKUlvE_clEvENKUlvE_clEvEUlddE_dEEDaPvRmT3_T4_T5_mT6_P12ihipStream_tbENKUlT_T0_E_clISt17integral_constantIbLb1EESW_EEDaSR_SS_EUlSR_E_NS1_11comp_targetILNS1_3genE2ELNS1_11target_archE906ELNS1_3gpuE6ELNS1_3repE0EEENS1_30default_config_static_selectorELNS0_4arch9wavefront6targetE1EEEvT1_
    .private_segment_fixed_size: 0
    .sgpr_count:     4
    .sgpr_spill_count: 0
    .symbol:         _ZN7rocprim17ROCPRIM_400000_NS6detail17trampoline_kernelINS0_14default_configENS1_20scan_config_selectorIdEEZZNS1_9scan_implILNS1_25lookback_scan_determinismE0ELb0ELb0ES3_PKdPddZZZN2at6native31launch_logcumsumexp_cuda_kernelERKNSB_10TensorBaseESF_lENKUlvE_clEvENKUlvE_clEvEUlddE_dEEDaPvRmT3_T4_T5_mT6_P12ihipStream_tbENKUlT_T0_E_clISt17integral_constantIbLb1EESW_EEDaSR_SS_EUlSR_E_NS1_11comp_targetILNS1_3genE2ELNS1_11target_archE906ELNS1_3gpuE6ELNS1_3repE0EEENS1_30default_config_static_selectorELNS0_4arch9wavefront6targetE1EEEvT1_.kd
    .uniform_work_group_size: 1
    .uses_dynamic_stack: false
    .vgpr_count:     0
    .vgpr_spill_count: 0
    .wavefront_size: 64
  - .agpr_count:     0
    .args:
      - .offset:         0
        .size:           104
        .value_kind:     by_value
    .group_segment_fixed_size: 0
    .kernarg_segment_align: 8
    .kernarg_segment_size: 104
    .language:       OpenCL C
    .language_version:
      - 2
      - 0
    .max_flat_workgroup_size: 256
    .name:           _ZN7rocprim17ROCPRIM_400000_NS6detail17trampoline_kernelINS0_14default_configENS1_20scan_config_selectorIdEEZZNS1_9scan_implILNS1_25lookback_scan_determinismE0ELb0ELb0ES3_PKdPddZZZN2at6native31launch_logcumsumexp_cuda_kernelERKNSB_10TensorBaseESF_lENKUlvE_clEvENKUlvE_clEvEUlddE_dEEDaPvRmT3_T4_T5_mT6_P12ihipStream_tbENKUlT_T0_E_clISt17integral_constantIbLb1EESW_EEDaSR_SS_EUlSR_E_NS1_11comp_targetILNS1_3genE10ELNS1_11target_archE1201ELNS1_3gpuE5ELNS1_3repE0EEENS1_30default_config_static_selectorELNS0_4arch9wavefront6targetE1EEEvT1_
    .private_segment_fixed_size: 0
    .sgpr_count:     4
    .sgpr_spill_count: 0
    .symbol:         _ZN7rocprim17ROCPRIM_400000_NS6detail17trampoline_kernelINS0_14default_configENS1_20scan_config_selectorIdEEZZNS1_9scan_implILNS1_25lookback_scan_determinismE0ELb0ELb0ES3_PKdPddZZZN2at6native31launch_logcumsumexp_cuda_kernelERKNSB_10TensorBaseESF_lENKUlvE_clEvENKUlvE_clEvEUlddE_dEEDaPvRmT3_T4_T5_mT6_P12ihipStream_tbENKUlT_T0_E_clISt17integral_constantIbLb1EESW_EEDaSR_SS_EUlSR_E_NS1_11comp_targetILNS1_3genE10ELNS1_11target_archE1201ELNS1_3gpuE5ELNS1_3repE0EEENS1_30default_config_static_selectorELNS0_4arch9wavefront6targetE1EEEvT1_.kd
    .uniform_work_group_size: 1
    .uses_dynamic_stack: false
    .vgpr_count:     0
    .vgpr_spill_count: 0
    .wavefront_size: 64
  - .agpr_count:     0
    .args:
      - .offset:         0
        .size:           104
        .value_kind:     by_value
    .group_segment_fixed_size: 0
    .kernarg_segment_align: 8
    .kernarg_segment_size: 104
    .language:       OpenCL C
    .language_version:
      - 2
      - 0
    .max_flat_workgroup_size: 256
    .name:           _ZN7rocprim17ROCPRIM_400000_NS6detail17trampoline_kernelINS0_14default_configENS1_20scan_config_selectorIdEEZZNS1_9scan_implILNS1_25lookback_scan_determinismE0ELb0ELb0ES3_PKdPddZZZN2at6native31launch_logcumsumexp_cuda_kernelERKNSB_10TensorBaseESF_lENKUlvE_clEvENKUlvE_clEvEUlddE_dEEDaPvRmT3_T4_T5_mT6_P12ihipStream_tbENKUlT_T0_E_clISt17integral_constantIbLb1EESW_EEDaSR_SS_EUlSR_E_NS1_11comp_targetILNS1_3genE10ELNS1_11target_archE1200ELNS1_3gpuE4ELNS1_3repE0EEENS1_30default_config_static_selectorELNS0_4arch9wavefront6targetE1EEEvT1_
    .private_segment_fixed_size: 0
    .sgpr_count:     4
    .sgpr_spill_count: 0
    .symbol:         _ZN7rocprim17ROCPRIM_400000_NS6detail17trampoline_kernelINS0_14default_configENS1_20scan_config_selectorIdEEZZNS1_9scan_implILNS1_25lookback_scan_determinismE0ELb0ELb0ES3_PKdPddZZZN2at6native31launch_logcumsumexp_cuda_kernelERKNSB_10TensorBaseESF_lENKUlvE_clEvENKUlvE_clEvEUlddE_dEEDaPvRmT3_T4_T5_mT6_P12ihipStream_tbENKUlT_T0_E_clISt17integral_constantIbLb1EESW_EEDaSR_SS_EUlSR_E_NS1_11comp_targetILNS1_3genE10ELNS1_11target_archE1200ELNS1_3gpuE4ELNS1_3repE0EEENS1_30default_config_static_selectorELNS0_4arch9wavefront6targetE1EEEvT1_.kd
    .uniform_work_group_size: 1
    .uses_dynamic_stack: false
    .vgpr_count:     0
    .vgpr_spill_count: 0
    .wavefront_size: 64
  - .agpr_count:     0
    .args:
      - .offset:         0
        .size:           104
        .value_kind:     by_value
    .group_segment_fixed_size: 0
    .kernarg_segment_align: 8
    .kernarg_segment_size: 104
    .language:       OpenCL C
    .language_version:
      - 2
      - 0
    .max_flat_workgroup_size: 256
    .name:           _ZN7rocprim17ROCPRIM_400000_NS6detail17trampoline_kernelINS0_14default_configENS1_20scan_config_selectorIdEEZZNS1_9scan_implILNS1_25lookback_scan_determinismE0ELb0ELb0ES3_PKdPddZZZN2at6native31launch_logcumsumexp_cuda_kernelERKNSB_10TensorBaseESF_lENKUlvE_clEvENKUlvE_clEvEUlddE_dEEDaPvRmT3_T4_T5_mT6_P12ihipStream_tbENKUlT_T0_E_clISt17integral_constantIbLb1EESW_EEDaSR_SS_EUlSR_E_NS1_11comp_targetILNS1_3genE9ELNS1_11target_archE1100ELNS1_3gpuE3ELNS1_3repE0EEENS1_30default_config_static_selectorELNS0_4arch9wavefront6targetE1EEEvT1_
    .private_segment_fixed_size: 0
    .sgpr_count:     4
    .sgpr_spill_count: 0
    .symbol:         _ZN7rocprim17ROCPRIM_400000_NS6detail17trampoline_kernelINS0_14default_configENS1_20scan_config_selectorIdEEZZNS1_9scan_implILNS1_25lookback_scan_determinismE0ELb0ELb0ES3_PKdPddZZZN2at6native31launch_logcumsumexp_cuda_kernelERKNSB_10TensorBaseESF_lENKUlvE_clEvENKUlvE_clEvEUlddE_dEEDaPvRmT3_T4_T5_mT6_P12ihipStream_tbENKUlT_T0_E_clISt17integral_constantIbLb1EESW_EEDaSR_SS_EUlSR_E_NS1_11comp_targetILNS1_3genE9ELNS1_11target_archE1100ELNS1_3gpuE3ELNS1_3repE0EEENS1_30default_config_static_selectorELNS0_4arch9wavefront6targetE1EEEvT1_.kd
    .uniform_work_group_size: 1
    .uses_dynamic_stack: false
    .vgpr_count:     0
    .vgpr_spill_count: 0
    .wavefront_size: 64
  - .agpr_count:     0
    .args:
      - .offset:         0
        .size:           104
        .value_kind:     by_value
    .group_segment_fixed_size: 0
    .kernarg_segment_align: 8
    .kernarg_segment_size: 104
    .language:       OpenCL C
    .language_version:
      - 2
      - 0
    .max_flat_workgroup_size: 128
    .name:           _ZN7rocprim17ROCPRIM_400000_NS6detail17trampoline_kernelINS0_14default_configENS1_20scan_config_selectorIdEEZZNS1_9scan_implILNS1_25lookback_scan_determinismE0ELb0ELb0ES3_PKdPddZZZN2at6native31launch_logcumsumexp_cuda_kernelERKNSB_10TensorBaseESF_lENKUlvE_clEvENKUlvE_clEvEUlddE_dEEDaPvRmT3_T4_T5_mT6_P12ihipStream_tbENKUlT_T0_E_clISt17integral_constantIbLb1EESW_EEDaSR_SS_EUlSR_E_NS1_11comp_targetILNS1_3genE8ELNS1_11target_archE1030ELNS1_3gpuE2ELNS1_3repE0EEENS1_30default_config_static_selectorELNS0_4arch9wavefront6targetE1EEEvT1_
    .private_segment_fixed_size: 0
    .sgpr_count:     4
    .sgpr_spill_count: 0
    .symbol:         _ZN7rocprim17ROCPRIM_400000_NS6detail17trampoline_kernelINS0_14default_configENS1_20scan_config_selectorIdEEZZNS1_9scan_implILNS1_25lookback_scan_determinismE0ELb0ELb0ES3_PKdPddZZZN2at6native31launch_logcumsumexp_cuda_kernelERKNSB_10TensorBaseESF_lENKUlvE_clEvENKUlvE_clEvEUlddE_dEEDaPvRmT3_T4_T5_mT6_P12ihipStream_tbENKUlT_T0_E_clISt17integral_constantIbLb1EESW_EEDaSR_SS_EUlSR_E_NS1_11comp_targetILNS1_3genE8ELNS1_11target_archE1030ELNS1_3gpuE2ELNS1_3repE0EEENS1_30default_config_static_selectorELNS0_4arch9wavefront6targetE1EEEvT1_.kd
    .uniform_work_group_size: 1
    .uses_dynamic_stack: false
    .vgpr_count:     0
    .vgpr_spill_count: 0
    .wavefront_size: 64
  - .agpr_count:     0
    .args:
      - .offset:         0
        .size:           40
        .value_kind:     by_value
    .group_segment_fixed_size: 0
    .kernarg_segment_align: 8
    .kernarg_segment_size: 40
    .language:       OpenCL C
    .language_version:
      - 2
      - 0
    .max_flat_workgroup_size: 256
    .name:           _ZN7rocprim17ROCPRIM_400000_NS6detail17trampoline_kernelINS0_14default_configENS1_20scan_config_selectorIdEEZZNS1_9scan_implILNS1_25lookback_scan_determinismE0ELb0ELb0ES3_PKdPddZZZN2at6native31launch_logcumsumexp_cuda_kernelERKNSB_10TensorBaseESF_lENKUlvE_clEvENKUlvE_clEvEUlddE_dEEDaPvRmT3_T4_T5_mT6_P12ihipStream_tbENKUlT_T0_E_clISt17integral_constantIbLb1EESW_EEDaSR_SS_EUlSR_E0_NS1_11comp_targetILNS1_3genE0ELNS1_11target_archE4294967295ELNS1_3gpuE0ELNS1_3repE0EEENS1_30default_config_static_selectorELNS0_4arch9wavefront6targetE1EEEvT1_
    .private_segment_fixed_size: 0
    .sgpr_count:     4
    .sgpr_spill_count: 0
    .symbol:         _ZN7rocprim17ROCPRIM_400000_NS6detail17trampoline_kernelINS0_14default_configENS1_20scan_config_selectorIdEEZZNS1_9scan_implILNS1_25lookback_scan_determinismE0ELb0ELb0ES3_PKdPddZZZN2at6native31launch_logcumsumexp_cuda_kernelERKNSB_10TensorBaseESF_lENKUlvE_clEvENKUlvE_clEvEUlddE_dEEDaPvRmT3_T4_T5_mT6_P12ihipStream_tbENKUlT_T0_E_clISt17integral_constantIbLb1EESW_EEDaSR_SS_EUlSR_E0_NS1_11comp_targetILNS1_3genE0ELNS1_11target_archE4294967295ELNS1_3gpuE0ELNS1_3repE0EEENS1_30default_config_static_selectorELNS0_4arch9wavefront6targetE1EEEvT1_.kd
    .uniform_work_group_size: 1
    .uses_dynamic_stack: false
    .vgpr_count:     0
    .vgpr_spill_count: 0
    .wavefront_size: 64
  - .agpr_count:     0
    .args:
      - .offset:         0
        .size:           40
        .value_kind:     by_value
    .group_segment_fixed_size: 0
    .kernarg_segment_align: 8
    .kernarg_segment_size: 40
    .language:       OpenCL C
    .language_version:
      - 2
      - 0
    .max_flat_workgroup_size: 256
    .name:           _ZN7rocprim17ROCPRIM_400000_NS6detail17trampoline_kernelINS0_14default_configENS1_20scan_config_selectorIdEEZZNS1_9scan_implILNS1_25lookback_scan_determinismE0ELb0ELb0ES3_PKdPddZZZN2at6native31launch_logcumsumexp_cuda_kernelERKNSB_10TensorBaseESF_lENKUlvE_clEvENKUlvE_clEvEUlddE_dEEDaPvRmT3_T4_T5_mT6_P12ihipStream_tbENKUlT_T0_E_clISt17integral_constantIbLb1EESW_EEDaSR_SS_EUlSR_E0_NS1_11comp_targetILNS1_3genE5ELNS1_11target_archE942ELNS1_3gpuE9ELNS1_3repE0EEENS1_30default_config_static_selectorELNS0_4arch9wavefront6targetE1EEEvT1_
    .private_segment_fixed_size: 0
    .sgpr_count:     4
    .sgpr_spill_count: 0
    .symbol:         _ZN7rocprim17ROCPRIM_400000_NS6detail17trampoline_kernelINS0_14default_configENS1_20scan_config_selectorIdEEZZNS1_9scan_implILNS1_25lookback_scan_determinismE0ELb0ELb0ES3_PKdPddZZZN2at6native31launch_logcumsumexp_cuda_kernelERKNSB_10TensorBaseESF_lENKUlvE_clEvENKUlvE_clEvEUlddE_dEEDaPvRmT3_T4_T5_mT6_P12ihipStream_tbENKUlT_T0_E_clISt17integral_constantIbLb1EESW_EEDaSR_SS_EUlSR_E0_NS1_11comp_targetILNS1_3genE5ELNS1_11target_archE942ELNS1_3gpuE9ELNS1_3repE0EEENS1_30default_config_static_selectorELNS0_4arch9wavefront6targetE1EEEvT1_.kd
    .uniform_work_group_size: 1
    .uses_dynamic_stack: false
    .vgpr_count:     0
    .vgpr_spill_count: 0
    .wavefront_size: 64
  - .agpr_count:     0
    .args:
      - .offset:         0
        .size:           40
        .value_kind:     by_value
    .group_segment_fixed_size: 10240
    .kernarg_segment_align: 8
    .kernarg_segment_size: 40
    .language:       OpenCL C
    .language_version:
      - 2
      - 0
    .max_flat_workgroup_size: 128
    .name:           _ZN7rocprim17ROCPRIM_400000_NS6detail17trampoline_kernelINS0_14default_configENS1_20scan_config_selectorIdEEZZNS1_9scan_implILNS1_25lookback_scan_determinismE0ELb0ELb0ES3_PKdPddZZZN2at6native31launch_logcumsumexp_cuda_kernelERKNSB_10TensorBaseESF_lENKUlvE_clEvENKUlvE_clEvEUlddE_dEEDaPvRmT3_T4_T5_mT6_P12ihipStream_tbENKUlT_T0_E_clISt17integral_constantIbLb1EESW_EEDaSR_SS_EUlSR_E0_NS1_11comp_targetILNS1_3genE4ELNS1_11target_archE910ELNS1_3gpuE8ELNS1_3repE0EEENS1_30default_config_static_selectorELNS0_4arch9wavefront6targetE1EEEvT1_
    .private_segment_fixed_size: 0
    .sgpr_count:     60
    .sgpr_spill_count: 0
    .symbol:         _ZN7rocprim17ROCPRIM_400000_NS6detail17trampoline_kernelINS0_14default_configENS1_20scan_config_selectorIdEEZZNS1_9scan_implILNS1_25lookback_scan_determinismE0ELb0ELb0ES3_PKdPddZZZN2at6native31launch_logcumsumexp_cuda_kernelERKNSB_10TensorBaseESF_lENKUlvE_clEvENKUlvE_clEvEUlddE_dEEDaPvRmT3_T4_T5_mT6_P12ihipStream_tbENKUlT_T0_E_clISt17integral_constantIbLb1EESW_EEDaSR_SS_EUlSR_E0_NS1_11comp_targetILNS1_3genE4ELNS1_11target_archE910ELNS1_3gpuE8ELNS1_3repE0EEENS1_30default_config_static_selectorELNS0_4arch9wavefront6targetE1EEEvT1_.kd
    .uniform_work_group_size: 1
    .uses_dynamic_stack: false
    .vgpr_count:     76
    .vgpr_spill_count: 0
    .wavefront_size: 64
  - .agpr_count:     0
    .args:
      - .offset:         0
        .size:           40
        .value_kind:     by_value
    .group_segment_fixed_size: 0
    .kernarg_segment_align: 8
    .kernarg_segment_size: 40
    .language:       OpenCL C
    .language_version:
      - 2
      - 0
    .max_flat_workgroup_size: 256
    .name:           _ZN7rocprim17ROCPRIM_400000_NS6detail17trampoline_kernelINS0_14default_configENS1_20scan_config_selectorIdEEZZNS1_9scan_implILNS1_25lookback_scan_determinismE0ELb0ELb0ES3_PKdPddZZZN2at6native31launch_logcumsumexp_cuda_kernelERKNSB_10TensorBaseESF_lENKUlvE_clEvENKUlvE_clEvEUlddE_dEEDaPvRmT3_T4_T5_mT6_P12ihipStream_tbENKUlT_T0_E_clISt17integral_constantIbLb1EESW_EEDaSR_SS_EUlSR_E0_NS1_11comp_targetILNS1_3genE3ELNS1_11target_archE908ELNS1_3gpuE7ELNS1_3repE0EEENS1_30default_config_static_selectorELNS0_4arch9wavefront6targetE1EEEvT1_
    .private_segment_fixed_size: 0
    .sgpr_count:     4
    .sgpr_spill_count: 0
    .symbol:         _ZN7rocprim17ROCPRIM_400000_NS6detail17trampoline_kernelINS0_14default_configENS1_20scan_config_selectorIdEEZZNS1_9scan_implILNS1_25lookback_scan_determinismE0ELb0ELb0ES3_PKdPddZZZN2at6native31launch_logcumsumexp_cuda_kernelERKNSB_10TensorBaseESF_lENKUlvE_clEvENKUlvE_clEvEUlddE_dEEDaPvRmT3_T4_T5_mT6_P12ihipStream_tbENKUlT_T0_E_clISt17integral_constantIbLb1EESW_EEDaSR_SS_EUlSR_E0_NS1_11comp_targetILNS1_3genE3ELNS1_11target_archE908ELNS1_3gpuE7ELNS1_3repE0EEENS1_30default_config_static_selectorELNS0_4arch9wavefront6targetE1EEEvT1_.kd
    .uniform_work_group_size: 1
    .uses_dynamic_stack: false
    .vgpr_count:     0
    .vgpr_spill_count: 0
    .wavefront_size: 64
  - .agpr_count:     0
    .args:
      - .offset:         0
        .size:           40
        .value_kind:     by_value
    .group_segment_fixed_size: 0
    .kernarg_segment_align: 8
    .kernarg_segment_size: 40
    .language:       OpenCL C
    .language_version:
      - 2
      - 0
    .max_flat_workgroup_size: 128
    .name:           _ZN7rocprim17ROCPRIM_400000_NS6detail17trampoline_kernelINS0_14default_configENS1_20scan_config_selectorIdEEZZNS1_9scan_implILNS1_25lookback_scan_determinismE0ELb0ELb0ES3_PKdPddZZZN2at6native31launch_logcumsumexp_cuda_kernelERKNSB_10TensorBaseESF_lENKUlvE_clEvENKUlvE_clEvEUlddE_dEEDaPvRmT3_T4_T5_mT6_P12ihipStream_tbENKUlT_T0_E_clISt17integral_constantIbLb1EESW_EEDaSR_SS_EUlSR_E0_NS1_11comp_targetILNS1_3genE2ELNS1_11target_archE906ELNS1_3gpuE6ELNS1_3repE0EEENS1_30default_config_static_selectorELNS0_4arch9wavefront6targetE1EEEvT1_
    .private_segment_fixed_size: 0
    .sgpr_count:     4
    .sgpr_spill_count: 0
    .symbol:         _ZN7rocprim17ROCPRIM_400000_NS6detail17trampoline_kernelINS0_14default_configENS1_20scan_config_selectorIdEEZZNS1_9scan_implILNS1_25lookback_scan_determinismE0ELb0ELb0ES3_PKdPddZZZN2at6native31launch_logcumsumexp_cuda_kernelERKNSB_10TensorBaseESF_lENKUlvE_clEvENKUlvE_clEvEUlddE_dEEDaPvRmT3_T4_T5_mT6_P12ihipStream_tbENKUlT_T0_E_clISt17integral_constantIbLb1EESW_EEDaSR_SS_EUlSR_E0_NS1_11comp_targetILNS1_3genE2ELNS1_11target_archE906ELNS1_3gpuE6ELNS1_3repE0EEENS1_30default_config_static_selectorELNS0_4arch9wavefront6targetE1EEEvT1_.kd
    .uniform_work_group_size: 1
    .uses_dynamic_stack: false
    .vgpr_count:     0
    .vgpr_spill_count: 0
    .wavefront_size: 64
  - .agpr_count:     0
    .args:
      - .offset:         0
        .size:           40
        .value_kind:     by_value
    .group_segment_fixed_size: 0
    .kernarg_segment_align: 8
    .kernarg_segment_size: 40
    .language:       OpenCL C
    .language_version:
      - 2
      - 0
    .max_flat_workgroup_size: 256
    .name:           _ZN7rocprim17ROCPRIM_400000_NS6detail17trampoline_kernelINS0_14default_configENS1_20scan_config_selectorIdEEZZNS1_9scan_implILNS1_25lookback_scan_determinismE0ELb0ELb0ES3_PKdPddZZZN2at6native31launch_logcumsumexp_cuda_kernelERKNSB_10TensorBaseESF_lENKUlvE_clEvENKUlvE_clEvEUlddE_dEEDaPvRmT3_T4_T5_mT6_P12ihipStream_tbENKUlT_T0_E_clISt17integral_constantIbLb1EESW_EEDaSR_SS_EUlSR_E0_NS1_11comp_targetILNS1_3genE10ELNS1_11target_archE1201ELNS1_3gpuE5ELNS1_3repE0EEENS1_30default_config_static_selectorELNS0_4arch9wavefront6targetE1EEEvT1_
    .private_segment_fixed_size: 0
    .sgpr_count:     4
    .sgpr_spill_count: 0
    .symbol:         _ZN7rocprim17ROCPRIM_400000_NS6detail17trampoline_kernelINS0_14default_configENS1_20scan_config_selectorIdEEZZNS1_9scan_implILNS1_25lookback_scan_determinismE0ELb0ELb0ES3_PKdPddZZZN2at6native31launch_logcumsumexp_cuda_kernelERKNSB_10TensorBaseESF_lENKUlvE_clEvENKUlvE_clEvEUlddE_dEEDaPvRmT3_T4_T5_mT6_P12ihipStream_tbENKUlT_T0_E_clISt17integral_constantIbLb1EESW_EEDaSR_SS_EUlSR_E0_NS1_11comp_targetILNS1_3genE10ELNS1_11target_archE1201ELNS1_3gpuE5ELNS1_3repE0EEENS1_30default_config_static_selectorELNS0_4arch9wavefront6targetE1EEEvT1_.kd
    .uniform_work_group_size: 1
    .uses_dynamic_stack: false
    .vgpr_count:     0
    .vgpr_spill_count: 0
    .wavefront_size: 64
  - .agpr_count:     0
    .args:
      - .offset:         0
        .size:           40
        .value_kind:     by_value
    .group_segment_fixed_size: 0
    .kernarg_segment_align: 8
    .kernarg_segment_size: 40
    .language:       OpenCL C
    .language_version:
      - 2
      - 0
    .max_flat_workgroup_size: 256
    .name:           _ZN7rocprim17ROCPRIM_400000_NS6detail17trampoline_kernelINS0_14default_configENS1_20scan_config_selectorIdEEZZNS1_9scan_implILNS1_25lookback_scan_determinismE0ELb0ELb0ES3_PKdPddZZZN2at6native31launch_logcumsumexp_cuda_kernelERKNSB_10TensorBaseESF_lENKUlvE_clEvENKUlvE_clEvEUlddE_dEEDaPvRmT3_T4_T5_mT6_P12ihipStream_tbENKUlT_T0_E_clISt17integral_constantIbLb1EESW_EEDaSR_SS_EUlSR_E0_NS1_11comp_targetILNS1_3genE10ELNS1_11target_archE1200ELNS1_3gpuE4ELNS1_3repE0EEENS1_30default_config_static_selectorELNS0_4arch9wavefront6targetE1EEEvT1_
    .private_segment_fixed_size: 0
    .sgpr_count:     4
    .sgpr_spill_count: 0
    .symbol:         _ZN7rocprim17ROCPRIM_400000_NS6detail17trampoline_kernelINS0_14default_configENS1_20scan_config_selectorIdEEZZNS1_9scan_implILNS1_25lookback_scan_determinismE0ELb0ELb0ES3_PKdPddZZZN2at6native31launch_logcumsumexp_cuda_kernelERKNSB_10TensorBaseESF_lENKUlvE_clEvENKUlvE_clEvEUlddE_dEEDaPvRmT3_T4_T5_mT6_P12ihipStream_tbENKUlT_T0_E_clISt17integral_constantIbLb1EESW_EEDaSR_SS_EUlSR_E0_NS1_11comp_targetILNS1_3genE10ELNS1_11target_archE1200ELNS1_3gpuE4ELNS1_3repE0EEENS1_30default_config_static_selectorELNS0_4arch9wavefront6targetE1EEEvT1_.kd
    .uniform_work_group_size: 1
    .uses_dynamic_stack: false
    .vgpr_count:     0
    .vgpr_spill_count: 0
    .wavefront_size: 64
  - .agpr_count:     0
    .args:
      - .offset:         0
        .size:           40
        .value_kind:     by_value
    .group_segment_fixed_size: 0
    .kernarg_segment_align: 8
    .kernarg_segment_size: 40
    .language:       OpenCL C
    .language_version:
      - 2
      - 0
    .max_flat_workgroup_size: 256
    .name:           _ZN7rocprim17ROCPRIM_400000_NS6detail17trampoline_kernelINS0_14default_configENS1_20scan_config_selectorIdEEZZNS1_9scan_implILNS1_25lookback_scan_determinismE0ELb0ELb0ES3_PKdPddZZZN2at6native31launch_logcumsumexp_cuda_kernelERKNSB_10TensorBaseESF_lENKUlvE_clEvENKUlvE_clEvEUlddE_dEEDaPvRmT3_T4_T5_mT6_P12ihipStream_tbENKUlT_T0_E_clISt17integral_constantIbLb1EESW_EEDaSR_SS_EUlSR_E0_NS1_11comp_targetILNS1_3genE9ELNS1_11target_archE1100ELNS1_3gpuE3ELNS1_3repE0EEENS1_30default_config_static_selectorELNS0_4arch9wavefront6targetE1EEEvT1_
    .private_segment_fixed_size: 0
    .sgpr_count:     4
    .sgpr_spill_count: 0
    .symbol:         _ZN7rocprim17ROCPRIM_400000_NS6detail17trampoline_kernelINS0_14default_configENS1_20scan_config_selectorIdEEZZNS1_9scan_implILNS1_25lookback_scan_determinismE0ELb0ELb0ES3_PKdPddZZZN2at6native31launch_logcumsumexp_cuda_kernelERKNSB_10TensorBaseESF_lENKUlvE_clEvENKUlvE_clEvEUlddE_dEEDaPvRmT3_T4_T5_mT6_P12ihipStream_tbENKUlT_T0_E_clISt17integral_constantIbLb1EESW_EEDaSR_SS_EUlSR_E0_NS1_11comp_targetILNS1_3genE9ELNS1_11target_archE1100ELNS1_3gpuE3ELNS1_3repE0EEENS1_30default_config_static_selectorELNS0_4arch9wavefront6targetE1EEEvT1_.kd
    .uniform_work_group_size: 1
    .uses_dynamic_stack: false
    .vgpr_count:     0
    .vgpr_spill_count: 0
    .wavefront_size: 64
  - .agpr_count:     0
    .args:
      - .offset:         0
        .size:           40
        .value_kind:     by_value
    .group_segment_fixed_size: 0
    .kernarg_segment_align: 8
    .kernarg_segment_size: 40
    .language:       OpenCL C
    .language_version:
      - 2
      - 0
    .max_flat_workgroup_size: 128
    .name:           _ZN7rocprim17ROCPRIM_400000_NS6detail17trampoline_kernelINS0_14default_configENS1_20scan_config_selectorIdEEZZNS1_9scan_implILNS1_25lookback_scan_determinismE0ELb0ELb0ES3_PKdPddZZZN2at6native31launch_logcumsumexp_cuda_kernelERKNSB_10TensorBaseESF_lENKUlvE_clEvENKUlvE_clEvEUlddE_dEEDaPvRmT3_T4_T5_mT6_P12ihipStream_tbENKUlT_T0_E_clISt17integral_constantIbLb1EESW_EEDaSR_SS_EUlSR_E0_NS1_11comp_targetILNS1_3genE8ELNS1_11target_archE1030ELNS1_3gpuE2ELNS1_3repE0EEENS1_30default_config_static_selectorELNS0_4arch9wavefront6targetE1EEEvT1_
    .private_segment_fixed_size: 0
    .sgpr_count:     4
    .sgpr_spill_count: 0
    .symbol:         _ZN7rocprim17ROCPRIM_400000_NS6detail17trampoline_kernelINS0_14default_configENS1_20scan_config_selectorIdEEZZNS1_9scan_implILNS1_25lookback_scan_determinismE0ELb0ELb0ES3_PKdPddZZZN2at6native31launch_logcumsumexp_cuda_kernelERKNSB_10TensorBaseESF_lENKUlvE_clEvENKUlvE_clEvEUlddE_dEEDaPvRmT3_T4_T5_mT6_P12ihipStream_tbENKUlT_T0_E_clISt17integral_constantIbLb1EESW_EEDaSR_SS_EUlSR_E0_NS1_11comp_targetILNS1_3genE8ELNS1_11target_archE1030ELNS1_3gpuE2ELNS1_3repE0EEENS1_30default_config_static_selectorELNS0_4arch9wavefront6targetE1EEEvT1_.kd
    .uniform_work_group_size: 1
    .uses_dynamic_stack: false
    .vgpr_count:     0
    .vgpr_spill_count: 0
    .wavefront_size: 64
  - .agpr_count:     0
    .args:
      - .address_space:  global
        .offset:         0
        .size:           8
        .value_kind:     global_buffer
      - .offset:         8
        .size:           4
        .value_kind:     by_value
      - .offset:         12
        .size:           1
        .value_kind:     by_value
      - .offset:         16
        .size:           4
        .value_kind:     by_value
      - .address_space:  global
        .offset:         24
        .size:           8
        .value_kind:     global_buffer
      - .offset:         32
        .size:           4
        .value_kind:     hidden_block_count_x
      - .offset:         36
        .size:           4
        .value_kind:     hidden_block_count_y
      - .offset:         40
        .size:           4
        .value_kind:     hidden_block_count_z
      - .offset:         44
        .size:           2
        .value_kind:     hidden_group_size_x
      - .offset:         46
        .size:           2
        .value_kind:     hidden_group_size_y
      - .offset:         48
        .size:           2
        .value_kind:     hidden_group_size_z
      - .offset:         50
        .size:           2
        .value_kind:     hidden_remainder_x
      - .offset:         52
        .size:           2
        .value_kind:     hidden_remainder_y
      - .offset:         54
        .size:           2
        .value_kind:     hidden_remainder_z
      - .offset:         72
        .size:           8
        .value_kind:     hidden_global_offset_x
      - .offset:         80
        .size:           8
        .value_kind:     hidden_global_offset_y
      - .offset:         88
        .size:           8
        .value_kind:     hidden_global_offset_z
      - .offset:         96
        .size:           2
        .value_kind:     hidden_grid_dims
    .group_segment_fixed_size: 0
    .kernarg_segment_align: 8
    .kernarg_segment_size: 288
    .language:       OpenCL C
    .language_version:
      - 2
      - 0
    .max_flat_workgroup_size: 256
    .name:           _ZN7rocprim17ROCPRIM_400000_NS6detail31init_lookback_scan_state_kernelINS1_19lookback_scan_stateIdLb1ELb1EEENS1_16block_id_wrapperIjLb0EEEEEvT_jT0_jPNS7_10value_typeE
    .private_segment_fixed_size: 0
    .sgpr_count:     18
    .sgpr_spill_count: 0
    .symbol:         _ZN7rocprim17ROCPRIM_400000_NS6detail31init_lookback_scan_state_kernelINS1_19lookback_scan_stateIdLb1ELb1EEENS1_16block_id_wrapperIjLb0EEEEEvT_jT0_jPNS7_10value_typeE.kd
    .uniform_work_group_size: 1
    .uses_dynamic_stack: false
    .vgpr_count:     10
    .vgpr_spill_count: 0
    .wavefront_size: 64
  - .agpr_count:     0
    .args:
      - .offset:         0
        .size:           104
        .value_kind:     by_value
    .group_segment_fixed_size: 0
    .kernarg_segment_align: 8
    .kernarg_segment_size: 104
    .language:       OpenCL C
    .language_version:
      - 2
      - 0
    .max_flat_workgroup_size: 256
    .name:           _ZN7rocprim17ROCPRIM_400000_NS6detail17trampoline_kernelINS0_14default_configENS1_20scan_config_selectorIdEEZZNS1_9scan_implILNS1_25lookback_scan_determinismE0ELb0ELb0ES3_PKdPddZZZN2at6native31launch_logcumsumexp_cuda_kernelERKNSB_10TensorBaseESF_lENKUlvE_clEvENKUlvE_clEvEUlddE_dEEDaPvRmT3_T4_T5_mT6_P12ihipStream_tbENKUlT_T0_E_clISt17integral_constantIbLb1EESV_IbLb0EEEEDaSR_SS_EUlSR_E_NS1_11comp_targetILNS1_3genE0ELNS1_11target_archE4294967295ELNS1_3gpuE0ELNS1_3repE0EEENS1_30default_config_static_selectorELNS0_4arch9wavefront6targetE1EEEvT1_
    .private_segment_fixed_size: 0
    .sgpr_count:     4
    .sgpr_spill_count: 0
    .symbol:         _ZN7rocprim17ROCPRIM_400000_NS6detail17trampoline_kernelINS0_14default_configENS1_20scan_config_selectorIdEEZZNS1_9scan_implILNS1_25lookback_scan_determinismE0ELb0ELb0ES3_PKdPddZZZN2at6native31launch_logcumsumexp_cuda_kernelERKNSB_10TensorBaseESF_lENKUlvE_clEvENKUlvE_clEvEUlddE_dEEDaPvRmT3_T4_T5_mT6_P12ihipStream_tbENKUlT_T0_E_clISt17integral_constantIbLb1EESV_IbLb0EEEEDaSR_SS_EUlSR_E_NS1_11comp_targetILNS1_3genE0ELNS1_11target_archE4294967295ELNS1_3gpuE0ELNS1_3repE0EEENS1_30default_config_static_selectorELNS0_4arch9wavefront6targetE1EEEvT1_.kd
    .uniform_work_group_size: 1
    .uses_dynamic_stack: false
    .vgpr_count:     0
    .vgpr_spill_count: 0
    .wavefront_size: 64
  - .agpr_count:     0
    .args:
      - .offset:         0
        .size:           104
        .value_kind:     by_value
    .group_segment_fixed_size: 0
    .kernarg_segment_align: 8
    .kernarg_segment_size: 104
    .language:       OpenCL C
    .language_version:
      - 2
      - 0
    .max_flat_workgroup_size: 256
    .name:           _ZN7rocprim17ROCPRIM_400000_NS6detail17trampoline_kernelINS0_14default_configENS1_20scan_config_selectorIdEEZZNS1_9scan_implILNS1_25lookback_scan_determinismE0ELb0ELb0ES3_PKdPddZZZN2at6native31launch_logcumsumexp_cuda_kernelERKNSB_10TensorBaseESF_lENKUlvE_clEvENKUlvE_clEvEUlddE_dEEDaPvRmT3_T4_T5_mT6_P12ihipStream_tbENKUlT_T0_E_clISt17integral_constantIbLb1EESV_IbLb0EEEEDaSR_SS_EUlSR_E_NS1_11comp_targetILNS1_3genE5ELNS1_11target_archE942ELNS1_3gpuE9ELNS1_3repE0EEENS1_30default_config_static_selectorELNS0_4arch9wavefront6targetE1EEEvT1_
    .private_segment_fixed_size: 0
    .sgpr_count:     4
    .sgpr_spill_count: 0
    .symbol:         _ZN7rocprim17ROCPRIM_400000_NS6detail17trampoline_kernelINS0_14default_configENS1_20scan_config_selectorIdEEZZNS1_9scan_implILNS1_25lookback_scan_determinismE0ELb0ELb0ES3_PKdPddZZZN2at6native31launch_logcumsumexp_cuda_kernelERKNSB_10TensorBaseESF_lENKUlvE_clEvENKUlvE_clEvEUlddE_dEEDaPvRmT3_T4_T5_mT6_P12ihipStream_tbENKUlT_T0_E_clISt17integral_constantIbLb1EESV_IbLb0EEEEDaSR_SS_EUlSR_E_NS1_11comp_targetILNS1_3genE5ELNS1_11target_archE942ELNS1_3gpuE9ELNS1_3repE0EEENS1_30default_config_static_selectorELNS0_4arch9wavefront6targetE1EEEvT1_.kd
    .uniform_work_group_size: 1
    .uses_dynamic_stack: false
    .vgpr_count:     0
    .vgpr_spill_count: 0
    .wavefront_size: 64
  - .agpr_count:     0
    .args:
      - .offset:         0
        .size:           104
        .value_kind:     by_value
    .group_segment_fixed_size: 10240
    .kernarg_segment_align: 8
    .kernarg_segment_size: 104
    .language:       OpenCL C
    .language_version:
      - 2
      - 0
    .max_flat_workgroup_size: 128
    .name:           _ZN7rocprim17ROCPRIM_400000_NS6detail17trampoline_kernelINS0_14default_configENS1_20scan_config_selectorIdEEZZNS1_9scan_implILNS1_25lookback_scan_determinismE0ELb0ELb0ES3_PKdPddZZZN2at6native31launch_logcumsumexp_cuda_kernelERKNSB_10TensorBaseESF_lENKUlvE_clEvENKUlvE_clEvEUlddE_dEEDaPvRmT3_T4_T5_mT6_P12ihipStream_tbENKUlT_T0_E_clISt17integral_constantIbLb1EESV_IbLb0EEEEDaSR_SS_EUlSR_E_NS1_11comp_targetILNS1_3genE4ELNS1_11target_archE910ELNS1_3gpuE8ELNS1_3repE0EEENS1_30default_config_static_selectorELNS0_4arch9wavefront6targetE1EEEvT1_
    .private_segment_fixed_size: 0
    .sgpr_count:     73
    .sgpr_spill_count: 0
    .symbol:         _ZN7rocprim17ROCPRIM_400000_NS6detail17trampoline_kernelINS0_14default_configENS1_20scan_config_selectorIdEEZZNS1_9scan_implILNS1_25lookback_scan_determinismE0ELb0ELb0ES3_PKdPddZZZN2at6native31launch_logcumsumexp_cuda_kernelERKNSB_10TensorBaseESF_lENKUlvE_clEvENKUlvE_clEvEUlddE_dEEDaPvRmT3_T4_T5_mT6_P12ihipStream_tbENKUlT_T0_E_clISt17integral_constantIbLb1EESV_IbLb0EEEEDaSR_SS_EUlSR_E_NS1_11comp_targetILNS1_3genE4ELNS1_11target_archE910ELNS1_3gpuE8ELNS1_3repE0EEENS1_30default_config_static_selectorELNS0_4arch9wavefront6targetE1EEEvT1_.kd
    .uniform_work_group_size: 1
    .uses_dynamic_stack: false
    .vgpr_count:     129
    .vgpr_spill_count: 0
    .wavefront_size: 64
  - .agpr_count:     0
    .args:
      - .offset:         0
        .size:           104
        .value_kind:     by_value
    .group_segment_fixed_size: 0
    .kernarg_segment_align: 8
    .kernarg_segment_size: 104
    .language:       OpenCL C
    .language_version:
      - 2
      - 0
    .max_flat_workgroup_size: 256
    .name:           _ZN7rocprim17ROCPRIM_400000_NS6detail17trampoline_kernelINS0_14default_configENS1_20scan_config_selectorIdEEZZNS1_9scan_implILNS1_25lookback_scan_determinismE0ELb0ELb0ES3_PKdPddZZZN2at6native31launch_logcumsumexp_cuda_kernelERKNSB_10TensorBaseESF_lENKUlvE_clEvENKUlvE_clEvEUlddE_dEEDaPvRmT3_T4_T5_mT6_P12ihipStream_tbENKUlT_T0_E_clISt17integral_constantIbLb1EESV_IbLb0EEEEDaSR_SS_EUlSR_E_NS1_11comp_targetILNS1_3genE3ELNS1_11target_archE908ELNS1_3gpuE7ELNS1_3repE0EEENS1_30default_config_static_selectorELNS0_4arch9wavefront6targetE1EEEvT1_
    .private_segment_fixed_size: 0
    .sgpr_count:     4
    .sgpr_spill_count: 0
    .symbol:         _ZN7rocprim17ROCPRIM_400000_NS6detail17trampoline_kernelINS0_14default_configENS1_20scan_config_selectorIdEEZZNS1_9scan_implILNS1_25lookback_scan_determinismE0ELb0ELb0ES3_PKdPddZZZN2at6native31launch_logcumsumexp_cuda_kernelERKNSB_10TensorBaseESF_lENKUlvE_clEvENKUlvE_clEvEUlddE_dEEDaPvRmT3_T4_T5_mT6_P12ihipStream_tbENKUlT_T0_E_clISt17integral_constantIbLb1EESV_IbLb0EEEEDaSR_SS_EUlSR_E_NS1_11comp_targetILNS1_3genE3ELNS1_11target_archE908ELNS1_3gpuE7ELNS1_3repE0EEENS1_30default_config_static_selectorELNS0_4arch9wavefront6targetE1EEEvT1_.kd
    .uniform_work_group_size: 1
    .uses_dynamic_stack: false
    .vgpr_count:     0
    .vgpr_spill_count: 0
    .wavefront_size: 64
  - .agpr_count:     0
    .args:
      - .offset:         0
        .size:           104
        .value_kind:     by_value
    .group_segment_fixed_size: 0
    .kernarg_segment_align: 8
    .kernarg_segment_size: 104
    .language:       OpenCL C
    .language_version:
      - 2
      - 0
    .max_flat_workgroup_size: 128
    .name:           _ZN7rocprim17ROCPRIM_400000_NS6detail17trampoline_kernelINS0_14default_configENS1_20scan_config_selectorIdEEZZNS1_9scan_implILNS1_25lookback_scan_determinismE0ELb0ELb0ES3_PKdPddZZZN2at6native31launch_logcumsumexp_cuda_kernelERKNSB_10TensorBaseESF_lENKUlvE_clEvENKUlvE_clEvEUlddE_dEEDaPvRmT3_T4_T5_mT6_P12ihipStream_tbENKUlT_T0_E_clISt17integral_constantIbLb1EESV_IbLb0EEEEDaSR_SS_EUlSR_E_NS1_11comp_targetILNS1_3genE2ELNS1_11target_archE906ELNS1_3gpuE6ELNS1_3repE0EEENS1_30default_config_static_selectorELNS0_4arch9wavefront6targetE1EEEvT1_
    .private_segment_fixed_size: 0
    .sgpr_count:     4
    .sgpr_spill_count: 0
    .symbol:         _ZN7rocprim17ROCPRIM_400000_NS6detail17trampoline_kernelINS0_14default_configENS1_20scan_config_selectorIdEEZZNS1_9scan_implILNS1_25lookback_scan_determinismE0ELb0ELb0ES3_PKdPddZZZN2at6native31launch_logcumsumexp_cuda_kernelERKNSB_10TensorBaseESF_lENKUlvE_clEvENKUlvE_clEvEUlddE_dEEDaPvRmT3_T4_T5_mT6_P12ihipStream_tbENKUlT_T0_E_clISt17integral_constantIbLb1EESV_IbLb0EEEEDaSR_SS_EUlSR_E_NS1_11comp_targetILNS1_3genE2ELNS1_11target_archE906ELNS1_3gpuE6ELNS1_3repE0EEENS1_30default_config_static_selectorELNS0_4arch9wavefront6targetE1EEEvT1_.kd
    .uniform_work_group_size: 1
    .uses_dynamic_stack: false
    .vgpr_count:     0
    .vgpr_spill_count: 0
    .wavefront_size: 64
  - .agpr_count:     0
    .args:
      - .offset:         0
        .size:           104
        .value_kind:     by_value
    .group_segment_fixed_size: 0
    .kernarg_segment_align: 8
    .kernarg_segment_size: 104
    .language:       OpenCL C
    .language_version:
      - 2
      - 0
    .max_flat_workgroup_size: 256
    .name:           _ZN7rocprim17ROCPRIM_400000_NS6detail17trampoline_kernelINS0_14default_configENS1_20scan_config_selectorIdEEZZNS1_9scan_implILNS1_25lookback_scan_determinismE0ELb0ELb0ES3_PKdPddZZZN2at6native31launch_logcumsumexp_cuda_kernelERKNSB_10TensorBaseESF_lENKUlvE_clEvENKUlvE_clEvEUlddE_dEEDaPvRmT3_T4_T5_mT6_P12ihipStream_tbENKUlT_T0_E_clISt17integral_constantIbLb1EESV_IbLb0EEEEDaSR_SS_EUlSR_E_NS1_11comp_targetILNS1_3genE10ELNS1_11target_archE1201ELNS1_3gpuE5ELNS1_3repE0EEENS1_30default_config_static_selectorELNS0_4arch9wavefront6targetE1EEEvT1_
    .private_segment_fixed_size: 0
    .sgpr_count:     4
    .sgpr_spill_count: 0
    .symbol:         _ZN7rocprim17ROCPRIM_400000_NS6detail17trampoline_kernelINS0_14default_configENS1_20scan_config_selectorIdEEZZNS1_9scan_implILNS1_25lookback_scan_determinismE0ELb0ELb0ES3_PKdPddZZZN2at6native31launch_logcumsumexp_cuda_kernelERKNSB_10TensorBaseESF_lENKUlvE_clEvENKUlvE_clEvEUlddE_dEEDaPvRmT3_T4_T5_mT6_P12ihipStream_tbENKUlT_T0_E_clISt17integral_constantIbLb1EESV_IbLb0EEEEDaSR_SS_EUlSR_E_NS1_11comp_targetILNS1_3genE10ELNS1_11target_archE1201ELNS1_3gpuE5ELNS1_3repE0EEENS1_30default_config_static_selectorELNS0_4arch9wavefront6targetE1EEEvT1_.kd
    .uniform_work_group_size: 1
    .uses_dynamic_stack: false
    .vgpr_count:     0
    .vgpr_spill_count: 0
    .wavefront_size: 64
  - .agpr_count:     0
    .args:
      - .offset:         0
        .size:           104
        .value_kind:     by_value
    .group_segment_fixed_size: 0
    .kernarg_segment_align: 8
    .kernarg_segment_size: 104
    .language:       OpenCL C
    .language_version:
      - 2
      - 0
    .max_flat_workgroup_size: 256
    .name:           _ZN7rocprim17ROCPRIM_400000_NS6detail17trampoline_kernelINS0_14default_configENS1_20scan_config_selectorIdEEZZNS1_9scan_implILNS1_25lookback_scan_determinismE0ELb0ELb0ES3_PKdPddZZZN2at6native31launch_logcumsumexp_cuda_kernelERKNSB_10TensorBaseESF_lENKUlvE_clEvENKUlvE_clEvEUlddE_dEEDaPvRmT3_T4_T5_mT6_P12ihipStream_tbENKUlT_T0_E_clISt17integral_constantIbLb1EESV_IbLb0EEEEDaSR_SS_EUlSR_E_NS1_11comp_targetILNS1_3genE10ELNS1_11target_archE1200ELNS1_3gpuE4ELNS1_3repE0EEENS1_30default_config_static_selectorELNS0_4arch9wavefront6targetE1EEEvT1_
    .private_segment_fixed_size: 0
    .sgpr_count:     4
    .sgpr_spill_count: 0
    .symbol:         _ZN7rocprim17ROCPRIM_400000_NS6detail17trampoline_kernelINS0_14default_configENS1_20scan_config_selectorIdEEZZNS1_9scan_implILNS1_25lookback_scan_determinismE0ELb0ELb0ES3_PKdPddZZZN2at6native31launch_logcumsumexp_cuda_kernelERKNSB_10TensorBaseESF_lENKUlvE_clEvENKUlvE_clEvEUlddE_dEEDaPvRmT3_T4_T5_mT6_P12ihipStream_tbENKUlT_T0_E_clISt17integral_constantIbLb1EESV_IbLb0EEEEDaSR_SS_EUlSR_E_NS1_11comp_targetILNS1_3genE10ELNS1_11target_archE1200ELNS1_3gpuE4ELNS1_3repE0EEENS1_30default_config_static_selectorELNS0_4arch9wavefront6targetE1EEEvT1_.kd
    .uniform_work_group_size: 1
    .uses_dynamic_stack: false
    .vgpr_count:     0
    .vgpr_spill_count: 0
    .wavefront_size: 64
  - .agpr_count:     0
    .args:
      - .offset:         0
        .size:           104
        .value_kind:     by_value
    .group_segment_fixed_size: 0
    .kernarg_segment_align: 8
    .kernarg_segment_size: 104
    .language:       OpenCL C
    .language_version:
      - 2
      - 0
    .max_flat_workgroup_size: 256
    .name:           _ZN7rocprim17ROCPRIM_400000_NS6detail17trampoline_kernelINS0_14default_configENS1_20scan_config_selectorIdEEZZNS1_9scan_implILNS1_25lookback_scan_determinismE0ELb0ELb0ES3_PKdPddZZZN2at6native31launch_logcumsumexp_cuda_kernelERKNSB_10TensorBaseESF_lENKUlvE_clEvENKUlvE_clEvEUlddE_dEEDaPvRmT3_T4_T5_mT6_P12ihipStream_tbENKUlT_T0_E_clISt17integral_constantIbLb1EESV_IbLb0EEEEDaSR_SS_EUlSR_E_NS1_11comp_targetILNS1_3genE9ELNS1_11target_archE1100ELNS1_3gpuE3ELNS1_3repE0EEENS1_30default_config_static_selectorELNS0_4arch9wavefront6targetE1EEEvT1_
    .private_segment_fixed_size: 0
    .sgpr_count:     4
    .sgpr_spill_count: 0
    .symbol:         _ZN7rocprim17ROCPRIM_400000_NS6detail17trampoline_kernelINS0_14default_configENS1_20scan_config_selectorIdEEZZNS1_9scan_implILNS1_25lookback_scan_determinismE0ELb0ELb0ES3_PKdPddZZZN2at6native31launch_logcumsumexp_cuda_kernelERKNSB_10TensorBaseESF_lENKUlvE_clEvENKUlvE_clEvEUlddE_dEEDaPvRmT3_T4_T5_mT6_P12ihipStream_tbENKUlT_T0_E_clISt17integral_constantIbLb1EESV_IbLb0EEEEDaSR_SS_EUlSR_E_NS1_11comp_targetILNS1_3genE9ELNS1_11target_archE1100ELNS1_3gpuE3ELNS1_3repE0EEENS1_30default_config_static_selectorELNS0_4arch9wavefront6targetE1EEEvT1_.kd
    .uniform_work_group_size: 1
    .uses_dynamic_stack: false
    .vgpr_count:     0
    .vgpr_spill_count: 0
    .wavefront_size: 64
  - .agpr_count:     0
    .args:
      - .offset:         0
        .size:           104
        .value_kind:     by_value
    .group_segment_fixed_size: 0
    .kernarg_segment_align: 8
    .kernarg_segment_size: 104
    .language:       OpenCL C
    .language_version:
      - 2
      - 0
    .max_flat_workgroup_size: 128
    .name:           _ZN7rocprim17ROCPRIM_400000_NS6detail17trampoline_kernelINS0_14default_configENS1_20scan_config_selectorIdEEZZNS1_9scan_implILNS1_25lookback_scan_determinismE0ELb0ELb0ES3_PKdPddZZZN2at6native31launch_logcumsumexp_cuda_kernelERKNSB_10TensorBaseESF_lENKUlvE_clEvENKUlvE_clEvEUlddE_dEEDaPvRmT3_T4_T5_mT6_P12ihipStream_tbENKUlT_T0_E_clISt17integral_constantIbLb1EESV_IbLb0EEEEDaSR_SS_EUlSR_E_NS1_11comp_targetILNS1_3genE8ELNS1_11target_archE1030ELNS1_3gpuE2ELNS1_3repE0EEENS1_30default_config_static_selectorELNS0_4arch9wavefront6targetE1EEEvT1_
    .private_segment_fixed_size: 0
    .sgpr_count:     4
    .sgpr_spill_count: 0
    .symbol:         _ZN7rocprim17ROCPRIM_400000_NS6detail17trampoline_kernelINS0_14default_configENS1_20scan_config_selectorIdEEZZNS1_9scan_implILNS1_25lookback_scan_determinismE0ELb0ELb0ES3_PKdPddZZZN2at6native31launch_logcumsumexp_cuda_kernelERKNSB_10TensorBaseESF_lENKUlvE_clEvENKUlvE_clEvEUlddE_dEEDaPvRmT3_T4_T5_mT6_P12ihipStream_tbENKUlT_T0_E_clISt17integral_constantIbLb1EESV_IbLb0EEEEDaSR_SS_EUlSR_E_NS1_11comp_targetILNS1_3genE8ELNS1_11target_archE1030ELNS1_3gpuE2ELNS1_3repE0EEENS1_30default_config_static_selectorELNS0_4arch9wavefront6targetE1EEEvT1_.kd
    .uniform_work_group_size: 1
    .uses_dynamic_stack: false
    .vgpr_count:     0
    .vgpr_spill_count: 0
    .wavefront_size: 64
  - .agpr_count:     0
    .args:
      - .offset:         0
        .size:           40
        .value_kind:     by_value
    .group_segment_fixed_size: 0
    .kernarg_segment_align: 8
    .kernarg_segment_size: 40
    .language:       OpenCL C
    .language_version:
      - 2
      - 0
    .max_flat_workgroup_size: 256
    .name:           _ZN7rocprim17ROCPRIM_400000_NS6detail17trampoline_kernelINS0_14default_configENS1_20scan_config_selectorIdEEZZNS1_9scan_implILNS1_25lookback_scan_determinismE0ELb0ELb0ES3_PKdPddZZZN2at6native31launch_logcumsumexp_cuda_kernelERKNSB_10TensorBaseESF_lENKUlvE_clEvENKUlvE_clEvEUlddE_dEEDaPvRmT3_T4_T5_mT6_P12ihipStream_tbENKUlT_T0_E_clISt17integral_constantIbLb1EESV_IbLb0EEEEDaSR_SS_EUlSR_E0_NS1_11comp_targetILNS1_3genE0ELNS1_11target_archE4294967295ELNS1_3gpuE0ELNS1_3repE0EEENS1_30default_config_static_selectorELNS0_4arch9wavefront6targetE1EEEvT1_
    .private_segment_fixed_size: 0
    .sgpr_count:     4
    .sgpr_spill_count: 0
    .symbol:         _ZN7rocprim17ROCPRIM_400000_NS6detail17trampoline_kernelINS0_14default_configENS1_20scan_config_selectorIdEEZZNS1_9scan_implILNS1_25lookback_scan_determinismE0ELb0ELb0ES3_PKdPddZZZN2at6native31launch_logcumsumexp_cuda_kernelERKNSB_10TensorBaseESF_lENKUlvE_clEvENKUlvE_clEvEUlddE_dEEDaPvRmT3_T4_T5_mT6_P12ihipStream_tbENKUlT_T0_E_clISt17integral_constantIbLb1EESV_IbLb0EEEEDaSR_SS_EUlSR_E0_NS1_11comp_targetILNS1_3genE0ELNS1_11target_archE4294967295ELNS1_3gpuE0ELNS1_3repE0EEENS1_30default_config_static_selectorELNS0_4arch9wavefront6targetE1EEEvT1_.kd
    .uniform_work_group_size: 1
    .uses_dynamic_stack: false
    .vgpr_count:     0
    .vgpr_spill_count: 0
    .wavefront_size: 64
  - .agpr_count:     0
    .args:
      - .offset:         0
        .size:           40
        .value_kind:     by_value
    .group_segment_fixed_size: 0
    .kernarg_segment_align: 8
    .kernarg_segment_size: 40
    .language:       OpenCL C
    .language_version:
      - 2
      - 0
    .max_flat_workgroup_size: 256
    .name:           _ZN7rocprim17ROCPRIM_400000_NS6detail17trampoline_kernelINS0_14default_configENS1_20scan_config_selectorIdEEZZNS1_9scan_implILNS1_25lookback_scan_determinismE0ELb0ELb0ES3_PKdPddZZZN2at6native31launch_logcumsumexp_cuda_kernelERKNSB_10TensorBaseESF_lENKUlvE_clEvENKUlvE_clEvEUlddE_dEEDaPvRmT3_T4_T5_mT6_P12ihipStream_tbENKUlT_T0_E_clISt17integral_constantIbLb1EESV_IbLb0EEEEDaSR_SS_EUlSR_E0_NS1_11comp_targetILNS1_3genE5ELNS1_11target_archE942ELNS1_3gpuE9ELNS1_3repE0EEENS1_30default_config_static_selectorELNS0_4arch9wavefront6targetE1EEEvT1_
    .private_segment_fixed_size: 0
    .sgpr_count:     4
    .sgpr_spill_count: 0
    .symbol:         _ZN7rocprim17ROCPRIM_400000_NS6detail17trampoline_kernelINS0_14default_configENS1_20scan_config_selectorIdEEZZNS1_9scan_implILNS1_25lookback_scan_determinismE0ELb0ELb0ES3_PKdPddZZZN2at6native31launch_logcumsumexp_cuda_kernelERKNSB_10TensorBaseESF_lENKUlvE_clEvENKUlvE_clEvEUlddE_dEEDaPvRmT3_T4_T5_mT6_P12ihipStream_tbENKUlT_T0_E_clISt17integral_constantIbLb1EESV_IbLb0EEEEDaSR_SS_EUlSR_E0_NS1_11comp_targetILNS1_3genE5ELNS1_11target_archE942ELNS1_3gpuE9ELNS1_3repE0EEENS1_30default_config_static_selectorELNS0_4arch9wavefront6targetE1EEEvT1_.kd
    .uniform_work_group_size: 1
    .uses_dynamic_stack: false
    .vgpr_count:     0
    .vgpr_spill_count: 0
    .wavefront_size: 64
  - .agpr_count:     0
    .args:
      - .offset:         0
        .size:           40
        .value_kind:     by_value
    .group_segment_fixed_size: 10240
    .kernarg_segment_align: 8
    .kernarg_segment_size: 40
    .language:       OpenCL C
    .language_version:
      - 2
      - 0
    .max_flat_workgroup_size: 128
    .name:           _ZN7rocprim17ROCPRIM_400000_NS6detail17trampoline_kernelINS0_14default_configENS1_20scan_config_selectorIdEEZZNS1_9scan_implILNS1_25lookback_scan_determinismE0ELb0ELb0ES3_PKdPddZZZN2at6native31launch_logcumsumexp_cuda_kernelERKNSB_10TensorBaseESF_lENKUlvE_clEvENKUlvE_clEvEUlddE_dEEDaPvRmT3_T4_T5_mT6_P12ihipStream_tbENKUlT_T0_E_clISt17integral_constantIbLb1EESV_IbLb0EEEEDaSR_SS_EUlSR_E0_NS1_11comp_targetILNS1_3genE4ELNS1_11target_archE910ELNS1_3gpuE8ELNS1_3repE0EEENS1_30default_config_static_selectorELNS0_4arch9wavefront6targetE1EEEvT1_
    .private_segment_fixed_size: 0
    .sgpr_count:     60
    .sgpr_spill_count: 0
    .symbol:         _ZN7rocprim17ROCPRIM_400000_NS6detail17trampoline_kernelINS0_14default_configENS1_20scan_config_selectorIdEEZZNS1_9scan_implILNS1_25lookback_scan_determinismE0ELb0ELb0ES3_PKdPddZZZN2at6native31launch_logcumsumexp_cuda_kernelERKNSB_10TensorBaseESF_lENKUlvE_clEvENKUlvE_clEvEUlddE_dEEDaPvRmT3_T4_T5_mT6_P12ihipStream_tbENKUlT_T0_E_clISt17integral_constantIbLb1EESV_IbLb0EEEEDaSR_SS_EUlSR_E0_NS1_11comp_targetILNS1_3genE4ELNS1_11target_archE910ELNS1_3gpuE8ELNS1_3repE0EEENS1_30default_config_static_selectorELNS0_4arch9wavefront6targetE1EEEvT1_.kd
    .uniform_work_group_size: 1
    .uses_dynamic_stack: false
    .vgpr_count:     76
    .vgpr_spill_count: 0
    .wavefront_size: 64
  - .agpr_count:     0
    .args:
      - .offset:         0
        .size:           40
        .value_kind:     by_value
    .group_segment_fixed_size: 0
    .kernarg_segment_align: 8
    .kernarg_segment_size: 40
    .language:       OpenCL C
    .language_version:
      - 2
      - 0
    .max_flat_workgroup_size: 256
    .name:           _ZN7rocprim17ROCPRIM_400000_NS6detail17trampoline_kernelINS0_14default_configENS1_20scan_config_selectorIdEEZZNS1_9scan_implILNS1_25lookback_scan_determinismE0ELb0ELb0ES3_PKdPddZZZN2at6native31launch_logcumsumexp_cuda_kernelERKNSB_10TensorBaseESF_lENKUlvE_clEvENKUlvE_clEvEUlddE_dEEDaPvRmT3_T4_T5_mT6_P12ihipStream_tbENKUlT_T0_E_clISt17integral_constantIbLb1EESV_IbLb0EEEEDaSR_SS_EUlSR_E0_NS1_11comp_targetILNS1_3genE3ELNS1_11target_archE908ELNS1_3gpuE7ELNS1_3repE0EEENS1_30default_config_static_selectorELNS0_4arch9wavefront6targetE1EEEvT1_
    .private_segment_fixed_size: 0
    .sgpr_count:     4
    .sgpr_spill_count: 0
    .symbol:         _ZN7rocprim17ROCPRIM_400000_NS6detail17trampoline_kernelINS0_14default_configENS1_20scan_config_selectorIdEEZZNS1_9scan_implILNS1_25lookback_scan_determinismE0ELb0ELb0ES3_PKdPddZZZN2at6native31launch_logcumsumexp_cuda_kernelERKNSB_10TensorBaseESF_lENKUlvE_clEvENKUlvE_clEvEUlddE_dEEDaPvRmT3_T4_T5_mT6_P12ihipStream_tbENKUlT_T0_E_clISt17integral_constantIbLb1EESV_IbLb0EEEEDaSR_SS_EUlSR_E0_NS1_11comp_targetILNS1_3genE3ELNS1_11target_archE908ELNS1_3gpuE7ELNS1_3repE0EEENS1_30default_config_static_selectorELNS0_4arch9wavefront6targetE1EEEvT1_.kd
    .uniform_work_group_size: 1
    .uses_dynamic_stack: false
    .vgpr_count:     0
    .vgpr_spill_count: 0
    .wavefront_size: 64
  - .agpr_count:     0
    .args:
      - .offset:         0
        .size:           40
        .value_kind:     by_value
    .group_segment_fixed_size: 0
    .kernarg_segment_align: 8
    .kernarg_segment_size: 40
    .language:       OpenCL C
    .language_version:
      - 2
      - 0
    .max_flat_workgroup_size: 128
    .name:           _ZN7rocprim17ROCPRIM_400000_NS6detail17trampoline_kernelINS0_14default_configENS1_20scan_config_selectorIdEEZZNS1_9scan_implILNS1_25lookback_scan_determinismE0ELb0ELb0ES3_PKdPddZZZN2at6native31launch_logcumsumexp_cuda_kernelERKNSB_10TensorBaseESF_lENKUlvE_clEvENKUlvE_clEvEUlddE_dEEDaPvRmT3_T4_T5_mT6_P12ihipStream_tbENKUlT_T0_E_clISt17integral_constantIbLb1EESV_IbLb0EEEEDaSR_SS_EUlSR_E0_NS1_11comp_targetILNS1_3genE2ELNS1_11target_archE906ELNS1_3gpuE6ELNS1_3repE0EEENS1_30default_config_static_selectorELNS0_4arch9wavefront6targetE1EEEvT1_
    .private_segment_fixed_size: 0
    .sgpr_count:     4
    .sgpr_spill_count: 0
    .symbol:         _ZN7rocprim17ROCPRIM_400000_NS6detail17trampoline_kernelINS0_14default_configENS1_20scan_config_selectorIdEEZZNS1_9scan_implILNS1_25lookback_scan_determinismE0ELb0ELb0ES3_PKdPddZZZN2at6native31launch_logcumsumexp_cuda_kernelERKNSB_10TensorBaseESF_lENKUlvE_clEvENKUlvE_clEvEUlddE_dEEDaPvRmT3_T4_T5_mT6_P12ihipStream_tbENKUlT_T0_E_clISt17integral_constantIbLb1EESV_IbLb0EEEEDaSR_SS_EUlSR_E0_NS1_11comp_targetILNS1_3genE2ELNS1_11target_archE906ELNS1_3gpuE6ELNS1_3repE0EEENS1_30default_config_static_selectorELNS0_4arch9wavefront6targetE1EEEvT1_.kd
    .uniform_work_group_size: 1
    .uses_dynamic_stack: false
    .vgpr_count:     0
    .vgpr_spill_count: 0
    .wavefront_size: 64
  - .agpr_count:     0
    .args:
      - .offset:         0
        .size:           40
        .value_kind:     by_value
    .group_segment_fixed_size: 0
    .kernarg_segment_align: 8
    .kernarg_segment_size: 40
    .language:       OpenCL C
    .language_version:
      - 2
      - 0
    .max_flat_workgroup_size: 256
    .name:           _ZN7rocprim17ROCPRIM_400000_NS6detail17trampoline_kernelINS0_14default_configENS1_20scan_config_selectorIdEEZZNS1_9scan_implILNS1_25lookback_scan_determinismE0ELb0ELb0ES3_PKdPddZZZN2at6native31launch_logcumsumexp_cuda_kernelERKNSB_10TensorBaseESF_lENKUlvE_clEvENKUlvE_clEvEUlddE_dEEDaPvRmT3_T4_T5_mT6_P12ihipStream_tbENKUlT_T0_E_clISt17integral_constantIbLb1EESV_IbLb0EEEEDaSR_SS_EUlSR_E0_NS1_11comp_targetILNS1_3genE10ELNS1_11target_archE1201ELNS1_3gpuE5ELNS1_3repE0EEENS1_30default_config_static_selectorELNS0_4arch9wavefront6targetE1EEEvT1_
    .private_segment_fixed_size: 0
    .sgpr_count:     4
    .sgpr_spill_count: 0
    .symbol:         _ZN7rocprim17ROCPRIM_400000_NS6detail17trampoline_kernelINS0_14default_configENS1_20scan_config_selectorIdEEZZNS1_9scan_implILNS1_25lookback_scan_determinismE0ELb0ELb0ES3_PKdPddZZZN2at6native31launch_logcumsumexp_cuda_kernelERKNSB_10TensorBaseESF_lENKUlvE_clEvENKUlvE_clEvEUlddE_dEEDaPvRmT3_T4_T5_mT6_P12ihipStream_tbENKUlT_T0_E_clISt17integral_constantIbLb1EESV_IbLb0EEEEDaSR_SS_EUlSR_E0_NS1_11comp_targetILNS1_3genE10ELNS1_11target_archE1201ELNS1_3gpuE5ELNS1_3repE0EEENS1_30default_config_static_selectorELNS0_4arch9wavefront6targetE1EEEvT1_.kd
    .uniform_work_group_size: 1
    .uses_dynamic_stack: false
    .vgpr_count:     0
    .vgpr_spill_count: 0
    .wavefront_size: 64
  - .agpr_count:     0
    .args:
      - .offset:         0
        .size:           40
        .value_kind:     by_value
    .group_segment_fixed_size: 0
    .kernarg_segment_align: 8
    .kernarg_segment_size: 40
    .language:       OpenCL C
    .language_version:
      - 2
      - 0
    .max_flat_workgroup_size: 256
    .name:           _ZN7rocprim17ROCPRIM_400000_NS6detail17trampoline_kernelINS0_14default_configENS1_20scan_config_selectorIdEEZZNS1_9scan_implILNS1_25lookback_scan_determinismE0ELb0ELb0ES3_PKdPddZZZN2at6native31launch_logcumsumexp_cuda_kernelERKNSB_10TensorBaseESF_lENKUlvE_clEvENKUlvE_clEvEUlddE_dEEDaPvRmT3_T4_T5_mT6_P12ihipStream_tbENKUlT_T0_E_clISt17integral_constantIbLb1EESV_IbLb0EEEEDaSR_SS_EUlSR_E0_NS1_11comp_targetILNS1_3genE10ELNS1_11target_archE1200ELNS1_3gpuE4ELNS1_3repE0EEENS1_30default_config_static_selectorELNS0_4arch9wavefront6targetE1EEEvT1_
    .private_segment_fixed_size: 0
    .sgpr_count:     4
    .sgpr_spill_count: 0
    .symbol:         _ZN7rocprim17ROCPRIM_400000_NS6detail17trampoline_kernelINS0_14default_configENS1_20scan_config_selectorIdEEZZNS1_9scan_implILNS1_25lookback_scan_determinismE0ELb0ELb0ES3_PKdPddZZZN2at6native31launch_logcumsumexp_cuda_kernelERKNSB_10TensorBaseESF_lENKUlvE_clEvENKUlvE_clEvEUlddE_dEEDaPvRmT3_T4_T5_mT6_P12ihipStream_tbENKUlT_T0_E_clISt17integral_constantIbLb1EESV_IbLb0EEEEDaSR_SS_EUlSR_E0_NS1_11comp_targetILNS1_3genE10ELNS1_11target_archE1200ELNS1_3gpuE4ELNS1_3repE0EEENS1_30default_config_static_selectorELNS0_4arch9wavefront6targetE1EEEvT1_.kd
    .uniform_work_group_size: 1
    .uses_dynamic_stack: false
    .vgpr_count:     0
    .vgpr_spill_count: 0
    .wavefront_size: 64
  - .agpr_count:     0
    .args:
      - .offset:         0
        .size:           40
        .value_kind:     by_value
    .group_segment_fixed_size: 0
    .kernarg_segment_align: 8
    .kernarg_segment_size: 40
    .language:       OpenCL C
    .language_version:
      - 2
      - 0
    .max_flat_workgroup_size: 256
    .name:           _ZN7rocprim17ROCPRIM_400000_NS6detail17trampoline_kernelINS0_14default_configENS1_20scan_config_selectorIdEEZZNS1_9scan_implILNS1_25lookback_scan_determinismE0ELb0ELb0ES3_PKdPddZZZN2at6native31launch_logcumsumexp_cuda_kernelERKNSB_10TensorBaseESF_lENKUlvE_clEvENKUlvE_clEvEUlddE_dEEDaPvRmT3_T4_T5_mT6_P12ihipStream_tbENKUlT_T0_E_clISt17integral_constantIbLb1EESV_IbLb0EEEEDaSR_SS_EUlSR_E0_NS1_11comp_targetILNS1_3genE9ELNS1_11target_archE1100ELNS1_3gpuE3ELNS1_3repE0EEENS1_30default_config_static_selectorELNS0_4arch9wavefront6targetE1EEEvT1_
    .private_segment_fixed_size: 0
    .sgpr_count:     4
    .sgpr_spill_count: 0
    .symbol:         _ZN7rocprim17ROCPRIM_400000_NS6detail17trampoline_kernelINS0_14default_configENS1_20scan_config_selectorIdEEZZNS1_9scan_implILNS1_25lookback_scan_determinismE0ELb0ELb0ES3_PKdPddZZZN2at6native31launch_logcumsumexp_cuda_kernelERKNSB_10TensorBaseESF_lENKUlvE_clEvENKUlvE_clEvEUlddE_dEEDaPvRmT3_T4_T5_mT6_P12ihipStream_tbENKUlT_T0_E_clISt17integral_constantIbLb1EESV_IbLb0EEEEDaSR_SS_EUlSR_E0_NS1_11comp_targetILNS1_3genE9ELNS1_11target_archE1100ELNS1_3gpuE3ELNS1_3repE0EEENS1_30default_config_static_selectorELNS0_4arch9wavefront6targetE1EEEvT1_.kd
    .uniform_work_group_size: 1
    .uses_dynamic_stack: false
    .vgpr_count:     0
    .vgpr_spill_count: 0
    .wavefront_size: 64
  - .agpr_count:     0
    .args:
      - .offset:         0
        .size:           40
        .value_kind:     by_value
    .group_segment_fixed_size: 0
    .kernarg_segment_align: 8
    .kernarg_segment_size: 40
    .language:       OpenCL C
    .language_version:
      - 2
      - 0
    .max_flat_workgroup_size: 128
    .name:           _ZN7rocprim17ROCPRIM_400000_NS6detail17trampoline_kernelINS0_14default_configENS1_20scan_config_selectorIdEEZZNS1_9scan_implILNS1_25lookback_scan_determinismE0ELb0ELb0ES3_PKdPddZZZN2at6native31launch_logcumsumexp_cuda_kernelERKNSB_10TensorBaseESF_lENKUlvE_clEvENKUlvE_clEvEUlddE_dEEDaPvRmT3_T4_T5_mT6_P12ihipStream_tbENKUlT_T0_E_clISt17integral_constantIbLb1EESV_IbLb0EEEEDaSR_SS_EUlSR_E0_NS1_11comp_targetILNS1_3genE8ELNS1_11target_archE1030ELNS1_3gpuE2ELNS1_3repE0EEENS1_30default_config_static_selectorELNS0_4arch9wavefront6targetE1EEEvT1_
    .private_segment_fixed_size: 0
    .sgpr_count:     4
    .sgpr_spill_count: 0
    .symbol:         _ZN7rocprim17ROCPRIM_400000_NS6detail17trampoline_kernelINS0_14default_configENS1_20scan_config_selectorIdEEZZNS1_9scan_implILNS1_25lookback_scan_determinismE0ELb0ELb0ES3_PKdPddZZZN2at6native31launch_logcumsumexp_cuda_kernelERKNSB_10TensorBaseESF_lENKUlvE_clEvENKUlvE_clEvEUlddE_dEEDaPvRmT3_T4_T5_mT6_P12ihipStream_tbENKUlT_T0_E_clISt17integral_constantIbLb1EESV_IbLb0EEEEDaSR_SS_EUlSR_E0_NS1_11comp_targetILNS1_3genE8ELNS1_11target_archE1030ELNS1_3gpuE2ELNS1_3repE0EEENS1_30default_config_static_selectorELNS0_4arch9wavefront6targetE1EEEvT1_.kd
    .uniform_work_group_size: 1
    .uses_dynamic_stack: false
    .vgpr_count:     0
    .vgpr_spill_count: 0
    .wavefront_size: 64
  - .agpr_count:     0
    .args:
      - .address_space:  global
        .offset:         0
        .size:           8
        .value_kind:     global_buffer
      - .offset:         8
        .size:           4
        .value_kind:     by_value
      - .address_space:  global
        .offset:         16
        .size:           8
        .value_kind:     global_buffer
      - .offset:         24
        .size:           4
        .value_kind:     by_value
      - .address_space:  global
        .offset:         32
        .size:           8
        .value_kind:     global_buffer
      - .offset:         40
        .size:           4
        .value_kind:     hidden_block_count_x
      - .offset:         44
        .size:           4
        .value_kind:     hidden_block_count_y
      - .offset:         48
        .size:           4
        .value_kind:     hidden_block_count_z
      - .offset:         52
        .size:           2
        .value_kind:     hidden_group_size_x
      - .offset:         54
        .size:           2
        .value_kind:     hidden_group_size_y
      - .offset:         56
        .size:           2
        .value_kind:     hidden_group_size_z
      - .offset:         58
        .size:           2
        .value_kind:     hidden_remainder_x
      - .offset:         60
        .size:           2
        .value_kind:     hidden_remainder_y
      - .offset:         62
        .size:           2
        .value_kind:     hidden_remainder_z
      - .offset:         80
        .size:           8
        .value_kind:     hidden_global_offset_x
      - .offset:         88
        .size:           8
        .value_kind:     hidden_global_offset_y
      - .offset:         96
        .size:           8
        .value_kind:     hidden_global_offset_z
      - .offset:         104
        .size:           2
        .value_kind:     hidden_grid_dims
    .group_segment_fixed_size: 0
    .kernarg_segment_align: 8
    .kernarg_segment_size: 296
    .language:       OpenCL C
    .language_version:
      - 2
      - 0
    .max_flat_workgroup_size: 256
    .name:           _ZN7rocprim17ROCPRIM_400000_NS6detail31init_lookback_scan_state_kernelINS1_19lookback_scan_stateIdLb0ELb1EEENS1_16block_id_wrapperIjLb1EEEEEvT_jT0_jPNS7_10value_typeE
    .private_segment_fixed_size: 0
    .sgpr_count:     19
    .sgpr_spill_count: 0
    .symbol:         _ZN7rocprim17ROCPRIM_400000_NS6detail31init_lookback_scan_state_kernelINS1_19lookback_scan_stateIdLb0ELb1EEENS1_16block_id_wrapperIjLb1EEEEEvT_jT0_jPNS7_10value_typeE.kd
    .uniform_work_group_size: 1
    .uses_dynamic_stack: false
    .vgpr_count:     10
    .vgpr_spill_count: 0
    .wavefront_size: 64
  - .agpr_count:     0
    .args:
      - .offset:         0
        .size:           104
        .value_kind:     by_value
    .group_segment_fixed_size: 0
    .kernarg_segment_align: 8
    .kernarg_segment_size: 104
    .language:       OpenCL C
    .language_version:
      - 2
      - 0
    .max_flat_workgroup_size: 256
    .name:           _ZN7rocprim17ROCPRIM_400000_NS6detail17trampoline_kernelINS0_14default_configENS1_20scan_config_selectorIdEEZZNS1_9scan_implILNS1_25lookback_scan_determinismE0ELb0ELb0ES3_PKdPddZZZN2at6native31launch_logcumsumexp_cuda_kernelERKNSB_10TensorBaseESF_lENKUlvE_clEvENKUlvE_clEvEUlddE_dEEDaPvRmT3_T4_T5_mT6_P12ihipStream_tbENKUlT_T0_E_clISt17integral_constantIbLb0EESV_IbLb1EEEEDaSR_SS_EUlSR_E_NS1_11comp_targetILNS1_3genE0ELNS1_11target_archE4294967295ELNS1_3gpuE0ELNS1_3repE0EEENS1_30default_config_static_selectorELNS0_4arch9wavefront6targetE1EEEvT1_
    .private_segment_fixed_size: 0
    .sgpr_count:     4
    .sgpr_spill_count: 0
    .symbol:         _ZN7rocprim17ROCPRIM_400000_NS6detail17trampoline_kernelINS0_14default_configENS1_20scan_config_selectorIdEEZZNS1_9scan_implILNS1_25lookback_scan_determinismE0ELb0ELb0ES3_PKdPddZZZN2at6native31launch_logcumsumexp_cuda_kernelERKNSB_10TensorBaseESF_lENKUlvE_clEvENKUlvE_clEvEUlddE_dEEDaPvRmT3_T4_T5_mT6_P12ihipStream_tbENKUlT_T0_E_clISt17integral_constantIbLb0EESV_IbLb1EEEEDaSR_SS_EUlSR_E_NS1_11comp_targetILNS1_3genE0ELNS1_11target_archE4294967295ELNS1_3gpuE0ELNS1_3repE0EEENS1_30default_config_static_selectorELNS0_4arch9wavefront6targetE1EEEvT1_.kd
    .uniform_work_group_size: 1
    .uses_dynamic_stack: false
    .vgpr_count:     0
    .vgpr_spill_count: 0
    .wavefront_size: 64
  - .agpr_count:     0
    .args:
      - .offset:         0
        .size:           104
        .value_kind:     by_value
    .group_segment_fixed_size: 0
    .kernarg_segment_align: 8
    .kernarg_segment_size: 104
    .language:       OpenCL C
    .language_version:
      - 2
      - 0
    .max_flat_workgroup_size: 256
    .name:           _ZN7rocprim17ROCPRIM_400000_NS6detail17trampoline_kernelINS0_14default_configENS1_20scan_config_selectorIdEEZZNS1_9scan_implILNS1_25lookback_scan_determinismE0ELb0ELb0ES3_PKdPddZZZN2at6native31launch_logcumsumexp_cuda_kernelERKNSB_10TensorBaseESF_lENKUlvE_clEvENKUlvE_clEvEUlddE_dEEDaPvRmT3_T4_T5_mT6_P12ihipStream_tbENKUlT_T0_E_clISt17integral_constantIbLb0EESV_IbLb1EEEEDaSR_SS_EUlSR_E_NS1_11comp_targetILNS1_3genE5ELNS1_11target_archE942ELNS1_3gpuE9ELNS1_3repE0EEENS1_30default_config_static_selectorELNS0_4arch9wavefront6targetE1EEEvT1_
    .private_segment_fixed_size: 0
    .sgpr_count:     4
    .sgpr_spill_count: 0
    .symbol:         _ZN7rocprim17ROCPRIM_400000_NS6detail17trampoline_kernelINS0_14default_configENS1_20scan_config_selectorIdEEZZNS1_9scan_implILNS1_25lookback_scan_determinismE0ELb0ELb0ES3_PKdPddZZZN2at6native31launch_logcumsumexp_cuda_kernelERKNSB_10TensorBaseESF_lENKUlvE_clEvENKUlvE_clEvEUlddE_dEEDaPvRmT3_T4_T5_mT6_P12ihipStream_tbENKUlT_T0_E_clISt17integral_constantIbLb0EESV_IbLb1EEEEDaSR_SS_EUlSR_E_NS1_11comp_targetILNS1_3genE5ELNS1_11target_archE942ELNS1_3gpuE9ELNS1_3repE0EEENS1_30default_config_static_selectorELNS0_4arch9wavefront6targetE1EEEvT1_.kd
    .uniform_work_group_size: 1
    .uses_dynamic_stack: false
    .vgpr_count:     0
    .vgpr_spill_count: 0
    .wavefront_size: 64
  - .agpr_count:     0
    .args:
      - .offset:         0
        .size:           104
        .value_kind:     by_value
    .group_segment_fixed_size: 10240
    .kernarg_segment_align: 8
    .kernarg_segment_size: 104
    .language:       OpenCL C
    .language_version:
      - 2
      - 0
    .max_flat_workgroup_size: 128
    .name:           _ZN7rocprim17ROCPRIM_400000_NS6detail17trampoline_kernelINS0_14default_configENS1_20scan_config_selectorIdEEZZNS1_9scan_implILNS1_25lookback_scan_determinismE0ELb0ELb0ES3_PKdPddZZZN2at6native31launch_logcumsumexp_cuda_kernelERKNSB_10TensorBaseESF_lENKUlvE_clEvENKUlvE_clEvEUlddE_dEEDaPvRmT3_T4_T5_mT6_P12ihipStream_tbENKUlT_T0_E_clISt17integral_constantIbLb0EESV_IbLb1EEEEDaSR_SS_EUlSR_E_NS1_11comp_targetILNS1_3genE4ELNS1_11target_archE910ELNS1_3gpuE8ELNS1_3repE0EEENS1_30default_config_static_selectorELNS0_4arch9wavefront6targetE1EEEvT1_
    .private_segment_fixed_size: 0
    .sgpr_count:     83
    .sgpr_spill_count: 0
    .symbol:         _ZN7rocprim17ROCPRIM_400000_NS6detail17trampoline_kernelINS0_14default_configENS1_20scan_config_selectorIdEEZZNS1_9scan_implILNS1_25lookback_scan_determinismE0ELb0ELb0ES3_PKdPddZZZN2at6native31launch_logcumsumexp_cuda_kernelERKNSB_10TensorBaseESF_lENKUlvE_clEvENKUlvE_clEvEUlddE_dEEDaPvRmT3_T4_T5_mT6_P12ihipStream_tbENKUlT_T0_E_clISt17integral_constantIbLb0EESV_IbLb1EEEEDaSR_SS_EUlSR_E_NS1_11comp_targetILNS1_3genE4ELNS1_11target_archE910ELNS1_3gpuE8ELNS1_3repE0EEENS1_30default_config_static_selectorELNS0_4arch9wavefront6targetE1EEEvT1_.kd
    .uniform_work_group_size: 1
    .uses_dynamic_stack: false
    .vgpr_count:     129
    .vgpr_spill_count: 0
    .wavefront_size: 64
  - .agpr_count:     0
    .args:
      - .offset:         0
        .size:           104
        .value_kind:     by_value
    .group_segment_fixed_size: 0
    .kernarg_segment_align: 8
    .kernarg_segment_size: 104
    .language:       OpenCL C
    .language_version:
      - 2
      - 0
    .max_flat_workgroup_size: 256
    .name:           _ZN7rocprim17ROCPRIM_400000_NS6detail17trampoline_kernelINS0_14default_configENS1_20scan_config_selectorIdEEZZNS1_9scan_implILNS1_25lookback_scan_determinismE0ELb0ELb0ES3_PKdPddZZZN2at6native31launch_logcumsumexp_cuda_kernelERKNSB_10TensorBaseESF_lENKUlvE_clEvENKUlvE_clEvEUlddE_dEEDaPvRmT3_T4_T5_mT6_P12ihipStream_tbENKUlT_T0_E_clISt17integral_constantIbLb0EESV_IbLb1EEEEDaSR_SS_EUlSR_E_NS1_11comp_targetILNS1_3genE3ELNS1_11target_archE908ELNS1_3gpuE7ELNS1_3repE0EEENS1_30default_config_static_selectorELNS0_4arch9wavefront6targetE1EEEvT1_
    .private_segment_fixed_size: 0
    .sgpr_count:     4
    .sgpr_spill_count: 0
    .symbol:         _ZN7rocprim17ROCPRIM_400000_NS6detail17trampoline_kernelINS0_14default_configENS1_20scan_config_selectorIdEEZZNS1_9scan_implILNS1_25lookback_scan_determinismE0ELb0ELb0ES3_PKdPddZZZN2at6native31launch_logcumsumexp_cuda_kernelERKNSB_10TensorBaseESF_lENKUlvE_clEvENKUlvE_clEvEUlddE_dEEDaPvRmT3_T4_T5_mT6_P12ihipStream_tbENKUlT_T0_E_clISt17integral_constantIbLb0EESV_IbLb1EEEEDaSR_SS_EUlSR_E_NS1_11comp_targetILNS1_3genE3ELNS1_11target_archE908ELNS1_3gpuE7ELNS1_3repE0EEENS1_30default_config_static_selectorELNS0_4arch9wavefront6targetE1EEEvT1_.kd
    .uniform_work_group_size: 1
    .uses_dynamic_stack: false
    .vgpr_count:     0
    .vgpr_spill_count: 0
    .wavefront_size: 64
  - .agpr_count:     0
    .args:
      - .offset:         0
        .size:           104
        .value_kind:     by_value
    .group_segment_fixed_size: 0
    .kernarg_segment_align: 8
    .kernarg_segment_size: 104
    .language:       OpenCL C
    .language_version:
      - 2
      - 0
    .max_flat_workgroup_size: 128
    .name:           _ZN7rocprim17ROCPRIM_400000_NS6detail17trampoline_kernelINS0_14default_configENS1_20scan_config_selectorIdEEZZNS1_9scan_implILNS1_25lookback_scan_determinismE0ELb0ELb0ES3_PKdPddZZZN2at6native31launch_logcumsumexp_cuda_kernelERKNSB_10TensorBaseESF_lENKUlvE_clEvENKUlvE_clEvEUlddE_dEEDaPvRmT3_T4_T5_mT6_P12ihipStream_tbENKUlT_T0_E_clISt17integral_constantIbLb0EESV_IbLb1EEEEDaSR_SS_EUlSR_E_NS1_11comp_targetILNS1_3genE2ELNS1_11target_archE906ELNS1_3gpuE6ELNS1_3repE0EEENS1_30default_config_static_selectorELNS0_4arch9wavefront6targetE1EEEvT1_
    .private_segment_fixed_size: 0
    .sgpr_count:     4
    .sgpr_spill_count: 0
    .symbol:         _ZN7rocprim17ROCPRIM_400000_NS6detail17trampoline_kernelINS0_14default_configENS1_20scan_config_selectorIdEEZZNS1_9scan_implILNS1_25lookback_scan_determinismE0ELb0ELb0ES3_PKdPddZZZN2at6native31launch_logcumsumexp_cuda_kernelERKNSB_10TensorBaseESF_lENKUlvE_clEvENKUlvE_clEvEUlddE_dEEDaPvRmT3_T4_T5_mT6_P12ihipStream_tbENKUlT_T0_E_clISt17integral_constantIbLb0EESV_IbLb1EEEEDaSR_SS_EUlSR_E_NS1_11comp_targetILNS1_3genE2ELNS1_11target_archE906ELNS1_3gpuE6ELNS1_3repE0EEENS1_30default_config_static_selectorELNS0_4arch9wavefront6targetE1EEEvT1_.kd
    .uniform_work_group_size: 1
    .uses_dynamic_stack: false
    .vgpr_count:     0
    .vgpr_spill_count: 0
    .wavefront_size: 64
  - .agpr_count:     0
    .args:
      - .offset:         0
        .size:           104
        .value_kind:     by_value
    .group_segment_fixed_size: 0
    .kernarg_segment_align: 8
    .kernarg_segment_size: 104
    .language:       OpenCL C
    .language_version:
      - 2
      - 0
    .max_flat_workgroup_size: 256
    .name:           _ZN7rocprim17ROCPRIM_400000_NS6detail17trampoline_kernelINS0_14default_configENS1_20scan_config_selectorIdEEZZNS1_9scan_implILNS1_25lookback_scan_determinismE0ELb0ELb0ES3_PKdPddZZZN2at6native31launch_logcumsumexp_cuda_kernelERKNSB_10TensorBaseESF_lENKUlvE_clEvENKUlvE_clEvEUlddE_dEEDaPvRmT3_T4_T5_mT6_P12ihipStream_tbENKUlT_T0_E_clISt17integral_constantIbLb0EESV_IbLb1EEEEDaSR_SS_EUlSR_E_NS1_11comp_targetILNS1_3genE10ELNS1_11target_archE1201ELNS1_3gpuE5ELNS1_3repE0EEENS1_30default_config_static_selectorELNS0_4arch9wavefront6targetE1EEEvT1_
    .private_segment_fixed_size: 0
    .sgpr_count:     4
    .sgpr_spill_count: 0
    .symbol:         _ZN7rocprim17ROCPRIM_400000_NS6detail17trampoline_kernelINS0_14default_configENS1_20scan_config_selectorIdEEZZNS1_9scan_implILNS1_25lookback_scan_determinismE0ELb0ELb0ES3_PKdPddZZZN2at6native31launch_logcumsumexp_cuda_kernelERKNSB_10TensorBaseESF_lENKUlvE_clEvENKUlvE_clEvEUlddE_dEEDaPvRmT3_T4_T5_mT6_P12ihipStream_tbENKUlT_T0_E_clISt17integral_constantIbLb0EESV_IbLb1EEEEDaSR_SS_EUlSR_E_NS1_11comp_targetILNS1_3genE10ELNS1_11target_archE1201ELNS1_3gpuE5ELNS1_3repE0EEENS1_30default_config_static_selectorELNS0_4arch9wavefront6targetE1EEEvT1_.kd
    .uniform_work_group_size: 1
    .uses_dynamic_stack: false
    .vgpr_count:     0
    .vgpr_spill_count: 0
    .wavefront_size: 64
  - .agpr_count:     0
    .args:
      - .offset:         0
        .size:           104
        .value_kind:     by_value
    .group_segment_fixed_size: 0
    .kernarg_segment_align: 8
    .kernarg_segment_size: 104
    .language:       OpenCL C
    .language_version:
      - 2
      - 0
    .max_flat_workgroup_size: 256
    .name:           _ZN7rocprim17ROCPRIM_400000_NS6detail17trampoline_kernelINS0_14default_configENS1_20scan_config_selectorIdEEZZNS1_9scan_implILNS1_25lookback_scan_determinismE0ELb0ELb0ES3_PKdPddZZZN2at6native31launch_logcumsumexp_cuda_kernelERKNSB_10TensorBaseESF_lENKUlvE_clEvENKUlvE_clEvEUlddE_dEEDaPvRmT3_T4_T5_mT6_P12ihipStream_tbENKUlT_T0_E_clISt17integral_constantIbLb0EESV_IbLb1EEEEDaSR_SS_EUlSR_E_NS1_11comp_targetILNS1_3genE10ELNS1_11target_archE1200ELNS1_3gpuE4ELNS1_3repE0EEENS1_30default_config_static_selectorELNS0_4arch9wavefront6targetE1EEEvT1_
    .private_segment_fixed_size: 0
    .sgpr_count:     4
    .sgpr_spill_count: 0
    .symbol:         _ZN7rocprim17ROCPRIM_400000_NS6detail17trampoline_kernelINS0_14default_configENS1_20scan_config_selectorIdEEZZNS1_9scan_implILNS1_25lookback_scan_determinismE0ELb0ELb0ES3_PKdPddZZZN2at6native31launch_logcumsumexp_cuda_kernelERKNSB_10TensorBaseESF_lENKUlvE_clEvENKUlvE_clEvEUlddE_dEEDaPvRmT3_T4_T5_mT6_P12ihipStream_tbENKUlT_T0_E_clISt17integral_constantIbLb0EESV_IbLb1EEEEDaSR_SS_EUlSR_E_NS1_11comp_targetILNS1_3genE10ELNS1_11target_archE1200ELNS1_3gpuE4ELNS1_3repE0EEENS1_30default_config_static_selectorELNS0_4arch9wavefront6targetE1EEEvT1_.kd
    .uniform_work_group_size: 1
    .uses_dynamic_stack: false
    .vgpr_count:     0
    .vgpr_spill_count: 0
    .wavefront_size: 64
  - .agpr_count:     0
    .args:
      - .offset:         0
        .size:           104
        .value_kind:     by_value
    .group_segment_fixed_size: 0
    .kernarg_segment_align: 8
    .kernarg_segment_size: 104
    .language:       OpenCL C
    .language_version:
      - 2
      - 0
    .max_flat_workgroup_size: 256
    .name:           _ZN7rocprim17ROCPRIM_400000_NS6detail17trampoline_kernelINS0_14default_configENS1_20scan_config_selectorIdEEZZNS1_9scan_implILNS1_25lookback_scan_determinismE0ELb0ELb0ES3_PKdPddZZZN2at6native31launch_logcumsumexp_cuda_kernelERKNSB_10TensorBaseESF_lENKUlvE_clEvENKUlvE_clEvEUlddE_dEEDaPvRmT3_T4_T5_mT6_P12ihipStream_tbENKUlT_T0_E_clISt17integral_constantIbLb0EESV_IbLb1EEEEDaSR_SS_EUlSR_E_NS1_11comp_targetILNS1_3genE9ELNS1_11target_archE1100ELNS1_3gpuE3ELNS1_3repE0EEENS1_30default_config_static_selectorELNS0_4arch9wavefront6targetE1EEEvT1_
    .private_segment_fixed_size: 0
    .sgpr_count:     4
    .sgpr_spill_count: 0
    .symbol:         _ZN7rocprim17ROCPRIM_400000_NS6detail17trampoline_kernelINS0_14default_configENS1_20scan_config_selectorIdEEZZNS1_9scan_implILNS1_25lookback_scan_determinismE0ELb0ELb0ES3_PKdPddZZZN2at6native31launch_logcumsumexp_cuda_kernelERKNSB_10TensorBaseESF_lENKUlvE_clEvENKUlvE_clEvEUlddE_dEEDaPvRmT3_T4_T5_mT6_P12ihipStream_tbENKUlT_T0_E_clISt17integral_constantIbLb0EESV_IbLb1EEEEDaSR_SS_EUlSR_E_NS1_11comp_targetILNS1_3genE9ELNS1_11target_archE1100ELNS1_3gpuE3ELNS1_3repE0EEENS1_30default_config_static_selectorELNS0_4arch9wavefront6targetE1EEEvT1_.kd
    .uniform_work_group_size: 1
    .uses_dynamic_stack: false
    .vgpr_count:     0
    .vgpr_spill_count: 0
    .wavefront_size: 64
  - .agpr_count:     0
    .args:
      - .offset:         0
        .size:           104
        .value_kind:     by_value
    .group_segment_fixed_size: 0
    .kernarg_segment_align: 8
    .kernarg_segment_size: 104
    .language:       OpenCL C
    .language_version:
      - 2
      - 0
    .max_flat_workgroup_size: 128
    .name:           _ZN7rocprim17ROCPRIM_400000_NS6detail17trampoline_kernelINS0_14default_configENS1_20scan_config_selectorIdEEZZNS1_9scan_implILNS1_25lookback_scan_determinismE0ELb0ELb0ES3_PKdPddZZZN2at6native31launch_logcumsumexp_cuda_kernelERKNSB_10TensorBaseESF_lENKUlvE_clEvENKUlvE_clEvEUlddE_dEEDaPvRmT3_T4_T5_mT6_P12ihipStream_tbENKUlT_T0_E_clISt17integral_constantIbLb0EESV_IbLb1EEEEDaSR_SS_EUlSR_E_NS1_11comp_targetILNS1_3genE8ELNS1_11target_archE1030ELNS1_3gpuE2ELNS1_3repE0EEENS1_30default_config_static_selectorELNS0_4arch9wavefront6targetE1EEEvT1_
    .private_segment_fixed_size: 0
    .sgpr_count:     4
    .sgpr_spill_count: 0
    .symbol:         _ZN7rocprim17ROCPRIM_400000_NS6detail17trampoline_kernelINS0_14default_configENS1_20scan_config_selectorIdEEZZNS1_9scan_implILNS1_25lookback_scan_determinismE0ELb0ELb0ES3_PKdPddZZZN2at6native31launch_logcumsumexp_cuda_kernelERKNSB_10TensorBaseESF_lENKUlvE_clEvENKUlvE_clEvEUlddE_dEEDaPvRmT3_T4_T5_mT6_P12ihipStream_tbENKUlT_T0_E_clISt17integral_constantIbLb0EESV_IbLb1EEEEDaSR_SS_EUlSR_E_NS1_11comp_targetILNS1_3genE8ELNS1_11target_archE1030ELNS1_3gpuE2ELNS1_3repE0EEENS1_30default_config_static_selectorELNS0_4arch9wavefront6targetE1EEEvT1_.kd
    .uniform_work_group_size: 1
    .uses_dynamic_stack: false
    .vgpr_count:     0
    .vgpr_spill_count: 0
    .wavefront_size: 64
  - .agpr_count:     0
    .args:
      - .offset:         0
        .size:           40
        .value_kind:     by_value
    .group_segment_fixed_size: 0
    .kernarg_segment_align: 8
    .kernarg_segment_size: 40
    .language:       OpenCL C
    .language_version:
      - 2
      - 0
    .max_flat_workgroup_size: 256
    .name:           _ZN7rocprim17ROCPRIM_400000_NS6detail17trampoline_kernelINS0_14default_configENS1_20scan_config_selectorIdEEZZNS1_9scan_implILNS1_25lookback_scan_determinismE0ELb0ELb0ES3_PKdPddZZZN2at6native31launch_logcumsumexp_cuda_kernelERKNSB_10TensorBaseESF_lENKUlvE_clEvENKUlvE_clEvEUlddE_dEEDaPvRmT3_T4_T5_mT6_P12ihipStream_tbENKUlT_T0_E_clISt17integral_constantIbLb0EESV_IbLb1EEEEDaSR_SS_EUlSR_E0_NS1_11comp_targetILNS1_3genE0ELNS1_11target_archE4294967295ELNS1_3gpuE0ELNS1_3repE0EEENS1_30default_config_static_selectorELNS0_4arch9wavefront6targetE1EEEvT1_
    .private_segment_fixed_size: 0
    .sgpr_count:     4
    .sgpr_spill_count: 0
    .symbol:         _ZN7rocprim17ROCPRIM_400000_NS6detail17trampoline_kernelINS0_14default_configENS1_20scan_config_selectorIdEEZZNS1_9scan_implILNS1_25lookback_scan_determinismE0ELb0ELb0ES3_PKdPddZZZN2at6native31launch_logcumsumexp_cuda_kernelERKNSB_10TensorBaseESF_lENKUlvE_clEvENKUlvE_clEvEUlddE_dEEDaPvRmT3_T4_T5_mT6_P12ihipStream_tbENKUlT_T0_E_clISt17integral_constantIbLb0EESV_IbLb1EEEEDaSR_SS_EUlSR_E0_NS1_11comp_targetILNS1_3genE0ELNS1_11target_archE4294967295ELNS1_3gpuE0ELNS1_3repE0EEENS1_30default_config_static_selectorELNS0_4arch9wavefront6targetE1EEEvT1_.kd
    .uniform_work_group_size: 1
    .uses_dynamic_stack: false
    .vgpr_count:     0
    .vgpr_spill_count: 0
    .wavefront_size: 64
  - .agpr_count:     0
    .args:
      - .offset:         0
        .size:           40
        .value_kind:     by_value
    .group_segment_fixed_size: 0
    .kernarg_segment_align: 8
    .kernarg_segment_size: 40
    .language:       OpenCL C
    .language_version:
      - 2
      - 0
    .max_flat_workgroup_size: 256
    .name:           _ZN7rocprim17ROCPRIM_400000_NS6detail17trampoline_kernelINS0_14default_configENS1_20scan_config_selectorIdEEZZNS1_9scan_implILNS1_25lookback_scan_determinismE0ELb0ELb0ES3_PKdPddZZZN2at6native31launch_logcumsumexp_cuda_kernelERKNSB_10TensorBaseESF_lENKUlvE_clEvENKUlvE_clEvEUlddE_dEEDaPvRmT3_T4_T5_mT6_P12ihipStream_tbENKUlT_T0_E_clISt17integral_constantIbLb0EESV_IbLb1EEEEDaSR_SS_EUlSR_E0_NS1_11comp_targetILNS1_3genE5ELNS1_11target_archE942ELNS1_3gpuE9ELNS1_3repE0EEENS1_30default_config_static_selectorELNS0_4arch9wavefront6targetE1EEEvT1_
    .private_segment_fixed_size: 0
    .sgpr_count:     4
    .sgpr_spill_count: 0
    .symbol:         _ZN7rocprim17ROCPRIM_400000_NS6detail17trampoline_kernelINS0_14default_configENS1_20scan_config_selectorIdEEZZNS1_9scan_implILNS1_25lookback_scan_determinismE0ELb0ELb0ES3_PKdPddZZZN2at6native31launch_logcumsumexp_cuda_kernelERKNSB_10TensorBaseESF_lENKUlvE_clEvENKUlvE_clEvEUlddE_dEEDaPvRmT3_T4_T5_mT6_P12ihipStream_tbENKUlT_T0_E_clISt17integral_constantIbLb0EESV_IbLb1EEEEDaSR_SS_EUlSR_E0_NS1_11comp_targetILNS1_3genE5ELNS1_11target_archE942ELNS1_3gpuE9ELNS1_3repE0EEENS1_30default_config_static_selectorELNS0_4arch9wavefront6targetE1EEEvT1_.kd
    .uniform_work_group_size: 1
    .uses_dynamic_stack: false
    .vgpr_count:     0
    .vgpr_spill_count: 0
    .wavefront_size: 64
  - .agpr_count:     0
    .args:
      - .offset:         0
        .size:           40
        .value_kind:     by_value
    .group_segment_fixed_size: 10240
    .kernarg_segment_align: 8
    .kernarg_segment_size: 40
    .language:       OpenCL C
    .language_version:
      - 2
      - 0
    .max_flat_workgroup_size: 128
    .name:           _ZN7rocprim17ROCPRIM_400000_NS6detail17trampoline_kernelINS0_14default_configENS1_20scan_config_selectorIdEEZZNS1_9scan_implILNS1_25lookback_scan_determinismE0ELb0ELb0ES3_PKdPddZZZN2at6native31launch_logcumsumexp_cuda_kernelERKNSB_10TensorBaseESF_lENKUlvE_clEvENKUlvE_clEvEUlddE_dEEDaPvRmT3_T4_T5_mT6_P12ihipStream_tbENKUlT_T0_E_clISt17integral_constantIbLb0EESV_IbLb1EEEEDaSR_SS_EUlSR_E0_NS1_11comp_targetILNS1_3genE4ELNS1_11target_archE910ELNS1_3gpuE8ELNS1_3repE0EEENS1_30default_config_static_selectorELNS0_4arch9wavefront6targetE1EEEvT1_
    .private_segment_fixed_size: 0
    .sgpr_count:     60
    .sgpr_spill_count: 0
    .symbol:         _ZN7rocprim17ROCPRIM_400000_NS6detail17trampoline_kernelINS0_14default_configENS1_20scan_config_selectorIdEEZZNS1_9scan_implILNS1_25lookback_scan_determinismE0ELb0ELb0ES3_PKdPddZZZN2at6native31launch_logcumsumexp_cuda_kernelERKNSB_10TensorBaseESF_lENKUlvE_clEvENKUlvE_clEvEUlddE_dEEDaPvRmT3_T4_T5_mT6_P12ihipStream_tbENKUlT_T0_E_clISt17integral_constantIbLb0EESV_IbLb1EEEEDaSR_SS_EUlSR_E0_NS1_11comp_targetILNS1_3genE4ELNS1_11target_archE910ELNS1_3gpuE8ELNS1_3repE0EEENS1_30default_config_static_selectorELNS0_4arch9wavefront6targetE1EEEvT1_.kd
    .uniform_work_group_size: 1
    .uses_dynamic_stack: false
    .vgpr_count:     76
    .vgpr_spill_count: 0
    .wavefront_size: 64
  - .agpr_count:     0
    .args:
      - .offset:         0
        .size:           40
        .value_kind:     by_value
    .group_segment_fixed_size: 0
    .kernarg_segment_align: 8
    .kernarg_segment_size: 40
    .language:       OpenCL C
    .language_version:
      - 2
      - 0
    .max_flat_workgroup_size: 256
    .name:           _ZN7rocprim17ROCPRIM_400000_NS6detail17trampoline_kernelINS0_14default_configENS1_20scan_config_selectorIdEEZZNS1_9scan_implILNS1_25lookback_scan_determinismE0ELb0ELb0ES3_PKdPddZZZN2at6native31launch_logcumsumexp_cuda_kernelERKNSB_10TensorBaseESF_lENKUlvE_clEvENKUlvE_clEvEUlddE_dEEDaPvRmT3_T4_T5_mT6_P12ihipStream_tbENKUlT_T0_E_clISt17integral_constantIbLb0EESV_IbLb1EEEEDaSR_SS_EUlSR_E0_NS1_11comp_targetILNS1_3genE3ELNS1_11target_archE908ELNS1_3gpuE7ELNS1_3repE0EEENS1_30default_config_static_selectorELNS0_4arch9wavefront6targetE1EEEvT1_
    .private_segment_fixed_size: 0
    .sgpr_count:     4
    .sgpr_spill_count: 0
    .symbol:         _ZN7rocprim17ROCPRIM_400000_NS6detail17trampoline_kernelINS0_14default_configENS1_20scan_config_selectorIdEEZZNS1_9scan_implILNS1_25lookback_scan_determinismE0ELb0ELb0ES3_PKdPddZZZN2at6native31launch_logcumsumexp_cuda_kernelERKNSB_10TensorBaseESF_lENKUlvE_clEvENKUlvE_clEvEUlddE_dEEDaPvRmT3_T4_T5_mT6_P12ihipStream_tbENKUlT_T0_E_clISt17integral_constantIbLb0EESV_IbLb1EEEEDaSR_SS_EUlSR_E0_NS1_11comp_targetILNS1_3genE3ELNS1_11target_archE908ELNS1_3gpuE7ELNS1_3repE0EEENS1_30default_config_static_selectorELNS0_4arch9wavefront6targetE1EEEvT1_.kd
    .uniform_work_group_size: 1
    .uses_dynamic_stack: false
    .vgpr_count:     0
    .vgpr_spill_count: 0
    .wavefront_size: 64
  - .agpr_count:     0
    .args:
      - .offset:         0
        .size:           40
        .value_kind:     by_value
    .group_segment_fixed_size: 0
    .kernarg_segment_align: 8
    .kernarg_segment_size: 40
    .language:       OpenCL C
    .language_version:
      - 2
      - 0
    .max_flat_workgroup_size: 128
    .name:           _ZN7rocprim17ROCPRIM_400000_NS6detail17trampoline_kernelINS0_14default_configENS1_20scan_config_selectorIdEEZZNS1_9scan_implILNS1_25lookback_scan_determinismE0ELb0ELb0ES3_PKdPddZZZN2at6native31launch_logcumsumexp_cuda_kernelERKNSB_10TensorBaseESF_lENKUlvE_clEvENKUlvE_clEvEUlddE_dEEDaPvRmT3_T4_T5_mT6_P12ihipStream_tbENKUlT_T0_E_clISt17integral_constantIbLb0EESV_IbLb1EEEEDaSR_SS_EUlSR_E0_NS1_11comp_targetILNS1_3genE2ELNS1_11target_archE906ELNS1_3gpuE6ELNS1_3repE0EEENS1_30default_config_static_selectorELNS0_4arch9wavefront6targetE1EEEvT1_
    .private_segment_fixed_size: 0
    .sgpr_count:     4
    .sgpr_spill_count: 0
    .symbol:         _ZN7rocprim17ROCPRIM_400000_NS6detail17trampoline_kernelINS0_14default_configENS1_20scan_config_selectorIdEEZZNS1_9scan_implILNS1_25lookback_scan_determinismE0ELb0ELb0ES3_PKdPddZZZN2at6native31launch_logcumsumexp_cuda_kernelERKNSB_10TensorBaseESF_lENKUlvE_clEvENKUlvE_clEvEUlddE_dEEDaPvRmT3_T4_T5_mT6_P12ihipStream_tbENKUlT_T0_E_clISt17integral_constantIbLb0EESV_IbLb1EEEEDaSR_SS_EUlSR_E0_NS1_11comp_targetILNS1_3genE2ELNS1_11target_archE906ELNS1_3gpuE6ELNS1_3repE0EEENS1_30default_config_static_selectorELNS0_4arch9wavefront6targetE1EEEvT1_.kd
    .uniform_work_group_size: 1
    .uses_dynamic_stack: false
    .vgpr_count:     0
    .vgpr_spill_count: 0
    .wavefront_size: 64
  - .agpr_count:     0
    .args:
      - .offset:         0
        .size:           40
        .value_kind:     by_value
    .group_segment_fixed_size: 0
    .kernarg_segment_align: 8
    .kernarg_segment_size: 40
    .language:       OpenCL C
    .language_version:
      - 2
      - 0
    .max_flat_workgroup_size: 256
    .name:           _ZN7rocprim17ROCPRIM_400000_NS6detail17trampoline_kernelINS0_14default_configENS1_20scan_config_selectorIdEEZZNS1_9scan_implILNS1_25lookback_scan_determinismE0ELb0ELb0ES3_PKdPddZZZN2at6native31launch_logcumsumexp_cuda_kernelERKNSB_10TensorBaseESF_lENKUlvE_clEvENKUlvE_clEvEUlddE_dEEDaPvRmT3_T4_T5_mT6_P12ihipStream_tbENKUlT_T0_E_clISt17integral_constantIbLb0EESV_IbLb1EEEEDaSR_SS_EUlSR_E0_NS1_11comp_targetILNS1_3genE10ELNS1_11target_archE1201ELNS1_3gpuE5ELNS1_3repE0EEENS1_30default_config_static_selectorELNS0_4arch9wavefront6targetE1EEEvT1_
    .private_segment_fixed_size: 0
    .sgpr_count:     4
    .sgpr_spill_count: 0
    .symbol:         _ZN7rocprim17ROCPRIM_400000_NS6detail17trampoline_kernelINS0_14default_configENS1_20scan_config_selectorIdEEZZNS1_9scan_implILNS1_25lookback_scan_determinismE0ELb0ELb0ES3_PKdPddZZZN2at6native31launch_logcumsumexp_cuda_kernelERKNSB_10TensorBaseESF_lENKUlvE_clEvENKUlvE_clEvEUlddE_dEEDaPvRmT3_T4_T5_mT6_P12ihipStream_tbENKUlT_T0_E_clISt17integral_constantIbLb0EESV_IbLb1EEEEDaSR_SS_EUlSR_E0_NS1_11comp_targetILNS1_3genE10ELNS1_11target_archE1201ELNS1_3gpuE5ELNS1_3repE0EEENS1_30default_config_static_selectorELNS0_4arch9wavefront6targetE1EEEvT1_.kd
    .uniform_work_group_size: 1
    .uses_dynamic_stack: false
    .vgpr_count:     0
    .vgpr_spill_count: 0
    .wavefront_size: 64
  - .agpr_count:     0
    .args:
      - .offset:         0
        .size:           40
        .value_kind:     by_value
    .group_segment_fixed_size: 0
    .kernarg_segment_align: 8
    .kernarg_segment_size: 40
    .language:       OpenCL C
    .language_version:
      - 2
      - 0
    .max_flat_workgroup_size: 256
    .name:           _ZN7rocprim17ROCPRIM_400000_NS6detail17trampoline_kernelINS0_14default_configENS1_20scan_config_selectorIdEEZZNS1_9scan_implILNS1_25lookback_scan_determinismE0ELb0ELb0ES3_PKdPddZZZN2at6native31launch_logcumsumexp_cuda_kernelERKNSB_10TensorBaseESF_lENKUlvE_clEvENKUlvE_clEvEUlddE_dEEDaPvRmT3_T4_T5_mT6_P12ihipStream_tbENKUlT_T0_E_clISt17integral_constantIbLb0EESV_IbLb1EEEEDaSR_SS_EUlSR_E0_NS1_11comp_targetILNS1_3genE10ELNS1_11target_archE1200ELNS1_3gpuE4ELNS1_3repE0EEENS1_30default_config_static_selectorELNS0_4arch9wavefront6targetE1EEEvT1_
    .private_segment_fixed_size: 0
    .sgpr_count:     4
    .sgpr_spill_count: 0
    .symbol:         _ZN7rocprim17ROCPRIM_400000_NS6detail17trampoline_kernelINS0_14default_configENS1_20scan_config_selectorIdEEZZNS1_9scan_implILNS1_25lookback_scan_determinismE0ELb0ELb0ES3_PKdPddZZZN2at6native31launch_logcumsumexp_cuda_kernelERKNSB_10TensorBaseESF_lENKUlvE_clEvENKUlvE_clEvEUlddE_dEEDaPvRmT3_T4_T5_mT6_P12ihipStream_tbENKUlT_T0_E_clISt17integral_constantIbLb0EESV_IbLb1EEEEDaSR_SS_EUlSR_E0_NS1_11comp_targetILNS1_3genE10ELNS1_11target_archE1200ELNS1_3gpuE4ELNS1_3repE0EEENS1_30default_config_static_selectorELNS0_4arch9wavefront6targetE1EEEvT1_.kd
    .uniform_work_group_size: 1
    .uses_dynamic_stack: false
    .vgpr_count:     0
    .vgpr_spill_count: 0
    .wavefront_size: 64
  - .agpr_count:     0
    .args:
      - .offset:         0
        .size:           40
        .value_kind:     by_value
    .group_segment_fixed_size: 0
    .kernarg_segment_align: 8
    .kernarg_segment_size: 40
    .language:       OpenCL C
    .language_version:
      - 2
      - 0
    .max_flat_workgroup_size: 256
    .name:           _ZN7rocprim17ROCPRIM_400000_NS6detail17trampoline_kernelINS0_14default_configENS1_20scan_config_selectorIdEEZZNS1_9scan_implILNS1_25lookback_scan_determinismE0ELb0ELb0ES3_PKdPddZZZN2at6native31launch_logcumsumexp_cuda_kernelERKNSB_10TensorBaseESF_lENKUlvE_clEvENKUlvE_clEvEUlddE_dEEDaPvRmT3_T4_T5_mT6_P12ihipStream_tbENKUlT_T0_E_clISt17integral_constantIbLb0EESV_IbLb1EEEEDaSR_SS_EUlSR_E0_NS1_11comp_targetILNS1_3genE9ELNS1_11target_archE1100ELNS1_3gpuE3ELNS1_3repE0EEENS1_30default_config_static_selectorELNS0_4arch9wavefront6targetE1EEEvT1_
    .private_segment_fixed_size: 0
    .sgpr_count:     4
    .sgpr_spill_count: 0
    .symbol:         _ZN7rocprim17ROCPRIM_400000_NS6detail17trampoline_kernelINS0_14default_configENS1_20scan_config_selectorIdEEZZNS1_9scan_implILNS1_25lookback_scan_determinismE0ELb0ELb0ES3_PKdPddZZZN2at6native31launch_logcumsumexp_cuda_kernelERKNSB_10TensorBaseESF_lENKUlvE_clEvENKUlvE_clEvEUlddE_dEEDaPvRmT3_T4_T5_mT6_P12ihipStream_tbENKUlT_T0_E_clISt17integral_constantIbLb0EESV_IbLb1EEEEDaSR_SS_EUlSR_E0_NS1_11comp_targetILNS1_3genE9ELNS1_11target_archE1100ELNS1_3gpuE3ELNS1_3repE0EEENS1_30default_config_static_selectorELNS0_4arch9wavefront6targetE1EEEvT1_.kd
    .uniform_work_group_size: 1
    .uses_dynamic_stack: false
    .vgpr_count:     0
    .vgpr_spill_count: 0
    .wavefront_size: 64
  - .agpr_count:     0
    .args:
      - .offset:         0
        .size:           40
        .value_kind:     by_value
    .group_segment_fixed_size: 0
    .kernarg_segment_align: 8
    .kernarg_segment_size: 40
    .language:       OpenCL C
    .language_version:
      - 2
      - 0
    .max_flat_workgroup_size: 128
    .name:           _ZN7rocprim17ROCPRIM_400000_NS6detail17trampoline_kernelINS0_14default_configENS1_20scan_config_selectorIdEEZZNS1_9scan_implILNS1_25lookback_scan_determinismE0ELb0ELb0ES3_PKdPddZZZN2at6native31launch_logcumsumexp_cuda_kernelERKNSB_10TensorBaseESF_lENKUlvE_clEvENKUlvE_clEvEUlddE_dEEDaPvRmT3_T4_T5_mT6_P12ihipStream_tbENKUlT_T0_E_clISt17integral_constantIbLb0EESV_IbLb1EEEEDaSR_SS_EUlSR_E0_NS1_11comp_targetILNS1_3genE8ELNS1_11target_archE1030ELNS1_3gpuE2ELNS1_3repE0EEENS1_30default_config_static_selectorELNS0_4arch9wavefront6targetE1EEEvT1_
    .private_segment_fixed_size: 0
    .sgpr_count:     4
    .sgpr_spill_count: 0
    .symbol:         _ZN7rocprim17ROCPRIM_400000_NS6detail17trampoline_kernelINS0_14default_configENS1_20scan_config_selectorIdEEZZNS1_9scan_implILNS1_25lookback_scan_determinismE0ELb0ELb0ES3_PKdPddZZZN2at6native31launch_logcumsumexp_cuda_kernelERKNSB_10TensorBaseESF_lENKUlvE_clEvENKUlvE_clEvEUlddE_dEEDaPvRmT3_T4_T5_mT6_P12ihipStream_tbENKUlT_T0_E_clISt17integral_constantIbLb0EESV_IbLb1EEEEDaSR_SS_EUlSR_E0_NS1_11comp_targetILNS1_3genE8ELNS1_11target_archE1030ELNS1_3gpuE2ELNS1_3repE0EEENS1_30default_config_static_selectorELNS0_4arch9wavefront6targetE1EEEvT1_.kd
    .uniform_work_group_size: 1
    .uses_dynamic_stack: false
    .vgpr_count:     0
    .vgpr_spill_count: 0
    .wavefront_size: 64
  - .agpr_count:     0
    .args:
      - .address_space:  global
        .offset:         0
        .size:           8
        .value_kind:     global_buffer
      - .address_space:  global
        .offset:         8
        .size:           8
        .value_kind:     global_buffer
      - .offset:         16
        .size:           4
        .value_kind:     by_value
      - .offset:         20
        .size:           4
        .value_kind:     by_value
      - .offset:         24
        .size:           4
        .value_kind:     by_value
      - .offset:         32
        .size:           8
        .value_kind:     by_value
      - .offset:         40
        .size:           1
        .value_kind:     by_value
      - .offset:         48
        .size:           4
        .value_kind:     hidden_block_count_x
      - .offset:         52
        .size:           4
        .value_kind:     hidden_block_count_y
      - .offset:         56
        .size:           4
        .value_kind:     hidden_block_count_z
      - .offset:         60
        .size:           2
        .value_kind:     hidden_group_size_x
      - .offset:         62
        .size:           2
        .value_kind:     hidden_group_size_y
      - .offset:         64
        .size:           2
        .value_kind:     hidden_group_size_z
      - .offset:         66
        .size:           2
        .value_kind:     hidden_remainder_x
      - .offset:         68
        .size:           2
        .value_kind:     hidden_remainder_y
      - .offset:         70
        .size:           2
        .value_kind:     hidden_remainder_z
      - .offset:         88
        .size:           8
        .value_kind:     hidden_global_offset_x
      - .offset:         96
        .size:           8
        .value_kind:     hidden_global_offset_y
      - .offset:         104
        .size:           8
        .value_kind:     hidden_global_offset_z
      - .offset:         112
        .size:           2
        .value_kind:     hidden_grid_dims
      - .offset:         168
        .size:           4
        .value_kind:     hidden_dynamic_lds_size
    .group_segment_fixed_size: 0
    .kernarg_segment_align: 8
    .kernarg_segment_size: 304
    .language:       OpenCL C
    .language_version:
      - 2
      - 0
    .max_flat_workgroup_size: 1024
    .name:           _ZN2at6native32tensor_kernel_scan_innermost_dimIdZZZNS0_31launch_logcumsumexp_cuda_kernelERKNS_10TensorBaseES4_lENKUlvE_clEvENKUlvE_clEvEUlddE_EEvPT_PKS8_jjjS8_T0_
    .private_segment_fixed_size: 0
    .sgpr_count:     64
    .sgpr_spill_count: 0
    .symbol:         _ZN2at6native32tensor_kernel_scan_innermost_dimIdZZZNS0_31launch_logcumsumexp_cuda_kernelERKNS_10TensorBaseES4_lENKUlvE_clEvENKUlvE_clEvEUlddE_EEvPT_PKS8_jjjS8_T0_.kd
    .uniform_work_group_size: 1
    .uses_dynamic_stack: false
    .vgpr_count:     75
    .vgpr_spill_count: 0
    .wavefront_size: 64
  - .agpr_count:     0
    .args:
      - .address_space:  global
        .offset:         0
        .size:           8
        .value_kind:     global_buffer
      - .address_space:  global
        .offset:         8
        .size:           8
        .value_kind:     global_buffer
      - .offset:         16
        .size:           4
        .value_kind:     by_value
      - .offset:         20
        .size:           4
        .value_kind:     by_value
      - .offset:         24
        .size:           4
        .value_kind:     by_value
      - .offset:         32
        .size:           8
        .value_kind:     by_value
      - .offset:         40
        .size:           1
        .value_kind:     by_value
      - .offset:         48
        .size:           4
        .value_kind:     hidden_block_count_x
      - .offset:         52
        .size:           4
        .value_kind:     hidden_block_count_y
      - .offset:         56
        .size:           4
        .value_kind:     hidden_block_count_z
      - .offset:         60
        .size:           2
        .value_kind:     hidden_group_size_x
      - .offset:         62
        .size:           2
        .value_kind:     hidden_group_size_y
      - .offset:         64
        .size:           2
        .value_kind:     hidden_group_size_z
      - .offset:         66
        .size:           2
        .value_kind:     hidden_remainder_x
      - .offset:         68
        .size:           2
        .value_kind:     hidden_remainder_y
      - .offset:         70
        .size:           2
        .value_kind:     hidden_remainder_z
      - .offset:         88
        .size:           8
        .value_kind:     hidden_global_offset_x
      - .offset:         96
        .size:           8
        .value_kind:     hidden_global_offset_y
      - .offset:         104
        .size:           8
        .value_kind:     hidden_global_offset_z
      - .offset:         112
        .size:           2
        .value_kind:     hidden_grid_dims
    .group_segment_fixed_size: 0
    .kernarg_segment_align: 8
    .kernarg_segment_size: 304
    .language:       OpenCL C
    .language_version:
      - 2
      - 0
    .max_flat_workgroup_size: 1024
    .name:           _ZN2at6native28tensor_kernel_scan_outer_dimIdjZZZNS0_31launch_logcumsumexp_cuda_kernelERKNS_10TensorBaseES4_lENKUlvE_clEvENKUlvE_clEvEUlddE_EEvPT_PKS8_jjjS8_T1_
    .private_segment_fixed_size: 0
    .sgpr_count:     63
    .sgpr_spill_count: 0
    .symbol:         _ZN2at6native28tensor_kernel_scan_outer_dimIdjZZZNS0_31launch_logcumsumexp_cuda_kernelERKNS_10TensorBaseES4_lENKUlvE_clEvENKUlvE_clEvEUlddE_EEvPT_PKS8_jjjS8_T1_.kd
    .uniform_work_group_size: 1
    .uses_dynamic_stack: false
    .vgpr_count:     62
    .vgpr_spill_count: 0
    .wavefront_size: 64
  - .agpr_count:     0
    .args:
      - .address_space:  global
        .offset:         0
        .size:           8
        .value_kind:     global_buffer
      - .address_space:  global
        .offset:         8
        .size:           8
        .value_kind:     global_buffer
      - .offset:         16
        .size:           4
        .value_kind:     by_value
      - .offset:         20
        .size:           4
        .value_kind:     by_value
      - .offset:         24
        .size:           4
        .value_kind:     by_value
      - .offset:         32
        .size:           8
        .value_kind:     by_value
      - .offset:         40
        .size:           1
        .value_kind:     by_value
      - .offset:         48
        .size:           4
        .value_kind:     hidden_block_count_x
      - .offset:         52
        .size:           4
        .value_kind:     hidden_block_count_y
      - .offset:         56
        .size:           4
        .value_kind:     hidden_block_count_z
      - .offset:         60
        .size:           2
        .value_kind:     hidden_group_size_x
      - .offset:         62
        .size:           2
        .value_kind:     hidden_group_size_y
      - .offset:         64
        .size:           2
        .value_kind:     hidden_group_size_z
      - .offset:         66
        .size:           2
        .value_kind:     hidden_remainder_x
      - .offset:         68
        .size:           2
        .value_kind:     hidden_remainder_y
      - .offset:         70
        .size:           2
        .value_kind:     hidden_remainder_z
      - .offset:         88
        .size:           8
        .value_kind:     hidden_global_offset_x
      - .offset:         96
        .size:           8
        .value_kind:     hidden_global_offset_y
      - .offset:         104
        .size:           8
        .value_kind:     hidden_global_offset_z
      - .offset:         112
        .size:           2
        .value_kind:     hidden_grid_dims
    .group_segment_fixed_size: 0
    .kernarg_segment_align: 8
    .kernarg_segment_size: 304
    .language:       OpenCL C
    .language_version:
      - 2
      - 0
    .max_flat_workgroup_size: 1024
    .name:           _ZN2at6native28tensor_kernel_scan_outer_dimIdmZZZNS0_31launch_logcumsumexp_cuda_kernelERKNS_10TensorBaseES4_lENKUlvE_clEvENKUlvE_clEvEUlddE_EEvPT_PKS8_jjjS8_T1_
    .private_segment_fixed_size: 0
    .sgpr_count:     62
    .sgpr_spill_count: 0
    .symbol:         _ZN2at6native28tensor_kernel_scan_outer_dimIdmZZZNS0_31launch_logcumsumexp_cuda_kernelERKNS_10TensorBaseES4_lENKUlvE_clEvENKUlvE_clEvEUlddE_EEvPT_PKS8_jjjS8_T1_.kd
    .uniform_work_group_size: 1
    .uses_dynamic_stack: false
    .vgpr_count:     62
    .vgpr_spill_count: 0
    .wavefront_size: 64
  - .agpr_count:     0
    .args:
      - .address_space:  global
        .offset:         0
        .size:           8
        .value_kind:     global_buffer
      - .offset:         8
        .size:           4
        .value_kind:     by_value
      - .offset:         12
        .size:           1
        .value_kind:     by_value
      - .offset:         16
        .size:           4
        .value_kind:     by_value
      - .address_space:  global
        .offset:         24
        .size:           8
        .value_kind:     global_buffer
      - .offset:         32
        .size:           4
        .value_kind:     hidden_block_count_x
      - .offset:         36
        .size:           4
        .value_kind:     hidden_block_count_y
      - .offset:         40
        .size:           4
        .value_kind:     hidden_block_count_z
      - .offset:         44
        .size:           2
        .value_kind:     hidden_group_size_x
      - .offset:         46
        .size:           2
        .value_kind:     hidden_group_size_y
      - .offset:         48
        .size:           2
        .value_kind:     hidden_group_size_z
      - .offset:         50
        .size:           2
        .value_kind:     hidden_remainder_x
      - .offset:         52
        .size:           2
        .value_kind:     hidden_remainder_y
      - .offset:         54
        .size:           2
        .value_kind:     hidden_remainder_z
      - .offset:         72
        .size:           8
        .value_kind:     hidden_global_offset_x
      - .offset:         80
        .size:           8
        .value_kind:     hidden_global_offset_y
      - .offset:         88
        .size:           8
        .value_kind:     hidden_global_offset_z
      - .offset:         96
        .size:           2
        .value_kind:     hidden_grid_dims
    .group_segment_fixed_size: 0
    .kernarg_segment_align: 8
    .kernarg_segment_size: 288
    .language:       OpenCL C
    .language_version:
      - 2
      - 0
    .max_flat_workgroup_size: 256
    .name:           _ZN7rocprim17ROCPRIM_400000_NS6detail31init_lookback_scan_state_kernelINS1_19lookback_scan_stateIfLb0ELb1EEENS1_16block_id_wrapperIjLb0EEEEEvT_jT0_jPNS7_10value_typeE
    .private_segment_fixed_size: 0
    .sgpr_count:     13
    .sgpr_spill_count: 0
    .symbol:         _ZN7rocprim17ROCPRIM_400000_NS6detail31init_lookback_scan_state_kernelINS1_19lookback_scan_stateIfLb0ELb1EEENS1_16block_id_wrapperIjLb0EEEEEvT_jT0_jPNS7_10value_typeE.kd
    .uniform_work_group_size: 1
    .uses_dynamic_stack: false
    .vgpr_count:     6
    .vgpr_spill_count: 0
    .wavefront_size: 64
  - .agpr_count:     0
    .args:
      - .offset:         0
        .size:           96
        .value_kind:     by_value
    .group_segment_fixed_size: 0
    .kernarg_segment_align: 8
    .kernarg_segment_size: 96
    .language:       OpenCL C
    .language_version:
      - 2
      - 0
    .max_flat_workgroup_size: 256
    .name:           _ZN7rocprim17ROCPRIM_400000_NS6detail17trampoline_kernelINS0_14default_configENS1_20scan_config_selectorIfEEZZNS1_9scan_implILNS1_25lookback_scan_determinismE0ELb0ELb0ES3_PKfPffZZZN2at6native31launch_logcumsumexp_cuda_kernelERKNSB_10TensorBaseESF_lENKUlvE_clEvENKUlvE0_clEvEUlffE_fEEDaPvRmT3_T4_T5_mT6_P12ihipStream_tbENKUlT_T0_E_clISt17integral_constantIbLb0EESW_EEDaSR_SS_EUlSR_E_NS1_11comp_targetILNS1_3genE0ELNS1_11target_archE4294967295ELNS1_3gpuE0ELNS1_3repE0EEENS1_30default_config_static_selectorELNS0_4arch9wavefront6targetE1EEEvT1_
    .private_segment_fixed_size: 0
    .sgpr_count:     4
    .sgpr_spill_count: 0
    .symbol:         _ZN7rocprim17ROCPRIM_400000_NS6detail17trampoline_kernelINS0_14default_configENS1_20scan_config_selectorIfEEZZNS1_9scan_implILNS1_25lookback_scan_determinismE0ELb0ELb0ES3_PKfPffZZZN2at6native31launch_logcumsumexp_cuda_kernelERKNSB_10TensorBaseESF_lENKUlvE_clEvENKUlvE0_clEvEUlffE_fEEDaPvRmT3_T4_T5_mT6_P12ihipStream_tbENKUlT_T0_E_clISt17integral_constantIbLb0EESW_EEDaSR_SS_EUlSR_E_NS1_11comp_targetILNS1_3genE0ELNS1_11target_archE4294967295ELNS1_3gpuE0ELNS1_3repE0EEENS1_30default_config_static_selectorELNS0_4arch9wavefront6targetE1EEEvT1_.kd
    .uniform_work_group_size: 1
    .uses_dynamic_stack: false
    .vgpr_count:     0
    .vgpr_spill_count: 0
    .wavefront_size: 64
  - .agpr_count:     0
    .args:
      - .offset:         0
        .size:           96
        .value_kind:     by_value
    .group_segment_fixed_size: 0
    .kernarg_segment_align: 8
    .kernarg_segment_size: 96
    .language:       OpenCL C
    .language_version:
      - 2
      - 0
    .max_flat_workgroup_size: 256
    .name:           _ZN7rocprim17ROCPRIM_400000_NS6detail17trampoline_kernelINS0_14default_configENS1_20scan_config_selectorIfEEZZNS1_9scan_implILNS1_25lookback_scan_determinismE0ELb0ELb0ES3_PKfPffZZZN2at6native31launch_logcumsumexp_cuda_kernelERKNSB_10TensorBaseESF_lENKUlvE_clEvENKUlvE0_clEvEUlffE_fEEDaPvRmT3_T4_T5_mT6_P12ihipStream_tbENKUlT_T0_E_clISt17integral_constantIbLb0EESW_EEDaSR_SS_EUlSR_E_NS1_11comp_targetILNS1_3genE5ELNS1_11target_archE942ELNS1_3gpuE9ELNS1_3repE0EEENS1_30default_config_static_selectorELNS0_4arch9wavefront6targetE1EEEvT1_
    .private_segment_fixed_size: 0
    .sgpr_count:     4
    .sgpr_spill_count: 0
    .symbol:         _ZN7rocprim17ROCPRIM_400000_NS6detail17trampoline_kernelINS0_14default_configENS1_20scan_config_selectorIfEEZZNS1_9scan_implILNS1_25lookback_scan_determinismE0ELb0ELb0ES3_PKfPffZZZN2at6native31launch_logcumsumexp_cuda_kernelERKNSB_10TensorBaseESF_lENKUlvE_clEvENKUlvE0_clEvEUlffE_fEEDaPvRmT3_T4_T5_mT6_P12ihipStream_tbENKUlT_T0_E_clISt17integral_constantIbLb0EESW_EEDaSR_SS_EUlSR_E_NS1_11comp_targetILNS1_3genE5ELNS1_11target_archE942ELNS1_3gpuE9ELNS1_3repE0EEENS1_30default_config_static_selectorELNS0_4arch9wavefront6targetE1EEEvT1_.kd
    .uniform_work_group_size: 1
    .uses_dynamic_stack: false
    .vgpr_count:     0
    .vgpr_spill_count: 0
    .wavefront_size: 64
  - .agpr_count:     0
    .args:
      - .offset:         0
        .size:           96
        .value_kind:     by_value
    .group_segment_fixed_size: 7168
    .kernarg_segment_align: 8
    .kernarg_segment_size: 96
    .language:       OpenCL C
    .language_version:
      - 2
      - 0
    .max_flat_workgroup_size: 128
    .name:           _ZN7rocprim17ROCPRIM_400000_NS6detail17trampoline_kernelINS0_14default_configENS1_20scan_config_selectorIfEEZZNS1_9scan_implILNS1_25lookback_scan_determinismE0ELb0ELb0ES3_PKfPffZZZN2at6native31launch_logcumsumexp_cuda_kernelERKNSB_10TensorBaseESF_lENKUlvE_clEvENKUlvE0_clEvEUlffE_fEEDaPvRmT3_T4_T5_mT6_P12ihipStream_tbENKUlT_T0_E_clISt17integral_constantIbLb0EESW_EEDaSR_SS_EUlSR_E_NS1_11comp_targetILNS1_3genE4ELNS1_11target_archE910ELNS1_3gpuE8ELNS1_3repE0EEENS1_30default_config_static_selectorELNS0_4arch9wavefront6targetE1EEEvT1_
    .private_segment_fixed_size: 0
    .sgpr_count:     70
    .sgpr_spill_count: 0
    .symbol:         _ZN7rocprim17ROCPRIM_400000_NS6detail17trampoline_kernelINS0_14default_configENS1_20scan_config_selectorIfEEZZNS1_9scan_implILNS1_25lookback_scan_determinismE0ELb0ELb0ES3_PKfPffZZZN2at6native31launch_logcumsumexp_cuda_kernelERKNSB_10TensorBaseESF_lENKUlvE_clEvENKUlvE0_clEvEUlffE_fEEDaPvRmT3_T4_T5_mT6_P12ihipStream_tbENKUlT_T0_E_clISt17integral_constantIbLb0EESW_EEDaSR_SS_EUlSR_E_NS1_11comp_targetILNS1_3genE4ELNS1_11target_archE910ELNS1_3gpuE8ELNS1_3repE0EEENS1_30default_config_static_selectorELNS0_4arch9wavefront6targetE1EEEvT1_.kd
    .uniform_work_group_size: 1
    .uses_dynamic_stack: false
    .vgpr_count:     76
    .vgpr_spill_count: 0
    .wavefront_size: 64
  - .agpr_count:     0
    .args:
      - .offset:         0
        .size:           96
        .value_kind:     by_value
    .group_segment_fixed_size: 0
    .kernarg_segment_align: 8
    .kernarg_segment_size: 96
    .language:       OpenCL C
    .language_version:
      - 2
      - 0
    .max_flat_workgroup_size: 256
    .name:           _ZN7rocprim17ROCPRIM_400000_NS6detail17trampoline_kernelINS0_14default_configENS1_20scan_config_selectorIfEEZZNS1_9scan_implILNS1_25lookback_scan_determinismE0ELb0ELb0ES3_PKfPffZZZN2at6native31launch_logcumsumexp_cuda_kernelERKNSB_10TensorBaseESF_lENKUlvE_clEvENKUlvE0_clEvEUlffE_fEEDaPvRmT3_T4_T5_mT6_P12ihipStream_tbENKUlT_T0_E_clISt17integral_constantIbLb0EESW_EEDaSR_SS_EUlSR_E_NS1_11comp_targetILNS1_3genE3ELNS1_11target_archE908ELNS1_3gpuE7ELNS1_3repE0EEENS1_30default_config_static_selectorELNS0_4arch9wavefront6targetE1EEEvT1_
    .private_segment_fixed_size: 0
    .sgpr_count:     4
    .sgpr_spill_count: 0
    .symbol:         _ZN7rocprim17ROCPRIM_400000_NS6detail17trampoline_kernelINS0_14default_configENS1_20scan_config_selectorIfEEZZNS1_9scan_implILNS1_25lookback_scan_determinismE0ELb0ELb0ES3_PKfPffZZZN2at6native31launch_logcumsumexp_cuda_kernelERKNSB_10TensorBaseESF_lENKUlvE_clEvENKUlvE0_clEvEUlffE_fEEDaPvRmT3_T4_T5_mT6_P12ihipStream_tbENKUlT_T0_E_clISt17integral_constantIbLb0EESW_EEDaSR_SS_EUlSR_E_NS1_11comp_targetILNS1_3genE3ELNS1_11target_archE908ELNS1_3gpuE7ELNS1_3repE0EEENS1_30default_config_static_selectorELNS0_4arch9wavefront6targetE1EEEvT1_.kd
    .uniform_work_group_size: 1
    .uses_dynamic_stack: false
    .vgpr_count:     0
    .vgpr_spill_count: 0
    .wavefront_size: 64
  - .agpr_count:     0
    .args:
      - .offset:         0
        .size:           96
        .value_kind:     by_value
    .group_segment_fixed_size: 0
    .kernarg_segment_align: 8
    .kernarg_segment_size: 96
    .language:       OpenCL C
    .language_version:
      - 2
      - 0
    .max_flat_workgroup_size: 256
    .name:           _ZN7rocprim17ROCPRIM_400000_NS6detail17trampoline_kernelINS0_14default_configENS1_20scan_config_selectorIfEEZZNS1_9scan_implILNS1_25lookback_scan_determinismE0ELb0ELb0ES3_PKfPffZZZN2at6native31launch_logcumsumexp_cuda_kernelERKNSB_10TensorBaseESF_lENKUlvE_clEvENKUlvE0_clEvEUlffE_fEEDaPvRmT3_T4_T5_mT6_P12ihipStream_tbENKUlT_T0_E_clISt17integral_constantIbLb0EESW_EEDaSR_SS_EUlSR_E_NS1_11comp_targetILNS1_3genE2ELNS1_11target_archE906ELNS1_3gpuE6ELNS1_3repE0EEENS1_30default_config_static_selectorELNS0_4arch9wavefront6targetE1EEEvT1_
    .private_segment_fixed_size: 0
    .sgpr_count:     4
    .sgpr_spill_count: 0
    .symbol:         _ZN7rocprim17ROCPRIM_400000_NS6detail17trampoline_kernelINS0_14default_configENS1_20scan_config_selectorIfEEZZNS1_9scan_implILNS1_25lookback_scan_determinismE0ELb0ELb0ES3_PKfPffZZZN2at6native31launch_logcumsumexp_cuda_kernelERKNSB_10TensorBaseESF_lENKUlvE_clEvENKUlvE0_clEvEUlffE_fEEDaPvRmT3_T4_T5_mT6_P12ihipStream_tbENKUlT_T0_E_clISt17integral_constantIbLb0EESW_EEDaSR_SS_EUlSR_E_NS1_11comp_targetILNS1_3genE2ELNS1_11target_archE906ELNS1_3gpuE6ELNS1_3repE0EEENS1_30default_config_static_selectorELNS0_4arch9wavefront6targetE1EEEvT1_.kd
    .uniform_work_group_size: 1
    .uses_dynamic_stack: false
    .vgpr_count:     0
    .vgpr_spill_count: 0
    .wavefront_size: 64
  - .agpr_count:     0
    .args:
      - .offset:         0
        .size:           96
        .value_kind:     by_value
    .group_segment_fixed_size: 0
    .kernarg_segment_align: 8
    .kernarg_segment_size: 96
    .language:       OpenCL C
    .language_version:
      - 2
      - 0
    .max_flat_workgroup_size: 256
    .name:           _ZN7rocprim17ROCPRIM_400000_NS6detail17trampoline_kernelINS0_14default_configENS1_20scan_config_selectorIfEEZZNS1_9scan_implILNS1_25lookback_scan_determinismE0ELb0ELb0ES3_PKfPffZZZN2at6native31launch_logcumsumexp_cuda_kernelERKNSB_10TensorBaseESF_lENKUlvE_clEvENKUlvE0_clEvEUlffE_fEEDaPvRmT3_T4_T5_mT6_P12ihipStream_tbENKUlT_T0_E_clISt17integral_constantIbLb0EESW_EEDaSR_SS_EUlSR_E_NS1_11comp_targetILNS1_3genE10ELNS1_11target_archE1201ELNS1_3gpuE5ELNS1_3repE0EEENS1_30default_config_static_selectorELNS0_4arch9wavefront6targetE1EEEvT1_
    .private_segment_fixed_size: 0
    .sgpr_count:     4
    .sgpr_spill_count: 0
    .symbol:         _ZN7rocprim17ROCPRIM_400000_NS6detail17trampoline_kernelINS0_14default_configENS1_20scan_config_selectorIfEEZZNS1_9scan_implILNS1_25lookback_scan_determinismE0ELb0ELb0ES3_PKfPffZZZN2at6native31launch_logcumsumexp_cuda_kernelERKNSB_10TensorBaseESF_lENKUlvE_clEvENKUlvE0_clEvEUlffE_fEEDaPvRmT3_T4_T5_mT6_P12ihipStream_tbENKUlT_T0_E_clISt17integral_constantIbLb0EESW_EEDaSR_SS_EUlSR_E_NS1_11comp_targetILNS1_3genE10ELNS1_11target_archE1201ELNS1_3gpuE5ELNS1_3repE0EEENS1_30default_config_static_selectorELNS0_4arch9wavefront6targetE1EEEvT1_.kd
    .uniform_work_group_size: 1
    .uses_dynamic_stack: false
    .vgpr_count:     0
    .vgpr_spill_count: 0
    .wavefront_size: 64
  - .agpr_count:     0
    .args:
      - .offset:         0
        .size:           96
        .value_kind:     by_value
    .group_segment_fixed_size: 0
    .kernarg_segment_align: 8
    .kernarg_segment_size: 96
    .language:       OpenCL C
    .language_version:
      - 2
      - 0
    .max_flat_workgroup_size: 256
    .name:           _ZN7rocprim17ROCPRIM_400000_NS6detail17trampoline_kernelINS0_14default_configENS1_20scan_config_selectorIfEEZZNS1_9scan_implILNS1_25lookback_scan_determinismE0ELb0ELb0ES3_PKfPffZZZN2at6native31launch_logcumsumexp_cuda_kernelERKNSB_10TensorBaseESF_lENKUlvE_clEvENKUlvE0_clEvEUlffE_fEEDaPvRmT3_T4_T5_mT6_P12ihipStream_tbENKUlT_T0_E_clISt17integral_constantIbLb0EESW_EEDaSR_SS_EUlSR_E_NS1_11comp_targetILNS1_3genE10ELNS1_11target_archE1200ELNS1_3gpuE4ELNS1_3repE0EEENS1_30default_config_static_selectorELNS0_4arch9wavefront6targetE1EEEvT1_
    .private_segment_fixed_size: 0
    .sgpr_count:     4
    .sgpr_spill_count: 0
    .symbol:         _ZN7rocprim17ROCPRIM_400000_NS6detail17trampoline_kernelINS0_14default_configENS1_20scan_config_selectorIfEEZZNS1_9scan_implILNS1_25lookback_scan_determinismE0ELb0ELb0ES3_PKfPffZZZN2at6native31launch_logcumsumexp_cuda_kernelERKNSB_10TensorBaseESF_lENKUlvE_clEvENKUlvE0_clEvEUlffE_fEEDaPvRmT3_T4_T5_mT6_P12ihipStream_tbENKUlT_T0_E_clISt17integral_constantIbLb0EESW_EEDaSR_SS_EUlSR_E_NS1_11comp_targetILNS1_3genE10ELNS1_11target_archE1200ELNS1_3gpuE4ELNS1_3repE0EEENS1_30default_config_static_selectorELNS0_4arch9wavefront6targetE1EEEvT1_.kd
    .uniform_work_group_size: 1
    .uses_dynamic_stack: false
    .vgpr_count:     0
    .vgpr_spill_count: 0
    .wavefront_size: 64
  - .agpr_count:     0
    .args:
      - .offset:         0
        .size:           96
        .value_kind:     by_value
    .group_segment_fixed_size: 0
    .kernarg_segment_align: 8
    .kernarg_segment_size: 96
    .language:       OpenCL C
    .language_version:
      - 2
      - 0
    .max_flat_workgroup_size: 256
    .name:           _ZN7rocprim17ROCPRIM_400000_NS6detail17trampoline_kernelINS0_14default_configENS1_20scan_config_selectorIfEEZZNS1_9scan_implILNS1_25lookback_scan_determinismE0ELb0ELb0ES3_PKfPffZZZN2at6native31launch_logcumsumexp_cuda_kernelERKNSB_10TensorBaseESF_lENKUlvE_clEvENKUlvE0_clEvEUlffE_fEEDaPvRmT3_T4_T5_mT6_P12ihipStream_tbENKUlT_T0_E_clISt17integral_constantIbLb0EESW_EEDaSR_SS_EUlSR_E_NS1_11comp_targetILNS1_3genE9ELNS1_11target_archE1100ELNS1_3gpuE3ELNS1_3repE0EEENS1_30default_config_static_selectorELNS0_4arch9wavefront6targetE1EEEvT1_
    .private_segment_fixed_size: 0
    .sgpr_count:     4
    .sgpr_spill_count: 0
    .symbol:         _ZN7rocprim17ROCPRIM_400000_NS6detail17trampoline_kernelINS0_14default_configENS1_20scan_config_selectorIfEEZZNS1_9scan_implILNS1_25lookback_scan_determinismE0ELb0ELb0ES3_PKfPffZZZN2at6native31launch_logcumsumexp_cuda_kernelERKNSB_10TensorBaseESF_lENKUlvE_clEvENKUlvE0_clEvEUlffE_fEEDaPvRmT3_T4_T5_mT6_P12ihipStream_tbENKUlT_T0_E_clISt17integral_constantIbLb0EESW_EEDaSR_SS_EUlSR_E_NS1_11comp_targetILNS1_3genE9ELNS1_11target_archE1100ELNS1_3gpuE3ELNS1_3repE0EEENS1_30default_config_static_selectorELNS0_4arch9wavefront6targetE1EEEvT1_.kd
    .uniform_work_group_size: 1
    .uses_dynamic_stack: false
    .vgpr_count:     0
    .vgpr_spill_count: 0
    .wavefront_size: 64
  - .agpr_count:     0
    .args:
      - .offset:         0
        .size:           96
        .value_kind:     by_value
    .group_segment_fixed_size: 0
    .kernarg_segment_align: 8
    .kernarg_segment_size: 96
    .language:       OpenCL C
    .language_version:
      - 2
      - 0
    .max_flat_workgroup_size: 64
    .name:           _ZN7rocprim17ROCPRIM_400000_NS6detail17trampoline_kernelINS0_14default_configENS1_20scan_config_selectorIfEEZZNS1_9scan_implILNS1_25lookback_scan_determinismE0ELb0ELb0ES3_PKfPffZZZN2at6native31launch_logcumsumexp_cuda_kernelERKNSB_10TensorBaseESF_lENKUlvE_clEvENKUlvE0_clEvEUlffE_fEEDaPvRmT3_T4_T5_mT6_P12ihipStream_tbENKUlT_T0_E_clISt17integral_constantIbLb0EESW_EEDaSR_SS_EUlSR_E_NS1_11comp_targetILNS1_3genE8ELNS1_11target_archE1030ELNS1_3gpuE2ELNS1_3repE0EEENS1_30default_config_static_selectorELNS0_4arch9wavefront6targetE1EEEvT1_
    .private_segment_fixed_size: 0
    .sgpr_count:     4
    .sgpr_spill_count: 0
    .symbol:         _ZN7rocprim17ROCPRIM_400000_NS6detail17trampoline_kernelINS0_14default_configENS1_20scan_config_selectorIfEEZZNS1_9scan_implILNS1_25lookback_scan_determinismE0ELb0ELb0ES3_PKfPffZZZN2at6native31launch_logcumsumexp_cuda_kernelERKNSB_10TensorBaseESF_lENKUlvE_clEvENKUlvE0_clEvEUlffE_fEEDaPvRmT3_T4_T5_mT6_P12ihipStream_tbENKUlT_T0_E_clISt17integral_constantIbLb0EESW_EEDaSR_SS_EUlSR_E_NS1_11comp_targetILNS1_3genE8ELNS1_11target_archE1030ELNS1_3gpuE2ELNS1_3repE0EEENS1_30default_config_static_selectorELNS0_4arch9wavefront6targetE1EEEvT1_.kd
    .uniform_work_group_size: 1
    .uses_dynamic_stack: false
    .vgpr_count:     0
    .vgpr_spill_count: 0
    .wavefront_size: 64
  - .agpr_count:     0
    .args:
      - .offset:         0
        .size:           40
        .value_kind:     by_value
    .group_segment_fixed_size: 0
    .kernarg_segment_align: 8
    .kernarg_segment_size: 40
    .language:       OpenCL C
    .language_version:
      - 2
      - 0
    .max_flat_workgroup_size: 128
    .name:           _ZN7rocprim17ROCPRIM_400000_NS6detail17trampoline_kernelINS0_14default_configENS1_25transform_config_selectorIfLb1EEEZNS1_14transform_implILb1ES3_S5_PfS7_NS0_8identityIfEEEE10hipError_tT2_T3_mT4_P12ihipStream_tbEUlT_E_NS1_11comp_targetILNS1_3genE0ELNS1_11target_archE4294967295ELNS1_3gpuE0ELNS1_3repE0EEENS1_30default_config_static_selectorELNS0_4arch9wavefront6targetE1EEEvT1_
    .private_segment_fixed_size: 0
    .sgpr_count:     4
    .sgpr_spill_count: 0
    .symbol:         _ZN7rocprim17ROCPRIM_400000_NS6detail17trampoline_kernelINS0_14default_configENS1_25transform_config_selectorIfLb1EEEZNS1_14transform_implILb1ES3_S5_PfS7_NS0_8identityIfEEEE10hipError_tT2_T3_mT4_P12ihipStream_tbEUlT_E_NS1_11comp_targetILNS1_3genE0ELNS1_11target_archE4294967295ELNS1_3gpuE0ELNS1_3repE0EEENS1_30default_config_static_selectorELNS0_4arch9wavefront6targetE1EEEvT1_.kd
    .uniform_work_group_size: 1
    .uses_dynamic_stack: false
    .vgpr_count:     0
    .vgpr_spill_count: 0
    .wavefront_size: 64
  - .agpr_count:     0
    .args:
      - .offset:         0
        .size:           40
        .value_kind:     by_value
    .group_segment_fixed_size: 0
    .kernarg_segment_align: 8
    .kernarg_segment_size: 40
    .language:       OpenCL C
    .language_version:
      - 2
      - 0
    .max_flat_workgroup_size: 1024
    .name:           _ZN7rocprim17ROCPRIM_400000_NS6detail17trampoline_kernelINS0_14default_configENS1_25transform_config_selectorIfLb1EEEZNS1_14transform_implILb1ES3_S5_PfS7_NS0_8identityIfEEEE10hipError_tT2_T3_mT4_P12ihipStream_tbEUlT_E_NS1_11comp_targetILNS1_3genE10ELNS1_11target_archE1201ELNS1_3gpuE5ELNS1_3repE0EEENS1_30default_config_static_selectorELNS0_4arch9wavefront6targetE1EEEvT1_
    .private_segment_fixed_size: 0
    .sgpr_count:     4
    .sgpr_spill_count: 0
    .symbol:         _ZN7rocprim17ROCPRIM_400000_NS6detail17trampoline_kernelINS0_14default_configENS1_25transform_config_selectorIfLb1EEEZNS1_14transform_implILb1ES3_S5_PfS7_NS0_8identityIfEEEE10hipError_tT2_T3_mT4_P12ihipStream_tbEUlT_E_NS1_11comp_targetILNS1_3genE10ELNS1_11target_archE1201ELNS1_3gpuE5ELNS1_3repE0EEENS1_30default_config_static_selectorELNS0_4arch9wavefront6targetE1EEEvT1_.kd
    .uniform_work_group_size: 1
    .uses_dynamic_stack: false
    .vgpr_count:     0
    .vgpr_spill_count: 0
    .wavefront_size: 64
  - .agpr_count:     0
    .args:
      - .offset:         0
        .size:           40
        .value_kind:     by_value
    .group_segment_fixed_size: 0
    .kernarg_segment_align: 8
    .kernarg_segment_size: 40
    .language:       OpenCL C
    .language_version:
      - 2
      - 0
    .max_flat_workgroup_size: 256
    .name:           _ZN7rocprim17ROCPRIM_400000_NS6detail17trampoline_kernelINS0_14default_configENS1_25transform_config_selectorIfLb1EEEZNS1_14transform_implILb1ES3_S5_PfS7_NS0_8identityIfEEEE10hipError_tT2_T3_mT4_P12ihipStream_tbEUlT_E_NS1_11comp_targetILNS1_3genE5ELNS1_11target_archE942ELNS1_3gpuE9ELNS1_3repE0EEENS1_30default_config_static_selectorELNS0_4arch9wavefront6targetE1EEEvT1_
    .private_segment_fixed_size: 0
    .sgpr_count:     4
    .sgpr_spill_count: 0
    .symbol:         _ZN7rocprim17ROCPRIM_400000_NS6detail17trampoline_kernelINS0_14default_configENS1_25transform_config_selectorIfLb1EEEZNS1_14transform_implILb1ES3_S5_PfS7_NS0_8identityIfEEEE10hipError_tT2_T3_mT4_P12ihipStream_tbEUlT_E_NS1_11comp_targetILNS1_3genE5ELNS1_11target_archE942ELNS1_3gpuE9ELNS1_3repE0EEENS1_30default_config_static_selectorELNS0_4arch9wavefront6targetE1EEEvT1_.kd
    .uniform_work_group_size: 1
    .uses_dynamic_stack: false
    .vgpr_count:     0
    .vgpr_spill_count: 0
    .wavefront_size: 64
  - .agpr_count:     0
    .args:
      - .offset:         0
        .size:           40
        .value_kind:     by_value
      - .offset:         40
        .size:           4
        .value_kind:     hidden_block_count_x
      - .offset:         44
        .size:           4
        .value_kind:     hidden_block_count_y
      - .offset:         48
        .size:           4
        .value_kind:     hidden_block_count_z
      - .offset:         52
        .size:           2
        .value_kind:     hidden_group_size_x
      - .offset:         54
        .size:           2
        .value_kind:     hidden_group_size_y
      - .offset:         56
        .size:           2
        .value_kind:     hidden_group_size_z
      - .offset:         58
        .size:           2
        .value_kind:     hidden_remainder_x
      - .offset:         60
        .size:           2
        .value_kind:     hidden_remainder_y
      - .offset:         62
        .size:           2
        .value_kind:     hidden_remainder_z
      - .offset:         80
        .size:           8
        .value_kind:     hidden_global_offset_x
      - .offset:         88
        .size:           8
        .value_kind:     hidden_global_offset_y
      - .offset:         96
        .size:           8
        .value_kind:     hidden_global_offset_z
      - .offset:         104
        .size:           2
        .value_kind:     hidden_grid_dims
    .group_segment_fixed_size: 0
    .kernarg_segment_align: 8
    .kernarg_segment_size: 296
    .language:       OpenCL C
    .language_version:
      - 2
      - 0
    .max_flat_workgroup_size: 1024
    .name:           _ZN7rocprim17ROCPRIM_400000_NS6detail17trampoline_kernelINS0_14default_configENS1_25transform_config_selectorIfLb1EEEZNS1_14transform_implILb1ES3_S5_PfS7_NS0_8identityIfEEEE10hipError_tT2_T3_mT4_P12ihipStream_tbEUlT_E_NS1_11comp_targetILNS1_3genE4ELNS1_11target_archE910ELNS1_3gpuE8ELNS1_3repE0EEENS1_30default_config_static_selectorELNS0_4arch9wavefront6targetE1EEEvT1_
    .private_segment_fixed_size: 0
    .sgpr_count:     20
    .sgpr_spill_count: 0
    .symbol:         _ZN7rocprim17ROCPRIM_400000_NS6detail17trampoline_kernelINS0_14default_configENS1_25transform_config_selectorIfLb1EEEZNS1_14transform_implILb1ES3_S5_PfS7_NS0_8identityIfEEEE10hipError_tT2_T3_mT4_P12ihipStream_tbEUlT_E_NS1_11comp_targetILNS1_3genE4ELNS1_11target_archE910ELNS1_3gpuE8ELNS1_3repE0EEENS1_30default_config_static_selectorELNS0_4arch9wavefront6targetE1EEEvT1_.kd
    .uniform_work_group_size: 1
    .uses_dynamic_stack: false
    .vgpr_count:     8
    .vgpr_spill_count: 0
    .wavefront_size: 64
  - .agpr_count:     0
    .args:
      - .offset:         0
        .size:           40
        .value_kind:     by_value
    .group_segment_fixed_size: 0
    .kernarg_segment_align: 8
    .kernarg_segment_size: 40
    .language:       OpenCL C
    .language_version:
      - 2
      - 0
    .max_flat_workgroup_size: 128
    .name:           _ZN7rocprim17ROCPRIM_400000_NS6detail17trampoline_kernelINS0_14default_configENS1_25transform_config_selectorIfLb1EEEZNS1_14transform_implILb1ES3_S5_PfS7_NS0_8identityIfEEEE10hipError_tT2_T3_mT4_P12ihipStream_tbEUlT_E_NS1_11comp_targetILNS1_3genE3ELNS1_11target_archE908ELNS1_3gpuE7ELNS1_3repE0EEENS1_30default_config_static_selectorELNS0_4arch9wavefront6targetE1EEEvT1_
    .private_segment_fixed_size: 0
    .sgpr_count:     4
    .sgpr_spill_count: 0
    .symbol:         _ZN7rocprim17ROCPRIM_400000_NS6detail17trampoline_kernelINS0_14default_configENS1_25transform_config_selectorIfLb1EEEZNS1_14transform_implILb1ES3_S5_PfS7_NS0_8identityIfEEEE10hipError_tT2_T3_mT4_P12ihipStream_tbEUlT_E_NS1_11comp_targetILNS1_3genE3ELNS1_11target_archE908ELNS1_3gpuE7ELNS1_3repE0EEENS1_30default_config_static_selectorELNS0_4arch9wavefront6targetE1EEEvT1_.kd
    .uniform_work_group_size: 1
    .uses_dynamic_stack: false
    .vgpr_count:     0
    .vgpr_spill_count: 0
    .wavefront_size: 64
  - .agpr_count:     0
    .args:
      - .offset:         0
        .size:           40
        .value_kind:     by_value
    .group_segment_fixed_size: 0
    .kernarg_segment_align: 8
    .kernarg_segment_size: 40
    .language:       OpenCL C
    .language_version:
      - 2
      - 0
    .max_flat_workgroup_size: 1024
    .name:           _ZN7rocprim17ROCPRIM_400000_NS6detail17trampoline_kernelINS0_14default_configENS1_25transform_config_selectorIfLb1EEEZNS1_14transform_implILb1ES3_S5_PfS7_NS0_8identityIfEEEE10hipError_tT2_T3_mT4_P12ihipStream_tbEUlT_E_NS1_11comp_targetILNS1_3genE2ELNS1_11target_archE906ELNS1_3gpuE6ELNS1_3repE0EEENS1_30default_config_static_selectorELNS0_4arch9wavefront6targetE1EEEvT1_
    .private_segment_fixed_size: 0
    .sgpr_count:     4
    .sgpr_spill_count: 0
    .symbol:         _ZN7rocprim17ROCPRIM_400000_NS6detail17trampoline_kernelINS0_14default_configENS1_25transform_config_selectorIfLb1EEEZNS1_14transform_implILb1ES3_S5_PfS7_NS0_8identityIfEEEE10hipError_tT2_T3_mT4_P12ihipStream_tbEUlT_E_NS1_11comp_targetILNS1_3genE2ELNS1_11target_archE906ELNS1_3gpuE6ELNS1_3repE0EEENS1_30default_config_static_selectorELNS0_4arch9wavefront6targetE1EEEvT1_.kd
    .uniform_work_group_size: 1
    .uses_dynamic_stack: false
    .vgpr_count:     0
    .vgpr_spill_count: 0
    .wavefront_size: 64
  - .agpr_count:     0
    .args:
      - .offset:         0
        .size:           40
        .value_kind:     by_value
    .group_segment_fixed_size: 0
    .kernarg_segment_align: 8
    .kernarg_segment_size: 40
    .language:       OpenCL C
    .language_version:
      - 2
      - 0
    .max_flat_workgroup_size: 1024
    .name:           _ZN7rocprim17ROCPRIM_400000_NS6detail17trampoline_kernelINS0_14default_configENS1_25transform_config_selectorIfLb1EEEZNS1_14transform_implILb1ES3_S5_PfS7_NS0_8identityIfEEEE10hipError_tT2_T3_mT4_P12ihipStream_tbEUlT_E_NS1_11comp_targetILNS1_3genE9ELNS1_11target_archE1100ELNS1_3gpuE3ELNS1_3repE0EEENS1_30default_config_static_selectorELNS0_4arch9wavefront6targetE1EEEvT1_
    .private_segment_fixed_size: 0
    .sgpr_count:     4
    .sgpr_spill_count: 0
    .symbol:         _ZN7rocprim17ROCPRIM_400000_NS6detail17trampoline_kernelINS0_14default_configENS1_25transform_config_selectorIfLb1EEEZNS1_14transform_implILb1ES3_S5_PfS7_NS0_8identityIfEEEE10hipError_tT2_T3_mT4_P12ihipStream_tbEUlT_E_NS1_11comp_targetILNS1_3genE9ELNS1_11target_archE1100ELNS1_3gpuE3ELNS1_3repE0EEENS1_30default_config_static_selectorELNS0_4arch9wavefront6targetE1EEEvT1_.kd
    .uniform_work_group_size: 1
    .uses_dynamic_stack: false
    .vgpr_count:     0
    .vgpr_spill_count: 0
    .wavefront_size: 64
  - .agpr_count:     0
    .args:
      - .offset:         0
        .size:           40
        .value_kind:     by_value
    .group_segment_fixed_size: 0
    .kernarg_segment_align: 8
    .kernarg_segment_size: 40
    .language:       OpenCL C
    .language_version:
      - 2
      - 0
    .max_flat_workgroup_size: 1024
    .name:           _ZN7rocprim17ROCPRIM_400000_NS6detail17trampoline_kernelINS0_14default_configENS1_25transform_config_selectorIfLb1EEEZNS1_14transform_implILb1ES3_S5_PfS7_NS0_8identityIfEEEE10hipError_tT2_T3_mT4_P12ihipStream_tbEUlT_E_NS1_11comp_targetILNS1_3genE8ELNS1_11target_archE1030ELNS1_3gpuE2ELNS1_3repE0EEENS1_30default_config_static_selectorELNS0_4arch9wavefront6targetE1EEEvT1_
    .private_segment_fixed_size: 0
    .sgpr_count:     4
    .sgpr_spill_count: 0
    .symbol:         _ZN7rocprim17ROCPRIM_400000_NS6detail17trampoline_kernelINS0_14default_configENS1_25transform_config_selectorIfLb1EEEZNS1_14transform_implILb1ES3_S5_PfS7_NS0_8identityIfEEEE10hipError_tT2_T3_mT4_P12ihipStream_tbEUlT_E_NS1_11comp_targetILNS1_3genE8ELNS1_11target_archE1030ELNS1_3gpuE2ELNS1_3repE0EEENS1_30default_config_static_selectorELNS0_4arch9wavefront6targetE1EEEvT1_.kd
    .uniform_work_group_size: 1
    .uses_dynamic_stack: false
    .vgpr_count:     0
    .vgpr_spill_count: 0
    .wavefront_size: 64
  - .agpr_count:     0
    .args:
      - .offset:         0
        .size:           32
        .value_kind:     by_value
    .group_segment_fixed_size: 0
    .kernarg_segment_align: 8
    .kernarg_segment_size: 32
    .language:       OpenCL C
    .language_version:
      - 2
      - 0
    .max_flat_workgroup_size: 256
    .name:           _ZN7rocprim17ROCPRIM_400000_NS6detail17trampoline_kernelINS0_14default_configENS1_20scan_config_selectorIfEEZZNS1_9scan_implILNS1_25lookback_scan_determinismE0ELb0ELb0ES3_PKfPffZZZN2at6native31launch_logcumsumexp_cuda_kernelERKNSB_10TensorBaseESF_lENKUlvE_clEvENKUlvE0_clEvEUlffE_fEEDaPvRmT3_T4_T5_mT6_P12ihipStream_tbENKUlT_T0_E_clISt17integral_constantIbLb0EESW_EEDaSR_SS_EUlSR_E0_NS1_11comp_targetILNS1_3genE0ELNS1_11target_archE4294967295ELNS1_3gpuE0ELNS1_3repE0EEENS1_30default_config_static_selectorELNS0_4arch9wavefront6targetE1EEEvT1_
    .private_segment_fixed_size: 0
    .sgpr_count:     4
    .sgpr_spill_count: 0
    .symbol:         _ZN7rocprim17ROCPRIM_400000_NS6detail17trampoline_kernelINS0_14default_configENS1_20scan_config_selectorIfEEZZNS1_9scan_implILNS1_25lookback_scan_determinismE0ELb0ELb0ES3_PKfPffZZZN2at6native31launch_logcumsumexp_cuda_kernelERKNSB_10TensorBaseESF_lENKUlvE_clEvENKUlvE0_clEvEUlffE_fEEDaPvRmT3_T4_T5_mT6_P12ihipStream_tbENKUlT_T0_E_clISt17integral_constantIbLb0EESW_EEDaSR_SS_EUlSR_E0_NS1_11comp_targetILNS1_3genE0ELNS1_11target_archE4294967295ELNS1_3gpuE0ELNS1_3repE0EEENS1_30default_config_static_selectorELNS0_4arch9wavefront6targetE1EEEvT1_.kd
    .uniform_work_group_size: 1
    .uses_dynamic_stack: false
    .vgpr_count:     0
    .vgpr_spill_count: 0
    .wavefront_size: 64
  - .agpr_count:     0
    .args:
      - .offset:         0
        .size:           32
        .value_kind:     by_value
    .group_segment_fixed_size: 0
    .kernarg_segment_align: 8
    .kernarg_segment_size: 32
    .language:       OpenCL C
    .language_version:
      - 2
      - 0
    .max_flat_workgroup_size: 256
    .name:           _ZN7rocprim17ROCPRIM_400000_NS6detail17trampoline_kernelINS0_14default_configENS1_20scan_config_selectorIfEEZZNS1_9scan_implILNS1_25lookback_scan_determinismE0ELb0ELb0ES3_PKfPffZZZN2at6native31launch_logcumsumexp_cuda_kernelERKNSB_10TensorBaseESF_lENKUlvE_clEvENKUlvE0_clEvEUlffE_fEEDaPvRmT3_T4_T5_mT6_P12ihipStream_tbENKUlT_T0_E_clISt17integral_constantIbLb0EESW_EEDaSR_SS_EUlSR_E0_NS1_11comp_targetILNS1_3genE5ELNS1_11target_archE942ELNS1_3gpuE9ELNS1_3repE0EEENS1_30default_config_static_selectorELNS0_4arch9wavefront6targetE1EEEvT1_
    .private_segment_fixed_size: 0
    .sgpr_count:     4
    .sgpr_spill_count: 0
    .symbol:         _ZN7rocprim17ROCPRIM_400000_NS6detail17trampoline_kernelINS0_14default_configENS1_20scan_config_selectorIfEEZZNS1_9scan_implILNS1_25lookback_scan_determinismE0ELb0ELb0ES3_PKfPffZZZN2at6native31launch_logcumsumexp_cuda_kernelERKNSB_10TensorBaseESF_lENKUlvE_clEvENKUlvE0_clEvEUlffE_fEEDaPvRmT3_T4_T5_mT6_P12ihipStream_tbENKUlT_T0_E_clISt17integral_constantIbLb0EESW_EEDaSR_SS_EUlSR_E0_NS1_11comp_targetILNS1_3genE5ELNS1_11target_archE942ELNS1_3gpuE9ELNS1_3repE0EEENS1_30default_config_static_selectorELNS0_4arch9wavefront6targetE1EEEvT1_.kd
    .uniform_work_group_size: 1
    .uses_dynamic_stack: false
    .vgpr_count:     0
    .vgpr_spill_count: 0
    .wavefront_size: 64
  - .agpr_count:     0
    .args:
      - .offset:         0
        .size:           32
        .value_kind:     by_value
    .group_segment_fixed_size: 7168
    .kernarg_segment_align: 8
    .kernarg_segment_size: 32
    .language:       OpenCL C
    .language_version:
      - 2
      - 0
    .max_flat_workgroup_size: 128
    .name:           _ZN7rocprim17ROCPRIM_400000_NS6detail17trampoline_kernelINS0_14default_configENS1_20scan_config_selectorIfEEZZNS1_9scan_implILNS1_25lookback_scan_determinismE0ELb0ELb0ES3_PKfPffZZZN2at6native31launch_logcumsumexp_cuda_kernelERKNSB_10TensorBaseESF_lENKUlvE_clEvENKUlvE0_clEvEUlffE_fEEDaPvRmT3_T4_T5_mT6_P12ihipStream_tbENKUlT_T0_E_clISt17integral_constantIbLb0EESW_EEDaSR_SS_EUlSR_E0_NS1_11comp_targetILNS1_3genE4ELNS1_11target_archE910ELNS1_3gpuE8ELNS1_3repE0EEENS1_30default_config_static_selectorELNS0_4arch9wavefront6targetE1EEEvT1_
    .private_segment_fixed_size: 0
    .sgpr_count:     74
    .sgpr_spill_count: 0
    .symbol:         _ZN7rocprim17ROCPRIM_400000_NS6detail17trampoline_kernelINS0_14default_configENS1_20scan_config_selectorIfEEZZNS1_9scan_implILNS1_25lookback_scan_determinismE0ELb0ELb0ES3_PKfPffZZZN2at6native31launch_logcumsumexp_cuda_kernelERKNSB_10TensorBaseESF_lENKUlvE_clEvENKUlvE0_clEvEUlffE_fEEDaPvRmT3_T4_T5_mT6_P12ihipStream_tbENKUlT_T0_E_clISt17integral_constantIbLb0EESW_EEDaSR_SS_EUlSR_E0_NS1_11comp_targetILNS1_3genE4ELNS1_11target_archE910ELNS1_3gpuE8ELNS1_3repE0EEENS1_30default_config_static_selectorELNS0_4arch9wavefront6targetE1EEEvT1_.kd
    .uniform_work_group_size: 1
    .uses_dynamic_stack: false
    .vgpr_count:     57
    .vgpr_spill_count: 0
    .wavefront_size: 64
  - .agpr_count:     0
    .args:
      - .offset:         0
        .size:           32
        .value_kind:     by_value
    .group_segment_fixed_size: 0
    .kernarg_segment_align: 8
    .kernarg_segment_size: 32
    .language:       OpenCL C
    .language_version:
      - 2
      - 0
    .max_flat_workgroup_size: 256
    .name:           _ZN7rocprim17ROCPRIM_400000_NS6detail17trampoline_kernelINS0_14default_configENS1_20scan_config_selectorIfEEZZNS1_9scan_implILNS1_25lookback_scan_determinismE0ELb0ELb0ES3_PKfPffZZZN2at6native31launch_logcumsumexp_cuda_kernelERKNSB_10TensorBaseESF_lENKUlvE_clEvENKUlvE0_clEvEUlffE_fEEDaPvRmT3_T4_T5_mT6_P12ihipStream_tbENKUlT_T0_E_clISt17integral_constantIbLb0EESW_EEDaSR_SS_EUlSR_E0_NS1_11comp_targetILNS1_3genE3ELNS1_11target_archE908ELNS1_3gpuE7ELNS1_3repE0EEENS1_30default_config_static_selectorELNS0_4arch9wavefront6targetE1EEEvT1_
    .private_segment_fixed_size: 0
    .sgpr_count:     4
    .sgpr_spill_count: 0
    .symbol:         _ZN7rocprim17ROCPRIM_400000_NS6detail17trampoline_kernelINS0_14default_configENS1_20scan_config_selectorIfEEZZNS1_9scan_implILNS1_25lookback_scan_determinismE0ELb0ELb0ES3_PKfPffZZZN2at6native31launch_logcumsumexp_cuda_kernelERKNSB_10TensorBaseESF_lENKUlvE_clEvENKUlvE0_clEvEUlffE_fEEDaPvRmT3_T4_T5_mT6_P12ihipStream_tbENKUlT_T0_E_clISt17integral_constantIbLb0EESW_EEDaSR_SS_EUlSR_E0_NS1_11comp_targetILNS1_3genE3ELNS1_11target_archE908ELNS1_3gpuE7ELNS1_3repE0EEENS1_30default_config_static_selectorELNS0_4arch9wavefront6targetE1EEEvT1_.kd
    .uniform_work_group_size: 1
    .uses_dynamic_stack: false
    .vgpr_count:     0
    .vgpr_spill_count: 0
    .wavefront_size: 64
  - .agpr_count:     0
    .args:
      - .offset:         0
        .size:           32
        .value_kind:     by_value
    .group_segment_fixed_size: 0
    .kernarg_segment_align: 8
    .kernarg_segment_size: 32
    .language:       OpenCL C
    .language_version:
      - 2
      - 0
    .max_flat_workgroup_size: 256
    .name:           _ZN7rocprim17ROCPRIM_400000_NS6detail17trampoline_kernelINS0_14default_configENS1_20scan_config_selectorIfEEZZNS1_9scan_implILNS1_25lookback_scan_determinismE0ELb0ELb0ES3_PKfPffZZZN2at6native31launch_logcumsumexp_cuda_kernelERKNSB_10TensorBaseESF_lENKUlvE_clEvENKUlvE0_clEvEUlffE_fEEDaPvRmT3_T4_T5_mT6_P12ihipStream_tbENKUlT_T0_E_clISt17integral_constantIbLb0EESW_EEDaSR_SS_EUlSR_E0_NS1_11comp_targetILNS1_3genE2ELNS1_11target_archE906ELNS1_3gpuE6ELNS1_3repE0EEENS1_30default_config_static_selectorELNS0_4arch9wavefront6targetE1EEEvT1_
    .private_segment_fixed_size: 0
    .sgpr_count:     4
    .sgpr_spill_count: 0
    .symbol:         _ZN7rocprim17ROCPRIM_400000_NS6detail17trampoline_kernelINS0_14default_configENS1_20scan_config_selectorIfEEZZNS1_9scan_implILNS1_25lookback_scan_determinismE0ELb0ELb0ES3_PKfPffZZZN2at6native31launch_logcumsumexp_cuda_kernelERKNSB_10TensorBaseESF_lENKUlvE_clEvENKUlvE0_clEvEUlffE_fEEDaPvRmT3_T4_T5_mT6_P12ihipStream_tbENKUlT_T0_E_clISt17integral_constantIbLb0EESW_EEDaSR_SS_EUlSR_E0_NS1_11comp_targetILNS1_3genE2ELNS1_11target_archE906ELNS1_3gpuE6ELNS1_3repE0EEENS1_30default_config_static_selectorELNS0_4arch9wavefront6targetE1EEEvT1_.kd
    .uniform_work_group_size: 1
    .uses_dynamic_stack: false
    .vgpr_count:     0
    .vgpr_spill_count: 0
    .wavefront_size: 64
  - .agpr_count:     0
    .args:
      - .offset:         0
        .size:           32
        .value_kind:     by_value
    .group_segment_fixed_size: 0
    .kernarg_segment_align: 8
    .kernarg_segment_size: 32
    .language:       OpenCL C
    .language_version:
      - 2
      - 0
    .max_flat_workgroup_size: 256
    .name:           _ZN7rocprim17ROCPRIM_400000_NS6detail17trampoline_kernelINS0_14default_configENS1_20scan_config_selectorIfEEZZNS1_9scan_implILNS1_25lookback_scan_determinismE0ELb0ELb0ES3_PKfPffZZZN2at6native31launch_logcumsumexp_cuda_kernelERKNSB_10TensorBaseESF_lENKUlvE_clEvENKUlvE0_clEvEUlffE_fEEDaPvRmT3_T4_T5_mT6_P12ihipStream_tbENKUlT_T0_E_clISt17integral_constantIbLb0EESW_EEDaSR_SS_EUlSR_E0_NS1_11comp_targetILNS1_3genE10ELNS1_11target_archE1201ELNS1_3gpuE5ELNS1_3repE0EEENS1_30default_config_static_selectorELNS0_4arch9wavefront6targetE1EEEvT1_
    .private_segment_fixed_size: 0
    .sgpr_count:     4
    .sgpr_spill_count: 0
    .symbol:         _ZN7rocprim17ROCPRIM_400000_NS6detail17trampoline_kernelINS0_14default_configENS1_20scan_config_selectorIfEEZZNS1_9scan_implILNS1_25lookback_scan_determinismE0ELb0ELb0ES3_PKfPffZZZN2at6native31launch_logcumsumexp_cuda_kernelERKNSB_10TensorBaseESF_lENKUlvE_clEvENKUlvE0_clEvEUlffE_fEEDaPvRmT3_T4_T5_mT6_P12ihipStream_tbENKUlT_T0_E_clISt17integral_constantIbLb0EESW_EEDaSR_SS_EUlSR_E0_NS1_11comp_targetILNS1_3genE10ELNS1_11target_archE1201ELNS1_3gpuE5ELNS1_3repE0EEENS1_30default_config_static_selectorELNS0_4arch9wavefront6targetE1EEEvT1_.kd
    .uniform_work_group_size: 1
    .uses_dynamic_stack: false
    .vgpr_count:     0
    .vgpr_spill_count: 0
    .wavefront_size: 64
  - .agpr_count:     0
    .args:
      - .offset:         0
        .size:           32
        .value_kind:     by_value
    .group_segment_fixed_size: 0
    .kernarg_segment_align: 8
    .kernarg_segment_size: 32
    .language:       OpenCL C
    .language_version:
      - 2
      - 0
    .max_flat_workgroup_size: 256
    .name:           _ZN7rocprim17ROCPRIM_400000_NS6detail17trampoline_kernelINS0_14default_configENS1_20scan_config_selectorIfEEZZNS1_9scan_implILNS1_25lookback_scan_determinismE0ELb0ELb0ES3_PKfPffZZZN2at6native31launch_logcumsumexp_cuda_kernelERKNSB_10TensorBaseESF_lENKUlvE_clEvENKUlvE0_clEvEUlffE_fEEDaPvRmT3_T4_T5_mT6_P12ihipStream_tbENKUlT_T0_E_clISt17integral_constantIbLb0EESW_EEDaSR_SS_EUlSR_E0_NS1_11comp_targetILNS1_3genE10ELNS1_11target_archE1200ELNS1_3gpuE4ELNS1_3repE0EEENS1_30default_config_static_selectorELNS0_4arch9wavefront6targetE1EEEvT1_
    .private_segment_fixed_size: 0
    .sgpr_count:     4
    .sgpr_spill_count: 0
    .symbol:         _ZN7rocprim17ROCPRIM_400000_NS6detail17trampoline_kernelINS0_14default_configENS1_20scan_config_selectorIfEEZZNS1_9scan_implILNS1_25lookback_scan_determinismE0ELb0ELb0ES3_PKfPffZZZN2at6native31launch_logcumsumexp_cuda_kernelERKNSB_10TensorBaseESF_lENKUlvE_clEvENKUlvE0_clEvEUlffE_fEEDaPvRmT3_T4_T5_mT6_P12ihipStream_tbENKUlT_T0_E_clISt17integral_constantIbLb0EESW_EEDaSR_SS_EUlSR_E0_NS1_11comp_targetILNS1_3genE10ELNS1_11target_archE1200ELNS1_3gpuE4ELNS1_3repE0EEENS1_30default_config_static_selectorELNS0_4arch9wavefront6targetE1EEEvT1_.kd
    .uniform_work_group_size: 1
    .uses_dynamic_stack: false
    .vgpr_count:     0
    .vgpr_spill_count: 0
    .wavefront_size: 64
  - .agpr_count:     0
    .args:
      - .offset:         0
        .size:           32
        .value_kind:     by_value
    .group_segment_fixed_size: 0
    .kernarg_segment_align: 8
    .kernarg_segment_size: 32
    .language:       OpenCL C
    .language_version:
      - 2
      - 0
    .max_flat_workgroup_size: 256
    .name:           _ZN7rocprim17ROCPRIM_400000_NS6detail17trampoline_kernelINS0_14default_configENS1_20scan_config_selectorIfEEZZNS1_9scan_implILNS1_25lookback_scan_determinismE0ELb0ELb0ES3_PKfPffZZZN2at6native31launch_logcumsumexp_cuda_kernelERKNSB_10TensorBaseESF_lENKUlvE_clEvENKUlvE0_clEvEUlffE_fEEDaPvRmT3_T4_T5_mT6_P12ihipStream_tbENKUlT_T0_E_clISt17integral_constantIbLb0EESW_EEDaSR_SS_EUlSR_E0_NS1_11comp_targetILNS1_3genE9ELNS1_11target_archE1100ELNS1_3gpuE3ELNS1_3repE0EEENS1_30default_config_static_selectorELNS0_4arch9wavefront6targetE1EEEvT1_
    .private_segment_fixed_size: 0
    .sgpr_count:     4
    .sgpr_spill_count: 0
    .symbol:         _ZN7rocprim17ROCPRIM_400000_NS6detail17trampoline_kernelINS0_14default_configENS1_20scan_config_selectorIfEEZZNS1_9scan_implILNS1_25lookback_scan_determinismE0ELb0ELb0ES3_PKfPffZZZN2at6native31launch_logcumsumexp_cuda_kernelERKNSB_10TensorBaseESF_lENKUlvE_clEvENKUlvE0_clEvEUlffE_fEEDaPvRmT3_T4_T5_mT6_P12ihipStream_tbENKUlT_T0_E_clISt17integral_constantIbLb0EESW_EEDaSR_SS_EUlSR_E0_NS1_11comp_targetILNS1_3genE9ELNS1_11target_archE1100ELNS1_3gpuE3ELNS1_3repE0EEENS1_30default_config_static_selectorELNS0_4arch9wavefront6targetE1EEEvT1_.kd
    .uniform_work_group_size: 1
    .uses_dynamic_stack: false
    .vgpr_count:     0
    .vgpr_spill_count: 0
    .wavefront_size: 64
  - .agpr_count:     0
    .args:
      - .offset:         0
        .size:           32
        .value_kind:     by_value
    .group_segment_fixed_size: 0
    .kernarg_segment_align: 8
    .kernarg_segment_size: 32
    .language:       OpenCL C
    .language_version:
      - 2
      - 0
    .max_flat_workgroup_size: 64
    .name:           _ZN7rocprim17ROCPRIM_400000_NS6detail17trampoline_kernelINS0_14default_configENS1_20scan_config_selectorIfEEZZNS1_9scan_implILNS1_25lookback_scan_determinismE0ELb0ELb0ES3_PKfPffZZZN2at6native31launch_logcumsumexp_cuda_kernelERKNSB_10TensorBaseESF_lENKUlvE_clEvENKUlvE0_clEvEUlffE_fEEDaPvRmT3_T4_T5_mT6_P12ihipStream_tbENKUlT_T0_E_clISt17integral_constantIbLb0EESW_EEDaSR_SS_EUlSR_E0_NS1_11comp_targetILNS1_3genE8ELNS1_11target_archE1030ELNS1_3gpuE2ELNS1_3repE0EEENS1_30default_config_static_selectorELNS0_4arch9wavefront6targetE1EEEvT1_
    .private_segment_fixed_size: 0
    .sgpr_count:     4
    .sgpr_spill_count: 0
    .symbol:         _ZN7rocprim17ROCPRIM_400000_NS6detail17trampoline_kernelINS0_14default_configENS1_20scan_config_selectorIfEEZZNS1_9scan_implILNS1_25lookback_scan_determinismE0ELb0ELb0ES3_PKfPffZZZN2at6native31launch_logcumsumexp_cuda_kernelERKNSB_10TensorBaseESF_lENKUlvE_clEvENKUlvE0_clEvEUlffE_fEEDaPvRmT3_T4_T5_mT6_P12ihipStream_tbENKUlT_T0_E_clISt17integral_constantIbLb0EESW_EEDaSR_SS_EUlSR_E0_NS1_11comp_targetILNS1_3genE8ELNS1_11target_archE1030ELNS1_3gpuE2ELNS1_3repE0EEENS1_30default_config_static_selectorELNS0_4arch9wavefront6targetE1EEEvT1_.kd
    .uniform_work_group_size: 1
    .uses_dynamic_stack: false
    .vgpr_count:     0
    .vgpr_spill_count: 0
    .wavefront_size: 64
  - .agpr_count:     0
    .args:
      - .address_space:  global
        .offset:         0
        .size:           8
        .value_kind:     global_buffer
      - .offset:         8
        .size:           4
        .value_kind:     by_value
      - .address_space:  global
        .offset:         16
        .size:           8
        .value_kind:     global_buffer
      - .offset:         24
        .size:           4
        .value_kind:     by_value
      - .address_space:  global
        .offset:         32
        .size:           8
        .value_kind:     global_buffer
      - .offset:         40
        .size:           4
        .value_kind:     hidden_block_count_x
      - .offset:         44
        .size:           4
        .value_kind:     hidden_block_count_y
      - .offset:         48
        .size:           4
        .value_kind:     hidden_block_count_z
      - .offset:         52
        .size:           2
        .value_kind:     hidden_group_size_x
      - .offset:         54
        .size:           2
        .value_kind:     hidden_group_size_y
      - .offset:         56
        .size:           2
        .value_kind:     hidden_group_size_z
      - .offset:         58
        .size:           2
        .value_kind:     hidden_remainder_x
      - .offset:         60
        .size:           2
        .value_kind:     hidden_remainder_y
      - .offset:         62
        .size:           2
        .value_kind:     hidden_remainder_z
      - .offset:         80
        .size:           8
        .value_kind:     hidden_global_offset_x
      - .offset:         88
        .size:           8
        .value_kind:     hidden_global_offset_y
      - .offset:         96
        .size:           8
        .value_kind:     hidden_global_offset_z
      - .offset:         104
        .size:           2
        .value_kind:     hidden_grid_dims
    .group_segment_fixed_size: 0
    .kernarg_segment_align: 8
    .kernarg_segment_size: 296
    .language:       OpenCL C
    .language_version:
      - 2
      - 0
    .max_flat_workgroup_size: 256
    .name:           _ZN7rocprim17ROCPRIM_400000_NS6detail31init_lookback_scan_state_kernelINS1_19lookback_scan_stateIfLb1ELb1EEENS1_16block_id_wrapperIjLb1EEEEEvT_jT0_jPNS7_10value_typeE
    .private_segment_fixed_size: 0
    .sgpr_count:     18
    .sgpr_spill_count: 0
    .symbol:         _ZN7rocprim17ROCPRIM_400000_NS6detail31init_lookback_scan_state_kernelINS1_19lookback_scan_stateIfLb1ELb1EEENS1_16block_id_wrapperIjLb1EEEEEvT_jT0_jPNS7_10value_typeE.kd
    .uniform_work_group_size: 1
    .uses_dynamic_stack: false
    .vgpr_count:     6
    .vgpr_spill_count: 0
    .wavefront_size: 64
  - .agpr_count:     0
    .args:
      - .offset:         0
        .size:           96
        .value_kind:     by_value
    .group_segment_fixed_size: 0
    .kernarg_segment_align: 8
    .kernarg_segment_size: 96
    .language:       OpenCL C
    .language_version:
      - 2
      - 0
    .max_flat_workgroup_size: 256
    .name:           _ZN7rocprim17ROCPRIM_400000_NS6detail17trampoline_kernelINS0_14default_configENS1_20scan_config_selectorIfEEZZNS1_9scan_implILNS1_25lookback_scan_determinismE0ELb0ELb0ES3_PKfPffZZZN2at6native31launch_logcumsumexp_cuda_kernelERKNSB_10TensorBaseESF_lENKUlvE_clEvENKUlvE0_clEvEUlffE_fEEDaPvRmT3_T4_T5_mT6_P12ihipStream_tbENKUlT_T0_E_clISt17integral_constantIbLb1EESW_EEDaSR_SS_EUlSR_E_NS1_11comp_targetILNS1_3genE0ELNS1_11target_archE4294967295ELNS1_3gpuE0ELNS1_3repE0EEENS1_30default_config_static_selectorELNS0_4arch9wavefront6targetE1EEEvT1_
    .private_segment_fixed_size: 0
    .sgpr_count:     4
    .sgpr_spill_count: 0
    .symbol:         _ZN7rocprim17ROCPRIM_400000_NS6detail17trampoline_kernelINS0_14default_configENS1_20scan_config_selectorIfEEZZNS1_9scan_implILNS1_25lookback_scan_determinismE0ELb0ELb0ES3_PKfPffZZZN2at6native31launch_logcumsumexp_cuda_kernelERKNSB_10TensorBaseESF_lENKUlvE_clEvENKUlvE0_clEvEUlffE_fEEDaPvRmT3_T4_T5_mT6_P12ihipStream_tbENKUlT_T0_E_clISt17integral_constantIbLb1EESW_EEDaSR_SS_EUlSR_E_NS1_11comp_targetILNS1_3genE0ELNS1_11target_archE4294967295ELNS1_3gpuE0ELNS1_3repE0EEENS1_30default_config_static_selectorELNS0_4arch9wavefront6targetE1EEEvT1_.kd
    .uniform_work_group_size: 1
    .uses_dynamic_stack: false
    .vgpr_count:     0
    .vgpr_spill_count: 0
    .wavefront_size: 64
  - .agpr_count:     0
    .args:
      - .offset:         0
        .size:           96
        .value_kind:     by_value
    .group_segment_fixed_size: 0
    .kernarg_segment_align: 8
    .kernarg_segment_size: 96
    .language:       OpenCL C
    .language_version:
      - 2
      - 0
    .max_flat_workgroup_size: 256
    .name:           _ZN7rocprim17ROCPRIM_400000_NS6detail17trampoline_kernelINS0_14default_configENS1_20scan_config_selectorIfEEZZNS1_9scan_implILNS1_25lookback_scan_determinismE0ELb0ELb0ES3_PKfPffZZZN2at6native31launch_logcumsumexp_cuda_kernelERKNSB_10TensorBaseESF_lENKUlvE_clEvENKUlvE0_clEvEUlffE_fEEDaPvRmT3_T4_T5_mT6_P12ihipStream_tbENKUlT_T0_E_clISt17integral_constantIbLb1EESW_EEDaSR_SS_EUlSR_E_NS1_11comp_targetILNS1_3genE5ELNS1_11target_archE942ELNS1_3gpuE9ELNS1_3repE0EEENS1_30default_config_static_selectorELNS0_4arch9wavefront6targetE1EEEvT1_
    .private_segment_fixed_size: 0
    .sgpr_count:     4
    .sgpr_spill_count: 0
    .symbol:         _ZN7rocprim17ROCPRIM_400000_NS6detail17trampoline_kernelINS0_14default_configENS1_20scan_config_selectorIfEEZZNS1_9scan_implILNS1_25lookback_scan_determinismE0ELb0ELb0ES3_PKfPffZZZN2at6native31launch_logcumsumexp_cuda_kernelERKNSB_10TensorBaseESF_lENKUlvE_clEvENKUlvE0_clEvEUlffE_fEEDaPvRmT3_T4_T5_mT6_P12ihipStream_tbENKUlT_T0_E_clISt17integral_constantIbLb1EESW_EEDaSR_SS_EUlSR_E_NS1_11comp_targetILNS1_3genE5ELNS1_11target_archE942ELNS1_3gpuE9ELNS1_3repE0EEENS1_30default_config_static_selectorELNS0_4arch9wavefront6targetE1EEEvT1_.kd
    .uniform_work_group_size: 1
    .uses_dynamic_stack: false
    .vgpr_count:     0
    .vgpr_spill_count: 0
    .wavefront_size: 64
  - .agpr_count:     0
    .args:
      - .offset:         0
        .size:           96
        .value_kind:     by_value
    .group_segment_fixed_size: 7168
    .kernarg_segment_align: 8
    .kernarg_segment_size: 96
    .language:       OpenCL C
    .language_version:
      - 2
      - 0
    .max_flat_workgroup_size: 128
    .name:           _ZN7rocprim17ROCPRIM_400000_NS6detail17trampoline_kernelINS0_14default_configENS1_20scan_config_selectorIfEEZZNS1_9scan_implILNS1_25lookback_scan_determinismE0ELb0ELb0ES3_PKfPffZZZN2at6native31launch_logcumsumexp_cuda_kernelERKNSB_10TensorBaseESF_lENKUlvE_clEvENKUlvE0_clEvEUlffE_fEEDaPvRmT3_T4_T5_mT6_P12ihipStream_tbENKUlT_T0_E_clISt17integral_constantIbLb1EESW_EEDaSR_SS_EUlSR_E_NS1_11comp_targetILNS1_3genE4ELNS1_11target_archE910ELNS1_3gpuE8ELNS1_3repE0EEENS1_30default_config_static_selectorELNS0_4arch9wavefront6targetE1EEEvT1_
    .private_segment_fixed_size: 0
    .sgpr_count:     78
    .sgpr_spill_count: 0
    .symbol:         _ZN7rocprim17ROCPRIM_400000_NS6detail17trampoline_kernelINS0_14default_configENS1_20scan_config_selectorIfEEZZNS1_9scan_implILNS1_25lookback_scan_determinismE0ELb0ELb0ES3_PKfPffZZZN2at6native31launch_logcumsumexp_cuda_kernelERKNSB_10TensorBaseESF_lENKUlvE_clEvENKUlvE0_clEvEUlffE_fEEDaPvRmT3_T4_T5_mT6_P12ihipStream_tbENKUlT_T0_E_clISt17integral_constantIbLb1EESW_EEDaSR_SS_EUlSR_E_NS1_11comp_targetILNS1_3genE4ELNS1_11target_archE910ELNS1_3gpuE8ELNS1_3repE0EEENS1_30default_config_static_selectorELNS0_4arch9wavefront6targetE1EEEvT1_.kd
    .uniform_work_group_size: 1
    .uses_dynamic_stack: false
    .vgpr_count:     76
    .vgpr_spill_count: 0
    .wavefront_size: 64
  - .agpr_count:     0
    .args:
      - .offset:         0
        .size:           96
        .value_kind:     by_value
    .group_segment_fixed_size: 0
    .kernarg_segment_align: 8
    .kernarg_segment_size: 96
    .language:       OpenCL C
    .language_version:
      - 2
      - 0
    .max_flat_workgroup_size: 256
    .name:           _ZN7rocprim17ROCPRIM_400000_NS6detail17trampoline_kernelINS0_14default_configENS1_20scan_config_selectorIfEEZZNS1_9scan_implILNS1_25lookback_scan_determinismE0ELb0ELb0ES3_PKfPffZZZN2at6native31launch_logcumsumexp_cuda_kernelERKNSB_10TensorBaseESF_lENKUlvE_clEvENKUlvE0_clEvEUlffE_fEEDaPvRmT3_T4_T5_mT6_P12ihipStream_tbENKUlT_T0_E_clISt17integral_constantIbLb1EESW_EEDaSR_SS_EUlSR_E_NS1_11comp_targetILNS1_3genE3ELNS1_11target_archE908ELNS1_3gpuE7ELNS1_3repE0EEENS1_30default_config_static_selectorELNS0_4arch9wavefront6targetE1EEEvT1_
    .private_segment_fixed_size: 0
    .sgpr_count:     4
    .sgpr_spill_count: 0
    .symbol:         _ZN7rocprim17ROCPRIM_400000_NS6detail17trampoline_kernelINS0_14default_configENS1_20scan_config_selectorIfEEZZNS1_9scan_implILNS1_25lookback_scan_determinismE0ELb0ELb0ES3_PKfPffZZZN2at6native31launch_logcumsumexp_cuda_kernelERKNSB_10TensorBaseESF_lENKUlvE_clEvENKUlvE0_clEvEUlffE_fEEDaPvRmT3_T4_T5_mT6_P12ihipStream_tbENKUlT_T0_E_clISt17integral_constantIbLb1EESW_EEDaSR_SS_EUlSR_E_NS1_11comp_targetILNS1_3genE3ELNS1_11target_archE908ELNS1_3gpuE7ELNS1_3repE0EEENS1_30default_config_static_selectorELNS0_4arch9wavefront6targetE1EEEvT1_.kd
    .uniform_work_group_size: 1
    .uses_dynamic_stack: false
    .vgpr_count:     0
    .vgpr_spill_count: 0
    .wavefront_size: 64
  - .agpr_count:     0
    .args:
      - .offset:         0
        .size:           96
        .value_kind:     by_value
    .group_segment_fixed_size: 0
    .kernarg_segment_align: 8
    .kernarg_segment_size: 96
    .language:       OpenCL C
    .language_version:
      - 2
      - 0
    .max_flat_workgroup_size: 256
    .name:           _ZN7rocprim17ROCPRIM_400000_NS6detail17trampoline_kernelINS0_14default_configENS1_20scan_config_selectorIfEEZZNS1_9scan_implILNS1_25lookback_scan_determinismE0ELb0ELb0ES3_PKfPffZZZN2at6native31launch_logcumsumexp_cuda_kernelERKNSB_10TensorBaseESF_lENKUlvE_clEvENKUlvE0_clEvEUlffE_fEEDaPvRmT3_T4_T5_mT6_P12ihipStream_tbENKUlT_T0_E_clISt17integral_constantIbLb1EESW_EEDaSR_SS_EUlSR_E_NS1_11comp_targetILNS1_3genE2ELNS1_11target_archE906ELNS1_3gpuE6ELNS1_3repE0EEENS1_30default_config_static_selectorELNS0_4arch9wavefront6targetE1EEEvT1_
    .private_segment_fixed_size: 0
    .sgpr_count:     4
    .sgpr_spill_count: 0
    .symbol:         _ZN7rocprim17ROCPRIM_400000_NS6detail17trampoline_kernelINS0_14default_configENS1_20scan_config_selectorIfEEZZNS1_9scan_implILNS1_25lookback_scan_determinismE0ELb0ELb0ES3_PKfPffZZZN2at6native31launch_logcumsumexp_cuda_kernelERKNSB_10TensorBaseESF_lENKUlvE_clEvENKUlvE0_clEvEUlffE_fEEDaPvRmT3_T4_T5_mT6_P12ihipStream_tbENKUlT_T0_E_clISt17integral_constantIbLb1EESW_EEDaSR_SS_EUlSR_E_NS1_11comp_targetILNS1_3genE2ELNS1_11target_archE906ELNS1_3gpuE6ELNS1_3repE0EEENS1_30default_config_static_selectorELNS0_4arch9wavefront6targetE1EEEvT1_.kd
    .uniform_work_group_size: 1
    .uses_dynamic_stack: false
    .vgpr_count:     0
    .vgpr_spill_count: 0
    .wavefront_size: 64
  - .agpr_count:     0
    .args:
      - .offset:         0
        .size:           96
        .value_kind:     by_value
    .group_segment_fixed_size: 0
    .kernarg_segment_align: 8
    .kernarg_segment_size: 96
    .language:       OpenCL C
    .language_version:
      - 2
      - 0
    .max_flat_workgroup_size: 256
    .name:           _ZN7rocprim17ROCPRIM_400000_NS6detail17trampoline_kernelINS0_14default_configENS1_20scan_config_selectorIfEEZZNS1_9scan_implILNS1_25lookback_scan_determinismE0ELb0ELb0ES3_PKfPffZZZN2at6native31launch_logcumsumexp_cuda_kernelERKNSB_10TensorBaseESF_lENKUlvE_clEvENKUlvE0_clEvEUlffE_fEEDaPvRmT3_T4_T5_mT6_P12ihipStream_tbENKUlT_T0_E_clISt17integral_constantIbLb1EESW_EEDaSR_SS_EUlSR_E_NS1_11comp_targetILNS1_3genE10ELNS1_11target_archE1201ELNS1_3gpuE5ELNS1_3repE0EEENS1_30default_config_static_selectorELNS0_4arch9wavefront6targetE1EEEvT1_
    .private_segment_fixed_size: 0
    .sgpr_count:     4
    .sgpr_spill_count: 0
    .symbol:         _ZN7rocprim17ROCPRIM_400000_NS6detail17trampoline_kernelINS0_14default_configENS1_20scan_config_selectorIfEEZZNS1_9scan_implILNS1_25lookback_scan_determinismE0ELb0ELb0ES3_PKfPffZZZN2at6native31launch_logcumsumexp_cuda_kernelERKNSB_10TensorBaseESF_lENKUlvE_clEvENKUlvE0_clEvEUlffE_fEEDaPvRmT3_T4_T5_mT6_P12ihipStream_tbENKUlT_T0_E_clISt17integral_constantIbLb1EESW_EEDaSR_SS_EUlSR_E_NS1_11comp_targetILNS1_3genE10ELNS1_11target_archE1201ELNS1_3gpuE5ELNS1_3repE0EEENS1_30default_config_static_selectorELNS0_4arch9wavefront6targetE1EEEvT1_.kd
    .uniform_work_group_size: 1
    .uses_dynamic_stack: false
    .vgpr_count:     0
    .vgpr_spill_count: 0
    .wavefront_size: 64
  - .agpr_count:     0
    .args:
      - .offset:         0
        .size:           96
        .value_kind:     by_value
    .group_segment_fixed_size: 0
    .kernarg_segment_align: 8
    .kernarg_segment_size: 96
    .language:       OpenCL C
    .language_version:
      - 2
      - 0
    .max_flat_workgroup_size: 256
    .name:           _ZN7rocprim17ROCPRIM_400000_NS6detail17trampoline_kernelINS0_14default_configENS1_20scan_config_selectorIfEEZZNS1_9scan_implILNS1_25lookback_scan_determinismE0ELb0ELb0ES3_PKfPffZZZN2at6native31launch_logcumsumexp_cuda_kernelERKNSB_10TensorBaseESF_lENKUlvE_clEvENKUlvE0_clEvEUlffE_fEEDaPvRmT3_T4_T5_mT6_P12ihipStream_tbENKUlT_T0_E_clISt17integral_constantIbLb1EESW_EEDaSR_SS_EUlSR_E_NS1_11comp_targetILNS1_3genE10ELNS1_11target_archE1200ELNS1_3gpuE4ELNS1_3repE0EEENS1_30default_config_static_selectorELNS0_4arch9wavefront6targetE1EEEvT1_
    .private_segment_fixed_size: 0
    .sgpr_count:     4
    .sgpr_spill_count: 0
    .symbol:         _ZN7rocprim17ROCPRIM_400000_NS6detail17trampoline_kernelINS0_14default_configENS1_20scan_config_selectorIfEEZZNS1_9scan_implILNS1_25lookback_scan_determinismE0ELb0ELb0ES3_PKfPffZZZN2at6native31launch_logcumsumexp_cuda_kernelERKNSB_10TensorBaseESF_lENKUlvE_clEvENKUlvE0_clEvEUlffE_fEEDaPvRmT3_T4_T5_mT6_P12ihipStream_tbENKUlT_T0_E_clISt17integral_constantIbLb1EESW_EEDaSR_SS_EUlSR_E_NS1_11comp_targetILNS1_3genE10ELNS1_11target_archE1200ELNS1_3gpuE4ELNS1_3repE0EEENS1_30default_config_static_selectorELNS0_4arch9wavefront6targetE1EEEvT1_.kd
    .uniform_work_group_size: 1
    .uses_dynamic_stack: false
    .vgpr_count:     0
    .vgpr_spill_count: 0
    .wavefront_size: 64
  - .agpr_count:     0
    .args:
      - .offset:         0
        .size:           96
        .value_kind:     by_value
    .group_segment_fixed_size: 0
    .kernarg_segment_align: 8
    .kernarg_segment_size: 96
    .language:       OpenCL C
    .language_version:
      - 2
      - 0
    .max_flat_workgroup_size: 256
    .name:           _ZN7rocprim17ROCPRIM_400000_NS6detail17trampoline_kernelINS0_14default_configENS1_20scan_config_selectorIfEEZZNS1_9scan_implILNS1_25lookback_scan_determinismE0ELb0ELb0ES3_PKfPffZZZN2at6native31launch_logcumsumexp_cuda_kernelERKNSB_10TensorBaseESF_lENKUlvE_clEvENKUlvE0_clEvEUlffE_fEEDaPvRmT3_T4_T5_mT6_P12ihipStream_tbENKUlT_T0_E_clISt17integral_constantIbLb1EESW_EEDaSR_SS_EUlSR_E_NS1_11comp_targetILNS1_3genE9ELNS1_11target_archE1100ELNS1_3gpuE3ELNS1_3repE0EEENS1_30default_config_static_selectorELNS0_4arch9wavefront6targetE1EEEvT1_
    .private_segment_fixed_size: 0
    .sgpr_count:     4
    .sgpr_spill_count: 0
    .symbol:         _ZN7rocprim17ROCPRIM_400000_NS6detail17trampoline_kernelINS0_14default_configENS1_20scan_config_selectorIfEEZZNS1_9scan_implILNS1_25lookback_scan_determinismE0ELb0ELb0ES3_PKfPffZZZN2at6native31launch_logcumsumexp_cuda_kernelERKNSB_10TensorBaseESF_lENKUlvE_clEvENKUlvE0_clEvEUlffE_fEEDaPvRmT3_T4_T5_mT6_P12ihipStream_tbENKUlT_T0_E_clISt17integral_constantIbLb1EESW_EEDaSR_SS_EUlSR_E_NS1_11comp_targetILNS1_3genE9ELNS1_11target_archE1100ELNS1_3gpuE3ELNS1_3repE0EEENS1_30default_config_static_selectorELNS0_4arch9wavefront6targetE1EEEvT1_.kd
    .uniform_work_group_size: 1
    .uses_dynamic_stack: false
    .vgpr_count:     0
    .vgpr_spill_count: 0
    .wavefront_size: 64
  - .agpr_count:     0
    .args:
      - .offset:         0
        .size:           96
        .value_kind:     by_value
    .group_segment_fixed_size: 0
    .kernarg_segment_align: 8
    .kernarg_segment_size: 96
    .language:       OpenCL C
    .language_version:
      - 2
      - 0
    .max_flat_workgroup_size: 64
    .name:           _ZN7rocprim17ROCPRIM_400000_NS6detail17trampoline_kernelINS0_14default_configENS1_20scan_config_selectorIfEEZZNS1_9scan_implILNS1_25lookback_scan_determinismE0ELb0ELb0ES3_PKfPffZZZN2at6native31launch_logcumsumexp_cuda_kernelERKNSB_10TensorBaseESF_lENKUlvE_clEvENKUlvE0_clEvEUlffE_fEEDaPvRmT3_T4_T5_mT6_P12ihipStream_tbENKUlT_T0_E_clISt17integral_constantIbLb1EESW_EEDaSR_SS_EUlSR_E_NS1_11comp_targetILNS1_3genE8ELNS1_11target_archE1030ELNS1_3gpuE2ELNS1_3repE0EEENS1_30default_config_static_selectorELNS0_4arch9wavefront6targetE1EEEvT1_
    .private_segment_fixed_size: 0
    .sgpr_count:     4
    .sgpr_spill_count: 0
    .symbol:         _ZN7rocprim17ROCPRIM_400000_NS6detail17trampoline_kernelINS0_14default_configENS1_20scan_config_selectorIfEEZZNS1_9scan_implILNS1_25lookback_scan_determinismE0ELb0ELb0ES3_PKfPffZZZN2at6native31launch_logcumsumexp_cuda_kernelERKNSB_10TensorBaseESF_lENKUlvE_clEvENKUlvE0_clEvEUlffE_fEEDaPvRmT3_T4_T5_mT6_P12ihipStream_tbENKUlT_T0_E_clISt17integral_constantIbLb1EESW_EEDaSR_SS_EUlSR_E_NS1_11comp_targetILNS1_3genE8ELNS1_11target_archE1030ELNS1_3gpuE2ELNS1_3repE0EEENS1_30default_config_static_selectorELNS0_4arch9wavefront6targetE1EEEvT1_.kd
    .uniform_work_group_size: 1
    .uses_dynamic_stack: false
    .vgpr_count:     0
    .vgpr_spill_count: 0
    .wavefront_size: 64
  - .agpr_count:     0
    .args:
      - .offset:         0
        .size:           32
        .value_kind:     by_value
    .group_segment_fixed_size: 0
    .kernarg_segment_align: 8
    .kernarg_segment_size: 32
    .language:       OpenCL C
    .language_version:
      - 2
      - 0
    .max_flat_workgroup_size: 256
    .name:           _ZN7rocprim17ROCPRIM_400000_NS6detail17trampoline_kernelINS0_14default_configENS1_20scan_config_selectorIfEEZZNS1_9scan_implILNS1_25lookback_scan_determinismE0ELb0ELb0ES3_PKfPffZZZN2at6native31launch_logcumsumexp_cuda_kernelERKNSB_10TensorBaseESF_lENKUlvE_clEvENKUlvE0_clEvEUlffE_fEEDaPvRmT3_T4_T5_mT6_P12ihipStream_tbENKUlT_T0_E_clISt17integral_constantIbLb1EESW_EEDaSR_SS_EUlSR_E0_NS1_11comp_targetILNS1_3genE0ELNS1_11target_archE4294967295ELNS1_3gpuE0ELNS1_3repE0EEENS1_30default_config_static_selectorELNS0_4arch9wavefront6targetE1EEEvT1_
    .private_segment_fixed_size: 0
    .sgpr_count:     4
    .sgpr_spill_count: 0
    .symbol:         _ZN7rocprim17ROCPRIM_400000_NS6detail17trampoline_kernelINS0_14default_configENS1_20scan_config_selectorIfEEZZNS1_9scan_implILNS1_25lookback_scan_determinismE0ELb0ELb0ES3_PKfPffZZZN2at6native31launch_logcumsumexp_cuda_kernelERKNSB_10TensorBaseESF_lENKUlvE_clEvENKUlvE0_clEvEUlffE_fEEDaPvRmT3_T4_T5_mT6_P12ihipStream_tbENKUlT_T0_E_clISt17integral_constantIbLb1EESW_EEDaSR_SS_EUlSR_E0_NS1_11comp_targetILNS1_3genE0ELNS1_11target_archE4294967295ELNS1_3gpuE0ELNS1_3repE0EEENS1_30default_config_static_selectorELNS0_4arch9wavefront6targetE1EEEvT1_.kd
    .uniform_work_group_size: 1
    .uses_dynamic_stack: false
    .vgpr_count:     0
    .vgpr_spill_count: 0
    .wavefront_size: 64
  - .agpr_count:     0
    .args:
      - .offset:         0
        .size:           32
        .value_kind:     by_value
    .group_segment_fixed_size: 0
    .kernarg_segment_align: 8
    .kernarg_segment_size: 32
    .language:       OpenCL C
    .language_version:
      - 2
      - 0
    .max_flat_workgroup_size: 256
    .name:           _ZN7rocprim17ROCPRIM_400000_NS6detail17trampoline_kernelINS0_14default_configENS1_20scan_config_selectorIfEEZZNS1_9scan_implILNS1_25lookback_scan_determinismE0ELb0ELb0ES3_PKfPffZZZN2at6native31launch_logcumsumexp_cuda_kernelERKNSB_10TensorBaseESF_lENKUlvE_clEvENKUlvE0_clEvEUlffE_fEEDaPvRmT3_T4_T5_mT6_P12ihipStream_tbENKUlT_T0_E_clISt17integral_constantIbLb1EESW_EEDaSR_SS_EUlSR_E0_NS1_11comp_targetILNS1_3genE5ELNS1_11target_archE942ELNS1_3gpuE9ELNS1_3repE0EEENS1_30default_config_static_selectorELNS0_4arch9wavefront6targetE1EEEvT1_
    .private_segment_fixed_size: 0
    .sgpr_count:     4
    .sgpr_spill_count: 0
    .symbol:         _ZN7rocprim17ROCPRIM_400000_NS6detail17trampoline_kernelINS0_14default_configENS1_20scan_config_selectorIfEEZZNS1_9scan_implILNS1_25lookback_scan_determinismE0ELb0ELb0ES3_PKfPffZZZN2at6native31launch_logcumsumexp_cuda_kernelERKNSB_10TensorBaseESF_lENKUlvE_clEvENKUlvE0_clEvEUlffE_fEEDaPvRmT3_T4_T5_mT6_P12ihipStream_tbENKUlT_T0_E_clISt17integral_constantIbLb1EESW_EEDaSR_SS_EUlSR_E0_NS1_11comp_targetILNS1_3genE5ELNS1_11target_archE942ELNS1_3gpuE9ELNS1_3repE0EEENS1_30default_config_static_selectorELNS0_4arch9wavefront6targetE1EEEvT1_.kd
    .uniform_work_group_size: 1
    .uses_dynamic_stack: false
    .vgpr_count:     0
    .vgpr_spill_count: 0
    .wavefront_size: 64
  - .agpr_count:     0
    .args:
      - .offset:         0
        .size:           32
        .value_kind:     by_value
    .group_segment_fixed_size: 7168
    .kernarg_segment_align: 8
    .kernarg_segment_size: 32
    .language:       OpenCL C
    .language_version:
      - 2
      - 0
    .max_flat_workgroup_size: 128
    .name:           _ZN7rocprim17ROCPRIM_400000_NS6detail17trampoline_kernelINS0_14default_configENS1_20scan_config_selectorIfEEZZNS1_9scan_implILNS1_25lookback_scan_determinismE0ELb0ELb0ES3_PKfPffZZZN2at6native31launch_logcumsumexp_cuda_kernelERKNSB_10TensorBaseESF_lENKUlvE_clEvENKUlvE0_clEvEUlffE_fEEDaPvRmT3_T4_T5_mT6_P12ihipStream_tbENKUlT_T0_E_clISt17integral_constantIbLb1EESW_EEDaSR_SS_EUlSR_E0_NS1_11comp_targetILNS1_3genE4ELNS1_11target_archE910ELNS1_3gpuE8ELNS1_3repE0EEENS1_30default_config_static_selectorELNS0_4arch9wavefront6targetE1EEEvT1_
    .private_segment_fixed_size: 0
    .sgpr_count:     74
    .sgpr_spill_count: 0
    .symbol:         _ZN7rocprim17ROCPRIM_400000_NS6detail17trampoline_kernelINS0_14default_configENS1_20scan_config_selectorIfEEZZNS1_9scan_implILNS1_25lookback_scan_determinismE0ELb0ELb0ES3_PKfPffZZZN2at6native31launch_logcumsumexp_cuda_kernelERKNSB_10TensorBaseESF_lENKUlvE_clEvENKUlvE0_clEvEUlffE_fEEDaPvRmT3_T4_T5_mT6_P12ihipStream_tbENKUlT_T0_E_clISt17integral_constantIbLb1EESW_EEDaSR_SS_EUlSR_E0_NS1_11comp_targetILNS1_3genE4ELNS1_11target_archE910ELNS1_3gpuE8ELNS1_3repE0EEENS1_30default_config_static_selectorELNS0_4arch9wavefront6targetE1EEEvT1_.kd
    .uniform_work_group_size: 1
    .uses_dynamic_stack: false
    .vgpr_count:     57
    .vgpr_spill_count: 0
    .wavefront_size: 64
  - .agpr_count:     0
    .args:
      - .offset:         0
        .size:           32
        .value_kind:     by_value
    .group_segment_fixed_size: 0
    .kernarg_segment_align: 8
    .kernarg_segment_size: 32
    .language:       OpenCL C
    .language_version:
      - 2
      - 0
    .max_flat_workgroup_size: 256
    .name:           _ZN7rocprim17ROCPRIM_400000_NS6detail17trampoline_kernelINS0_14default_configENS1_20scan_config_selectorIfEEZZNS1_9scan_implILNS1_25lookback_scan_determinismE0ELb0ELb0ES3_PKfPffZZZN2at6native31launch_logcumsumexp_cuda_kernelERKNSB_10TensorBaseESF_lENKUlvE_clEvENKUlvE0_clEvEUlffE_fEEDaPvRmT3_T4_T5_mT6_P12ihipStream_tbENKUlT_T0_E_clISt17integral_constantIbLb1EESW_EEDaSR_SS_EUlSR_E0_NS1_11comp_targetILNS1_3genE3ELNS1_11target_archE908ELNS1_3gpuE7ELNS1_3repE0EEENS1_30default_config_static_selectorELNS0_4arch9wavefront6targetE1EEEvT1_
    .private_segment_fixed_size: 0
    .sgpr_count:     4
    .sgpr_spill_count: 0
    .symbol:         _ZN7rocprim17ROCPRIM_400000_NS6detail17trampoline_kernelINS0_14default_configENS1_20scan_config_selectorIfEEZZNS1_9scan_implILNS1_25lookback_scan_determinismE0ELb0ELb0ES3_PKfPffZZZN2at6native31launch_logcumsumexp_cuda_kernelERKNSB_10TensorBaseESF_lENKUlvE_clEvENKUlvE0_clEvEUlffE_fEEDaPvRmT3_T4_T5_mT6_P12ihipStream_tbENKUlT_T0_E_clISt17integral_constantIbLb1EESW_EEDaSR_SS_EUlSR_E0_NS1_11comp_targetILNS1_3genE3ELNS1_11target_archE908ELNS1_3gpuE7ELNS1_3repE0EEENS1_30default_config_static_selectorELNS0_4arch9wavefront6targetE1EEEvT1_.kd
    .uniform_work_group_size: 1
    .uses_dynamic_stack: false
    .vgpr_count:     0
    .vgpr_spill_count: 0
    .wavefront_size: 64
  - .agpr_count:     0
    .args:
      - .offset:         0
        .size:           32
        .value_kind:     by_value
    .group_segment_fixed_size: 0
    .kernarg_segment_align: 8
    .kernarg_segment_size: 32
    .language:       OpenCL C
    .language_version:
      - 2
      - 0
    .max_flat_workgroup_size: 256
    .name:           _ZN7rocprim17ROCPRIM_400000_NS6detail17trampoline_kernelINS0_14default_configENS1_20scan_config_selectorIfEEZZNS1_9scan_implILNS1_25lookback_scan_determinismE0ELb0ELb0ES3_PKfPffZZZN2at6native31launch_logcumsumexp_cuda_kernelERKNSB_10TensorBaseESF_lENKUlvE_clEvENKUlvE0_clEvEUlffE_fEEDaPvRmT3_T4_T5_mT6_P12ihipStream_tbENKUlT_T0_E_clISt17integral_constantIbLb1EESW_EEDaSR_SS_EUlSR_E0_NS1_11comp_targetILNS1_3genE2ELNS1_11target_archE906ELNS1_3gpuE6ELNS1_3repE0EEENS1_30default_config_static_selectorELNS0_4arch9wavefront6targetE1EEEvT1_
    .private_segment_fixed_size: 0
    .sgpr_count:     4
    .sgpr_spill_count: 0
    .symbol:         _ZN7rocprim17ROCPRIM_400000_NS6detail17trampoline_kernelINS0_14default_configENS1_20scan_config_selectorIfEEZZNS1_9scan_implILNS1_25lookback_scan_determinismE0ELb0ELb0ES3_PKfPffZZZN2at6native31launch_logcumsumexp_cuda_kernelERKNSB_10TensorBaseESF_lENKUlvE_clEvENKUlvE0_clEvEUlffE_fEEDaPvRmT3_T4_T5_mT6_P12ihipStream_tbENKUlT_T0_E_clISt17integral_constantIbLb1EESW_EEDaSR_SS_EUlSR_E0_NS1_11comp_targetILNS1_3genE2ELNS1_11target_archE906ELNS1_3gpuE6ELNS1_3repE0EEENS1_30default_config_static_selectorELNS0_4arch9wavefront6targetE1EEEvT1_.kd
    .uniform_work_group_size: 1
    .uses_dynamic_stack: false
    .vgpr_count:     0
    .vgpr_spill_count: 0
    .wavefront_size: 64
  - .agpr_count:     0
    .args:
      - .offset:         0
        .size:           32
        .value_kind:     by_value
    .group_segment_fixed_size: 0
    .kernarg_segment_align: 8
    .kernarg_segment_size: 32
    .language:       OpenCL C
    .language_version:
      - 2
      - 0
    .max_flat_workgroup_size: 256
    .name:           _ZN7rocprim17ROCPRIM_400000_NS6detail17trampoline_kernelINS0_14default_configENS1_20scan_config_selectorIfEEZZNS1_9scan_implILNS1_25lookback_scan_determinismE0ELb0ELb0ES3_PKfPffZZZN2at6native31launch_logcumsumexp_cuda_kernelERKNSB_10TensorBaseESF_lENKUlvE_clEvENKUlvE0_clEvEUlffE_fEEDaPvRmT3_T4_T5_mT6_P12ihipStream_tbENKUlT_T0_E_clISt17integral_constantIbLb1EESW_EEDaSR_SS_EUlSR_E0_NS1_11comp_targetILNS1_3genE10ELNS1_11target_archE1201ELNS1_3gpuE5ELNS1_3repE0EEENS1_30default_config_static_selectorELNS0_4arch9wavefront6targetE1EEEvT1_
    .private_segment_fixed_size: 0
    .sgpr_count:     4
    .sgpr_spill_count: 0
    .symbol:         _ZN7rocprim17ROCPRIM_400000_NS6detail17trampoline_kernelINS0_14default_configENS1_20scan_config_selectorIfEEZZNS1_9scan_implILNS1_25lookback_scan_determinismE0ELb0ELb0ES3_PKfPffZZZN2at6native31launch_logcumsumexp_cuda_kernelERKNSB_10TensorBaseESF_lENKUlvE_clEvENKUlvE0_clEvEUlffE_fEEDaPvRmT3_T4_T5_mT6_P12ihipStream_tbENKUlT_T0_E_clISt17integral_constantIbLb1EESW_EEDaSR_SS_EUlSR_E0_NS1_11comp_targetILNS1_3genE10ELNS1_11target_archE1201ELNS1_3gpuE5ELNS1_3repE0EEENS1_30default_config_static_selectorELNS0_4arch9wavefront6targetE1EEEvT1_.kd
    .uniform_work_group_size: 1
    .uses_dynamic_stack: false
    .vgpr_count:     0
    .vgpr_spill_count: 0
    .wavefront_size: 64
  - .agpr_count:     0
    .args:
      - .offset:         0
        .size:           32
        .value_kind:     by_value
    .group_segment_fixed_size: 0
    .kernarg_segment_align: 8
    .kernarg_segment_size: 32
    .language:       OpenCL C
    .language_version:
      - 2
      - 0
    .max_flat_workgroup_size: 256
    .name:           _ZN7rocprim17ROCPRIM_400000_NS6detail17trampoline_kernelINS0_14default_configENS1_20scan_config_selectorIfEEZZNS1_9scan_implILNS1_25lookback_scan_determinismE0ELb0ELb0ES3_PKfPffZZZN2at6native31launch_logcumsumexp_cuda_kernelERKNSB_10TensorBaseESF_lENKUlvE_clEvENKUlvE0_clEvEUlffE_fEEDaPvRmT3_T4_T5_mT6_P12ihipStream_tbENKUlT_T0_E_clISt17integral_constantIbLb1EESW_EEDaSR_SS_EUlSR_E0_NS1_11comp_targetILNS1_3genE10ELNS1_11target_archE1200ELNS1_3gpuE4ELNS1_3repE0EEENS1_30default_config_static_selectorELNS0_4arch9wavefront6targetE1EEEvT1_
    .private_segment_fixed_size: 0
    .sgpr_count:     4
    .sgpr_spill_count: 0
    .symbol:         _ZN7rocprim17ROCPRIM_400000_NS6detail17trampoline_kernelINS0_14default_configENS1_20scan_config_selectorIfEEZZNS1_9scan_implILNS1_25lookback_scan_determinismE0ELb0ELb0ES3_PKfPffZZZN2at6native31launch_logcumsumexp_cuda_kernelERKNSB_10TensorBaseESF_lENKUlvE_clEvENKUlvE0_clEvEUlffE_fEEDaPvRmT3_T4_T5_mT6_P12ihipStream_tbENKUlT_T0_E_clISt17integral_constantIbLb1EESW_EEDaSR_SS_EUlSR_E0_NS1_11comp_targetILNS1_3genE10ELNS1_11target_archE1200ELNS1_3gpuE4ELNS1_3repE0EEENS1_30default_config_static_selectorELNS0_4arch9wavefront6targetE1EEEvT1_.kd
    .uniform_work_group_size: 1
    .uses_dynamic_stack: false
    .vgpr_count:     0
    .vgpr_spill_count: 0
    .wavefront_size: 64
  - .agpr_count:     0
    .args:
      - .offset:         0
        .size:           32
        .value_kind:     by_value
    .group_segment_fixed_size: 0
    .kernarg_segment_align: 8
    .kernarg_segment_size: 32
    .language:       OpenCL C
    .language_version:
      - 2
      - 0
    .max_flat_workgroup_size: 256
    .name:           _ZN7rocprim17ROCPRIM_400000_NS6detail17trampoline_kernelINS0_14default_configENS1_20scan_config_selectorIfEEZZNS1_9scan_implILNS1_25lookback_scan_determinismE0ELb0ELb0ES3_PKfPffZZZN2at6native31launch_logcumsumexp_cuda_kernelERKNSB_10TensorBaseESF_lENKUlvE_clEvENKUlvE0_clEvEUlffE_fEEDaPvRmT3_T4_T5_mT6_P12ihipStream_tbENKUlT_T0_E_clISt17integral_constantIbLb1EESW_EEDaSR_SS_EUlSR_E0_NS1_11comp_targetILNS1_3genE9ELNS1_11target_archE1100ELNS1_3gpuE3ELNS1_3repE0EEENS1_30default_config_static_selectorELNS0_4arch9wavefront6targetE1EEEvT1_
    .private_segment_fixed_size: 0
    .sgpr_count:     4
    .sgpr_spill_count: 0
    .symbol:         _ZN7rocprim17ROCPRIM_400000_NS6detail17trampoline_kernelINS0_14default_configENS1_20scan_config_selectorIfEEZZNS1_9scan_implILNS1_25lookback_scan_determinismE0ELb0ELb0ES3_PKfPffZZZN2at6native31launch_logcumsumexp_cuda_kernelERKNSB_10TensorBaseESF_lENKUlvE_clEvENKUlvE0_clEvEUlffE_fEEDaPvRmT3_T4_T5_mT6_P12ihipStream_tbENKUlT_T0_E_clISt17integral_constantIbLb1EESW_EEDaSR_SS_EUlSR_E0_NS1_11comp_targetILNS1_3genE9ELNS1_11target_archE1100ELNS1_3gpuE3ELNS1_3repE0EEENS1_30default_config_static_selectorELNS0_4arch9wavefront6targetE1EEEvT1_.kd
    .uniform_work_group_size: 1
    .uses_dynamic_stack: false
    .vgpr_count:     0
    .vgpr_spill_count: 0
    .wavefront_size: 64
  - .agpr_count:     0
    .args:
      - .offset:         0
        .size:           32
        .value_kind:     by_value
    .group_segment_fixed_size: 0
    .kernarg_segment_align: 8
    .kernarg_segment_size: 32
    .language:       OpenCL C
    .language_version:
      - 2
      - 0
    .max_flat_workgroup_size: 64
    .name:           _ZN7rocprim17ROCPRIM_400000_NS6detail17trampoline_kernelINS0_14default_configENS1_20scan_config_selectorIfEEZZNS1_9scan_implILNS1_25lookback_scan_determinismE0ELb0ELb0ES3_PKfPffZZZN2at6native31launch_logcumsumexp_cuda_kernelERKNSB_10TensorBaseESF_lENKUlvE_clEvENKUlvE0_clEvEUlffE_fEEDaPvRmT3_T4_T5_mT6_P12ihipStream_tbENKUlT_T0_E_clISt17integral_constantIbLb1EESW_EEDaSR_SS_EUlSR_E0_NS1_11comp_targetILNS1_3genE8ELNS1_11target_archE1030ELNS1_3gpuE2ELNS1_3repE0EEENS1_30default_config_static_selectorELNS0_4arch9wavefront6targetE1EEEvT1_
    .private_segment_fixed_size: 0
    .sgpr_count:     4
    .sgpr_spill_count: 0
    .symbol:         _ZN7rocprim17ROCPRIM_400000_NS6detail17trampoline_kernelINS0_14default_configENS1_20scan_config_selectorIfEEZZNS1_9scan_implILNS1_25lookback_scan_determinismE0ELb0ELb0ES3_PKfPffZZZN2at6native31launch_logcumsumexp_cuda_kernelERKNSB_10TensorBaseESF_lENKUlvE_clEvENKUlvE0_clEvEUlffE_fEEDaPvRmT3_T4_T5_mT6_P12ihipStream_tbENKUlT_T0_E_clISt17integral_constantIbLb1EESW_EEDaSR_SS_EUlSR_E0_NS1_11comp_targetILNS1_3genE8ELNS1_11target_archE1030ELNS1_3gpuE2ELNS1_3repE0EEENS1_30default_config_static_selectorELNS0_4arch9wavefront6targetE1EEEvT1_.kd
    .uniform_work_group_size: 1
    .uses_dynamic_stack: false
    .vgpr_count:     0
    .vgpr_spill_count: 0
    .wavefront_size: 64
  - .agpr_count:     0
    .args:
      - .address_space:  global
        .offset:         0
        .size:           8
        .value_kind:     global_buffer
      - .offset:         8
        .size:           4
        .value_kind:     by_value
      - .offset:         12
        .size:           1
        .value_kind:     by_value
      - .offset:         16
        .size:           4
        .value_kind:     by_value
      - .address_space:  global
        .offset:         24
        .size:           8
        .value_kind:     global_buffer
      - .offset:         32
        .size:           4
        .value_kind:     hidden_block_count_x
      - .offset:         36
        .size:           4
        .value_kind:     hidden_block_count_y
      - .offset:         40
        .size:           4
        .value_kind:     hidden_block_count_z
      - .offset:         44
        .size:           2
        .value_kind:     hidden_group_size_x
      - .offset:         46
        .size:           2
        .value_kind:     hidden_group_size_y
      - .offset:         48
        .size:           2
        .value_kind:     hidden_group_size_z
      - .offset:         50
        .size:           2
        .value_kind:     hidden_remainder_x
      - .offset:         52
        .size:           2
        .value_kind:     hidden_remainder_y
      - .offset:         54
        .size:           2
        .value_kind:     hidden_remainder_z
      - .offset:         72
        .size:           8
        .value_kind:     hidden_global_offset_x
      - .offset:         80
        .size:           8
        .value_kind:     hidden_global_offset_y
      - .offset:         88
        .size:           8
        .value_kind:     hidden_global_offset_z
      - .offset:         96
        .size:           2
        .value_kind:     hidden_grid_dims
    .group_segment_fixed_size: 0
    .kernarg_segment_align: 8
    .kernarg_segment_size: 288
    .language:       OpenCL C
    .language_version:
      - 2
      - 0
    .max_flat_workgroup_size: 256
    .name:           _ZN7rocprim17ROCPRIM_400000_NS6detail31init_lookback_scan_state_kernelINS1_19lookback_scan_stateIfLb1ELb1EEENS1_16block_id_wrapperIjLb0EEEEEvT_jT0_jPNS7_10value_typeE
    .private_segment_fixed_size: 0
    .sgpr_count:     16
    .sgpr_spill_count: 0
    .symbol:         _ZN7rocprim17ROCPRIM_400000_NS6detail31init_lookback_scan_state_kernelINS1_19lookback_scan_stateIfLb1ELb1EEENS1_16block_id_wrapperIjLb0EEEEEvT_jT0_jPNS7_10value_typeE.kd
    .uniform_work_group_size: 1
    .uses_dynamic_stack: false
    .vgpr_count:     6
    .vgpr_spill_count: 0
    .wavefront_size: 64
  - .agpr_count:     0
    .args:
      - .offset:         0
        .size:           96
        .value_kind:     by_value
    .group_segment_fixed_size: 0
    .kernarg_segment_align: 8
    .kernarg_segment_size: 96
    .language:       OpenCL C
    .language_version:
      - 2
      - 0
    .max_flat_workgroup_size: 256
    .name:           _ZN7rocprim17ROCPRIM_400000_NS6detail17trampoline_kernelINS0_14default_configENS1_20scan_config_selectorIfEEZZNS1_9scan_implILNS1_25lookback_scan_determinismE0ELb0ELb0ES3_PKfPffZZZN2at6native31launch_logcumsumexp_cuda_kernelERKNSB_10TensorBaseESF_lENKUlvE_clEvENKUlvE0_clEvEUlffE_fEEDaPvRmT3_T4_T5_mT6_P12ihipStream_tbENKUlT_T0_E_clISt17integral_constantIbLb1EESV_IbLb0EEEEDaSR_SS_EUlSR_E_NS1_11comp_targetILNS1_3genE0ELNS1_11target_archE4294967295ELNS1_3gpuE0ELNS1_3repE0EEENS1_30default_config_static_selectorELNS0_4arch9wavefront6targetE1EEEvT1_
    .private_segment_fixed_size: 0
    .sgpr_count:     4
    .sgpr_spill_count: 0
    .symbol:         _ZN7rocprim17ROCPRIM_400000_NS6detail17trampoline_kernelINS0_14default_configENS1_20scan_config_selectorIfEEZZNS1_9scan_implILNS1_25lookback_scan_determinismE0ELb0ELb0ES3_PKfPffZZZN2at6native31launch_logcumsumexp_cuda_kernelERKNSB_10TensorBaseESF_lENKUlvE_clEvENKUlvE0_clEvEUlffE_fEEDaPvRmT3_T4_T5_mT6_P12ihipStream_tbENKUlT_T0_E_clISt17integral_constantIbLb1EESV_IbLb0EEEEDaSR_SS_EUlSR_E_NS1_11comp_targetILNS1_3genE0ELNS1_11target_archE4294967295ELNS1_3gpuE0ELNS1_3repE0EEENS1_30default_config_static_selectorELNS0_4arch9wavefront6targetE1EEEvT1_.kd
    .uniform_work_group_size: 1
    .uses_dynamic_stack: false
    .vgpr_count:     0
    .vgpr_spill_count: 0
    .wavefront_size: 64
  - .agpr_count:     0
    .args:
      - .offset:         0
        .size:           96
        .value_kind:     by_value
    .group_segment_fixed_size: 0
    .kernarg_segment_align: 8
    .kernarg_segment_size: 96
    .language:       OpenCL C
    .language_version:
      - 2
      - 0
    .max_flat_workgroup_size: 256
    .name:           _ZN7rocprim17ROCPRIM_400000_NS6detail17trampoline_kernelINS0_14default_configENS1_20scan_config_selectorIfEEZZNS1_9scan_implILNS1_25lookback_scan_determinismE0ELb0ELb0ES3_PKfPffZZZN2at6native31launch_logcumsumexp_cuda_kernelERKNSB_10TensorBaseESF_lENKUlvE_clEvENKUlvE0_clEvEUlffE_fEEDaPvRmT3_T4_T5_mT6_P12ihipStream_tbENKUlT_T0_E_clISt17integral_constantIbLb1EESV_IbLb0EEEEDaSR_SS_EUlSR_E_NS1_11comp_targetILNS1_3genE5ELNS1_11target_archE942ELNS1_3gpuE9ELNS1_3repE0EEENS1_30default_config_static_selectorELNS0_4arch9wavefront6targetE1EEEvT1_
    .private_segment_fixed_size: 0
    .sgpr_count:     4
    .sgpr_spill_count: 0
    .symbol:         _ZN7rocprim17ROCPRIM_400000_NS6detail17trampoline_kernelINS0_14default_configENS1_20scan_config_selectorIfEEZZNS1_9scan_implILNS1_25lookback_scan_determinismE0ELb0ELb0ES3_PKfPffZZZN2at6native31launch_logcumsumexp_cuda_kernelERKNSB_10TensorBaseESF_lENKUlvE_clEvENKUlvE0_clEvEUlffE_fEEDaPvRmT3_T4_T5_mT6_P12ihipStream_tbENKUlT_T0_E_clISt17integral_constantIbLb1EESV_IbLb0EEEEDaSR_SS_EUlSR_E_NS1_11comp_targetILNS1_3genE5ELNS1_11target_archE942ELNS1_3gpuE9ELNS1_3repE0EEENS1_30default_config_static_selectorELNS0_4arch9wavefront6targetE1EEEvT1_.kd
    .uniform_work_group_size: 1
    .uses_dynamic_stack: false
    .vgpr_count:     0
    .vgpr_spill_count: 0
    .wavefront_size: 64
  - .agpr_count:     0
    .args:
      - .offset:         0
        .size:           96
        .value_kind:     by_value
    .group_segment_fixed_size: 7168
    .kernarg_segment_align: 8
    .kernarg_segment_size: 96
    .language:       OpenCL C
    .language_version:
      - 2
      - 0
    .max_flat_workgroup_size: 128
    .name:           _ZN7rocprim17ROCPRIM_400000_NS6detail17trampoline_kernelINS0_14default_configENS1_20scan_config_selectorIfEEZZNS1_9scan_implILNS1_25lookback_scan_determinismE0ELb0ELb0ES3_PKfPffZZZN2at6native31launch_logcumsumexp_cuda_kernelERKNSB_10TensorBaseESF_lENKUlvE_clEvENKUlvE0_clEvEUlffE_fEEDaPvRmT3_T4_T5_mT6_P12ihipStream_tbENKUlT_T0_E_clISt17integral_constantIbLb1EESV_IbLb0EEEEDaSR_SS_EUlSR_E_NS1_11comp_targetILNS1_3genE4ELNS1_11target_archE910ELNS1_3gpuE8ELNS1_3repE0EEENS1_30default_config_static_selectorELNS0_4arch9wavefront6targetE1EEEvT1_
    .private_segment_fixed_size: 0
    .sgpr_count:     72
    .sgpr_spill_count: 0
    .symbol:         _ZN7rocprim17ROCPRIM_400000_NS6detail17trampoline_kernelINS0_14default_configENS1_20scan_config_selectorIfEEZZNS1_9scan_implILNS1_25lookback_scan_determinismE0ELb0ELb0ES3_PKfPffZZZN2at6native31launch_logcumsumexp_cuda_kernelERKNSB_10TensorBaseESF_lENKUlvE_clEvENKUlvE0_clEvEUlffE_fEEDaPvRmT3_T4_T5_mT6_P12ihipStream_tbENKUlT_T0_E_clISt17integral_constantIbLb1EESV_IbLb0EEEEDaSR_SS_EUlSR_E_NS1_11comp_targetILNS1_3genE4ELNS1_11target_archE910ELNS1_3gpuE8ELNS1_3repE0EEENS1_30default_config_static_selectorELNS0_4arch9wavefront6targetE1EEEvT1_.kd
    .uniform_work_group_size: 1
    .uses_dynamic_stack: false
    .vgpr_count:     76
    .vgpr_spill_count: 0
    .wavefront_size: 64
  - .agpr_count:     0
    .args:
      - .offset:         0
        .size:           96
        .value_kind:     by_value
    .group_segment_fixed_size: 0
    .kernarg_segment_align: 8
    .kernarg_segment_size: 96
    .language:       OpenCL C
    .language_version:
      - 2
      - 0
    .max_flat_workgroup_size: 256
    .name:           _ZN7rocprim17ROCPRIM_400000_NS6detail17trampoline_kernelINS0_14default_configENS1_20scan_config_selectorIfEEZZNS1_9scan_implILNS1_25lookback_scan_determinismE0ELb0ELb0ES3_PKfPffZZZN2at6native31launch_logcumsumexp_cuda_kernelERKNSB_10TensorBaseESF_lENKUlvE_clEvENKUlvE0_clEvEUlffE_fEEDaPvRmT3_T4_T5_mT6_P12ihipStream_tbENKUlT_T0_E_clISt17integral_constantIbLb1EESV_IbLb0EEEEDaSR_SS_EUlSR_E_NS1_11comp_targetILNS1_3genE3ELNS1_11target_archE908ELNS1_3gpuE7ELNS1_3repE0EEENS1_30default_config_static_selectorELNS0_4arch9wavefront6targetE1EEEvT1_
    .private_segment_fixed_size: 0
    .sgpr_count:     4
    .sgpr_spill_count: 0
    .symbol:         _ZN7rocprim17ROCPRIM_400000_NS6detail17trampoline_kernelINS0_14default_configENS1_20scan_config_selectorIfEEZZNS1_9scan_implILNS1_25lookback_scan_determinismE0ELb0ELb0ES3_PKfPffZZZN2at6native31launch_logcumsumexp_cuda_kernelERKNSB_10TensorBaseESF_lENKUlvE_clEvENKUlvE0_clEvEUlffE_fEEDaPvRmT3_T4_T5_mT6_P12ihipStream_tbENKUlT_T0_E_clISt17integral_constantIbLb1EESV_IbLb0EEEEDaSR_SS_EUlSR_E_NS1_11comp_targetILNS1_3genE3ELNS1_11target_archE908ELNS1_3gpuE7ELNS1_3repE0EEENS1_30default_config_static_selectorELNS0_4arch9wavefront6targetE1EEEvT1_.kd
    .uniform_work_group_size: 1
    .uses_dynamic_stack: false
    .vgpr_count:     0
    .vgpr_spill_count: 0
    .wavefront_size: 64
  - .agpr_count:     0
    .args:
      - .offset:         0
        .size:           96
        .value_kind:     by_value
    .group_segment_fixed_size: 0
    .kernarg_segment_align: 8
    .kernarg_segment_size: 96
    .language:       OpenCL C
    .language_version:
      - 2
      - 0
    .max_flat_workgroup_size: 256
    .name:           _ZN7rocprim17ROCPRIM_400000_NS6detail17trampoline_kernelINS0_14default_configENS1_20scan_config_selectorIfEEZZNS1_9scan_implILNS1_25lookback_scan_determinismE0ELb0ELb0ES3_PKfPffZZZN2at6native31launch_logcumsumexp_cuda_kernelERKNSB_10TensorBaseESF_lENKUlvE_clEvENKUlvE0_clEvEUlffE_fEEDaPvRmT3_T4_T5_mT6_P12ihipStream_tbENKUlT_T0_E_clISt17integral_constantIbLb1EESV_IbLb0EEEEDaSR_SS_EUlSR_E_NS1_11comp_targetILNS1_3genE2ELNS1_11target_archE906ELNS1_3gpuE6ELNS1_3repE0EEENS1_30default_config_static_selectorELNS0_4arch9wavefront6targetE1EEEvT1_
    .private_segment_fixed_size: 0
    .sgpr_count:     4
    .sgpr_spill_count: 0
    .symbol:         _ZN7rocprim17ROCPRIM_400000_NS6detail17trampoline_kernelINS0_14default_configENS1_20scan_config_selectorIfEEZZNS1_9scan_implILNS1_25lookback_scan_determinismE0ELb0ELb0ES3_PKfPffZZZN2at6native31launch_logcumsumexp_cuda_kernelERKNSB_10TensorBaseESF_lENKUlvE_clEvENKUlvE0_clEvEUlffE_fEEDaPvRmT3_T4_T5_mT6_P12ihipStream_tbENKUlT_T0_E_clISt17integral_constantIbLb1EESV_IbLb0EEEEDaSR_SS_EUlSR_E_NS1_11comp_targetILNS1_3genE2ELNS1_11target_archE906ELNS1_3gpuE6ELNS1_3repE0EEENS1_30default_config_static_selectorELNS0_4arch9wavefront6targetE1EEEvT1_.kd
    .uniform_work_group_size: 1
    .uses_dynamic_stack: false
    .vgpr_count:     0
    .vgpr_spill_count: 0
    .wavefront_size: 64
  - .agpr_count:     0
    .args:
      - .offset:         0
        .size:           96
        .value_kind:     by_value
    .group_segment_fixed_size: 0
    .kernarg_segment_align: 8
    .kernarg_segment_size: 96
    .language:       OpenCL C
    .language_version:
      - 2
      - 0
    .max_flat_workgroup_size: 256
    .name:           _ZN7rocprim17ROCPRIM_400000_NS6detail17trampoline_kernelINS0_14default_configENS1_20scan_config_selectorIfEEZZNS1_9scan_implILNS1_25lookback_scan_determinismE0ELb0ELb0ES3_PKfPffZZZN2at6native31launch_logcumsumexp_cuda_kernelERKNSB_10TensorBaseESF_lENKUlvE_clEvENKUlvE0_clEvEUlffE_fEEDaPvRmT3_T4_T5_mT6_P12ihipStream_tbENKUlT_T0_E_clISt17integral_constantIbLb1EESV_IbLb0EEEEDaSR_SS_EUlSR_E_NS1_11comp_targetILNS1_3genE10ELNS1_11target_archE1201ELNS1_3gpuE5ELNS1_3repE0EEENS1_30default_config_static_selectorELNS0_4arch9wavefront6targetE1EEEvT1_
    .private_segment_fixed_size: 0
    .sgpr_count:     4
    .sgpr_spill_count: 0
    .symbol:         _ZN7rocprim17ROCPRIM_400000_NS6detail17trampoline_kernelINS0_14default_configENS1_20scan_config_selectorIfEEZZNS1_9scan_implILNS1_25lookback_scan_determinismE0ELb0ELb0ES3_PKfPffZZZN2at6native31launch_logcumsumexp_cuda_kernelERKNSB_10TensorBaseESF_lENKUlvE_clEvENKUlvE0_clEvEUlffE_fEEDaPvRmT3_T4_T5_mT6_P12ihipStream_tbENKUlT_T0_E_clISt17integral_constantIbLb1EESV_IbLb0EEEEDaSR_SS_EUlSR_E_NS1_11comp_targetILNS1_3genE10ELNS1_11target_archE1201ELNS1_3gpuE5ELNS1_3repE0EEENS1_30default_config_static_selectorELNS0_4arch9wavefront6targetE1EEEvT1_.kd
    .uniform_work_group_size: 1
    .uses_dynamic_stack: false
    .vgpr_count:     0
    .vgpr_spill_count: 0
    .wavefront_size: 64
  - .agpr_count:     0
    .args:
      - .offset:         0
        .size:           96
        .value_kind:     by_value
    .group_segment_fixed_size: 0
    .kernarg_segment_align: 8
    .kernarg_segment_size: 96
    .language:       OpenCL C
    .language_version:
      - 2
      - 0
    .max_flat_workgroup_size: 256
    .name:           _ZN7rocprim17ROCPRIM_400000_NS6detail17trampoline_kernelINS0_14default_configENS1_20scan_config_selectorIfEEZZNS1_9scan_implILNS1_25lookback_scan_determinismE0ELb0ELb0ES3_PKfPffZZZN2at6native31launch_logcumsumexp_cuda_kernelERKNSB_10TensorBaseESF_lENKUlvE_clEvENKUlvE0_clEvEUlffE_fEEDaPvRmT3_T4_T5_mT6_P12ihipStream_tbENKUlT_T0_E_clISt17integral_constantIbLb1EESV_IbLb0EEEEDaSR_SS_EUlSR_E_NS1_11comp_targetILNS1_3genE10ELNS1_11target_archE1200ELNS1_3gpuE4ELNS1_3repE0EEENS1_30default_config_static_selectorELNS0_4arch9wavefront6targetE1EEEvT1_
    .private_segment_fixed_size: 0
    .sgpr_count:     4
    .sgpr_spill_count: 0
    .symbol:         _ZN7rocprim17ROCPRIM_400000_NS6detail17trampoline_kernelINS0_14default_configENS1_20scan_config_selectorIfEEZZNS1_9scan_implILNS1_25lookback_scan_determinismE0ELb0ELb0ES3_PKfPffZZZN2at6native31launch_logcumsumexp_cuda_kernelERKNSB_10TensorBaseESF_lENKUlvE_clEvENKUlvE0_clEvEUlffE_fEEDaPvRmT3_T4_T5_mT6_P12ihipStream_tbENKUlT_T0_E_clISt17integral_constantIbLb1EESV_IbLb0EEEEDaSR_SS_EUlSR_E_NS1_11comp_targetILNS1_3genE10ELNS1_11target_archE1200ELNS1_3gpuE4ELNS1_3repE0EEENS1_30default_config_static_selectorELNS0_4arch9wavefront6targetE1EEEvT1_.kd
    .uniform_work_group_size: 1
    .uses_dynamic_stack: false
    .vgpr_count:     0
    .vgpr_spill_count: 0
    .wavefront_size: 64
  - .agpr_count:     0
    .args:
      - .offset:         0
        .size:           96
        .value_kind:     by_value
    .group_segment_fixed_size: 0
    .kernarg_segment_align: 8
    .kernarg_segment_size: 96
    .language:       OpenCL C
    .language_version:
      - 2
      - 0
    .max_flat_workgroup_size: 256
    .name:           _ZN7rocprim17ROCPRIM_400000_NS6detail17trampoline_kernelINS0_14default_configENS1_20scan_config_selectorIfEEZZNS1_9scan_implILNS1_25lookback_scan_determinismE0ELb0ELb0ES3_PKfPffZZZN2at6native31launch_logcumsumexp_cuda_kernelERKNSB_10TensorBaseESF_lENKUlvE_clEvENKUlvE0_clEvEUlffE_fEEDaPvRmT3_T4_T5_mT6_P12ihipStream_tbENKUlT_T0_E_clISt17integral_constantIbLb1EESV_IbLb0EEEEDaSR_SS_EUlSR_E_NS1_11comp_targetILNS1_3genE9ELNS1_11target_archE1100ELNS1_3gpuE3ELNS1_3repE0EEENS1_30default_config_static_selectorELNS0_4arch9wavefront6targetE1EEEvT1_
    .private_segment_fixed_size: 0
    .sgpr_count:     4
    .sgpr_spill_count: 0
    .symbol:         _ZN7rocprim17ROCPRIM_400000_NS6detail17trampoline_kernelINS0_14default_configENS1_20scan_config_selectorIfEEZZNS1_9scan_implILNS1_25lookback_scan_determinismE0ELb0ELb0ES3_PKfPffZZZN2at6native31launch_logcumsumexp_cuda_kernelERKNSB_10TensorBaseESF_lENKUlvE_clEvENKUlvE0_clEvEUlffE_fEEDaPvRmT3_T4_T5_mT6_P12ihipStream_tbENKUlT_T0_E_clISt17integral_constantIbLb1EESV_IbLb0EEEEDaSR_SS_EUlSR_E_NS1_11comp_targetILNS1_3genE9ELNS1_11target_archE1100ELNS1_3gpuE3ELNS1_3repE0EEENS1_30default_config_static_selectorELNS0_4arch9wavefront6targetE1EEEvT1_.kd
    .uniform_work_group_size: 1
    .uses_dynamic_stack: false
    .vgpr_count:     0
    .vgpr_spill_count: 0
    .wavefront_size: 64
  - .agpr_count:     0
    .args:
      - .offset:         0
        .size:           96
        .value_kind:     by_value
    .group_segment_fixed_size: 0
    .kernarg_segment_align: 8
    .kernarg_segment_size: 96
    .language:       OpenCL C
    .language_version:
      - 2
      - 0
    .max_flat_workgroup_size: 64
    .name:           _ZN7rocprim17ROCPRIM_400000_NS6detail17trampoline_kernelINS0_14default_configENS1_20scan_config_selectorIfEEZZNS1_9scan_implILNS1_25lookback_scan_determinismE0ELb0ELb0ES3_PKfPffZZZN2at6native31launch_logcumsumexp_cuda_kernelERKNSB_10TensorBaseESF_lENKUlvE_clEvENKUlvE0_clEvEUlffE_fEEDaPvRmT3_T4_T5_mT6_P12ihipStream_tbENKUlT_T0_E_clISt17integral_constantIbLb1EESV_IbLb0EEEEDaSR_SS_EUlSR_E_NS1_11comp_targetILNS1_3genE8ELNS1_11target_archE1030ELNS1_3gpuE2ELNS1_3repE0EEENS1_30default_config_static_selectorELNS0_4arch9wavefront6targetE1EEEvT1_
    .private_segment_fixed_size: 0
    .sgpr_count:     4
    .sgpr_spill_count: 0
    .symbol:         _ZN7rocprim17ROCPRIM_400000_NS6detail17trampoline_kernelINS0_14default_configENS1_20scan_config_selectorIfEEZZNS1_9scan_implILNS1_25lookback_scan_determinismE0ELb0ELb0ES3_PKfPffZZZN2at6native31launch_logcumsumexp_cuda_kernelERKNSB_10TensorBaseESF_lENKUlvE_clEvENKUlvE0_clEvEUlffE_fEEDaPvRmT3_T4_T5_mT6_P12ihipStream_tbENKUlT_T0_E_clISt17integral_constantIbLb1EESV_IbLb0EEEEDaSR_SS_EUlSR_E_NS1_11comp_targetILNS1_3genE8ELNS1_11target_archE1030ELNS1_3gpuE2ELNS1_3repE0EEENS1_30default_config_static_selectorELNS0_4arch9wavefront6targetE1EEEvT1_.kd
    .uniform_work_group_size: 1
    .uses_dynamic_stack: false
    .vgpr_count:     0
    .vgpr_spill_count: 0
    .wavefront_size: 64
  - .agpr_count:     0
    .args:
      - .offset:         0
        .size:           32
        .value_kind:     by_value
    .group_segment_fixed_size: 0
    .kernarg_segment_align: 8
    .kernarg_segment_size: 32
    .language:       OpenCL C
    .language_version:
      - 2
      - 0
    .max_flat_workgroup_size: 256
    .name:           _ZN7rocprim17ROCPRIM_400000_NS6detail17trampoline_kernelINS0_14default_configENS1_20scan_config_selectorIfEEZZNS1_9scan_implILNS1_25lookback_scan_determinismE0ELb0ELb0ES3_PKfPffZZZN2at6native31launch_logcumsumexp_cuda_kernelERKNSB_10TensorBaseESF_lENKUlvE_clEvENKUlvE0_clEvEUlffE_fEEDaPvRmT3_T4_T5_mT6_P12ihipStream_tbENKUlT_T0_E_clISt17integral_constantIbLb1EESV_IbLb0EEEEDaSR_SS_EUlSR_E0_NS1_11comp_targetILNS1_3genE0ELNS1_11target_archE4294967295ELNS1_3gpuE0ELNS1_3repE0EEENS1_30default_config_static_selectorELNS0_4arch9wavefront6targetE1EEEvT1_
    .private_segment_fixed_size: 0
    .sgpr_count:     4
    .sgpr_spill_count: 0
    .symbol:         _ZN7rocprim17ROCPRIM_400000_NS6detail17trampoline_kernelINS0_14default_configENS1_20scan_config_selectorIfEEZZNS1_9scan_implILNS1_25lookback_scan_determinismE0ELb0ELb0ES3_PKfPffZZZN2at6native31launch_logcumsumexp_cuda_kernelERKNSB_10TensorBaseESF_lENKUlvE_clEvENKUlvE0_clEvEUlffE_fEEDaPvRmT3_T4_T5_mT6_P12ihipStream_tbENKUlT_T0_E_clISt17integral_constantIbLb1EESV_IbLb0EEEEDaSR_SS_EUlSR_E0_NS1_11comp_targetILNS1_3genE0ELNS1_11target_archE4294967295ELNS1_3gpuE0ELNS1_3repE0EEENS1_30default_config_static_selectorELNS0_4arch9wavefront6targetE1EEEvT1_.kd
    .uniform_work_group_size: 1
    .uses_dynamic_stack: false
    .vgpr_count:     0
    .vgpr_spill_count: 0
    .wavefront_size: 64
  - .agpr_count:     0
    .args:
      - .offset:         0
        .size:           32
        .value_kind:     by_value
    .group_segment_fixed_size: 0
    .kernarg_segment_align: 8
    .kernarg_segment_size: 32
    .language:       OpenCL C
    .language_version:
      - 2
      - 0
    .max_flat_workgroup_size: 256
    .name:           _ZN7rocprim17ROCPRIM_400000_NS6detail17trampoline_kernelINS0_14default_configENS1_20scan_config_selectorIfEEZZNS1_9scan_implILNS1_25lookback_scan_determinismE0ELb0ELb0ES3_PKfPffZZZN2at6native31launch_logcumsumexp_cuda_kernelERKNSB_10TensorBaseESF_lENKUlvE_clEvENKUlvE0_clEvEUlffE_fEEDaPvRmT3_T4_T5_mT6_P12ihipStream_tbENKUlT_T0_E_clISt17integral_constantIbLb1EESV_IbLb0EEEEDaSR_SS_EUlSR_E0_NS1_11comp_targetILNS1_3genE5ELNS1_11target_archE942ELNS1_3gpuE9ELNS1_3repE0EEENS1_30default_config_static_selectorELNS0_4arch9wavefront6targetE1EEEvT1_
    .private_segment_fixed_size: 0
    .sgpr_count:     4
    .sgpr_spill_count: 0
    .symbol:         _ZN7rocprim17ROCPRIM_400000_NS6detail17trampoline_kernelINS0_14default_configENS1_20scan_config_selectorIfEEZZNS1_9scan_implILNS1_25lookback_scan_determinismE0ELb0ELb0ES3_PKfPffZZZN2at6native31launch_logcumsumexp_cuda_kernelERKNSB_10TensorBaseESF_lENKUlvE_clEvENKUlvE0_clEvEUlffE_fEEDaPvRmT3_T4_T5_mT6_P12ihipStream_tbENKUlT_T0_E_clISt17integral_constantIbLb1EESV_IbLb0EEEEDaSR_SS_EUlSR_E0_NS1_11comp_targetILNS1_3genE5ELNS1_11target_archE942ELNS1_3gpuE9ELNS1_3repE0EEENS1_30default_config_static_selectorELNS0_4arch9wavefront6targetE1EEEvT1_.kd
    .uniform_work_group_size: 1
    .uses_dynamic_stack: false
    .vgpr_count:     0
    .vgpr_spill_count: 0
    .wavefront_size: 64
  - .agpr_count:     0
    .args:
      - .offset:         0
        .size:           32
        .value_kind:     by_value
    .group_segment_fixed_size: 7168
    .kernarg_segment_align: 8
    .kernarg_segment_size: 32
    .language:       OpenCL C
    .language_version:
      - 2
      - 0
    .max_flat_workgroup_size: 128
    .name:           _ZN7rocprim17ROCPRIM_400000_NS6detail17trampoline_kernelINS0_14default_configENS1_20scan_config_selectorIfEEZZNS1_9scan_implILNS1_25lookback_scan_determinismE0ELb0ELb0ES3_PKfPffZZZN2at6native31launch_logcumsumexp_cuda_kernelERKNSB_10TensorBaseESF_lENKUlvE_clEvENKUlvE0_clEvEUlffE_fEEDaPvRmT3_T4_T5_mT6_P12ihipStream_tbENKUlT_T0_E_clISt17integral_constantIbLb1EESV_IbLb0EEEEDaSR_SS_EUlSR_E0_NS1_11comp_targetILNS1_3genE4ELNS1_11target_archE910ELNS1_3gpuE8ELNS1_3repE0EEENS1_30default_config_static_selectorELNS0_4arch9wavefront6targetE1EEEvT1_
    .private_segment_fixed_size: 0
    .sgpr_count:     74
    .sgpr_spill_count: 0
    .symbol:         _ZN7rocprim17ROCPRIM_400000_NS6detail17trampoline_kernelINS0_14default_configENS1_20scan_config_selectorIfEEZZNS1_9scan_implILNS1_25lookback_scan_determinismE0ELb0ELb0ES3_PKfPffZZZN2at6native31launch_logcumsumexp_cuda_kernelERKNSB_10TensorBaseESF_lENKUlvE_clEvENKUlvE0_clEvEUlffE_fEEDaPvRmT3_T4_T5_mT6_P12ihipStream_tbENKUlT_T0_E_clISt17integral_constantIbLb1EESV_IbLb0EEEEDaSR_SS_EUlSR_E0_NS1_11comp_targetILNS1_3genE4ELNS1_11target_archE910ELNS1_3gpuE8ELNS1_3repE0EEENS1_30default_config_static_selectorELNS0_4arch9wavefront6targetE1EEEvT1_.kd
    .uniform_work_group_size: 1
    .uses_dynamic_stack: false
    .vgpr_count:     57
    .vgpr_spill_count: 0
    .wavefront_size: 64
  - .agpr_count:     0
    .args:
      - .offset:         0
        .size:           32
        .value_kind:     by_value
    .group_segment_fixed_size: 0
    .kernarg_segment_align: 8
    .kernarg_segment_size: 32
    .language:       OpenCL C
    .language_version:
      - 2
      - 0
    .max_flat_workgroup_size: 256
    .name:           _ZN7rocprim17ROCPRIM_400000_NS6detail17trampoline_kernelINS0_14default_configENS1_20scan_config_selectorIfEEZZNS1_9scan_implILNS1_25lookback_scan_determinismE0ELb0ELb0ES3_PKfPffZZZN2at6native31launch_logcumsumexp_cuda_kernelERKNSB_10TensorBaseESF_lENKUlvE_clEvENKUlvE0_clEvEUlffE_fEEDaPvRmT3_T4_T5_mT6_P12ihipStream_tbENKUlT_T0_E_clISt17integral_constantIbLb1EESV_IbLb0EEEEDaSR_SS_EUlSR_E0_NS1_11comp_targetILNS1_3genE3ELNS1_11target_archE908ELNS1_3gpuE7ELNS1_3repE0EEENS1_30default_config_static_selectorELNS0_4arch9wavefront6targetE1EEEvT1_
    .private_segment_fixed_size: 0
    .sgpr_count:     4
    .sgpr_spill_count: 0
    .symbol:         _ZN7rocprim17ROCPRIM_400000_NS6detail17trampoline_kernelINS0_14default_configENS1_20scan_config_selectorIfEEZZNS1_9scan_implILNS1_25lookback_scan_determinismE0ELb0ELb0ES3_PKfPffZZZN2at6native31launch_logcumsumexp_cuda_kernelERKNSB_10TensorBaseESF_lENKUlvE_clEvENKUlvE0_clEvEUlffE_fEEDaPvRmT3_T4_T5_mT6_P12ihipStream_tbENKUlT_T0_E_clISt17integral_constantIbLb1EESV_IbLb0EEEEDaSR_SS_EUlSR_E0_NS1_11comp_targetILNS1_3genE3ELNS1_11target_archE908ELNS1_3gpuE7ELNS1_3repE0EEENS1_30default_config_static_selectorELNS0_4arch9wavefront6targetE1EEEvT1_.kd
    .uniform_work_group_size: 1
    .uses_dynamic_stack: false
    .vgpr_count:     0
    .vgpr_spill_count: 0
    .wavefront_size: 64
  - .agpr_count:     0
    .args:
      - .offset:         0
        .size:           32
        .value_kind:     by_value
    .group_segment_fixed_size: 0
    .kernarg_segment_align: 8
    .kernarg_segment_size: 32
    .language:       OpenCL C
    .language_version:
      - 2
      - 0
    .max_flat_workgroup_size: 256
    .name:           _ZN7rocprim17ROCPRIM_400000_NS6detail17trampoline_kernelINS0_14default_configENS1_20scan_config_selectorIfEEZZNS1_9scan_implILNS1_25lookback_scan_determinismE0ELb0ELb0ES3_PKfPffZZZN2at6native31launch_logcumsumexp_cuda_kernelERKNSB_10TensorBaseESF_lENKUlvE_clEvENKUlvE0_clEvEUlffE_fEEDaPvRmT3_T4_T5_mT6_P12ihipStream_tbENKUlT_T0_E_clISt17integral_constantIbLb1EESV_IbLb0EEEEDaSR_SS_EUlSR_E0_NS1_11comp_targetILNS1_3genE2ELNS1_11target_archE906ELNS1_3gpuE6ELNS1_3repE0EEENS1_30default_config_static_selectorELNS0_4arch9wavefront6targetE1EEEvT1_
    .private_segment_fixed_size: 0
    .sgpr_count:     4
    .sgpr_spill_count: 0
    .symbol:         _ZN7rocprim17ROCPRIM_400000_NS6detail17trampoline_kernelINS0_14default_configENS1_20scan_config_selectorIfEEZZNS1_9scan_implILNS1_25lookback_scan_determinismE0ELb0ELb0ES3_PKfPffZZZN2at6native31launch_logcumsumexp_cuda_kernelERKNSB_10TensorBaseESF_lENKUlvE_clEvENKUlvE0_clEvEUlffE_fEEDaPvRmT3_T4_T5_mT6_P12ihipStream_tbENKUlT_T0_E_clISt17integral_constantIbLb1EESV_IbLb0EEEEDaSR_SS_EUlSR_E0_NS1_11comp_targetILNS1_3genE2ELNS1_11target_archE906ELNS1_3gpuE6ELNS1_3repE0EEENS1_30default_config_static_selectorELNS0_4arch9wavefront6targetE1EEEvT1_.kd
    .uniform_work_group_size: 1
    .uses_dynamic_stack: false
    .vgpr_count:     0
    .vgpr_spill_count: 0
    .wavefront_size: 64
  - .agpr_count:     0
    .args:
      - .offset:         0
        .size:           32
        .value_kind:     by_value
    .group_segment_fixed_size: 0
    .kernarg_segment_align: 8
    .kernarg_segment_size: 32
    .language:       OpenCL C
    .language_version:
      - 2
      - 0
    .max_flat_workgroup_size: 256
    .name:           _ZN7rocprim17ROCPRIM_400000_NS6detail17trampoline_kernelINS0_14default_configENS1_20scan_config_selectorIfEEZZNS1_9scan_implILNS1_25lookback_scan_determinismE0ELb0ELb0ES3_PKfPffZZZN2at6native31launch_logcumsumexp_cuda_kernelERKNSB_10TensorBaseESF_lENKUlvE_clEvENKUlvE0_clEvEUlffE_fEEDaPvRmT3_T4_T5_mT6_P12ihipStream_tbENKUlT_T0_E_clISt17integral_constantIbLb1EESV_IbLb0EEEEDaSR_SS_EUlSR_E0_NS1_11comp_targetILNS1_3genE10ELNS1_11target_archE1201ELNS1_3gpuE5ELNS1_3repE0EEENS1_30default_config_static_selectorELNS0_4arch9wavefront6targetE1EEEvT1_
    .private_segment_fixed_size: 0
    .sgpr_count:     4
    .sgpr_spill_count: 0
    .symbol:         _ZN7rocprim17ROCPRIM_400000_NS6detail17trampoline_kernelINS0_14default_configENS1_20scan_config_selectorIfEEZZNS1_9scan_implILNS1_25lookback_scan_determinismE0ELb0ELb0ES3_PKfPffZZZN2at6native31launch_logcumsumexp_cuda_kernelERKNSB_10TensorBaseESF_lENKUlvE_clEvENKUlvE0_clEvEUlffE_fEEDaPvRmT3_T4_T5_mT6_P12ihipStream_tbENKUlT_T0_E_clISt17integral_constantIbLb1EESV_IbLb0EEEEDaSR_SS_EUlSR_E0_NS1_11comp_targetILNS1_3genE10ELNS1_11target_archE1201ELNS1_3gpuE5ELNS1_3repE0EEENS1_30default_config_static_selectorELNS0_4arch9wavefront6targetE1EEEvT1_.kd
    .uniform_work_group_size: 1
    .uses_dynamic_stack: false
    .vgpr_count:     0
    .vgpr_spill_count: 0
    .wavefront_size: 64
  - .agpr_count:     0
    .args:
      - .offset:         0
        .size:           32
        .value_kind:     by_value
    .group_segment_fixed_size: 0
    .kernarg_segment_align: 8
    .kernarg_segment_size: 32
    .language:       OpenCL C
    .language_version:
      - 2
      - 0
    .max_flat_workgroup_size: 256
    .name:           _ZN7rocprim17ROCPRIM_400000_NS6detail17trampoline_kernelINS0_14default_configENS1_20scan_config_selectorIfEEZZNS1_9scan_implILNS1_25lookback_scan_determinismE0ELb0ELb0ES3_PKfPffZZZN2at6native31launch_logcumsumexp_cuda_kernelERKNSB_10TensorBaseESF_lENKUlvE_clEvENKUlvE0_clEvEUlffE_fEEDaPvRmT3_T4_T5_mT6_P12ihipStream_tbENKUlT_T0_E_clISt17integral_constantIbLb1EESV_IbLb0EEEEDaSR_SS_EUlSR_E0_NS1_11comp_targetILNS1_3genE10ELNS1_11target_archE1200ELNS1_3gpuE4ELNS1_3repE0EEENS1_30default_config_static_selectorELNS0_4arch9wavefront6targetE1EEEvT1_
    .private_segment_fixed_size: 0
    .sgpr_count:     4
    .sgpr_spill_count: 0
    .symbol:         _ZN7rocprim17ROCPRIM_400000_NS6detail17trampoline_kernelINS0_14default_configENS1_20scan_config_selectorIfEEZZNS1_9scan_implILNS1_25lookback_scan_determinismE0ELb0ELb0ES3_PKfPffZZZN2at6native31launch_logcumsumexp_cuda_kernelERKNSB_10TensorBaseESF_lENKUlvE_clEvENKUlvE0_clEvEUlffE_fEEDaPvRmT3_T4_T5_mT6_P12ihipStream_tbENKUlT_T0_E_clISt17integral_constantIbLb1EESV_IbLb0EEEEDaSR_SS_EUlSR_E0_NS1_11comp_targetILNS1_3genE10ELNS1_11target_archE1200ELNS1_3gpuE4ELNS1_3repE0EEENS1_30default_config_static_selectorELNS0_4arch9wavefront6targetE1EEEvT1_.kd
    .uniform_work_group_size: 1
    .uses_dynamic_stack: false
    .vgpr_count:     0
    .vgpr_spill_count: 0
    .wavefront_size: 64
  - .agpr_count:     0
    .args:
      - .offset:         0
        .size:           32
        .value_kind:     by_value
    .group_segment_fixed_size: 0
    .kernarg_segment_align: 8
    .kernarg_segment_size: 32
    .language:       OpenCL C
    .language_version:
      - 2
      - 0
    .max_flat_workgroup_size: 256
    .name:           _ZN7rocprim17ROCPRIM_400000_NS6detail17trampoline_kernelINS0_14default_configENS1_20scan_config_selectorIfEEZZNS1_9scan_implILNS1_25lookback_scan_determinismE0ELb0ELb0ES3_PKfPffZZZN2at6native31launch_logcumsumexp_cuda_kernelERKNSB_10TensorBaseESF_lENKUlvE_clEvENKUlvE0_clEvEUlffE_fEEDaPvRmT3_T4_T5_mT6_P12ihipStream_tbENKUlT_T0_E_clISt17integral_constantIbLb1EESV_IbLb0EEEEDaSR_SS_EUlSR_E0_NS1_11comp_targetILNS1_3genE9ELNS1_11target_archE1100ELNS1_3gpuE3ELNS1_3repE0EEENS1_30default_config_static_selectorELNS0_4arch9wavefront6targetE1EEEvT1_
    .private_segment_fixed_size: 0
    .sgpr_count:     4
    .sgpr_spill_count: 0
    .symbol:         _ZN7rocprim17ROCPRIM_400000_NS6detail17trampoline_kernelINS0_14default_configENS1_20scan_config_selectorIfEEZZNS1_9scan_implILNS1_25lookback_scan_determinismE0ELb0ELb0ES3_PKfPffZZZN2at6native31launch_logcumsumexp_cuda_kernelERKNSB_10TensorBaseESF_lENKUlvE_clEvENKUlvE0_clEvEUlffE_fEEDaPvRmT3_T4_T5_mT6_P12ihipStream_tbENKUlT_T0_E_clISt17integral_constantIbLb1EESV_IbLb0EEEEDaSR_SS_EUlSR_E0_NS1_11comp_targetILNS1_3genE9ELNS1_11target_archE1100ELNS1_3gpuE3ELNS1_3repE0EEENS1_30default_config_static_selectorELNS0_4arch9wavefront6targetE1EEEvT1_.kd
    .uniform_work_group_size: 1
    .uses_dynamic_stack: false
    .vgpr_count:     0
    .vgpr_spill_count: 0
    .wavefront_size: 64
  - .agpr_count:     0
    .args:
      - .offset:         0
        .size:           32
        .value_kind:     by_value
    .group_segment_fixed_size: 0
    .kernarg_segment_align: 8
    .kernarg_segment_size: 32
    .language:       OpenCL C
    .language_version:
      - 2
      - 0
    .max_flat_workgroup_size: 64
    .name:           _ZN7rocprim17ROCPRIM_400000_NS6detail17trampoline_kernelINS0_14default_configENS1_20scan_config_selectorIfEEZZNS1_9scan_implILNS1_25lookback_scan_determinismE0ELb0ELb0ES3_PKfPffZZZN2at6native31launch_logcumsumexp_cuda_kernelERKNSB_10TensorBaseESF_lENKUlvE_clEvENKUlvE0_clEvEUlffE_fEEDaPvRmT3_T4_T5_mT6_P12ihipStream_tbENKUlT_T0_E_clISt17integral_constantIbLb1EESV_IbLb0EEEEDaSR_SS_EUlSR_E0_NS1_11comp_targetILNS1_3genE8ELNS1_11target_archE1030ELNS1_3gpuE2ELNS1_3repE0EEENS1_30default_config_static_selectorELNS0_4arch9wavefront6targetE1EEEvT1_
    .private_segment_fixed_size: 0
    .sgpr_count:     4
    .sgpr_spill_count: 0
    .symbol:         _ZN7rocprim17ROCPRIM_400000_NS6detail17trampoline_kernelINS0_14default_configENS1_20scan_config_selectorIfEEZZNS1_9scan_implILNS1_25lookback_scan_determinismE0ELb0ELb0ES3_PKfPffZZZN2at6native31launch_logcumsumexp_cuda_kernelERKNSB_10TensorBaseESF_lENKUlvE_clEvENKUlvE0_clEvEUlffE_fEEDaPvRmT3_T4_T5_mT6_P12ihipStream_tbENKUlT_T0_E_clISt17integral_constantIbLb1EESV_IbLb0EEEEDaSR_SS_EUlSR_E0_NS1_11comp_targetILNS1_3genE8ELNS1_11target_archE1030ELNS1_3gpuE2ELNS1_3repE0EEENS1_30default_config_static_selectorELNS0_4arch9wavefront6targetE1EEEvT1_.kd
    .uniform_work_group_size: 1
    .uses_dynamic_stack: false
    .vgpr_count:     0
    .vgpr_spill_count: 0
    .wavefront_size: 64
  - .agpr_count:     0
    .args:
      - .address_space:  global
        .offset:         0
        .size:           8
        .value_kind:     global_buffer
      - .offset:         8
        .size:           4
        .value_kind:     by_value
      - .address_space:  global
        .offset:         16
        .size:           8
        .value_kind:     global_buffer
      - .offset:         24
        .size:           4
        .value_kind:     by_value
      - .address_space:  global
        .offset:         32
        .size:           8
        .value_kind:     global_buffer
      - .offset:         40
        .size:           4
        .value_kind:     hidden_block_count_x
      - .offset:         44
        .size:           4
        .value_kind:     hidden_block_count_y
      - .offset:         48
        .size:           4
        .value_kind:     hidden_block_count_z
      - .offset:         52
        .size:           2
        .value_kind:     hidden_group_size_x
      - .offset:         54
        .size:           2
        .value_kind:     hidden_group_size_y
      - .offset:         56
        .size:           2
        .value_kind:     hidden_group_size_z
      - .offset:         58
        .size:           2
        .value_kind:     hidden_remainder_x
      - .offset:         60
        .size:           2
        .value_kind:     hidden_remainder_y
      - .offset:         62
        .size:           2
        .value_kind:     hidden_remainder_z
      - .offset:         80
        .size:           8
        .value_kind:     hidden_global_offset_x
      - .offset:         88
        .size:           8
        .value_kind:     hidden_global_offset_y
      - .offset:         96
        .size:           8
        .value_kind:     hidden_global_offset_z
      - .offset:         104
        .size:           2
        .value_kind:     hidden_grid_dims
    .group_segment_fixed_size: 0
    .kernarg_segment_align: 8
    .kernarg_segment_size: 296
    .language:       OpenCL C
    .language_version:
      - 2
      - 0
    .max_flat_workgroup_size: 256
    .name:           _ZN7rocprim17ROCPRIM_400000_NS6detail31init_lookback_scan_state_kernelINS1_19lookback_scan_stateIfLb0ELb1EEENS1_16block_id_wrapperIjLb1EEEEEvT_jT0_jPNS7_10value_typeE
    .private_segment_fixed_size: 0
    .sgpr_count:     15
    .sgpr_spill_count: 0
    .symbol:         _ZN7rocprim17ROCPRIM_400000_NS6detail31init_lookback_scan_state_kernelINS1_19lookback_scan_stateIfLb0ELb1EEENS1_16block_id_wrapperIjLb1EEEEEvT_jT0_jPNS7_10value_typeE.kd
    .uniform_work_group_size: 1
    .uses_dynamic_stack: false
    .vgpr_count:     6
    .vgpr_spill_count: 0
    .wavefront_size: 64
  - .agpr_count:     0
    .args:
      - .offset:         0
        .size:           96
        .value_kind:     by_value
    .group_segment_fixed_size: 0
    .kernarg_segment_align: 8
    .kernarg_segment_size: 96
    .language:       OpenCL C
    .language_version:
      - 2
      - 0
    .max_flat_workgroup_size: 256
    .name:           _ZN7rocprim17ROCPRIM_400000_NS6detail17trampoline_kernelINS0_14default_configENS1_20scan_config_selectorIfEEZZNS1_9scan_implILNS1_25lookback_scan_determinismE0ELb0ELb0ES3_PKfPffZZZN2at6native31launch_logcumsumexp_cuda_kernelERKNSB_10TensorBaseESF_lENKUlvE_clEvENKUlvE0_clEvEUlffE_fEEDaPvRmT3_T4_T5_mT6_P12ihipStream_tbENKUlT_T0_E_clISt17integral_constantIbLb0EESV_IbLb1EEEEDaSR_SS_EUlSR_E_NS1_11comp_targetILNS1_3genE0ELNS1_11target_archE4294967295ELNS1_3gpuE0ELNS1_3repE0EEENS1_30default_config_static_selectorELNS0_4arch9wavefront6targetE1EEEvT1_
    .private_segment_fixed_size: 0
    .sgpr_count:     4
    .sgpr_spill_count: 0
    .symbol:         _ZN7rocprim17ROCPRIM_400000_NS6detail17trampoline_kernelINS0_14default_configENS1_20scan_config_selectorIfEEZZNS1_9scan_implILNS1_25lookback_scan_determinismE0ELb0ELb0ES3_PKfPffZZZN2at6native31launch_logcumsumexp_cuda_kernelERKNSB_10TensorBaseESF_lENKUlvE_clEvENKUlvE0_clEvEUlffE_fEEDaPvRmT3_T4_T5_mT6_P12ihipStream_tbENKUlT_T0_E_clISt17integral_constantIbLb0EESV_IbLb1EEEEDaSR_SS_EUlSR_E_NS1_11comp_targetILNS1_3genE0ELNS1_11target_archE4294967295ELNS1_3gpuE0ELNS1_3repE0EEENS1_30default_config_static_selectorELNS0_4arch9wavefront6targetE1EEEvT1_.kd
    .uniform_work_group_size: 1
    .uses_dynamic_stack: false
    .vgpr_count:     0
    .vgpr_spill_count: 0
    .wavefront_size: 64
  - .agpr_count:     0
    .args:
      - .offset:         0
        .size:           96
        .value_kind:     by_value
    .group_segment_fixed_size: 0
    .kernarg_segment_align: 8
    .kernarg_segment_size: 96
    .language:       OpenCL C
    .language_version:
      - 2
      - 0
    .max_flat_workgroup_size: 256
    .name:           _ZN7rocprim17ROCPRIM_400000_NS6detail17trampoline_kernelINS0_14default_configENS1_20scan_config_selectorIfEEZZNS1_9scan_implILNS1_25lookback_scan_determinismE0ELb0ELb0ES3_PKfPffZZZN2at6native31launch_logcumsumexp_cuda_kernelERKNSB_10TensorBaseESF_lENKUlvE_clEvENKUlvE0_clEvEUlffE_fEEDaPvRmT3_T4_T5_mT6_P12ihipStream_tbENKUlT_T0_E_clISt17integral_constantIbLb0EESV_IbLb1EEEEDaSR_SS_EUlSR_E_NS1_11comp_targetILNS1_3genE5ELNS1_11target_archE942ELNS1_3gpuE9ELNS1_3repE0EEENS1_30default_config_static_selectorELNS0_4arch9wavefront6targetE1EEEvT1_
    .private_segment_fixed_size: 0
    .sgpr_count:     4
    .sgpr_spill_count: 0
    .symbol:         _ZN7rocprim17ROCPRIM_400000_NS6detail17trampoline_kernelINS0_14default_configENS1_20scan_config_selectorIfEEZZNS1_9scan_implILNS1_25lookback_scan_determinismE0ELb0ELb0ES3_PKfPffZZZN2at6native31launch_logcumsumexp_cuda_kernelERKNSB_10TensorBaseESF_lENKUlvE_clEvENKUlvE0_clEvEUlffE_fEEDaPvRmT3_T4_T5_mT6_P12ihipStream_tbENKUlT_T0_E_clISt17integral_constantIbLb0EESV_IbLb1EEEEDaSR_SS_EUlSR_E_NS1_11comp_targetILNS1_3genE5ELNS1_11target_archE942ELNS1_3gpuE9ELNS1_3repE0EEENS1_30default_config_static_selectorELNS0_4arch9wavefront6targetE1EEEvT1_.kd
    .uniform_work_group_size: 1
    .uses_dynamic_stack: false
    .vgpr_count:     0
    .vgpr_spill_count: 0
    .wavefront_size: 64
  - .agpr_count:     0
    .args:
      - .offset:         0
        .size:           96
        .value_kind:     by_value
    .group_segment_fixed_size: 7168
    .kernarg_segment_align: 8
    .kernarg_segment_size: 96
    .language:       OpenCL C
    .language_version:
      - 2
      - 0
    .max_flat_workgroup_size: 128
    .name:           _ZN7rocprim17ROCPRIM_400000_NS6detail17trampoline_kernelINS0_14default_configENS1_20scan_config_selectorIfEEZZNS1_9scan_implILNS1_25lookback_scan_determinismE0ELb0ELb0ES3_PKfPffZZZN2at6native31launch_logcumsumexp_cuda_kernelERKNSB_10TensorBaseESF_lENKUlvE_clEvENKUlvE0_clEvEUlffE_fEEDaPvRmT3_T4_T5_mT6_P12ihipStream_tbENKUlT_T0_E_clISt17integral_constantIbLb0EESV_IbLb1EEEEDaSR_SS_EUlSR_E_NS1_11comp_targetILNS1_3genE4ELNS1_11target_archE910ELNS1_3gpuE8ELNS1_3repE0EEENS1_30default_config_static_selectorELNS0_4arch9wavefront6targetE1EEEvT1_
    .private_segment_fixed_size: 0
    .sgpr_count:     76
    .sgpr_spill_count: 0
    .symbol:         _ZN7rocprim17ROCPRIM_400000_NS6detail17trampoline_kernelINS0_14default_configENS1_20scan_config_selectorIfEEZZNS1_9scan_implILNS1_25lookback_scan_determinismE0ELb0ELb0ES3_PKfPffZZZN2at6native31launch_logcumsumexp_cuda_kernelERKNSB_10TensorBaseESF_lENKUlvE_clEvENKUlvE0_clEvEUlffE_fEEDaPvRmT3_T4_T5_mT6_P12ihipStream_tbENKUlT_T0_E_clISt17integral_constantIbLb0EESV_IbLb1EEEEDaSR_SS_EUlSR_E_NS1_11comp_targetILNS1_3genE4ELNS1_11target_archE910ELNS1_3gpuE8ELNS1_3repE0EEENS1_30default_config_static_selectorELNS0_4arch9wavefront6targetE1EEEvT1_.kd
    .uniform_work_group_size: 1
    .uses_dynamic_stack: false
    .vgpr_count:     76
    .vgpr_spill_count: 0
    .wavefront_size: 64
  - .agpr_count:     0
    .args:
      - .offset:         0
        .size:           96
        .value_kind:     by_value
    .group_segment_fixed_size: 0
    .kernarg_segment_align: 8
    .kernarg_segment_size: 96
    .language:       OpenCL C
    .language_version:
      - 2
      - 0
    .max_flat_workgroup_size: 256
    .name:           _ZN7rocprim17ROCPRIM_400000_NS6detail17trampoline_kernelINS0_14default_configENS1_20scan_config_selectorIfEEZZNS1_9scan_implILNS1_25lookback_scan_determinismE0ELb0ELb0ES3_PKfPffZZZN2at6native31launch_logcumsumexp_cuda_kernelERKNSB_10TensorBaseESF_lENKUlvE_clEvENKUlvE0_clEvEUlffE_fEEDaPvRmT3_T4_T5_mT6_P12ihipStream_tbENKUlT_T0_E_clISt17integral_constantIbLb0EESV_IbLb1EEEEDaSR_SS_EUlSR_E_NS1_11comp_targetILNS1_3genE3ELNS1_11target_archE908ELNS1_3gpuE7ELNS1_3repE0EEENS1_30default_config_static_selectorELNS0_4arch9wavefront6targetE1EEEvT1_
    .private_segment_fixed_size: 0
    .sgpr_count:     4
    .sgpr_spill_count: 0
    .symbol:         _ZN7rocprim17ROCPRIM_400000_NS6detail17trampoline_kernelINS0_14default_configENS1_20scan_config_selectorIfEEZZNS1_9scan_implILNS1_25lookback_scan_determinismE0ELb0ELb0ES3_PKfPffZZZN2at6native31launch_logcumsumexp_cuda_kernelERKNSB_10TensorBaseESF_lENKUlvE_clEvENKUlvE0_clEvEUlffE_fEEDaPvRmT3_T4_T5_mT6_P12ihipStream_tbENKUlT_T0_E_clISt17integral_constantIbLb0EESV_IbLb1EEEEDaSR_SS_EUlSR_E_NS1_11comp_targetILNS1_3genE3ELNS1_11target_archE908ELNS1_3gpuE7ELNS1_3repE0EEENS1_30default_config_static_selectorELNS0_4arch9wavefront6targetE1EEEvT1_.kd
    .uniform_work_group_size: 1
    .uses_dynamic_stack: false
    .vgpr_count:     0
    .vgpr_spill_count: 0
    .wavefront_size: 64
  - .agpr_count:     0
    .args:
      - .offset:         0
        .size:           96
        .value_kind:     by_value
    .group_segment_fixed_size: 0
    .kernarg_segment_align: 8
    .kernarg_segment_size: 96
    .language:       OpenCL C
    .language_version:
      - 2
      - 0
    .max_flat_workgroup_size: 256
    .name:           _ZN7rocprim17ROCPRIM_400000_NS6detail17trampoline_kernelINS0_14default_configENS1_20scan_config_selectorIfEEZZNS1_9scan_implILNS1_25lookback_scan_determinismE0ELb0ELb0ES3_PKfPffZZZN2at6native31launch_logcumsumexp_cuda_kernelERKNSB_10TensorBaseESF_lENKUlvE_clEvENKUlvE0_clEvEUlffE_fEEDaPvRmT3_T4_T5_mT6_P12ihipStream_tbENKUlT_T0_E_clISt17integral_constantIbLb0EESV_IbLb1EEEEDaSR_SS_EUlSR_E_NS1_11comp_targetILNS1_3genE2ELNS1_11target_archE906ELNS1_3gpuE6ELNS1_3repE0EEENS1_30default_config_static_selectorELNS0_4arch9wavefront6targetE1EEEvT1_
    .private_segment_fixed_size: 0
    .sgpr_count:     4
    .sgpr_spill_count: 0
    .symbol:         _ZN7rocprim17ROCPRIM_400000_NS6detail17trampoline_kernelINS0_14default_configENS1_20scan_config_selectorIfEEZZNS1_9scan_implILNS1_25lookback_scan_determinismE0ELb0ELb0ES3_PKfPffZZZN2at6native31launch_logcumsumexp_cuda_kernelERKNSB_10TensorBaseESF_lENKUlvE_clEvENKUlvE0_clEvEUlffE_fEEDaPvRmT3_T4_T5_mT6_P12ihipStream_tbENKUlT_T0_E_clISt17integral_constantIbLb0EESV_IbLb1EEEEDaSR_SS_EUlSR_E_NS1_11comp_targetILNS1_3genE2ELNS1_11target_archE906ELNS1_3gpuE6ELNS1_3repE0EEENS1_30default_config_static_selectorELNS0_4arch9wavefront6targetE1EEEvT1_.kd
    .uniform_work_group_size: 1
    .uses_dynamic_stack: false
    .vgpr_count:     0
    .vgpr_spill_count: 0
    .wavefront_size: 64
  - .agpr_count:     0
    .args:
      - .offset:         0
        .size:           96
        .value_kind:     by_value
    .group_segment_fixed_size: 0
    .kernarg_segment_align: 8
    .kernarg_segment_size: 96
    .language:       OpenCL C
    .language_version:
      - 2
      - 0
    .max_flat_workgroup_size: 256
    .name:           _ZN7rocprim17ROCPRIM_400000_NS6detail17trampoline_kernelINS0_14default_configENS1_20scan_config_selectorIfEEZZNS1_9scan_implILNS1_25lookback_scan_determinismE0ELb0ELb0ES3_PKfPffZZZN2at6native31launch_logcumsumexp_cuda_kernelERKNSB_10TensorBaseESF_lENKUlvE_clEvENKUlvE0_clEvEUlffE_fEEDaPvRmT3_T4_T5_mT6_P12ihipStream_tbENKUlT_T0_E_clISt17integral_constantIbLb0EESV_IbLb1EEEEDaSR_SS_EUlSR_E_NS1_11comp_targetILNS1_3genE10ELNS1_11target_archE1201ELNS1_3gpuE5ELNS1_3repE0EEENS1_30default_config_static_selectorELNS0_4arch9wavefront6targetE1EEEvT1_
    .private_segment_fixed_size: 0
    .sgpr_count:     4
    .sgpr_spill_count: 0
    .symbol:         _ZN7rocprim17ROCPRIM_400000_NS6detail17trampoline_kernelINS0_14default_configENS1_20scan_config_selectorIfEEZZNS1_9scan_implILNS1_25lookback_scan_determinismE0ELb0ELb0ES3_PKfPffZZZN2at6native31launch_logcumsumexp_cuda_kernelERKNSB_10TensorBaseESF_lENKUlvE_clEvENKUlvE0_clEvEUlffE_fEEDaPvRmT3_T4_T5_mT6_P12ihipStream_tbENKUlT_T0_E_clISt17integral_constantIbLb0EESV_IbLb1EEEEDaSR_SS_EUlSR_E_NS1_11comp_targetILNS1_3genE10ELNS1_11target_archE1201ELNS1_3gpuE5ELNS1_3repE0EEENS1_30default_config_static_selectorELNS0_4arch9wavefront6targetE1EEEvT1_.kd
    .uniform_work_group_size: 1
    .uses_dynamic_stack: false
    .vgpr_count:     0
    .vgpr_spill_count: 0
    .wavefront_size: 64
  - .agpr_count:     0
    .args:
      - .offset:         0
        .size:           96
        .value_kind:     by_value
    .group_segment_fixed_size: 0
    .kernarg_segment_align: 8
    .kernarg_segment_size: 96
    .language:       OpenCL C
    .language_version:
      - 2
      - 0
    .max_flat_workgroup_size: 256
    .name:           _ZN7rocprim17ROCPRIM_400000_NS6detail17trampoline_kernelINS0_14default_configENS1_20scan_config_selectorIfEEZZNS1_9scan_implILNS1_25lookback_scan_determinismE0ELb0ELb0ES3_PKfPffZZZN2at6native31launch_logcumsumexp_cuda_kernelERKNSB_10TensorBaseESF_lENKUlvE_clEvENKUlvE0_clEvEUlffE_fEEDaPvRmT3_T4_T5_mT6_P12ihipStream_tbENKUlT_T0_E_clISt17integral_constantIbLb0EESV_IbLb1EEEEDaSR_SS_EUlSR_E_NS1_11comp_targetILNS1_3genE10ELNS1_11target_archE1200ELNS1_3gpuE4ELNS1_3repE0EEENS1_30default_config_static_selectorELNS0_4arch9wavefront6targetE1EEEvT1_
    .private_segment_fixed_size: 0
    .sgpr_count:     4
    .sgpr_spill_count: 0
    .symbol:         _ZN7rocprim17ROCPRIM_400000_NS6detail17trampoline_kernelINS0_14default_configENS1_20scan_config_selectorIfEEZZNS1_9scan_implILNS1_25lookback_scan_determinismE0ELb0ELb0ES3_PKfPffZZZN2at6native31launch_logcumsumexp_cuda_kernelERKNSB_10TensorBaseESF_lENKUlvE_clEvENKUlvE0_clEvEUlffE_fEEDaPvRmT3_T4_T5_mT6_P12ihipStream_tbENKUlT_T0_E_clISt17integral_constantIbLb0EESV_IbLb1EEEEDaSR_SS_EUlSR_E_NS1_11comp_targetILNS1_3genE10ELNS1_11target_archE1200ELNS1_3gpuE4ELNS1_3repE0EEENS1_30default_config_static_selectorELNS0_4arch9wavefront6targetE1EEEvT1_.kd
    .uniform_work_group_size: 1
    .uses_dynamic_stack: false
    .vgpr_count:     0
    .vgpr_spill_count: 0
    .wavefront_size: 64
  - .agpr_count:     0
    .args:
      - .offset:         0
        .size:           96
        .value_kind:     by_value
    .group_segment_fixed_size: 0
    .kernarg_segment_align: 8
    .kernarg_segment_size: 96
    .language:       OpenCL C
    .language_version:
      - 2
      - 0
    .max_flat_workgroup_size: 256
    .name:           _ZN7rocprim17ROCPRIM_400000_NS6detail17trampoline_kernelINS0_14default_configENS1_20scan_config_selectorIfEEZZNS1_9scan_implILNS1_25lookback_scan_determinismE0ELb0ELb0ES3_PKfPffZZZN2at6native31launch_logcumsumexp_cuda_kernelERKNSB_10TensorBaseESF_lENKUlvE_clEvENKUlvE0_clEvEUlffE_fEEDaPvRmT3_T4_T5_mT6_P12ihipStream_tbENKUlT_T0_E_clISt17integral_constantIbLb0EESV_IbLb1EEEEDaSR_SS_EUlSR_E_NS1_11comp_targetILNS1_3genE9ELNS1_11target_archE1100ELNS1_3gpuE3ELNS1_3repE0EEENS1_30default_config_static_selectorELNS0_4arch9wavefront6targetE1EEEvT1_
    .private_segment_fixed_size: 0
    .sgpr_count:     4
    .sgpr_spill_count: 0
    .symbol:         _ZN7rocprim17ROCPRIM_400000_NS6detail17trampoline_kernelINS0_14default_configENS1_20scan_config_selectorIfEEZZNS1_9scan_implILNS1_25lookback_scan_determinismE0ELb0ELb0ES3_PKfPffZZZN2at6native31launch_logcumsumexp_cuda_kernelERKNSB_10TensorBaseESF_lENKUlvE_clEvENKUlvE0_clEvEUlffE_fEEDaPvRmT3_T4_T5_mT6_P12ihipStream_tbENKUlT_T0_E_clISt17integral_constantIbLb0EESV_IbLb1EEEEDaSR_SS_EUlSR_E_NS1_11comp_targetILNS1_3genE9ELNS1_11target_archE1100ELNS1_3gpuE3ELNS1_3repE0EEENS1_30default_config_static_selectorELNS0_4arch9wavefront6targetE1EEEvT1_.kd
    .uniform_work_group_size: 1
    .uses_dynamic_stack: false
    .vgpr_count:     0
    .vgpr_spill_count: 0
    .wavefront_size: 64
  - .agpr_count:     0
    .args:
      - .offset:         0
        .size:           96
        .value_kind:     by_value
    .group_segment_fixed_size: 0
    .kernarg_segment_align: 8
    .kernarg_segment_size: 96
    .language:       OpenCL C
    .language_version:
      - 2
      - 0
    .max_flat_workgroup_size: 64
    .name:           _ZN7rocprim17ROCPRIM_400000_NS6detail17trampoline_kernelINS0_14default_configENS1_20scan_config_selectorIfEEZZNS1_9scan_implILNS1_25lookback_scan_determinismE0ELb0ELb0ES3_PKfPffZZZN2at6native31launch_logcumsumexp_cuda_kernelERKNSB_10TensorBaseESF_lENKUlvE_clEvENKUlvE0_clEvEUlffE_fEEDaPvRmT3_T4_T5_mT6_P12ihipStream_tbENKUlT_T0_E_clISt17integral_constantIbLb0EESV_IbLb1EEEEDaSR_SS_EUlSR_E_NS1_11comp_targetILNS1_3genE8ELNS1_11target_archE1030ELNS1_3gpuE2ELNS1_3repE0EEENS1_30default_config_static_selectorELNS0_4arch9wavefront6targetE1EEEvT1_
    .private_segment_fixed_size: 0
    .sgpr_count:     4
    .sgpr_spill_count: 0
    .symbol:         _ZN7rocprim17ROCPRIM_400000_NS6detail17trampoline_kernelINS0_14default_configENS1_20scan_config_selectorIfEEZZNS1_9scan_implILNS1_25lookback_scan_determinismE0ELb0ELb0ES3_PKfPffZZZN2at6native31launch_logcumsumexp_cuda_kernelERKNSB_10TensorBaseESF_lENKUlvE_clEvENKUlvE0_clEvEUlffE_fEEDaPvRmT3_T4_T5_mT6_P12ihipStream_tbENKUlT_T0_E_clISt17integral_constantIbLb0EESV_IbLb1EEEEDaSR_SS_EUlSR_E_NS1_11comp_targetILNS1_3genE8ELNS1_11target_archE1030ELNS1_3gpuE2ELNS1_3repE0EEENS1_30default_config_static_selectorELNS0_4arch9wavefront6targetE1EEEvT1_.kd
    .uniform_work_group_size: 1
    .uses_dynamic_stack: false
    .vgpr_count:     0
    .vgpr_spill_count: 0
    .wavefront_size: 64
  - .agpr_count:     0
    .args:
      - .offset:         0
        .size:           32
        .value_kind:     by_value
    .group_segment_fixed_size: 0
    .kernarg_segment_align: 8
    .kernarg_segment_size: 32
    .language:       OpenCL C
    .language_version:
      - 2
      - 0
    .max_flat_workgroup_size: 256
    .name:           _ZN7rocprim17ROCPRIM_400000_NS6detail17trampoline_kernelINS0_14default_configENS1_20scan_config_selectorIfEEZZNS1_9scan_implILNS1_25lookback_scan_determinismE0ELb0ELb0ES3_PKfPffZZZN2at6native31launch_logcumsumexp_cuda_kernelERKNSB_10TensorBaseESF_lENKUlvE_clEvENKUlvE0_clEvEUlffE_fEEDaPvRmT3_T4_T5_mT6_P12ihipStream_tbENKUlT_T0_E_clISt17integral_constantIbLb0EESV_IbLb1EEEEDaSR_SS_EUlSR_E0_NS1_11comp_targetILNS1_3genE0ELNS1_11target_archE4294967295ELNS1_3gpuE0ELNS1_3repE0EEENS1_30default_config_static_selectorELNS0_4arch9wavefront6targetE1EEEvT1_
    .private_segment_fixed_size: 0
    .sgpr_count:     4
    .sgpr_spill_count: 0
    .symbol:         _ZN7rocprim17ROCPRIM_400000_NS6detail17trampoline_kernelINS0_14default_configENS1_20scan_config_selectorIfEEZZNS1_9scan_implILNS1_25lookback_scan_determinismE0ELb0ELb0ES3_PKfPffZZZN2at6native31launch_logcumsumexp_cuda_kernelERKNSB_10TensorBaseESF_lENKUlvE_clEvENKUlvE0_clEvEUlffE_fEEDaPvRmT3_T4_T5_mT6_P12ihipStream_tbENKUlT_T0_E_clISt17integral_constantIbLb0EESV_IbLb1EEEEDaSR_SS_EUlSR_E0_NS1_11comp_targetILNS1_3genE0ELNS1_11target_archE4294967295ELNS1_3gpuE0ELNS1_3repE0EEENS1_30default_config_static_selectorELNS0_4arch9wavefront6targetE1EEEvT1_.kd
    .uniform_work_group_size: 1
    .uses_dynamic_stack: false
    .vgpr_count:     0
    .vgpr_spill_count: 0
    .wavefront_size: 64
  - .agpr_count:     0
    .args:
      - .offset:         0
        .size:           32
        .value_kind:     by_value
    .group_segment_fixed_size: 0
    .kernarg_segment_align: 8
    .kernarg_segment_size: 32
    .language:       OpenCL C
    .language_version:
      - 2
      - 0
    .max_flat_workgroup_size: 256
    .name:           _ZN7rocprim17ROCPRIM_400000_NS6detail17trampoline_kernelINS0_14default_configENS1_20scan_config_selectorIfEEZZNS1_9scan_implILNS1_25lookback_scan_determinismE0ELb0ELb0ES3_PKfPffZZZN2at6native31launch_logcumsumexp_cuda_kernelERKNSB_10TensorBaseESF_lENKUlvE_clEvENKUlvE0_clEvEUlffE_fEEDaPvRmT3_T4_T5_mT6_P12ihipStream_tbENKUlT_T0_E_clISt17integral_constantIbLb0EESV_IbLb1EEEEDaSR_SS_EUlSR_E0_NS1_11comp_targetILNS1_3genE5ELNS1_11target_archE942ELNS1_3gpuE9ELNS1_3repE0EEENS1_30default_config_static_selectorELNS0_4arch9wavefront6targetE1EEEvT1_
    .private_segment_fixed_size: 0
    .sgpr_count:     4
    .sgpr_spill_count: 0
    .symbol:         _ZN7rocprim17ROCPRIM_400000_NS6detail17trampoline_kernelINS0_14default_configENS1_20scan_config_selectorIfEEZZNS1_9scan_implILNS1_25lookback_scan_determinismE0ELb0ELb0ES3_PKfPffZZZN2at6native31launch_logcumsumexp_cuda_kernelERKNSB_10TensorBaseESF_lENKUlvE_clEvENKUlvE0_clEvEUlffE_fEEDaPvRmT3_T4_T5_mT6_P12ihipStream_tbENKUlT_T0_E_clISt17integral_constantIbLb0EESV_IbLb1EEEEDaSR_SS_EUlSR_E0_NS1_11comp_targetILNS1_3genE5ELNS1_11target_archE942ELNS1_3gpuE9ELNS1_3repE0EEENS1_30default_config_static_selectorELNS0_4arch9wavefront6targetE1EEEvT1_.kd
    .uniform_work_group_size: 1
    .uses_dynamic_stack: false
    .vgpr_count:     0
    .vgpr_spill_count: 0
    .wavefront_size: 64
  - .agpr_count:     0
    .args:
      - .offset:         0
        .size:           32
        .value_kind:     by_value
    .group_segment_fixed_size: 7168
    .kernarg_segment_align: 8
    .kernarg_segment_size: 32
    .language:       OpenCL C
    .language_version:
      - 2
      - 0
    .max_flat_workgroup_size: 128
    .name:           _ZN7rocprim17ROCPRIM_400000_NS6detail17trampoline_kernelINS0_14default_configENS1_20scan_config_selectorIfEEZZNS1_9scan_implILNS1_25lookback_scan_determinismE0ELb0ELb0ES3_PKfPffZZZN2at6native31launch_logcumsumexp_cuda_kernelERKNSB_10TensorBaseESF_lENKUlvE_clEvENKUlvE0_clEvEUlffE_fEEDaPvRmT3_T4_T5_mT6_P12ihipStream_tbENKUlT_T0_E_clISt17integral_constantIbLb0EESV_IbLb1EEEEDaSR_SS_EUlSR_E0_NS1_11comp_targetILNS1_3genE4ELNS1_11target_archE910ELNS1_3gpuE8ELNS1_3repE0EEENS1_30default_config_static_selectorELNS0_4arch9wavefront6targetE1EEEvT1_
    .private_segment_fixed_size: 0
    .sgpr_count:     74
    .sgpr_spill_count: 0
    .symbol:         _ZN7rocprim17ROCPRIM_400000_NS6detail17trampoline_kernelINS0_14default_configENS1_20scan_config_selectorIfEEZZNS1_9scan_implILNS1_25lookback_scan_determinismE0ELb0ELb0ES3_PKfPffZZZN2at6native31launch_logcumsumexp_cuda_kernelERKNSB_10TensorBaseESF_lENKUlvE_clEvENKUlvE0_clEvEUlffE_fEEDaPvRmT3_T4_T5_mT6_P12ihipStream_tbENKUlT_T0_E_clISt17integral_constantIbLb0EESV_IbLb1EEEEDaSR_SS_EUlSR_E0_NS1_11comp_targetILNS1_3genE4ELNS1_11target_archE910ELNS1_3gpuE8ELNS1_3repE0EEENS1_30default_config_static_selectorELNS0_4arch9wavefront6targetE1EEEvT1_.kd
    .uniform_work_group_size: 1
    .uses_dynamic_stack: false
    .vgpr_count:     57
    .vgpr_spill_count: 0
    .wavefront_size: 64
  - .agpr_count:     0
    .args:
      - .offset:         0
        .size:           32
        .value_kind:     by_value
    .group_segment_fixed_size: 0
    .kernarg_segment_align: 8
    .kernarg_segment_size: 32
    .language:       OpenCL C
    .language_version:
      - 2
      - 0
    .max_flat_workgroup_size: 256
    .name:           _ZN7rocprim17ROCPRIM_400000_NS6detail17trampoline_kernelINS0_14default_configENS1_20scan_config_selectorIfEEZZNS1_9scan_implILNS1_25lookback_scan_determinismE0ELb0ELb0ES3_PKfPffZZZN2at6native31launch_logcumsumexp_cuda_kernelERKNSB_10TensorBaseESF_lENKUlvE_clEvENKUlvE0_clEvEUlffE_fEEDaPvRmT3_T4_T5_mT6_P12ihipStream_tbENKUlT_T0_E_clISt17integral_constantIbLb0EESV_IbLb1EEEEDaSR_SS_EUlSR_E0_NS1_11comp_targetILNS1_3genE3ELNS1_11target_archE908ELNS1_3gpuE7ELNS1_3repE0EEENS1_30default_config_static_selectorELNS0_4arch9wavefront6targetE1EEEvT1_
    .private_segment_fixed_size: 0
    .sgpr_count:     4
    .sgpr_spill_count: 0
    .symbol:         _ZN7rocprim17ROCPRIM_400000_NS6detail17trampoline_kernelINS0_14default_configENS1_20scan_config_selectorIfEEZZNS1_9scan_implILNS1_25lookback_scan_determinismE0ELb0ELb0ES3_PKfPffZZZN2at6native31launch_logcumsumexp_cuda_kernelERKNSB_10TensorBaseESF_lENKUlvE_clEvENKUlvE0_clEvEUlffE_fEEDaPvRmT3_T4_T5_mT6_P12ihipStream_tbENKUlT_T0_E_clISt17integral_constantIbLb0EESV_IbLb1EEEEDaSR_SS_EUlSR_E0_NS1_11comp_targetILNS1_3genE3ELNS1_11target_archE908ELNS1_3gpuE7ELNS1_3repE0EEENS1_30default_config_static_selectorELNS0_4arch9wavefront6targetE1EEEvT1_.kd
    .uniform_work_group_size: 1
    .uses_dynamic_stack: false
    .vgpr_count:     0
    .vgpr_spill_count: 0
    .wavefront_size: 64
  - .agpr_count:     0
    .args:
      - .offset:         0
        .size:           32
        .value_kind:     by_value
    .group_segment_fixed_size: 0
    .kernarg_segment_align: 8
    .kernarg_segment_size: 32
    .language:       OpenCL C
    .language_version:
      - 2
      - 0
    .max_flat_workgroup_size: 256
    .name:           _ZN7rocprim17ROCPRIM_400000_NS6detail17trampoline_kernelINS0_14default_configENS1_20scan_config_selectorIfEEZZNS1_9scan_implILNS1_25lookback_scan_determinismE0ELb0ELb0ES3_PKfPffZZZN2at6native31launch_logcumsumexp_cuda_kernelERKNSB_10TensorBaseESF_lENKUlvE_clEvENKUlvE0_clEvEUlffE_fEEDaPvRmT3_T4_T5_mT6_P12ihipStream_tbENKUlT_T0_E_clISt17integral_constantIbLb0EESV_IbLb1EEEEDaSR_SS_EUlSR_E0_NS1_11comp_targetILNS1_3genE2ELNS1_11target_archE906ELNS1_3gpuE6ELNS1_3repE0EEENS1_30default_config_static_selectorELNS0_4arch9wavefront6targetE1EEEvT1_
    .private_segment_fixed_size: 0
    .sgpr_count:     4
    .sgpr_spill_count: 0
    .symbol:         _ZN7rocprim17ROCPRIM_400000_NS6detail17trampoline_kernelINS0_14default_configENS1_20scan_config_selectorIfEEZZNS1_9scan_implILNS1_25lookback_scan_determinismE0ELb0ELb0ES3_PKfPffZZZN2at6native31launch_logcumsumexp_cuda_kernelERKNSB_10TensorBaseESF_lENKUlvE_clEvENKUlvE0_clEvEUlffE_fEEDaPvRmT3_T4_T5_mT6_P12ihipStream_tbENKUlT_T0_E_clISt17integral_constantIbLb0EESV_IbLb1EEEEDaSR_SS_EUlSR_E0_NS1_11comp_targetILNS1_3genE2ELNS1_11target_archE906ELNS1_3gpuE6ELNS1_3repE0EEENS1_30default_config_static_selectorELNS0_4arch9wavefront6targetE1EEEvT1_.kd
    .uniform_work_group_size: 1
    .uses_dynamic_stack: false
    .vgpr_count:     0
    .vgpr_spill_count: 0
    .wavefront_size: 64
  - .agpr_count:     0
    .args:
      - .offset:         0
        .size:           32
        .value_kind:     by_value
    .group_segment_fixed_size: 0
    .kernarg_segment_align: 8
    .kernarg_segment_size: 32
    .language:       OpenCL C
    .language_version:
      - 2
      - 0
    .max_flat_workgroup_size: 256
    .name:           _ZN7rocprim17ROCPRIM_400000_NS6detail17trampoline_kernelINS0_14default_configENS1_20scan_config_selectorIfEEZZNS1_9scan_implILNS1_25lookback_scan_determinismE0ELb0ELb0ES3_PKfPffZZZN2at6native31launch_logcumsumexp_cuda_kernelERKNSB_10TensorBaseESF_lENKUlvE_clEvENKUlvE0_clEvEUlffE_fEEDaPvRmT3_T4_T5_mT6_P12ihipStream_tbENKUlT_T0_E_clISt17integral_constantIbLb0EESV_IbLb1EEEEDaSR_SS_EUlSR_E0_NS1_11comp_targetILNS1_3genE10ELNS1_11target_archE1201ELNS1_3gpuE5ELNS1_3repE0EEENS1_30default_config_static_selectorELNS0_4arch9wavefront6targetE1EEEvT1_
    .private_segment_fixed_size: 0
    .sgpr_count:     4
    .sgpr_spill_count: 0
    .symbol:         _ZN7rocprim17ROCPRIM_400000_NS6detail17trampoline_kernelINS0_14default_configENS1_20scan_config_selectorIfEEZZNS1_9scan_implILNS1_25lookback_scan_determinismE0ELb0ELb0ES3_PKfPffZZZN2at6native31launch_logcumsumexp_cuda_kernelERKNSB_10TensorBaseESF_lENKUlvE_clEvENKUlvE0_clEvEUlffE_fEEDaPvRmT3_T4_T5_mT6_P12ihipStream_tbENKUlT_T0_E_clISt17integral_constantIbLb0EESV_IbLb1EEEEDaSR_SS_EUlSR_E0_NS1_11comp_targetILNS1_3genE10ELNS1_11target_archE1201ELNS1_3gpuE5ELNS1_3repE0EEENS1_30default_config_static_selectorELNS0_4arch9wavefront6targetE1EEEvT1_.kd
    .uniform_work_group_size: 1
    .uses_dynamic_stack: false
    .vgpr_count:     0
    .vgpr_spill_count: 0
    .wavefront_size: 64
  - .agpr_count:     0
    .args:
      - .offset:         0
        .size:           32
        .value_kind:     by_value
    .group_segment_fixed_size: 0
    .kernarg_segment_align: 8
    .kernarg_segment_size: 32
    .language:       OpenCL C
    .language_version:
      - 2
      - 0
    .max_flat_workgroup_size: 256
    .name:           _ZN7rocprim17ROCPRIM_400000_NS6detail17trampoline_kernelINS0_14default_configENS1_20scan_config_selectorIfEEZZNS1_9scan_implILNS1_25lookback_scan_determinismE0ELb0ELb0ES3_PKfPffZZZN2at6native31launch_logcumsumexp_cuda_kernelERKNSB_10TensorBaseESF_lENKUlvE_clEvENKUlvE0_clEvEUlffE_fEEDaPvRmT3_T4_T5_mT6_P12ihipStream_tbENKUlT_T0_E_clISt17integral_constantIbLb0EESV_IbLb1EEEEDaSR_SS_EUlSR_E0_NS1_11comp_targetILNS1_3genE10ELNS1_11target_archE1200ELNS1_3gpuE4ELNS1_3repE0EEENS1_30default_config_static_selectorELNS0_4arch9wavefront6targetE1EEEvT1_
    .private_segment_fixed_size: 0
    .sgpr_count:     4
    .sgpr_spill_count: 0
    .symbol:         _ZN7rocprim17ROCPRIM_400000_NS6detail17trampoline_kernelINS0_14default_configENS1_20scan_config_selectorIfEEZZNS1_9scan_implILNS1_25lookback_scan_determinismE0ELb0ELb0ES3_PKfPffZZZN2at6native31launch_logcumsumexp_cuda_kernelERKNSB_10TensorBaseESF_lENKUlvE_clEvENKUlvE0_clEvEUlffE_fEEDaPvRmT3_T4_T5_mT6_P12ihipStream_tbENKUlT_T0_E_clISt17integral_constantIbLb0EESV_IbLb1EEEEDaSR_SS_EUlSR_E0_NS1_11comp_targetILNS1_3genE10ELNS1_11target_archE1200ELNS1_3gpuE4ELNS1_3repE0EEENS1_30default_config_static_selectorELNS0_4arch9wavefront6targetE1EEEvT1_.kd
    .uniform_work_group_size: 1
    .uses_dynamic_stack: false
    .vgpr_count:     0
    .vgpr_spill_count: 0
    .wavefront_size: 64
  - .agpr_count:     0
    .args:
      - .offset:         0
        .size:           32
        .value_kind:     by_value
    .group_segment_fixed_size: 0
    .kernarg_segment_align: 8
    .kernarg_segment_size: 32
    .language:       OpenCL C
    .language_version:
      - 2
      - 0
    .max_flat_workgroup_size: 256
    .name:           _ZN7rocprim17ROCPRIM_400000_NS6detail17trampoline_kernelINS0_14default_configENS1_20scan_config_selectorIfEEZZNS1_9scan_implILNS1_25lookback_scan_determinismE0ELb0ELb0ES3_PKfPffZZZN2at6native31launch_logcumsumexp_cuda_kernelERKNSB_10TensorBaseESF_lENKUlvE_clEvENKUlvE0_clEvEUlffE_fEEDaPvRmT3_T4_T5_mT6_P12ihipStream_tbENKUlT_T0_E_clISt17integral_constantIbLb0EESV_IbLb1EEEEDaSR_SS_EUlSR_E0_NS1_11comp_targetILNS1_3genE9ELNS1_11target_archE1100ELNS1_3gpuE3ELNS1_3repE0EEENS1_30default_config_static_selectorELNS0_4arch9wavefront6targetE1EEEvT1_
    .private_segment_fixed_size: 0
    .sgpr_count:     4
    .sgpr_spill_count: 0
    .symbol:         _ZN7rocprim17ROCPRIM_400000_NS6detail17trampoline_kernelINS0_14default_configENS1_20scan_config_selectorIfEEZZNS1_9scan_implILNS1_25lookback_scan_determinismE0ELb0ELb0ES3_PKfPffZZZN2at6native31launch_logcumsumexp_cuda_kernelERKNSB_10TensorBaseESF_lENKUlvE_clEvENKUlvE0_clEvEUlffE_fEEDaPvRmT3_T4_T5_mT6_P12ihipStream_tbENKUlT_T0_E_clISt17integral_constantIbLb0EESV_IbLb1EEEEDaSR_SS_EUlSR_E0_NS1_11comp_targetILNS1_3genE9ELNS1_11target_archE1100ELNS1_3gpuE3ELNS1_3repE0EEENS1_30default_config_static_selectorELNS0_4arch9wavefront6targetE1EEEvT1_.kd
    .uniform_work_group_size: 1
    .uses_dynamic_stack: false
    .vgpr_count:     0
    .vgpr_spill_count: 0
    .wavefront_size: 64
  - .agpr_count:     0
    .args:
      - .offset:         0
        .size:           32
        .value_kind:     by_value
    .group_segment_fixed_size: 0
    .kernarg_segment_align: 8
    .kernarg_segment_size: 32
    .language:       OpenCL C
    .language_version:
      - 2
      - 0
    .max_flat_workgroup_size: 64
    .name:           _ZN7rocprim17ROCPRIM_400000_NS6detail17trampoline_kernelINS0_14default_configENS1_20scan_config_selectorIfEEZZNS1_9scan_implILNS1_25lookback_scan_determinismE0ELb0ELb0ES3_PKfPffZZZN2at6native31launch_logcumsumexp_cuda_kernelERKNSB_10TensorBaseESF_lENKUlvE_clEvENKUlvE0_clEvEUlffE_fEEDaPvRmT3_T4_T5_mT6_P12ihipStream_tbENKUlT_T0_E_clISt17integral_constantIbLb0EESV_IbLb1EEEEDaSR_SS_EUlSR_E0_NS1_11comp_targetILNS1_3genE8ELNS1_11target_archE1030ELNS1_3gpuE2ELNS1_3repE0EEENS1_30default_config_static_selectorELNS0_4arch9wavefront6targetE1EEEvT1_
    .private_segment_fixed_size: 0
    .sgpr_count:     4
    .sgpr_spill_count: 0
    .symbol:         _ZN7rocprim17ROCPRIM_400000_NS6detail17trampoline_kernelINS0_14default_configENS1_20scan_config_selectorIfEEZZNS1_9scan_implILNS1_25lookback_scan_determinismE0ELb0ELb0ES3_PKfPffZZZN2at6native31launch_logcumsumexp_cuda_kernelERKNSB_10TensorBaseESF_lENKUlvE_clEvENKUlvE0_clEvEUlffE_fEEDaPvRmT3_T4_T5_mT6_P12ihipStream_tbENKUlT_T0_E_clISt17integral_constantIbLb0EESV_IbLb1EEEEDaSR_SS_EUlSR_E0_NS1_11comp_targetILNS1_3genE8ELNS1_11target_archE1030ELNS1_3gpuE2ELNS1_3repE0EEENS1_30default_config_static_selectorELNS0_4arch9wavefront6targetE1EEEvT1_.kd
    .uniform_work_group_size: 1
    .uses_dynamic_stack: false
    .vgpr_count:     0
    .vgpr_spill_count: 0
    .wavefront_size: 64
  - .agpr_count:     0
    .args:
      - .address_space:  global
        .offset:         0
        .size:           8
        .value_kind:     global_buffer
      - .address_space:  global
        .offset:         8
        .size:           8
        .value_kind:     global_buffer
      - .offset:         16
        .size:           4
        .value_kind:     by_value
      - .offset:         20
        .size:           4
        .value_kind:     by_value
      - .offset:         24
        .size:           4
        .value_kind:     by_value
      - .offset:         28
        .size:           4
        .value_kind:     by_value
      - .offset:         32
        .size:           1
        .value_kind:     by_value
      - .offset:         40
        .size:           4
        .value_kind:     hidden_block_count_x
      - .offset:         44
        .size:           4
        .value_kind:     hidden_block_count_y
      - .offset:         48
        .size:           4
        .value_kind:     hidden_block_count_z
      - .offset:         52
        .size:           2
        .value_kind:     hidden_group_size_x
      - .offset:         54
        .size:           2
        .value_kind:     hidden_group_size_y
      - .offset:         56
        .size:           2
        .value_kind:     hidden_group_size_z
      - .offset:         58
        .size:           2
        .value_kind:     hidden_remainder_x
      - .offset:         60
        .size:           2
        .value_kind:     hidden_remainder_y
      - .offset:         62
        .size:           2
        .value_kind:     hidden_remainder_z
      - .offset:         80
        .size:           8
        .value_kind:     hidden_global_offset_x
      - .offset:         88
        .size:           8
        .value_kind:     hidden_global_offset_y
      - .offset:         96
        .size:           8
        .value_kind:     hidden_global_offset_z
      - .offset:         104
        .size:           2
        .value_kind:     hidden_grid_dims
      - .offset:         160
        .size:           4
        .value_kind:     hidden_dynamic_lds_size
    .group_segment_fixed_size: 0
    .kernarg_segment_align: 8
    .kernarg_segment_size: 296
    .language:       OpenCL C
    .language_version:
      - 2
      - 0
    .max_flat_workgroup_size: 1024
    .name:           _ZN2at6native32tensor_kernel_scan_innermost_dimIfZZZNS0_31launch_logcumsumexp_cuda_kernelERKNS_10TensorBaseES4_lENKUlvE_clEvENKUlvE0_clEvEUlffE_EEvPT_PKS8_jjjS8_T0_
    .private_segment_fixed_size: 0
    .sgpr_count:     48
    .sgpr_spill_count: 0
    .symbol:         _ZN2at6native32tensor_kernel_scan_innermost_dimIfZZZNS0_31launch_logcumsumexp_cuda_kernelERKNS_10TensorBaseES4_lENKUlvE_clEvENKUlvE0_clEvEUlffE_EEvPT_PKS8_jjjS8_T0_.kd
    .uniform_work_group_size: 1
    .uses_dynamic_stack: false
    .vgpr_count:     39
    .vgpr_spill_count: 0
    .wavefront_size: 64
  - .agpr_count:     0
    .args:
      - .address_space:  global
        .offset:         0
        .size:           8
        .value_kind:     global_buffer
      - .address_space:  global
        .offset:         8
        .size:           8
        .value_kind:     global_buffer
      - .offset:         16
        .size:           4
        .value_kind:     by_value
      - .offset:         20
        .size:           4
        .value_kind:     by_value
      - .offset:         24
        .size:           4
        .value_kind:     by_value
      - .offset:         28
        .size:           4
        .value_kind:     by_value
      - .offset:         32
        .size:           1
        .value_kind:     by_value
      - .offset:         40
        .size:           4
        .value_kind:     hidden_block_count_x
      - .offset:         44
        .size:           4
        .value_kind:     hidden_block_count_y
      - .offset:         48
        .size:           4
        .value_kind:     hidden_block_count_z
      - .offset:         52
        .size:           2
        .value_kind:     hidden_group_size_x
      - .offset:         54
        .size:           2
        .value_kind:     hidden_group_size_y
      - .offset:         56
        .size:           2
        .value_kind:     hidden_group_size_z
      - .offset:         58
        .size:           2
        .value_kind:     hidden_remainder_x
      - .offset:         60
        .size:           2
        .value_kind:     hidden_remainder_y
      - .offset:         62
        .size:           2
        .value_kind:     hidden_remainder_z
      - .offset:         80
        .size:           8
        .value_kind:     hidden_global_offset_x
      - .offset:         88
        .size:           8
        .value_kind:     hidden_global_offset_y
      - .offset:         96
        .size:           8
        .value_kind:     hidden_global_offset_z
      - .offset:         104
        .size:           2
        .value_kind:     hidden_grid_dims
    .group_segment_fixed_size: 0
    .kernarg_segment_align: 8
    .kernarg_segment_size: 296
    .language:       OpenCL C
    .language_version:
      - 2
      - 0
    .max_flat_workgroup_size: 1024
    .name:           _ZN2at6native28tensor_kernel_scan_outer_dimIfjZZZNS0_31launch_logcumsumexp_cuda_kernelERKNS_10TensorBaseES4_lENKUlvE_clEvENKUlvE0_clEvEUlffE_EEvPT_PKS8_jjjS8_T1_
    .private_segment_fixed_size: 0
    .sgpr_count:     48
    .sgpr_spill_count: 0
    .symbol:         _ZN2at6native28tensor_kernel_scan_outer_dimIfjZZZNS0_31launch_logcumsumexp_cuda_kernelERKNS_10TensorBaseES4_lENKUlvE_clEvENKUlvE0_clEvEUlffE_EEvPT_PKS8_jjjS8_T1_.kd
    .uniform_work_group_size: 1
    .uses_dynamic_stack: false
    .vgpr_count:     27
    .vgpr_spill_count: 0
    .wavefront_size: 64
  - .agpr_count:     0
    .args:
      - .address_space:  global
        .offset:         0
        .size:           8
        .value_kind:     global_buffer
      - .address_space:  global
        .offset:         8
        .size:           8
        .value_kind:     global_buffer
      - .offset:         16
        .size:           4
        .value_kind:     by_value
      - .offset:         20
        .size:           4
        .value_kind:     by_value
      - .offset:         24
        .size:           4
        .value_kind:     by_value
      - .offset:         28
        .size:           4
        .value_kind:     by_value
      - .offset:         32
        .size:           1
        .value_kind:     by_value
      - .offset:         40
        .size:           4
        .value_kind:     hidden_block_count_x
      - .offset:         44
        .size:           4
        .value_kind:     hidden_block_count_y
      - .offset:         48
        .size:           4
        .value_kind:     hidden_block_count_z
      - .offset:         52
        .size:           2
        .value_kind:     hidden_group_size_x
      - .offset:         54
        .size:           2
        .value_kind:     hidden_group_size_y
      - .offset:         56
        .size:           2
        .value_kind:     hidden_group_size_z
      - .offset:         58
        .size:           2
        .value_kind:     hidden_remainder_x
      - .offset:         60
        .size:           2
        .value_kind:     hidden_remainder_y
      - .offset:         62
        .size:           2
        .value_kind:     hidden_remainder_z
      - .offset:         80
        .size:           8
        .value_kind:     hidden_global_offset_x
      - .offset:         88
        .size:           8
        .value_kind:     hidden_global_offset_y
      - .offset:         96
        .size:           8
        .value_kind:     hidden_global_offset_z
      - .offset:         104
        .size:           2
        .value_kind:     hidden_grid_dims
    .group_segment_fixed_size: 0
    .kernarg_segment_align: 8
    .kernarg_segment_size: 296
    .language:       OpenCL C
    .language_version:
      - 2
      - 0
    .max_flat_workgroup_size: 1024
    .name:           _ZN2at6native28tensor_kernel_scan_outer_dimIfmZZZNS0_31launch_logcumsumexp_cuda_kernelERKNS_10TensorBaseES4_lENKUlvE_clEvENKUlvE0_clEvEUlffE_EEvPT_PKS8_jjjS8_T1_
    .private_segment_fixed_size: 0
    .sgpr_count:     46
    .sgpr_spill_count: 0
    .symbol:         _ZN2at6native28tensor_kernel_scan_outer_dimIfmZZZNS0_31launch_logcumsumexp_cuda_kernelERKNS_10TensorBaseES4_lENKUlvE_clEvENKUlvE0_clEvEUlffE_EEvPT_PKS8_jjjS8_T1_.kd
    .uniform_work_group_size: 1
    .uses_dynamic_stack: false
    .vgpr_count:     27
    .vgpr_spill_count: 0
    .wavefront_size: 64
  - .agpr_count:     0
    .args:
      - .offset:         0
        .size:           24
        .value_kind:     by_value
      - .offset:         24
        .size:           4
        .value_kind:     by_value
      - .offset:         28
        .size:           1
        .value_kind:     by_value
      - .offset:         32
        .size:           4
        .value_kind:     by_value
      - .address_space:  global
        .offset:         40
        .size:           8
        .value_kind:     global_buffer
      - .offset:         48
        .size:           4
        .value_kind:     hidden_block_count_x
      - .offset:         52
        .size:           4
        .value_kind:     hidden_block_count_y
      - .offset:         56
        .size:           4
        .value_kind:     hidden_block_count_z
      - .offset:         60
        .size:           2
        .value_kind:     hidden_group_size_x
      - .offset:         62
        .size:           2
        .value_kind:     hidden_group_size_y
      - .offset:         64
        .size:           2
        .value_kind:     hidden_group_size_z
      - .offset:         66
        .size:           2
        .value_kind:     hidden_remainder_x
      - .offset:         68
        .size:           2
        .value_kind:     hidden_remainder_y
      - .offset:         70
        .size:           2
        .value_kind:     hidden_remainder_z
      - .offset:         88
        .size:           8
        .value_kind:     hidden_global_offset_x
      - .offset:         96
        .size:           8
        .value_kind:     hidden_global_offset_y
      - .offset:         104
        .size:           8
        .value_kind:     hidden_global_offset_z
      - .offset:         112
        .size:           2
        .value_kind:     hidden_grid_dims
    .group_segment_fixed_size: 0
    .kernarg_segment_align: 8
    .kernarg_segment_size: 304
    .language:       OpenCL C
    .language_version:
      - 2
      - 0
    .max_flat_workgroup_size: 256
    .name:           _ZN7rocprim17ROCPRIM_400000_NS6detail31init_lookback_scan_state_kernelINS1_19lookback_scan_stateIN3c107complexIdEELb0ELb0EEENS1_16block_id_wrapperIjLb0EEEEEvT_jT0_jPNSA_10value_typeE
    .private_segment_fixed_size: 0
    .sgpr_count:     20
    .sgpr_spill_count: 0
    .symbol:         _ZN7rocprim17ROCPRIM_400000_NS6detail31init_lookback_scan_state_kernelINS1_19lookback_scan_stateIN3c107complexIdEELb0ELb0EEENS1_16block_id_wrapperIjLb0EEEEEvT_jT0_jPNSA_10value_typeE.kd
    .uniform_work_group_size: 1
    .uses_dynamic_stack: false
    .vgpr_count:     6
    .vgpr_spill_count: 0
    .wavefront_size: 64
  - .agpr_count:     0
    .args:
      - .offset:         0
        .size:           128
        .value_kind:     by_value
    .group_segment_fixed_size: 0
    .kernarg_segment_align: 16
    .kernarg_segment_size: 128
    .language:       OpenCL C
    .language_version:
      - 2
      - 0
    .max_flat_workgroup_size: 128
    .name:           _ZN7rocprim17ROCPRIM_400000_NS6detail17trampoline_kernelINS0_14default_configENS1_20scan_config_selectorIN3c107complexIdEEEEZZNS1_9scan_implILNS1_25lookback_scan_determinismE0ELb0ELb0ES3_PKS7_PS7_S7_ZZZN2at6native31launch_logcumsumexp_cuda_kernelERKNSE_10TensorBaseESI_lENKUlvE_clEvENKUlvE1_clEvEUlS7_S7_E_S7_EEDaPvRmT3_T4_T5_mT6_P12ihipStream_tbENKUlT_T0_E_clISt17integral_constantIbLb0EESZ_EEDaSU_SV_EUlSU_E_NS1_11comp_targetILNS1_3genE0ELNS1_11target_archE4294967295ELNS1_3gpuE0ELNS1_3repE0EEENS1_30default_config_static_selectorELNS0_4arch9wavefront6targetE1EEEvT1_
    .private_segment_fixed_size: 0
    .sgpr_count:     4
    .sgpr_spill_count: 0
    .symbol:         _ZN7rocprim17ROCPRIM_400000_NS6detail17trampoline_kernelINS0_14default_configENS1_20scan_config_selectorIN3c107complexIdEEEEZZNS1_9scan_implILNS1_25lookback_scan_determinismE0ELb0ELb0ES3_PKS7_PS7_S7_ZZZN2at6native31launch_logcumsumexp_cuda_kernelERKNSE_10TensorBaseESI_lENKUlvE_clEvENKUlvE1_clEvEUlS7_S7_E_S7_EEDaPvRmT3_T4_T5_mT6_P12ihipStream_tbENKUlT_T0_E_clISt17integral_constantIbLb0EESZ_EEDaSU_SV_EUlSU_E_NS1_11comp_targetILNS1_3genE0ELNS1_11target_archE4294967295ELNS1_3gpuE0ELNS1_3repE0EEENS1_30default_config_static_selectorELNS0_4arch9wavefront6targetE1EEEvT1_.kd
    .uniform_work_group_size: 1
    .uses_dynamic_stack: false
    .vgpr_count:     0
    .vgpr_spill_count: 0
    .wavefront_size: 64
  - .agpr_count:     0
    .args:
      - .offset:         0
        .size:           128
        .value_kind:     by_value
    .group_segment_fixed_size: 0
    .kernarg_segment_align: 16
    .kernarg_segment_size: 128
    .language:       OpenCL C
    .language_version:
      - 2
      - 0
    .max_flat_workgroup_size: 256
    .name:           _ZN7rocprim17ROCPRIM_400000_NS6detail17trampoline_kernelINS0_14default_configENS1_20scan_config_selectorIN3c107complexIdEEEEZZNS1_9scan_implILNS1_25lookback_scan_determinismE0ELb0ELb0ES3_PKS7_PS7_S7_ZZZN2at6native31launch_logcumsumexp_cuda_kernelERKNSE_10TensorBaseESI_lENKUlvE_clEvENKUlvE1_clEvEUlS7_S7_E_S7_EEDaPvRmT3_T4_T5_mT6_P12ihipStream_tbENKUlT_T0_E_clISt17integral_constantIbLb0EESZ_EEDaSU_SV_EUlSU_E_NS1_11comp_targetILNS1_3genE5ELNS1_11target_archE942ELNS1_3gpuE9ELNS1_3repE0EEENS1_30default_config_static_selectorELNS0_4arch9wavefront6targetE1EEEvT1_
    .private_segment_fixed_size: 0
    .sgpr_count:     4
    .sgpr_spill_count: 0
    .symbol:         _ZN7rocprim17ROCPRIM_400000_NS6detail17trampoline_kernelINS0_14default_configENS1_20scan_config_selectorIN3c107complexIdEEEEZZNS1_9scan_implILNS1_25lookback_scan_determinismE0ELb0ELb0ES3_PKS7_PS7_S7_ZZZN2at6native31launch_logcumsumexp_cuda_kernelERKNSE_10TensorBaseESI_lENKUlvE_clEvENKUlvE1_clEvEUlS7_S7_E_S7_EEDaPvRmT3_T4_T5_mT6_P12ihipStream_tbENKUlT_T0_E_clISt17integral_constantIbLb0EESZ_EEDaSU_SV_EUlSU_E_NS1_11comp_targetILNS1_3genE5ELNS1_11target_archE942ELNS1_3gpuE9ELNS1_3repE0EEENS1_30default_config_static_selectorELNS0_4arch9wavefront6targetE1EEEvT1_.kd
    .uniform_work_group_size: 1
    .uses_dynamic_stack: false
    .vgpr_count:     0
    .vgpr_spill_count: 0
    .wavefront_size: 64
  - .agpr_count:     0
    .args:
      - .offset:         0
        .size:           128
        .value_kind:     by_value
    .group_segment_fixed_size: 15360
    .kernarg_segment_align: 16
    .kernarg_segment_size: 128
    .language:       OpenCL C
    .language_version:
      - 2
      - 0
    .max_flat_workgroup_size: 64
    .name:           _ZN7rocprim17ROCPRIM_400000_NS6detail17trampoline_kernelINS0_14default_configENS1_20scan_config_selectorIN3c107complexIdEEEEZZNS1_9scan_implILNS1_25lookback_scan_determinismE0ELb0ELb0ES3_PKS7_PS7_S7_ZZZN2at6native31launch_logcumsumexp_cuda_kernelERKNSE_10TensorBaseESI_lENKUlvE_clEvENKUlvE1_clEvEUlS7_S7_E_S7_EEDaPvRmT3_T4_T5_mT6_P12ihipStream_tbENKUlT_T0_E_clISt17integral_constantIbLb0EESZ_EEDaSU_SV_EUlSU_E_NS1_11comp_targetILNS1_3genE4ELNS1_11target_archE910ELNS1_3gpuE8ELNS1_3repE0EEENS1_30default_config_static_selectorELNS0_4arch9wavefront6targetE1EEEvT1_
    .private_segment_fixed_size: 8
    .sgpr_count:     71
    .sgpr_spill_count: 0
    .symbol:         _ZN7rocprim17ROCPRIM_400000_NS6detail17trampoline_kernelINS0_14default_configENS1_20scan_config_selectorIN3c107complexIdEEEEZZNS1_9scan_implILNS1_25lookback_scan_determinismE0ELb0ELb0ES3_PKS7_PS7_S7_ZZZN2at6native31launch_logcumsumexp_cuda_kernelERKNSE_10TensorBaseESI_lENKUlvE_clEvENKUlvE1_clEvEUlS7_S7_E_S7_EEDaPvRmT3_T4_T5_mT6_P12ihipStream_tbENKUlT_T0_E_clISt17integral_constantIbLb0EESZ_EEDaSU_SV_EUlSU_E_NS1_11comp_targetILNS1_3genE4ELNS1_11target_archE910ELNS1_3gpuE8ELNS1_3repE0EEENS1_30default_config_static_selectorELNS0_4arch9wavefront6targetE1EEEvT1_.kd
    .uniform_work_group_size: 1
    .uses_dynamic_stack: false
    .vgpr_count:     171
    .vgpr_spill_count: 0
    .wavefront_size: 64
  - .agpr_count:     0
    .args:
      - .offset:         0
        .size:           128
        .value_kind:     by_value
    .group_segment_fixed_size: 0
    .kernarg_segment_align: 16
    .kernarg_segment_size: 128
    .language:       OpenCL C
    .language_version:
      - 2
      - 0
    .max_flat_workgroup_size: 128
    .name:           _ZN7rocprim17ROCPRIM_400000_NS6detail17trampoline_kernelINS0_14default_configENS1_20scan_config_selectorIN3c107complexIdEEEEZZNS1_9scan_implILNS1_25lookback_scan_determinismE0ELb0ELb0ES3_PKS7_PS7_S7_ZZZN2at6native31launch_logcumsumexp_cuda_kernelERKNSE_10TensorBaseESI_lENKUlvE_clEvENKUlvE1_clEvEUlS7_S7_E_S7_EEDaPvRmT3_T4_T5_mT6_P12ihipStream_tbENKUlT_T0_E_clISt17integral_constantIbLb0EESZ_EEDaSU_SV_EUlSU_E_NS1_11comp_targetILNS1_3genE3ELNS1_11target_archE908ELNS1_3gpuE7ELNS1_3repE0EEENS1_30default_config_static_selectorELNS0_4arch9wavefront6targetE1EEEvT1_
    .private_segment_fixed_size: 0
    .sgpr_count:     4
    .sgpr_spill_count: 0
    .symbol:         _ZN7rocprim17ROCPRIM_400000_NS6detail17trampoline_kernelINS0_14default_configENS1_20scan_config_selectorIN3c107complexIdEEEEZZNS1_9scan_implILNS1_25lookback_scan_determinismE0ELb0ELb0ES3_PKS7_PS7_S7_ZZZN2at6native31launch_logcumsumexp_cuda_kernelERKNSE_10TensorBaseESI_lENKUlvE_clEvENKUlvE1_clEvEUlS7_S7_E_S7_EEDaPvRmT3_T4_T5_mT6_P12ihipStream_tbENKUlT_T0_E_clISt17integral_constantIbLb0EESZ_EEDaSU_SV_EUlSU_E_NS1_11comp_targetILNS1_3genE3ELNS1_11target_archE908ELNS1_3gpuE7ELNS1_3repE0EEENS1_30default_config_static_selectorELNS0_4arch9wavefront6targetE1EEEvT1_.kd
    .uniform_work_group_size: 1
    .uses_dynamic_stack: false
    .vgpr_count:     0
    .vgpr_spill_count: 0
    .wavefront_size: 64
  - .agpr_count:     0
    .args:
      - .offset:         0
        .size:           128
        .value_kind:     by_value
    .group_segment_fixed_size: 0
    .kernarg_segment_align: 16
    .kernarg_segment_size: 128
    .language:       OpenCL C
    .language_version:
      - 2
      - 0
    .max_flat_workgroup_size: 64
    .name:           _ZN7rocprim17ROCPRIM_400000_NS6detail17trampoline_kernelINS0_14default_configENS1_20scan_config_selectorIN3c107complexIdEEEEZZNS1_9scan_implILNS1_25lookback_scan_determinismE0ELb0ELb0ES3_PKS7_PS7_S7_ZZZN2at6native31launch_logcumsumexp_cuda_kernelERKNSE_10TensorBaseESI_lENKUlvE_clEvENKUlvE1_clEvEUlS7_S7_E_S7_EEDaPvRmT3_T4_T5_mT6_P12ihipStream_tbENKUlT_T0_E_clISt17integral_constantIbLb0EESZ_EEDaSU_SV_EUlSU_E_NS1_11comp_targetILNS1_3genE2ELNS1_11target_archE906ELNS1_3gpuE6ELNS1_3repE0EEENS1_30default_config_static_selectorELNS0_4arch9wavefront6targetE1EEEvT1_
    .private_segment_fixed_size: 0
    .sgpr_count:     4
    .sgpr_spill_count: 0
    .symbol:         _ZN7rocprim17ROCPRIM_400000_NS6detail17trampoline_kernelINS0_14default_configENS1_20scan_config_selectorIN3c107complexIdEEEEZZNS1_9scan_implILNS1_25lookback_scan_determinismE0ELb0ELb0ES3_PKS7_PS7_S7_ZZZN2at6native31launch_logcumsumexp_cuda_kernelERKNSE_10TensorBaseESI_lENKUlvE_clEvENKUlvE1_clEvEUlS7_S7_E_S7_EEDaPvRmT3_T4_T5_mT6_P12ihipStream_tbENKUlT_T0_E_clISt17integral_constantIbLb0EESZ_EEDaSU_SV_EUlSU_E_NS1_11comp_targetILNS1_3genE2ELNS1_11target_archE906ELNS1_3gpuE6ELNS1_3repE0EEENS1_30default_config_static_selectorELNS0_4arch9wavefront6targetE1EEEvT1_.kd
    .uniform_work_group_size: 1
    .uses_dynamic_stack: false
    .vgpr_count:     0
    .vgpr_spill_count: 0
    .wavefront_size: 64
  - .agpr_count:     0
    .args:
      - .offset:         0
        .size:           128
        .value_kind:     by_value
    .group_segment_fixed_size: 0
    .kernarg_segment_align: 16
    .kernarg_segment_size: 128
    .language:       OpenCL C
    .language_version:
      - 2
      - 0
    .max_flat_workgroup_size: 256
    .name:           _ZN7rocprim17ROCPRIM_400000_NS6detail17trampoline_kernelINS0_14default_configENS1_20scan_config_selectorIN3c107complexIdEEEEZZNS1_9scan_implILNS1_25lookback_scan_determinismE0ELb0ELb0ES3_PKS7_PS7_S7_ZZZN2at6native31launch_logcumsumexp_cuda_kernelERKNSE_10TensorBaseESI_lENKUlvE_clEvENKUlvE1_clEvEUlS7_S7_E_S7_EEDaPvRmT3_T4_T5_mT6_P12ihipStream_tbENKUlT_T0_E_clISt17integral_constantIbLb0EESZ_EEDaSU_SV_EUlSU_E_NS1_11comp_targetILNS1_3genE10ELNS1_11target_archE1201ELNS1_3gpuE5ELNS1_3repE0EEENS1_30default_config_static_selectorELNS0_4arch9wavefront6targetE1EEEvT1_
    .private_segment_fixed_size: 0
    .sgpr_count:     4
    .sgpr_spill_count: 0
    .symbol:         _ZN7rocprim17ROCPRIM_400000_NS6detail17trampoline_kernelINS0_14default_configENS1_20scan_config_selectorIN3c107complexIdEEEEZZNS1_9scan_implILNS1_25lookback_scan_determinismE0ELb0ELb0ES3_PKS7_PS7_S7_ZZZN2at6native31launch_logcumsumexp_cuda_kernelERKNSE_10TensorBaseESI_lENKUlvE_clEvENKUlvE1_clEvEUlS7_S7_E_S7_EEDaPvRmT3_T4_T5_mT6_P12ihipStream_tbENKUlT_T0_E_clISt17integral_constantIbLb0EESZ_EEDaSU_SV_EUlSU_E_NS1_11comp_targetILNS1_3genE10ELNS1_11target_archE1201ELNS1_3gpuE5ELNS1_3repE0EEENS1_30default_config_static_selectorELNS0_4arch9wavefront6targetE1EEEvT1_.kd
    .uniform_work_group_size: 1
    .uses_dynamic_stack: false
    .vgpr_count:     0
    .vgpr_spill_count: 0
    .wavefront_size: 64
  - .agpr_count:     0
    .args:
      - .offset:         0
        .size:           128
        .value_kind:     by_value
    .group_segment_fixed_size: 0
    .kernarg_segment_align: 16
    .kernarg_segment_size: 128
    .language:       OpenCL C
    .language_version:
      - 2
      - 0
    .max_flat_workgroup_size: 256
    .name:           _ZN7rocprim17ROCPRIM_400000_NS6detail17trampoline_kernelINS0_14default_configENS1_20scan_config_selectorIN3c107complexIdEEEEZZNS1_9scan_implILNS1_25lookback_scan_determinismE0ELb0ELb0ES3_PKS7_PS7_S7_ZZZN2at6native31launch_logcumsumexp_cuda_kernelERKNSE_10TensorBaseESI_lENKUlvE_clEvENKUlvE1_clEvEUlS7_S7_E_S7_EEDaPvRmT3_T4_T5_mT6_P12ihipStream_tbENKUlT_T0_E_clISt17integral_constantIbLb0EESZ_EEDaSU_SV_EUlSU_E_NS1_11comp_targetILNS1_3genE10ELNS1_11target_archE1200ELNS1_3gpuE4ELNS1_3repE0EEENS1_30default_config_static_selectorELNS0_4arch9wavefront6targetE1EEEvT1_
    .private_segment_fixed_size: 0
    .sgpr_count:     4
    .sgpr_spill_count: 0
    .symbol:         _ZN7rocprim17ROCPRIM_400000_NS6detail17trampoline_kernelINS0_14default_configENS1_20scan_config_selectorIN3c107complexIdEEEEZZNS1_9scan_implILNS1_25lookback_scan_determinismE0ELb0ELb0ES3_PKS7_PS7_S7_ZZZN2at6native31launch_logcumsumexp_cuda_kernelERKNSE_10TensorBaseESI_lENKUlvE_clEvENKUlvE1_clEvEUlS7_S7_E_S7_EEDaPvRmT3_T4_T5_mT6_P12ihipStream_tbENKUlT_T0_E_clISt17integral_constantIbLb0EESZ_EEDaSU_SV_EUlSU_E_NS1_11comp_targetILNS1_3genE10ELNS1_11target_archE1200ELNS1_3gpuE4ELNS1_3repE0EEENS1_30default_config_static_selectorELNS0_4arch9wavefront6targetE1EEEvT1_.kd
    .uniform_work_group_size: 1
    .uses_dynamic_stack: false
    .vgpr_count:     0
    .vgpr_spill_count: 0
    .wavefront_size: 64
  - .agpr_count:     0
    .args:
      - .offset:         0
        .size:           128
        .value_kind:     by_value
    .group_segment_fixed_size: 0
    .kernarg_segment_align: 16
    .kernarg_segment_size: 128
    .language:       OpenCL C
    .language_version:
      - 2
      - 0
    .max_flat_workgroup_size: 256
    .name:           _ZN7rocprim17ROCPRIM_400000_NS6detail17trampoline_kernelINS0_14default_configENS1_20scan_config_selectorIN3c107complexIdEEEEZZNS1_9scan_implILNS1_25lookback_scan_determinismE0ELb0ELb0ES3_PKS7_PS7_S7_ZZZN2at6native31launch_logcumsumexp_cuda_kernelERKNSE_10TensorBaseESI_lENKUlvE_clEvENKUlvE1_clEvEUlS7_S7_E_S7_EEDaPvRmT3_T4_T5_mT6_P12ihipStream_tbENKUlT_T0_E_clISt17integral_constantIbLb0EESZ_EEDaSU_SV_EUlSU_E_NS1_11comp_targetILNS1_3genE9ELNS1_11target_archE1100ELNS1_3gpuE3ELNS1_3repE0EEENS1_30default_config_static_selectorELNS0_4arch9wavefront6targetE1EEEvT1_
    .private_segment_fixed_size: 0
    .sgpr_count:     4
    .sgpr_spill_count: 0
    .symbol:         _ZN7rocprim17ROCPRIM_400000_NS6detail17trampoline_kernelINS0_14default_configENS1_20scan_config_selectorIN3c107complexIdEEEEZZNS1_9scan_implILNS1_25lookback_scan_determinismE0ELb0ELb0ES3_PKS7_PS7_S7_ZZZN2at6native31launch_logcumsumexp_cuda_kernelERKNSE_10TensorBaseESI_lENKUlvE_clEvENKUlvE1_clEvEUlS7_S7_E_S7_EEDaPvRmT3_T4_T5_mT6_P12ihipStream_tbENKUlT_T0_E_clISt17integral_constantIbLb0EESZ_EEDaSU_SV_EUlSU_E_NS1_11comp_targetILNS1_3genE9ELNS1_11target_archE1100ELNS1_3gpuE3ELNS1_3repE0EEENS1_30default_config_static_selectorELNS0_4arch9wavefront6targetE1EEEvT1_.kd
    .uniform_work_group_size: 1
    .uses_dynamic_stack: false
    .vgpr_count:     0
    .vgpr_spill_count: 0
    .wavefront_size: 64
  - .agpr_count:     0
    .args:
      - .offset:         0
        .size:           128
        .value_kind:     by_value
    .group_segment_fixed_size: 0
    .kernarg_segment_align: 16
    .kernarg_segment_size: 128
    .language:       OpenCL C
    .language_version:
      - 2
      - 0
    .max_flat_workgroup_size: 256
    .name:           _ZN7rocprim17ROCPRIM_400000_NS6detail17trampoline_kernelINS0_14default_configENS1_20scan_config_selectorIN3c107complexIdEEEEZZNS1_9scan_implILNS1_25lookback_scan_determinismE0ELb0ELb0ES3_PKS7_PS7_S7_ZZZN2at6native31launch_logcumsumexp_cuda_kernelERKNSE_10TensorBaseESI_lENKUlvE_clEvENKUlvE1_clEvEUlS7_S7_E_S7_EEDaPvRmT3_T4_T5_mT6_P12ihipStream_tbENKUlT_T0_E_clISt17integral_constantIbLb0EESZ_EEDaSU_SV_EUlSU_E_NS1_11comp_targetILNS1_3genE8ELNS1_11target_archE1030ELNS1_3gpuE2ELNS1_3repE0EEENS1_30default_config_static_selectorELNS0_4arch9wavefront6targetE1EEEvT1_
    .private_segment_fixed_size: 0
    .sgpr_count:     4
    .sgpr_spill_count: 0
    .symbol:         _ZN7rocprim17ROCPRIM_400000_NS6detail17trampoline_kernelINS0_14default_configENS1_20scan_config_selectorIN3c107complexIdEEEEZZNS1_9scan_implILNS1_25lookback_scan_determinismE0ELb0ELb0ES3_PKS7_PS7_S7_ZZZN2at6native31launch_logcumsumexp_cuda_kernelERKNSE_10TensorBaseESI_lENKUlvE_clEvENKUlvE1_clEvEUlS7_S7_E_S7_EEDaPvRmT3_T4_T5_mT6_P12ihipStream_tbENKUlT_T0_E_clISt17integral_constantIbLb0EESZ_EEDaSU_SV_EUlSU_E_NS1_11comp_targetILNS1_3genE8ELNS1_11target_archE1030ELNS1_3gpuE2ELNS1_3repE0EEENS1_30default_config_static_selectorELNS0_4arch9wavefront6targetE1EEEvT1_.kd
    .uniform_work_group_size: 1
    .uses_dynamic_stack: false
    .vgpr_count:     0
    .vgpr_spill_count: 0
    .wavefront_size: 64
  - .agpr_count:     0
    .args:
      - .offset:         0
        .size:           40
        .value_kind:     by_value
    .group_segment_fixed_size: 0
    .kernarg_segment_align: 8
    .kernarg_segment_size: 40
    .language:       OpenCL C
    .language_version:
      - 2
      - 0
    .max_flat_workgroup_size: 128
    .name:           _ZN7rocprim17ROCPRIM_400000_NS6detail17trampoline_kernelINS0_14default_configENS1_25transform_config_selectorIN3c107complexIdEELb1EEEZNS1_14transform_implILb1ES3_S8_PS7_SA_NS0_8identityIS7_EEEE10hipError_tT2_T3_mT4_P12ihipStream_tbEUlT_E_NS1_11comp_targetILNS1_3genE0ELNS1_11target_archE4294967295ELNS1_3gpuE0ELNS1_3repE0EEENS1_30default_config_static_selectorELNS0_4arch9wavefront6targetE1EEEvT1_
    .private_segment_fixed_size: 0
    .sgpr_count:     4
    .sgpr_spill_count: 0
    .symbol:         _ZN7rocprim17ROCPRIM_400000_NS6detail17trampoline_kernelINS0_14default_configENS1_25transform_config_selectorIN3c107complexIdEELb1EEEZNS1_14transform_implILb1ES3_S8_PS7_SA_NS0_8identityIS7_EEEE10hipError_tT2_T3_mT4_P12ihipStream_tbEUlT_E_NS1_11comp_targetILNS1_3genE0ELNS1_11target_archE4294967295ELNS1_3gpuE0ELNS1_3repE0EEENS1_30default_config_static_selectorELNS0_4arch9wavefront6targetE1EEEvT1_.kd
    .uniform_work_group_size: 1
    .uses_dynamic_stack: false
    .vgpr_count:     0
    .vgpr_spill_count: 0
    .wavefront_size: 64
  - .agpr_count:     0
    .args:
      - .offset:         0
        .size:           40
        .value_kind:     by_value
    .group_segment_fixed_size: 0
    .kernarg_segment_align: 8
    .kernarg_segment_size: 40
    .language:       OpenCL C
    .language_version:
      - 2
      - 0
    .max_flat_workgroup_size: 64
    .name:           _ZN7rocprim17ROCPRIM_400000_NS6detail17trampoline_kernelINS0_14default_configENS1_25transform_config_selectorIN3c107complexIdEELb1EEEZNS1_14transform_implILb1ES3_S8_PS7_SA_NS0_8identityIS7_EEEE10hipError_tT2_T3_mT4_P12ihipStream_tbEUlT_E_NS1_11comp_targetILNS1_3genE10ELNS1_11target_archE1201ELNS1_3gpuE5ELNS1_3repE0EEENS1_30default_config_static_selectorELNS0_4arch9wavefront6targetE1EEEvT1_
    .private_segment_fixed_size: 0
    .sgpr_count:     4
    .sgpr_spill_count: 0
    .symbol:         _ZN7rocprim17ROCPRIM_400000_NS6detail17trampoline_kernelINS0_14default_configENS1_25transform_config_selectorIN3c107complexIdEELb1EEEZNS1_14transform_implILb1ES3_S8_PS7_SA_NS0_8identityIS7_EEEE10hipError_tT2_T3_mT4_P12ihipStream_tbEUlT_E_NS1_11comp_targetILNS1_3genE10ELNS1_11target_archE1201ELNS1_3gpuE5ELNS1_3repE0EEENS1_30default_config_static_selectorELNS0_4arch9wavefront6targetE1EEEvT1_.kd
    .uniform_work_group_size: 1
    .uses_dynamic_stack: false
    .vgpr_count:     0
    .vgpr_spill_count: 0
    .wavefront_size: 64
  - .agpr_count:     0
    .args:
      - .offset:         0
        .size:           40
        .value_kind:     by_value
    .group_segment_fixed_size: 0
    .kernarg_segment_align: 8
    .kernarg_segment_size: 40
    .language:       OpenCL C
    .language_version:
      - 2
      - 0
    .max_flat_workgroup_size: 256
    .name:           _ZN7rocprim17ROCPRIM_400000_NS6detail17trampoline_kernelINS0_14default_configENS1_25transform_config_selectorIN3c107complexIdEELb1EEEZNS1_14transform_implILb1ES3_S8_PS7_SA_NS0_8identityIS7_EEEE10hipError_tT2_T3_mT4_P12ihipStream_tbEUlT_E_NS1_11comp_targetILNS1_3genE5ELNS1_11target_archE942ELNS1_3gpuE9ELNS1_3repE0EEENS1_30default_config_static_selectorELNS0_4arch9wavefront6targetE1EEEvT1_
    .private_segment_fixed_size: 0
    .sgpr_count:     4
    .sgpr_spill_count: 0
    .symbol:         _ZN7rocprim17ROCPRIM_400000_NS6detail17trampoline_kernelINS0_14default_configENS1_25transform_config_selectorIN3c107complexIdEELb1EEEZNS1_14transform_implILb1ES3_S8_PS7_SA_NS0_8identityIS7_EEEE10hipError_tT2_T3_mT4_P12ihipStream_tbEUlT_E_NS1_11comp_targetILNS1_3genE5ELNS1_11target_archE942ELNS1_3gpuE9ELNS1_3repE0EEENS1_30default_config_static_selectorELNS0_4arch9wavefront6targetE1EEEvT1_.kd
    .uniform_work_group_size: 1
    .uses_dynamic_stack: false
    .vgpr_count:     0
    .vgpr_spill_count: 0
    .wavefront_size: 64
  - .agpr_count:     0
    .args:
      - .offset:         0
        .size:           40
        .value_kind:     by_value
      - .offset:         40
        .size:           4
        .value_kind:     hidden_block_count_x
      - .offset:         44
        .size:           4
        .value_kind:     hidden_block_count_y
      - .offset:         48
        .size:           4
        .value_kind:     hidden_block_count_z
      - .offset:         52
        .size:           2
        .value_kind:     hidden_group_size_x
      - .offset:         54
        .size:           2
        .value_kind:     hidden_group_size_y
      - .offset:         56
        .size:           2
        .value_kind:     hidden_group_size_z
      - .offset:         58
        .size:           2
        .value_kind:     hidden_remainder_x
      - .offset:         60
        .size:           2
        .value_kind:     hidden_remainder_y
      - .offset:         62
        .size:           2
        .value_kind:     hidden_remainder_z
      - .offset:         80
        .size:           8
        .value_kind:     hidden_global_offset_x
      - .offset:         88
        .size:           8
        .value_kind:     hidden_global_offset_y
      - .offset:         96
        .size:           8
        .value_kind:     hidden_global_offset_z
      - .offset:         104
        .size:           2
        .value_kind:     hidden_grid_dims
    .group_segment_fixed_size: 0
    .kernarg_segment_align: 8
    .kernarg_segment_size: 296
    .language:       OpenCL C
    .language_version:
      - 2
      - 0
    .max_flat_workgroup_size: 1024
    .name:           _ZN7rocprim17ROCPRIM_400000_NS6detail17trampoline_kernelINS0_14default_configENS1_25transform_config_selectorIN3c107complexIdEELb1EEEZNS1_14transform_implILb1ES3_S8_PS7_SA_NS0_8identityIS7_EEEE10hipError_tT2_T3_mT4_P12ihipStream_tbEUlT_E_NS1_11comp_targetILNS1_3genE4ELNS1_11target_archE910ELNS1_3gpuE8ELNS1_3repE0EEENS1_30default_config_static_selectorELNS0_4arch9wavefront6targetE1EEEvT1_
    .private_segment_fixed_size: 0
    .sgpr_count:     16
    .sgpr_spill_count: 0
    .symbol:         _ZN7rocprim17ROCPRIM_400000_NS6detail17trampoline_kernelINS0_14default_configENS1_25transform_config_selectorIN3c107complexIdEELb1EEEZNS1_14transform_implILb1ES3_S8_PS7_SA_NS0_8identityIS7_EEEE10hipError_tT2_T3_mT4_P12ihipStream_tbEUlT_E_NS1_11comp_targetILNS1_3genE4ELNS1_11target_archE910ELNS1_3gpuE8ELNS1_3repE0EEENS1_30default_config_static_selectorELNS0_4arch9wavefront6targetE1EEEvT1_.kd
    .uniform_work_group_size: 1
    .uses_dynamic_stack: false
    .vgpr_count:     5
    .vgpr_spill_count: 0
    .wavefront_size: 64
  - .agpr_count:     0
    .args:
      - .offset:         0
        .size:           40
        .value_kind:     by_value
    .group_segment_fixed_size: 0
    .kernarg_segment_align: 8
    .kernarg_segment_size: 40
    .language:       OpenCL C
    .language_version:
      - 2
      - 0
    .max_flat_workgroup_size: 128
    .name:           _ZN7rocprim17ROCPRIM_400000_NS6detail17trampoline_kernelINS0_14default_configENS1_25transform_config_selectorIN3c107complexIdEELb1EEEZNS1_14transform_implILb1ES3_S8_PS7_SA_NS0_8identityIS7_EEEE10hipError_tT2_T3_mT4_P12ihipStream_tbEUlT_E_NS1_11comp_targetILNS1_3genE3ELNS1_11target_archE908ELNS1_3gpuE7ELNS1_3repE0EEENS1_30default_config_static_selectorELNS0_4arch9wavefront6targetE1EEEvT1_
    .private_segment_fixed_size: 0
    .sgpr_count:     4
    .sgpr_spill_count: 0
    .symbol:         _ZN7rocprim17ROCPRIM_400000_NS6detail17trampoline_kernelINS0_14default_configENS1_25transform_config_selectorIN3c107complexIdEELb1EEEZNS1_14transform_implILb1ES3_S8_PS7_SA_NS0_8identityIS7_EEEE10hipError_tT2_T3_mT4_P12ihipStream_tbEUlT_E_NS1_11comp_targetILNS1_3genE3ELNS1_11target_archE908ELNS1_3gpuE7ELNS1_3repE0EEENS1_30default_config_static_selectorELNS0_4arch9wavefront6targetE1EEEvT1_.kd
    .uniform_work_group_size: 1
    .uses_dynamic_stack: false
    .vgpr_count:     0
    .vgpr_spill_count: 0
    .wavefront_size: 64
  - .agpr_count:     0
    .args:
      - .offset:         0
        .size:           40
        .value_kind:     by_value
    .group_segment_fixed_size: 0
    .kernarg_segment_align: 8
    .kernarg_segment_size: 40
    .language:       OpenCL C
    .language_version:
      - 2
      - 0
    .max_flat_workgroup_size: 1024
    .name:           _ZN7rocprim17ROCPRIM_400000_NS6detail17trampoline_kernelINS0_14default_configENS1_25transform_config_selectorIN3c107complexIdEELb1EEEZNS1_14transform_implILb1ES3_S8_PS7_SA_NS0_8identityIS7_EEEE10hipError_tT2_T3_mT4_P12ihipStream_tbEUlT_E_NS1_11comp_targetILNS1_3genE2ELNS1_11target_archE906ELNS1_3gpuE6ELNS1_3repE0EEENS1_30default_config_static_selectorELNS0_4arch9wavefront6targetE1EEEvT1_
    .private_segment_fixed_size: 0
    .sgpr_count:     4
    .sgpr_spill_count: 0
    .symbol:         _ZN7rocprim17ROCPRIM_400000_NS6detail17trampoline_kernelINS0_14default_configENS1_25transform_config_selectorIN3c107complexIdEELb1EEEZNS1_14transform_implILb1ES3_S8_PS7_SA_NS0_8identityIS7_EEEE10hipError_tT2_T3_mT4_P12ihipStream_tbEUlT_E_NS1_11comp_targetILNS1_3genE2ELNS1_11target_archE906ELNS1_3gpuE6ELNS1_3repE0EEENS1_30default_config_static_selectorELNS0_4arch9wavefront6targetE1EEEvT1_.kd
    .uniform_work_group_size: 1
    .uses_dynamic_stack: false
    .vgpr_count:     0
    .vgpr_spill_count: 0
    .wavefront_size: 64
  - .agpr_count:     0
    .args:
      - .offset:         0
        .size:           40
        .value_kind:     by_value
    .group_segment_fixed_size: 0
    .kernarg_segment_align: 8
    .kernarg_segment_size: 40
    .language:       OpenCL C
    .language_version:
      - 2
      - 0
    .max_flat_workgroup_size: 1024
    .name:           _ZN7rocprim17ROCPRIM_400000_NS6detail17trampoline_kernelINS0_14default_configENS1_25transform_config_selectorIN3c107complexIdEELb1EEEZNS1_14transform_implILb1ES3_S8_PS7_SA_NS0_8identityIS7_EEEE10hipError_tT2_T3_mT4_P12ihipStream_tbEUlT_E_NS1_11comp_targetILNS1_3genE9ELNS1_11target_archE1100ELNS1_3gpuE3ELNS1_3repE0EEENS1_30default_config_static_selectorELNS0_4arch9wavefront6targetE1EEEvT1_
    .private_segment_fixed_size: 0
    .sgpr_count:     4
    .sgpr_spill_count: 0
    .symbol:         _ZN7rocprim17ROCPRIM_400000_NS6detail17trampoline_kernelINS0_14default_configENS1_25transform_config_selectorIN3c107complexIdEELb1EEEZNS1_14transform_implILb1ES3_S8_PS7_SA_NS0_8identityIS7_EEEE10hipError_tT2_T3_mT4_P12ihipStream_tbEUlT_E_NS1_11comp_targetILNS1_3genE9ELNS1_11target_archE1100ELNS1_3gpuE3ELNS1_3repE0EEENS1_30default_config_static_selectorELNS0_4arch9wavefront6targetE1EEEvT1_.kd
    .uniform_work_group_size: 1
    .uses_dynamic_stack: false
    .vgpr_count:     0
    .vgpr_spill_count: 0
    .wavefront_size: 64
  - .agpr_count:     0
    .args:
      - .offset:         0
        .size:           40
        .value_kind:     by_value
    .group_segment_fixed_size: 0
    .kernarg_segment_align: 8
    .kernarg_segment_size: 40
    .language:       OpenCL C
    .language_version:
      - 2
      - 0
    .max_flat_workgroup_size: 1024
    .name:           _ZN7rocprim17ROCPRIM_400000_NS6detail17trampoline_kernelINS0_14default_configENS1_25transform_config_selectorIN3c107complexIdEELb1EEEZNS1_14transform_implILb1ES3_S8_PS7_SA_NS0_8identityIS7_EEEE10hipError_tT2_T3_mT4_P12ihipStream_tbEUlT_E_NS1_11comp_targetILNS1_3genE8ELNS1_11target_archE1030ELNS1_3gpuE2ELNS1_3repE0EEENS1_30default_config_static_selectorELNS0_4arch9wavefront6targetE1EEEvT1_
    .private_segment_fixed_size: 0
    .sgpr_count:     4
    .sgpr_spill_count: 0
    .symbol:         _ZN7rocprim17ROCPRIM_400000_NS6detail17trampoline_kernelINS0_14default_configENS1_25transform_config_selectorIN3c107complexIdEELb1EEEZNS1_14transform_implILb1ES3_S8_PS7_SA_NS0_8identityIS7_EEEE10hipError_tT2_T3_mT4_P12ihipStream_tbEUlT_E_NS1_11comp_targetILNS1_3genE8ELNS1_11target_archE1030ELNS1_3gpuE2ELNS1_3repE0EEENS1_30default_config_static_selectorELNS0_4arch9wavefront6targetE1EEEvT1_.kd
    .uniform_work_group_size: 1
    .uses_dynamic_stack: false
    .vgpr_count:     0
    .vgpr_spill_count: 0
    .wavefront_size: 64
  - .agpr_count:     0
    .args:
      - .offset:         0
        .size:           48
        .value_kind:     by_value
    .group_segment_fixed_size: 0
    .kernarg_segment_align: 16
    .kernarg_segment_size: 48
    .language:       OpenCL C
    .language_version:
      - 2
      - 0
    .max_flat_workgroup_size: 128
    .name:           _ZN7rocprim17ROCPRIM_400000_NS6detail17trampoline_kernelINS0_14default_configENS1_20scan_config_selectorIN3c107complexIdEEEEZZNS1_9scan_implILNS1_25lookback_scan_determinismE0ELb0ELb0ES3_PKS7_PS7_S7_ZZZN2at6native31launch_logcumsumexp_cuda_kernelERKNSE_10TensorBaseESI_lENKUlvE_clEvENKUlvE1_clEvEUlS7_S7_E_S7_EEDaPvRmT3_T4_T5_mT6_P12ihipStream_tbENKUlT_T0_E_clISt17integral_constantIbLb0EESZ_EEDaSU_SV_EUlSU_E0_NS1_11comp_targetILNS1_3genE0ELNS1_11target_archE4294967295ELNS1_3gpuE0ELNS1_3repE0EEENS1_30default_config_static_selectorELNS0_4arch9wavefront6targetE1EEEvT1_
    .private_segment_fixed_size: 0
    .sgpr_count:     4
    .sgpr_spill_count: 0
    .symbol:         _ZN7rocprim17ROCPRIM_400000_NS6detail17trampoline_kernelINS0_14default_configENS1_20scan_config_selectorIN3c107complexIdEEEEZZNS1_9scan_implILNS1_25lookback_scan_determinismE0ELb0ELb0ES3_PKS7_PS7_S7_ZZZN2at6native31launch_logcumsumexp_cuda_kernelERKNSE_10TensorBaseESI_lENKUlvE_clEvENKUlvE1_clEvEUlS7_S7_E_S7_EEDaPvRmT3_T4_T5_mT6_P12ihipStream_tbENKUlT_T0_E_clISt17integral_constantIbLb0EESZ_EEDaSU_SV_EUlSU_E0_NS1_11comp_targetILNS1_3genE0ELNS1_11target_archE4294967295ELNS1_3gpuE0ELNS1_3repE0EEENS1_30default_config_static_selectorELNS0_4arch9wavefront6targetE1EEEvT1_.kd
    .uniform_work_group_size: 1
    .uses_dynamic_stack: false
    .vgpr_count:     0
    .vgpr_spill_count: 0
    .wavefront_size: 64
  - .agpr_count:     0
    .args:
      - .offset:         0
        .size:           48
        .value_kind:     by_value
    .group_segment_fixed_size: 0
    .kernarg_segment_align: 16
    .kernarg_segment_size: 48
    .language:       OpenCL C
    .language_version:
      - 2
      - 0
    .max_flat_workgroup_size: 256
    .name:           _ZN7rocprim17ROCPRIM_400000_NS6detail17trampoline_kernelINS0_14default_configENS1_20scan_config_selectorIN3c107complexIdEEEEZZNS1_9scan_implILNS1_25lookback_scan_determinismE0ELb0ELb0ES3_PKS7_PS7_S7_ZZZN2at6native31launch_logcumsumexp_cuda_kernelERKNSE_10TensorBaseESI_lENKUlvE_clEvENKUlvE1_clEvEUlS7_S7_E_S7_EEDaPvRmT3_T4_T5_mT6_P12ihipStream_tbENKUlT_T0_E_clISt17integral_constantIbLb0EESZ_EEDaSU_SV_EUlSU_E0_NS1_11comp_targetILNS1_3genE5ELNS1_11target_archE942ELNS1_3gpuE9ELNS1_3repE0EEENS1_30default_config_static_selectorELNS0_4arch9wavefront6targetE1EEEvT1_
    .private_segment_fixed_size: 0
    .sgpr_count:     4
    .sgpr_spill_count: 0
    .symbol:         _ZN7rocprim17ROCPRIM_400000_NS6detail17trampoline_kernelINS0_14default_configENS1_20scan_config_selectorIN3c107complexIdEEEEZZNS1_9scan_implILNS1_25lookback_scan_determinismE0ELb0ELb0ES3_PKS7_PS7_S7_ZZZN2at6native31launch_logcumsumexp_cuda_kernelERKNSE_10TensorBaseESI_lENKUlvE_clEvENKUlvE1_clEvEUlS7_S7_E_S7_EEDaPvRmT3_T4_T5_mT6_P12ihipStream_tbENKUlT_T0_E_clISt17integral_constantIbLb0EESZ_EEDaSU_SV_EUlSU_E0_NS1_11comp_targetILNS1_3genE5ELNS1_11target_archE942ELNS1_3gpuE9ELNS1_3repE0EEENS1_30default_config_static_selectorELNS0_4arch9wavefront6targetE1EEEvT1_.kd
    .uniform_work_group_size: 1
    .uses_dynamic_stack: false
    .vgpr_count:     0
    .vgpr_spill_count: 0
    .wavefront_size: 64
  - .agpr_count:     0
    .args:
      - .offset:         0
        .size:           48
        .value_kind:     by_value
    .group_segment_fixed_size: 15360
    .kernarg_segment_align: 16
    .kernarg_segment_size: 48
    .language:       OpenCL C
    .language_version:
      - 2
      - 0
    .max_flat_workgroup_size: 64
    .name:           _ZN7rocprim17ROCPRIM_400000_NS6detail17trampoline_kernelINS0_14default_configENS1_20scan_config_selectorIN3c107complexIdEEEEZZNS1_9scan_implILNS1_25lookback_scan_determinismE0ELb0ELb0ES3_PKS7_PS7_S7_ZZZN2at6native31launch_logcumsumexp_cuda_kernelERKNSE_10TensorBaseESI_lENKUlvE_clEvENKUlvE1_clEvEUlS7_S7_E_S7_EEDaPvRmT3_T4_T5_mT6_P12ihipStream_tbENKUlT_T0_E_clISt17integral_constantIbLb0EESZ_EEDaSU_SV_EUlSU_E0_NS1_11comp_targetILNS1_3genE4ELNS1_11target_archE910ELNS1_3gpuE8ELNS1_3repE0EEENS1_30default_config_static_selectorELNS0_4arch9wavefront6targetE1EEEvT1_
    .private_segment_fixed_size: 8
    .sgpr_count:     80
    .sgpr_spill_count: 0
    .symbol:         _ZN7rocprim17ROCPRIM_400000_NS6detail17trampoline_kernelINS0_14default_configENS1_20scan_config_selectorIN3c107complexIdEEEEZZNS1_9scan_implILNS1_25lookback_scan_determinismE0ELb0ELb0ES3_PKS7_PS7_S7_ZZZN2at6native31launch_logcumsumexp_cuda_kernelERKNSE_10TensorBaseESI_lENKUlvE_clEvENKUlvE1_clEvEUlS7_S7_E_S7_EEDaPvRmT3_T4_T5_mT6_P12ihipStream_tbENKUlT_T0_E_clISt17integral_constantIbLb0EESZ_EEDaSU_SV_EUlSU_E0_NS1_11comp_targetILNS1_3genE4ELNS1_11target_archE910ELNS1_3gpuE8ELNS1_3repE0EEENS1_30default_config_static_selectorELNS0_4arch9wavefront6targetE1EEEvT1_.kd
    .uniform_work_group_size: 1
    .uses_dynamic_stack: false
    .vgpr_count:     166
    .vgpr_spill_count: 0
    .wavefront_size: 64
  - .agpr_count:     0
    .args:
      - .offset:         0
        .size:           48
        .value_kind:     by_value
    .group_segment_fixed_size: 0
    .kernarg_segment_align: 16
    .kernarg_segment_size: 48
    .language:       OpenCL C
    .language_version:
      - 2
      - 0
    .max_flat_workgroup_size: 128
    .name:           _ZN7rocprim17ROCPRIM_400000_NS6detail17trampoline_kernelINS0_14default_configENS1_20scan_config_selectorIN3c107complexIdEEEEZZNS1_9scan_implILNS1_25lookback_scan_determinismE0ELb0ELb0ES3_PKS7_PS7_S7_ZZZN2at6native31launch_logcumsumexp_cuda_kernelERKNSE_10TensorBaseESI_lENKUlvE_clEvENKUlvE1_clEvEUlS7_S7_E_S7_EEDaPvRmT3_T4_T5_mT6_P12ihipStream_tbENKUlT_T0_E_clISt17integral_constantIbLb0EESZ_EEDaSU_SV_EUlSU_E0_NS1_11comp_targetILNS1_3genE3ELNS1_11target_archE908ELNS1_3gpuE7ELNS1_3repE0EEENS1_30default_config_static_selectorELNS0_4arch9wavefront6targetE1EEEvT1_
    .private_segment_fixed_size: 0
    .sgpr_count:     4
    .sgpr_spill_count: 0
    .symbol:         _ZN7rocprim17ROCPRIM_400000_NS6detail17trampoline_kernelINS0_14default_configENS1_20scan_config_selectorIN3c107complexIdEEEEZZNS1_9scan_implILNS1_25lookback_scan_determinismE0ELb0ELb0ES3_PKS7_PS7_S7_ZZZN2at6native31launch_logcumsumexp_cuda_kernelERKNSE_10TensorBaseESI_lENKUlvE_clEvENKUlvE1_clEvEUlS7_S7_E_S7_EEDaPvRmT3_T4_T5_mT6_P12ihipStream_tbENKUlT_T0_E_clISt17integral_constantIbLb0EESZ_EEDaSU_SV_EUlSU_E0_NS1_11comp_targetILNS1_3genE3ELNS1_11target_archE908ELNS1_3gpuE7ELNS1_3repE0EEENS1_30default_config_static_selectorELNS0_4arch9wavefront6targetE1EEEvT1_.kd
    .uniform_work_group_size: 1
    .uses_dynamic_stack: false
    .vgpr_count:     0
    .vgpr_spill_count: 0
    .wavefront_size: 64
  - .agpr_count:     0
    .args:
      - .offset:         0
        .size:           48
        .value_kind:     by_value
    .group_segment_fixed_size: 0
    .kernarg_segment_align: 16
    .kernarg_segment_size: 48
    .language:       OpenCL C
    .language_version:
      - 2
      - 0
    .max_flat_workgroup_size: 64
    .name:           _ZN7rocprim17ROCPRIM_400000_NS6detail17trampoline_kernelINS0_14default_configENS1_20scan_config_selectorIN3c107complexIdEEEEZZNS1_9scan_implILNS1_25lookback_scan_determinismE0ELb0ELb0ES3_PKS7_PS7_S7_ZZZN2at6native31launch_logcumsumexp_cuda_kernelERKNSE_10TensorBaseESI_lENKUlvE_clEvENKUlvE1_clEvEUlS7_S7_E_S7_EEDaPvRmT3_T4_T5_mT6_P12ihipStream_tbENKUlT_T0_E_clISt17integral_constantIbLb0EESZ_EEDaSU_SV_EUlSU_E0_NS1_11comp_targetILNS1_3genE2ELNS1_11target_archE906ELNS1_3gpuE6ELNS1_3repE0EEENS1_30default_config_static_selectorELNS0_4arch9wavefront6targetE1EEEvT1_
    .private_segment_fixed_size: 0
    .sgpr_count:     4
    .sgpr_spill_count: 0
    .symbol:         _ZN7rocprim17ROCPRIM_400000_NS6detail17trampoline_kernelINS0_14default_configENS1_20scan_config_selectorIN3c107complexIdEEEEZZNS1_9scan_implILNS1_25lookback_scan_determinismE0ELb0ELb0ES3_PKS7_PS7_S7_ZZZN2at6native31launch_logcumsumexp_cuda_kernelERKNSE_10TensorBaseESI_lENKUlvE_clEvENKUlvE1_clEvEUlS7_S7_E_S7_EEDaPvRmT3_T4_T5_mT6_P12ihipStream_tbENKUlT_T0_E_clISt17integral_constantIbLb0EESZ_EEDaSU_SV_EUlSU_E0_NS1_11comp_targetILNS1_3genE2ELNS1_11target_archE906ELNS1_3gpuE6ELNS1_3repE0EEENS1_30default_config_static_selectorELNS0_4arch9wavefront6targetE1EEEvT1_.kd
    .uniform_work_group_size: 1
    .uses_dynamic_stack: false
    .vgpr_count:     0
    .vgpr_spill_count: 0
    .wavefront_size: 64
  - .agpr_count:     0
    .args:
      - .offset:         0
        .size:           48
        .value_kind:     by_value
    .group_segment_fixed_size: 0
    .kernarg_segment_align: 16
    .kernarg_segment_size: 48
    .language:       OpenCL C
    .language_version:
      - 2
      - 0
    .max_flat_workgroup_size: 256
    .name:           _ZN7rocprim17ROCPRIM_400000_NS6detail17trampoline_kernelINS0_14default_configENS1_20scan_config_selectorIN3c107complexIdEEEEZZNS1_9scan_implILNS1_25lookback_scan_determinismE0ELb0ELb0ES3_PKS7_PS7_S7_ZZZN2at6native31launch_logcumsumexp_cuda_kernelERKNSE_10TensorBaseESI_lENKUlvE_clEvENKUlvE1_clEvEUlS7_S7_E_S7_EEDaPvRmT3_T4_T5_mT6_P12ihipStream_tbENKUlT_T0_E_clISt17integral_constantIbLb0EESZ_EEDaSU_SV_EUlSU_E0_NS1_11comp_targetILNS1_3genE10ELNS1_11target_archE1201ELNS1_3gpuE5ELNS1_3repE0EEENS1_30default_config_static_selectorELNS0_4arch9wavefront6targetE1EEEvT1_
    .private_segment_fixed_size: 0
    .sgpr_count:     4
    .sgpr_spill_count: 0
    .symbol:         _ZN7rocprim17ROCPRIM_400000_NS6detail17trampoline_kernelINS0_14default_configENS1_20scan_config_selectorIN3c107complexIdEEEEZZNS1_9scan_implILNS1_25lookback_scan_determinismE0ELb0ELb0ES3_PKS7_PS7_S7_ZZZN2at6native31launch_logcumsumexp_cuda_kernelERKNSE_10TensorBaseESI_lENKUlvE_clEvENKUlvE1_clEvEUlS7_S7_E_S7_EEDaPvRmT3_T4_T5_mT6_P12ihipStream_tbENKUlT_T0_E_clISt17integral_constantIbLb0EESZ_EEDaSU_SV_EUlSU_E0_NS1_11comp_targetILNS1_3genE10ELNS1_11target_archE1201ELNS1_3gpuE5ELNS1_3repE0EEENS1_30default_config_static_selectorELNS0_4arch9wavefront6targetE1EEEvT1_.kd
    .uniform_work_group_size: 1
    .uses_dynamic_stack: false
    .vgpr_count:     0
    .vgpr_spill_count: 0
    .wavefront_size: 64
  - .agpr_count:     0
    .args:
      - .offset:         0
        .size:           48
        .value_kind:     by_value
    .group_segment_fixed_size: 0
    .kernarg_segment_align: 16
    .kernarg_segment_size: 48
    .language:       OpenCL C
    .language_version:
      - 2
      - 0
    .max_flat_workgroup_size: 256
    .name:           _ZN7rocprim17ROCPRIM_400000_NS6detail17trampoline_kernelINS0_14default_configENS1_20scan_config_selectorIN3c107complexIdEEEEZZNS1_9scan_implILNS1_25lookback_scan_determinismE0ELb0ELb0ES3_PKS7_PS7_S7_ZZZN2at6native31launch_logcumsumexp_cuda_kernelERKNSE_10TensorBaseESI_lENKUlvE_clEvENKUlvE1_clEvEUlS7_S7_E_S7_EEDaPvRmT3_T4_T5_mT6_P12ihipStream_tbENKUlT_T0_E_clISt17integral_constantIbLb0EESZ_EEDaSU_SV_EUlSU_E0_NS1_11comp_targetILNS1_3genE10ELNS1_11target_archE1200ELNS1_3gpuE4ELNS1_3repE0EEENS1_30default_config_static_selectorELNS0_4arch9wavefront6targetE1EEEvT1_
    .private_segment_fixed_size: 0
    .sgpr_count:     4
    .sgpr_spill_count: 0
    .symbol:         _ZN7rocprim17ROCPRIM_400000_NS6detail17trampoline_kernelINS0_14default_configENS1_20scan_config_selectorIN3c107complexIdEEEEZZNS1_9scan_implILNS1_25lookback_scan_determinismE0ELb0ELb0ES3_PKS7_PS7_S7_ZZZN2at6native31launch_logcumsumexp_cuda_kernelERKNSE_10TensorBaseESI_lENKUlvE_clEvENKUlvE1_clEvEUlS7_S7_E_S7_EEDaPvRmT3_T4_T5_mT6_P12ihipStream_tbENKUlT_T0_E_clISt17integral_constantIbLb0EESZ_EEDaSU_SV_EUlSU_E0_NS1_11comp_targetILNS1_3genE10ELNS1_11target_archE1200ELNS1_3gpuE4ELNS1_3repE0EEENS1_30default_config_static_selectorELNS0_4arch9wavefront6targetE1EEEvT1_.kd
    .uniform_work_group_size: 1
    .uses_dynamic_stack: false
    .vgpr_count:     0
    .vgpr_spill_count: 0
    .wavefront_size: 64
  - .agpr_count:     0
    .args:
      - .offset:         0
        .size:           48
        .value_kind:     by_value
    .group_segment_fixed_size: 0
    .kernarg_segment_align: 16
    .kernarg_segment_size: 48
    .language:       OpenCL C
    .language_version:
      - 2
      - 0
    .max_flat_workgroup_size: 256
    .name:           _ZN7rocprim17ROCPRIM_400000_NS6detail17trampoline_kernelINS0_14default_configENS1_20scan_config_selectorIN3c107complexIdEEEEZZNS1_9scan_implILNS1_25lookback_scan_determinismE0ELb0ELb0ES3_PKS7_PS7_S7_ZZZN2at6native31launch_logcumsumexp_cuda_kernelERKNSE_10TensorBaseESI_lENKUlvE_clEvENKUlvE1_clEvEUlS7_S7_E_S7_EEDaPvRmT3_T4_T5_mT6_P12ihipStream_tbENKUlT_T0_E_clISt17integral_constantIbLb0EESZ_EEDaSU_SV_EUlSU_E0_NS1_11comp_targetILNS1_3genE9ELNS1_11target_archE1100ELNS1_3gpuE3ELNS1_3repE0EEENS1_30default_config_static_selectorELNS0_4arch9wavefront6targetE1EEEvT1_
    .private_segment_fixed_size: 0
    .sgpr_count:     4
    .sgpr_spill_count: 0
    .symbol:         _ZN7rocprim17ROCPRIM_400000_NS6detail17trampoline_kernelINS0_14default_configENS1_20scan_config_selectorIN3c107complexIdEEEEZZNS1_9scan_implILNS1_25lookback_scan_determinismE0ELb0ELb0ES3_PKS7_PS7_S7_ZZZN2at6native31launch_logcumsumexp_cuda_kernelERKNSE_10TensorBaseESI_lENKUlvE_clEvENKUlvE1_clEvEUlS7_S7_E_S7_EEDaPvRmT3_T4_T5_mT6_P12ihipStream_tbENKUlT_T0_E_clISt17integral_constantIbLb0EESZ_EEDaSU_SV_EUlSU_E0_NS1_11comp_targetILNS1_3genE9ELNS1_11target_archE1100ELNS1_3gpuE3ELNS1_3repE0EEENS1_30default_config_static_selectorELNS0_4arch9wavefront6targetE1EEEvT1_.kd
    .uniform_work_group_size: 1
    .uses_dynamic_stack: false
    .vgpr_count:     0
    .vgpr_spill_count: 0
    .wavefront_size: 64
  - .agpr_count:     0
    .args:
      - .offset:         0
        .size:           48
        .value_kind:     by_value
    .group_segment_fixed_size: 0
    .kernarg_segment_align: 16
    .kernarg_segment_size: 48
    .language:       OpenCL C
    .language_version:
      - 2
      - 0
    .max_flat_workgroup_size: 256
    .name:           _ZN7rocprim17ROCPRIM_400000_NS6detail17trampoline_kernelINS0_14default_configENS1_20scan_config_selectorIN3c107complexIdEEEEZZNS1_9scan_implILNS1_25lookback_scan_determinismE0ELb0ELb0ES3_PKS7_PS7_S7_ZZZN2at6native31launch_logcumsumexp_cuda_kernelERKNSE_10TensorBaseESI_lENKUlvE_clEvENKUlvE1_clEvEUlS7_S7_E_S7_EEDaPvRmT3_T4_T5_mT6_P12ihipStream_tbENKUlT_T0_E_clISt17integral_constantIbLb0EESZ_EEDaSU_SV_EUlSU_E0_NS1_11comp_targetILNS1_3genE8ELNS1_11target_archE1030ELNS1_3gpuE2ELNS1_3repE0EEENS1_30default_config_static_selectorELNS0_4arch9wavefront6targetE1EEEvT1_
    .private_segment_fixed_size: 0
    .sgpr_count:     4
    .sgpr_spill_count: 0
    .symbol:         _ZN7rocprim17ROCPRIM_400000_NS6detail17trampoline_kernelINS0_14default_configENS1_20scan_config_selectorIN3c107complexIdEEEEZZNS1_9scan_implILNS1_25lookback_scan_determinismE0ELb0ELb0ES3_PKS7_PS7_S7_ZZZN2at6native31launch_logcumsumexp_cuda_kernelERKNSE_10TensorBaseESI_lENKUlvE_clEvENKUlvE1_clEvEUlS7_S7_E_S7_EEDaPvRmT3_T4_T5_mT6_P12ihipStream_tbENKUlT_T0_E_clISt17integral_constantIbLb0EESZ_EEDaSU_SV_EUlSU_E0_NS1_11comp_targetILNS1_3genE8ELNS1_11target_archE1030ELNS1_3gpuE2ELNS1_3repE0EEENS1_30default_config_static_selectorELNS0_4arch9wavefront6targetE1EEEvT1_.kd
    .uniform_work_group_size: 1
    .uses_dynamic_stack: false
    .vgpr_count:     0
    .vgpr_spill_count: 0
    .wavefront_size: 64
  - .agpr_count:     0
    .args:
      - .offset:         0
        .size:           24
        .value_kind:     by_value
      - .offset:         24
        .size:           4
        .value_kind:     by_value
      - .address_space:  global
        .offset:         32
        .size:           8
        .value_kind:     global_buffer
      - .offset:         40
        .size:           4
        .value_kind:     by_value
      - .address_space:  global
        .offset:         48
        .size:           8
        .value_kind:     global_buffer
      - .offset:         56
        .size:           4
        .value_kind:     hidden_block_count_x
      - .offset:         60
        .size:           4
        .value_kind:     hidden_block_count_y
      - .offset:         64
        .size:           4
        .value_kind:     hidden_block_count_z
      - .offset:         68
        .size:           2
        .value_kind:     hidden_group_size_x
      - .offset:         70
        .size:           2
        .value_kind:     hidden_group_size_y
      - .offset:         72
        .size:           2
        .value_kind:     hidden_group_size_z
      - .offset:         74
        .size:           2
        .value_kind:     hidden_remainder_x
      - .offset:         76
        .size:           2
        .value_kind:     hidden_remainder_y
      - .offset:         78
        .size:           2
        .value_kind:     hidden_remainder_z
      - .offset:         96
        .size:           8
        .value_kind:     hidden_global_offset_x
      - .offset:         104
        .size:           8
        .value_kind:     hidden_global_offset_y
      - .offset:         112
        .size:           8
        .value_kind:     hidden_global_offset_z
      - .offset:         120
        .size:           2
        .value_kind:     hidden_grid_dims
    .group_segment_fixed_size: 0
    .kernarg_segment_align: 8
    .kernarg_segment_size: 312
    .language:       OpenCL C
    .language_version:
      - 2
      - 0
    .max_flat_workgroup_size: 256
    .name:           _ZN7rocprim17ROCPRIM_400000_NS6detail31init_lookback_scan_state_kernelINS1_19lookback_scan_stateIN3c107complexIdEELb1ELb0EEENS1_16block_id_wrapperIjLb1EEEEEvT_jT0_jPNSA_10value_typeE
    .private_segment_fixed_size: 0
    .sgpr_count:     24
    .sgpr_spill_count: 0
    .symbol:         _ZN7rocprim17ROCPRIM_400000_NS6detail31init_lookback_scan_state_kernelINS1_19lookback_scan_stateIN3c107complexIdEELb1ELb0EEENS1_16block_id_wrapperIjLb1EEEEEvT_jT0_jPNSA_10value_typeE.kd
    .uniform_work_group_size: 1
    .uses_dynamic_stack: false
    .vgpr_count:     6
    .vgpr_spill_count: 0
    .wavefront_size: 64
  - .agpr_count:     0
    .args:
      - .offset:         0
        .size:           128
        .value_kind:     by_value
    .group_segment_fixed_size: 0
    .kernarg_segment_align: 16
    .kernarg_segment_size: 128
    .language:       OpenCL C
    .language_version:
      - 2
      - 0
    .max_flat_workgroup_size: 128
    .name:           _ZN7rocprim17ROCPRIM_400000_NS6detail17trampoline_kernelINS0_14default_configENS1_20scan_config_selectorIN3c107complexIdEEEEZZNS1_9scan_implILNS1_25lookback_scan_determinismE0ELb0ELb0ES3_PKS7_PS7_S7_ZZZN2at6native31launch_logcumsumexp_cuda_kernelERKNSE_10TensorBaseESI_lENKUlvE_clEvENKUlvE1_clEvEUlS7_S7_E_S7_EEDaPvRmT3_T4_T5_mT6_P12ihipStream_tbENKUlT_T0_E_clISt17integral_constantIbLb1EESZ_EEDaSU_SV_EUlSU_E_NS1_11comp_targetILNS1_3genE0ELNS1_11target_archE4294967295ELNS1_3gpuE0ELNS1_3repE0EEENS1_30default_config_static_selectorELNS0_4arch9wavefront6targetE1EEEvT1_
    .private_segment_fixed_size: 0
    .sgpr_count:     4
    .sgpr_spill_count: 0
    .symbol:         _ZN7rocprim17ROCPRIM_400000_NS6detail17trampoline_kernelINS0_14default_configENS1_20scan_config_selectorIN3c107complexIdEEEEZZNS1_9scan_implILNS1_25lookback_scan_determinismE0ELb0ELb0ES3_PKS7_PS7_S7_ZZZN2at6native31launch_logcumsumexp_cuda_kernelERKNSE_10TensorBaseESI_lENKUlvE_clEvENKUlvE1_clEvEUlS7_S7_E_S7_EEDaPvRmT3_T4_T5_mT6_P12ihipStream_tbENKUlT_T0_E_clISt17integral_constantIbLb1EESZ_EEDaSU_SV_EUlSU_E_NS1_11comp_targetILNS1_3genE0ELNS1_11target_archE4294967295ELNS1_3gpuE0ELNS1_3repE0EEENS1_30default_config_static_selectorELNS0_4arch9wavefront6targetE1EEEvT1_.kd
    .uniform_work_group_size: 1
    .uses_dynamic_stack: false
    .vgpr_count:     0
    .vgpr_spill_count: 0
    .wavefront_size: 64
  - .agpr_count:     0
    .args:
      - .offset:         0
        .size:           128
        .value_kind:     by_value
    .group_segment_fixed_size: 0
    .kernarg_segment_align: 16
    .kernarg_segment_size: 128
    .language:       OpenCL C
    .language_version:
      - 2
      - 0
    .max_flat_workgroup_size: 256
    .name:           _ZN7rocprim17ROCPRIM_400000_NS6detail17trampoline_kernelINS0_14default_configENS1_20scan_config_selectorIN3c107complexIdEEEEZZNS1_9scan_implILNS1_25lookback_scan_determinismE0ELb0ELb0ES3_PKS7_PS7_S7_ZZZN2at6native31launch_logcumsumexp_cuda_kernelERKNSE_10TensorBaseESI_lENKUlvE_clEvENKUlvE1_clEvEUlS7_S7_E_S7_EEDaPvRmT3_T4_T5_mT6_P12ihipStream_tbENKUlT_T0_E_clISt17integral_constantIbLb1EESZ_EEDaSU_SV_EUlSU_E_NS1_11comp_targetILNS1_3genE5ELNS1_11target_archE942ELNS1_3gpuE9ELNS1_3repE0EEENS1_30default_config_static_selectorELNS0_4arch9wavefront6targetE1EEEvT1_
    .private_segment_fixed_size: 0
    .sgpr_count:     4
    .sgpr_spill_count: 0
    .symbol:         _ZN7rocprim17ROCPRIM_400000_NS6detail17trampoline_kernelINS0_14default_configENS1_20scan_config_selectorIN3c107complexIdEEEEZZNS1_9scan_implILNS1_25lookback_scan_determinismE0ELb0ELb0ES3_PKS7_PS7_S7_ZZZN2at6native31launch_logcumsumexp_cuda_kernelERKNSE_10TensorBaseESI_lENKUlvE_clEvENKUlvE1_clEvEUlS7_S7_E_S7_EEDaPvRmT3_T4_T5_mT6_P12ihipStream_tbENKUlT_T0_E_clISt17integral_constantIbLb1EESZ_EEDaSU_SV_EUlSU_E_NS1_11comp_targetILNS1_3genE5ELNS1_11target_archE942ELNS1_3gpuE9ELNS1_3repE0EEENS1_30default_config_static_selectorELNS0_4arch9wavefront6targetE1EEEvT1_.kd
    .uniform_work_group_size: 1
    .uses_dynamic_stack: false
    .vgpr_count:     0
    .vgpr_spill_count: 0
    .wavefront_size: 64
  - .agpr_count:     0
    .args:
      - .offset:         0
        .size:           128
        .value_kind:     by_value
    .group_segment_fixed_size: 15360
    .kernarg_segment_align: 16
    .kernarg_segment_size: 128
    .language:       OpenCL C
    .language_version:
      - 2
      - 0
    .max_flat_workgroup_size: 64
    .name:           _ZN7rocprim17ROCPRIM_400000_NS6detail17trampoline_kernelINS0_14default_configENS1_20scan_config_selectorIN3c107complexIdEEEEZZNS1_9scan_implILNS1_25lookback_scan_determinismE0ELb0ELb0ES3_PKS7_PS7_S7_ZZZN2at6native31launch_logcumsumexp_cuda_kernelERKNSE_10TensorBaseESI_lENKUlvE_clEvENKUlvE1_clEvEUlS7_S7_E_S7_EEDaPvRmT3_T4_T5_mT6_P12ihipStream_tbENKUlT_T0_E_clISt17integral_constantIbLb1EESZ_EEDaSU_SV_EUlSU_E_NS1_11comp_targetILNS1_3genE4ELNS1_11target_archE910ELNS1_3gpuE8ELNS1_3repE0EEENS1_30default_config_static_selectorELNS0_4arch9wavefront6targetE1EEEvT1_
    .private_segment_fixed_size: 8
    .sgpr_count:     77
    .sgpr_spill_count: 0
    .symbol:         _ZN7rocprim17ROCPRIM_400000_NS6detail17trampoline_kernelINS0_14default_configENS1_20scan_config_selectorIN3c107complexIdEEEEZZNS1_9scan_implILNS1_25lookback_scan_determinismE0ELb0ELb0ES3_PKS7_PS7_S7_ZZZN2at6native31launch_logcumsumexp_cuda_kernelERKNSE_10TensorBaseESI_lENKUlvE_clEvENKUlvE1_clEvEUlS7_S7_E_S7_EEDaPvRmT3_T4_T5_mT6_P12ihipStream_tbENKUlT_T0_E_clISt17integral_constantIbLb1EESZ_EEDaSU_SV_EUlSU_E_NS1_11comp_targetILNS1_3genE4ELNS1_11target_archE910ELNS1_3gpuE8ELNS1_3repE0EEENS1_30default_config_static_selectorELNS0_4arch9wavefront6targetE1EEEvT1_.kd
    .uniform_work_group_size: 1
    .uses_dynamic_stack: false
    .vgpr_count:     171
    .vgpr_spill_count: 0
    .wavefront_size: 64
  - .agpr_count:     0
    .args:
      - .offset:         0
        .size:           128
        .value_kind:     by_value
    .group_segment_fixed_size: 0
    .kernarg_segment_align: 16
    .kernarg_segment_size: 128
    .language:       OpenCL C
    .language_version:
      - 2
      - 0
    .max_flat_workgroup_size: 128
    .name:           _ZN7rocprim17ROCPRIM_400000_NS6detail17trampoline_kernelINS0_14default_configENS1_20scan_config_selectorIN3c107complexIdEEEEZZNS1_9scan_implILNS1_25lookback_scan_determinismE0ELb0ELb0ES3_PKS7_PS7_S7_ZZZN2at6native31launch_logcumsumexp_cuda_kernelERKNSE_10TensorBaseESI_lENKUlvE_clEvENKUlvE1_clEvEUlS7_S7_E_S7_EEDaPvRmT3_T4_T5_mT6_P12ihipStream_tbENKUlT_T0_E_clISt17integral_constantIbLb1EESZ_EEDaSU_SV_EUlSU_E_NS1_11comp_targetILNS1_3genE3ELNS1_11target_archE908ELNS1_3gpuE7ELNS1_3repE0EEENS1_30default_config_static_selectorELNS0_4arch9wavefront6targetE1EEEvT1_
    .private_segment_fixed_size: 0
    .sgpr_count:     4
    .sgpr_spill_count: 0
    .symbol:         _ZN7rocprim17ROCPRIM_400000_NS6detail17trampoline_kernelINS0_14default_configENS1_20scan_config_selectorIN3c107complexIdEEEEZZNS1_9scan_implILNS1_25lookback_scan_determinismE0ELb0ELb0ES3_PKS7_PS7_S7_ZZZN2at6native31launch_logcumsumexp_cuda_kernelERKNSE_10TensorBaseESI_lENKUlvE_clEvENKUlvE1_clEvEUlS7_S7_E_S7_EEDaPvRmT3_T4_T5_mT6_P12ihipStream_tbENKUlT_T0_E_clISt17integral_constantIbLb1EESZ_EEDaSU_SV_EUlSU_E_NS1_11comp_targetILNS1_3genE3ELNS1_11target_archE908ELNS1_3gpuE7ELNS1_3repE0EEENS1_30default_config_static_selectorELNS0_4arch9wavefront6targetE1EEEvT1_.kd
    .uniform_work_group_size: 1
    .uses_dynamic_stack: false
    .vgpr_count:     0
    .vgpr_spill_count: 0
    .wavefront_size: 64
  - .agpr_count:     0
    .args:
      - .offset:         0
        .size:           128
        .value_kind:     by_value
    .group_segment_fixed_size: 0
    .kernarg_segment_align: 16
    .kernarg_segment_size: 128
    .language:       OpenCL C
    .language_version:
      - 2
      - 0
    .max_flat_workgroup_size: 64
    .name:           _ZN7rocprim17ROCPRIM_400000_NS6detail17trampoline_kernelINS0_14default_configENS1_20scan_config_selectorIN3c107complexIdEEEEZZNS1_9scan_implILNS1_25lookback_scan_determinismE0ELb0ELb0ES3_PKS7_PS7_S7_ZZZN2at6native31launch_logcumsumexp_cuda_kernelERKNSE_10TensorBaseESI_lENKUlvE_clEvENKUlvE1_clEvEUlS7_S7_E_S7_EEDaPvRmT3_T4_T5_mT6_P12ihipStream_tbENKUlT_T0_E_clISt17integral_constantIbLb1EESZ_EEDaSU_SV_EUlSU_E_NS1_11comp_targetILNS1_3genE2ELNS1_11target_archE906ELNS1_3gpuE6ELNS1_3repE0EEENS1_30default_config_static_selectorELNS0_4arch9wavefront6targetE1EEEvT1_
    .private_segment_fixed_size: 0
    .sgpr_count:     4
    .sgpr_spill_count: 0
    .symbol:         _ZN7rocprim17ROCPRIM_400000_NS6detail17trampoline_kernelINS0_14default_configENS1_20scan_config_selectorIN3c107complexIdEEEEZZNS1_9scan_implILNS1_25lookback_scan_determinismE0ELb0ELb0ES3_PKS7_PS7_S7_ZZZN2at6native31launch_logcumsumexp_cuda_kernelERKNSE_10TensorBaseESI_lENKUlvE_clEvENKUlvE1_clEvEUlS7_S7_E_S7_EEDaPvRmT3_T4_T5_mT6_P12ihipStream_tbENKUlT_T0_E_clISt17integral_constantIbLb1EESZ_EEDaSU_SV_EUlSU_E_NS1_11comp_targetILNS1_3genE2ELNS1_11target_archE906ELNS1_3gpuE6ELNS1_3repE0EEENS1_30default_config_static_selectorELNS0_4arch9wavefront6targetE1EEEvT1_.kd
    .uniform_work_group_size: 1
    .uses_dynamic_stack: false
    .vgpr_count:     0
    .vgpr_spill_count: 0
    .wavefront_size: 64
  - .agpr_count:     0
    .args:
      - .offset:         0
        .size:           128
        .value_kind:     by_value
    .group_segment_fixed_size: 0
    .kernarg_segment_align: 16
    .kernarg_segment_size: 128
    .language:       OpenCL C
    .language_version:
      - 2
      - 0
    .max_flat_workgroup_size: 256
    .name:           _ZN7rocprim17ROCPRIM_400000_NS6detail17trampoline_kernelINS0_14default_configENS1_20scan_config_selectorIN3c107complexIdEEEEZZNS1_9scan_implILNS1_25lookback_scan_determinismE0ELb0ELb0ES3_PKS7_PS7_S7_ZZZN2at6native31launch_logcumsumexp_cuda_kernelERKNSE_10TensorBaseESI_lENKUlvE_clEvENKUlvE1_clEvEUlS7_S7_E_S7_EEDaPvRmT3_T4_T5_mT6_P12ihipStream_tbENKUlT_T0_E_clISt17integral_constantIbLb1EESZ_EEDaSU_SV_EUlSU_E_NS1_11comp_targetILNS1_3genE10ELNS1_11target_archE1201ELNS1_3gpuE5ELNS1_3repE0EEENS1_30default_config_static_selectorELNS0_4arch9wavefront6targetE1EEEvT1_
    .private_segment_fixed_size: 0
    .sgpr_count:     4
    .sgpr_spill_count: 0
    .symbol:         _ZN7rocprim17ROCPRIM_400000_NS6detail17trampoline_kernelINS0_14default_configENS1_20scan_config_selectorIN3c107complexIdEEEEZZNS1_9scan_implILNS1_25lookback_scan_determinismE0ELb0ELb0ES3_PKS7_PS7_S7_ZZZN2at6native31launch_logcumsumexp_cuda_kernelERKNSE_10TensorBaseESI_lENKUlvE_clEvENKUlvE1_clEvEUlS7_S7_E_S7_EEDaPvRmT3_T4_T5_mT6_P12ihipStream_tbENKUlT_T0_E_clISt17integral_constantIbLb1EESZ_EEDaSU_SV_EUlSU_E_NS1_11comp_targetILNS1_3genE10ELNS1_11target_archE1201ELNS1_3gpuE5ELNS1_3repE0EEENS1_30default_config_static_selectorELNS0_4arch9wavefront6targetE1EEEvT1_.kd
    .uniform_work_group_size: 1
    .uses_dynamic_stack: false
    .vgpr_count:     0
    .vgpr_spill_count: 0
    .wavefront_size: 64
  - .agpr_count:     0
    .args:
      - .offset:         0
        .size:           128
        .value_kind:     by_value
    .group_segment_fixed_size: 0
    .kernarg_segment_align: 16
    .kernarg_segment_size: 128
    .language:       OpenCL C
    .language_version:
      - 2
      - 0
    .max_flat_workgroup_size: 256
    .name:           _ZN7rocprim17ROCPRIM_400000_NS6detail17trampoline_kernelINS0_14default_configENS1_20scan_config_selectorIN3c107complexIdEEEEZZNS1_9scan_implILNS1_25lookback_scan_determinismE0ELb0ELb0ES3_PKS7_PS7_S7_ZZZN2at6native31launch_logcumsumexp_cuda_kernelERKNSE_10TensorBaseESI_lENKUlvE_clEvENKUlvE1_clEvEUlS7_S7_E_S7_EEDaPvRmT3_T4_T5_mT6_P12ihipStream_tbENKUlT_T0_E_clISt17integral_constantIbLb1EESZ_EEDaSU_SV_EUlSU_E_NS1_11comp_targetILNS1_3genE10ELNS1_11target_archE1200ELNS1_3gpuE4ELNS1_3repE0EEENS1_30default_config_static_selectorELNS0_4arch9wavefront6targetE1EEEvT1_
    .private_segment_fixed_size: 0
    .sgpr_count:     4
    .sgpr_spill_count: 0
    .symbol:         _ZN7rocprim17ROCPRIM_400000_NS6detail17trampoline_kernelINS0_14default_configENS1_20scan_config_selectorIN3c107complexIdEEEEZZNS1_9scan_implILNS1_25lookback_scan_determinismE0ELb0ELb0ES3_PKS7_PS7_S7_ZZZN2at6native31launch_logcumsumexp_cuda_kernelERKNSE_10TensorBaseESI_lENKUlvE_clEvENKUlvE1_clEvEUlS7_S7_E_S7_EEDaPvRmT3_T4_T5_mT6_P12ihipStream_tbENKUlT_T0_E_clISt17integral_constantIbLb1EESZ_EEDaSU_SV_EUlSU_E_NS1_11comp_targetILNS1_3genE10ELNS1_11target_archE1200ELNS1_3gpuE4ELNS1_3repE0EEENS1_30default_config_static_selectorELNS0_4arch9wavefront6targetE1EEEvT1_.kd
    .uniform_work_group_size: 1
    .uses_dynamic_stack: false
    .vgpr_count:     0
    .vgpr_spill_count: 0
    .wavefront_size: 64
  - .agpr_count:     0
    .args:
      - .offset:         0
        .size:           128
        .value_kind:     by_value
    .group_segment_fixed_size: 0
    .kernarg_segment_align: 16
    .kernarg_segment_size: 128
    .language:       OpenCL C
    .language_version:
      - 2
      - 0
    .max_flat_workgroup_size: 256
    .name:           _ZN7rocprim17ROCPRIM_400000_NS6detail17trampoline_kernelINS0_14default_configENS1_20scan_config_selectorIN3c107complexIdEEEEZZNS1_9scan_implILNS1_25lookback_scan_determinismE0ELb0ELb0ES3_PKS7_PS7_S7_ZZZN2at6native31launch_logcumsumexp_cuda_kernelERKNSE_10TensorBaseESI_lENKUlvE_clEvENKUlvE1_clEvEUlS7_S7_E_S7_EEDaPvRmT3_T4_T5_mT6_P12ihipStream_tbENKUlT_T0_E_clISt17integral_constantIbLb1EESZ_EEDaSU_SV_EUlSU_E_NS1_11comp_targetILNS1_3genE9ELNS1_11target_archE1100ELNS1_3gpuE3ELNS1_3repE0EEENS1_30default_config_static_selectorELNS0_4arch9wavefront6targetE1EEEvT1_
    .private_segment_fixed_size: 0
    .sgpr_count:     4
    .sgpr_spill_count: 0
    .symbol:         _ZN7rocprim17ROCPRIM_400000_NS6detail17trampoline_kernelINS0_14default_configENS1_20scan_config_selectorIN3c107complexIdEEEEZZNS1_9scan_implILNS1_25lookback_scan_determinismE0ELb0ELb0ES3_PKS7_PS7_S7_ZZZN2at6native31launch_logcumsumexp_cuda_kernelERKNSE_10TensorBaseESI_lENKUlvE_clEvENKUlvE1_clEvEUlS7_S7_E_S7_EEDaPvRmT3_T4_T5_mT6_P12ihipStream_tbENKUlT_T0_E_clISt17integral_constantIbLb1EESZ_EEDaSU_SV_EUlSU_E_NS1_11comp_targetILNS1_3genE9ELNS1_11target_archE1100ELNS1_3gpuE3ELNS1_3repE0EEENS1_30default_config_static_selectorELNS0_4arch9wavefront6targetE1EEEvT1_.kd
    .uniform_work_group_size: 1
    .uses_dynamic_stack: false
    .vgpr_count:     0
    .vgpr_spill_count: 0
    .wavefront_size: 64
  - .agpr_count:     0
    .args:
      - .offset:         0
        .size:           128
        .value_kind:     by_value
    .group_segment_fixed_size: 0
    .kernarg_segment_align: 16
    .kernarg_segment_size: 128
    .language:       OpenCL C
    .language_version:
      - 2
      - 0
    .max_flat_workgroup_size: 256
    .name:           _ZN7rocprim17ROCPRIM_400000_NS6detail17trampoline_kernelINS0_14default_configENS1_20scan_config_selectorIN3c107complexIdEEEEZZNS1_9scan_implILNS1_25lookback_scan_determinismE0ELb0ELb0ES3_PKS7_PS7_S7_ZZZN2at6native31launch_logcumsumexp_cuda_kernelERKNSE_10TensorBaseESI_lENKUlvE_clEvENKUlvE1_clEvEUlS7_S7_E_S7_EEDaPvRmT3_T4_T5_mT6_P12ihipStream_tbENKUlT_T0_E_clISt17integral_constantIbLb1EESZ_EEDaSU_SV_EUlSU_E_NS1_11comp_targetILNS1_3genE8ELNS1_11target_archE1030ELNS1_3gpuE2ELNS1_3repE0EEENS1_30default_config_static_selectorELNS0_4arch9wavefront6targetE1EEEvT1_
    .private_segment_fixed_size: 0
    .sgpr_count:     4
    .sgpr_spill_count: 0
    .symbol:         _ZN7rocprim17ROCPRIM_400000_NS6detail17trampoline_kernelINS0_14default_configENS1_20scan_config_selectorIN3c107complexIdEEEEZZNS1_9scan_implILNS1_25lookback_scan_determinismE0ELb0ELb0ES3_PKS7_PS7_S7_ZZZN2at6native31launch_logcumsumexp_cuda_kernelERKNSE_10TensorBaseESI_lENKUlvE_clEvENKUlvE1_clEvEUlS7_S7_E_S7_EEDaPvRmT3_T4_T5_mT6_P12ihipStream_tbENKUlT_T0_E_clISt17integral_constantIbLb1EESZ_EEDaSU_SV_EUlSU_E_NS1_11comp_targetILNS1_3genE8ELNS1_11target_archE1030ELNS1_3gpuE2ELNS1_3repE0EEENS1_30default_config_static_selectorELNS0_4arch9wavefront6targetE1EEEvT1_.kd
    .uniform_work_group_size: 1
    .uses_dynamic_stack: false
    .vgpr_count:     0
    .vgpr_spill_count: 0
    .wavefront_size: 64
  - .agpr_count:     0
    .args:
      - .offset:         0
        .size:           48
        .value_kind:     by_value
    .group_segment_fixed_size: 0
    .kernarg_segment_align: 16
    .kernarg_segment_size: 48
    .language:       OpenCL C
    .language_version:
      - 2
      - 0
    .max_flat_workgroup_size: 128
    .name:           _ZN7rocprim17ROCPRIM_400000_NS6detail17trampoline_kernelINS0_14default_configENS1_20scan_config_selectorIN3c107complexIdEEEEZZNS1_9scan_implILNS1_25lookback_scan_determinismE0ELb0ELb0ES3_PKS7_PS7_S7_ZZZN2at6native31launch_logcumsumexp_cuda_kernelERKNSE_10TensorBaseESI_lENKUlvE_clEvENKUlvE1_clEvEUlS7_S7_E_S7_EEDaPvRmT3_T4_T5_mT6_P12ihipStream_tbENKUlT_T0_E_clISt17integral_constantIbLb1EESZ_EEDaSU_SV_EUlSU_E0_NS1_11comp_targetILNS1_3genE0ELNS1_11target_archE4294967295ELNS1_3gpuE0ELNS1_3repE0EEENS1_30default_config_static_selectorELNS0_4arch9wavefront6targetE1EEEvT1_
    .private_segment_fixed_size: 0
    .sgpr_count:     4
    .sgpr_spill_count: 0
    .symbol:         _ZN7rocprim17ROCPRIM_400000_NS6detail17trampoline_kernelINS0_14default_configENS1_20scan_config_selectorIN3c107complexIdEEEEZZNS1_9scan_implILNS1_25lookback_scan_determinismE0ELb0ELb0ES3_PKS7_PS7_S7_ZZZN2at6native31launch_logcumsumexp_cuda_kernelERKNSE_10TensorBaseESI_lENKUlvE_clEvENKUlvE1_clEvEUlS7_S7_E_S7_EEDaPvRmT3_T4_T5_mT6_P12ihipStream_tbENKUlT_T0_E_clISt17integral_constantIbLb1EESZ_EEDaSU_SV_EUlSU_E0_NS1_11comp_targetILNS1_3genE0ELNS1_11target_archE4294967295ELNS1_3gpuE0ELNS1_3repE0EEENS1_30default_config_static_selectorELNS0_4arch9wavefront6targetE1EEEvT1_.kd
    .uniform_work_group_size: 1
    .uses_dynamic_stack: false
    .vgpr_count:     0
    .vgpr_spill_count: 0
    .wavefront_size: 64
  - .agpr_count:     0
    .args:
      - .offset:         0
        .size:           48
        .value_kind:     by_value
    .group_segment_fixed_size: 0
    .kernarg_segment_align: 16
    .kernarg_segment_size: 48
    .language:       OpenCL C
    .language_version:
      - 2
      - 0
    .max_flat_workgroup_size: 256
    .name:           _ZN7rocprim17ROCPRIM_400000_NS6detail17trampoline_kernelINS0_14default_configENS1_20scan_config_selectorIN3c107complexIdEEEEZZNS1_9scan_implILNS1_25lookback_scan_determinismE0ELb0ELb0ES3_PKS7_PS7_S7_ZZZN2at6native31launch_logcumsumexp_cuda_kernelERKNSE_10TensorBaseESI_lENKUlvE_clEvENKUlvE1_clEvEUlS7_S7_E_S7_EEDaPvRmT3_T4_T5_mT6_P12ihipStream_tbENKUlT_T0_E_clISt17integral_constantIbLb1EESZ_EEDaSU_SV_EUlSU_E0_NS1_11comp_targetILNS1_3genE5ELNS1_11target_archE942ELNS1_3gpuE9ELNS1_3repE0EEENS1_30default_config_static_selectorELNS0_4arch9wavefront6targetE1EEEvT1_
    .private_segment_fixed_size: 0
    .sgpr_count:     4
    .sgpr_spill_count: 0
    .symbol:         _ZN7rocprim17ROCPRIM_400000_NS6detail17trampoline_kernelINS0_14default_configENS1_20scan_config_selectorIN3c107complexIdEEEEZZNS1_9scan_implILNS1_25lookback_scan_determinismE0ELb0ELb0ES3_PKS7_PS7_S7_ZZZN2at6native31launch_logcumsumexp_cuda_kernelERKNSE_10TensorBaseESI_lENKUlvE_clEvENKUlvE1_clEvEUlS7_S7_E_S7_EEDaPvRmT3_T4_T5_mT6_P12ihipStream_tbENKUlT_T0_E_clISt17integral_constantIbLb1EESZ_EEDaSU_SV_EUlSU_E0_NS1_11comp_targetILNS1_3genE5ELNS1_11target_archE942ELNS1_3gpuE9ELNS1_3repE0EEENS1_30default_config_static_selectorELNS0_4arch9wavefront6targetE1EEEvT1_.kd
    .uniform_work_group_size: 1
    .uses_dynamic_stack: false
    .vgpr_count:     0
    .vgpr_spill_count: 0
    .wavefront_size: 64
  - .agpr_count:     0
    .args:
      - .offset:         0
        .size:           48
        .value_kind:     by_value
    .group_segment_fixed_size: 15360
    .kernarg_segment_align: 16
    .kernarg_segment_size: 48
    .language:       OpenCL C
    .language_version:
      - 2
      - 0
    .max_flat_workgroup_size: 64
    .name:           _ZN7rocprim17ROCPRIM_400000_NS6detail17trampoline_kernelINS0_14default_configENS1_20scan_config_selectorIN3c107complexIdEEEEZZNS1_9scan_implILNS1_25lookback_scan_determinismE0ELb0ELb0ES3_PKS7_PS7_S7_ZZZN2at6native31launch_logcumsumexp_cuda_kernelERKNSE_10TensorBaseESI_lENKUlvE_clEvENKUlvE1_clEvEUlS7_S7_E_S7_EEDaPvRmT3_T4_T5_mT6_P12ihipStream_tbENKUlT_T0_E_clISt17integral_constantIbLb1EESZ_EEDaSU_SV_EUlSU_E0_NS1_11comp_targetILNS1_3genE4ELNS1_11target_archE910ELNS1_3gpuE8ELNS1_3repE0EEENS1_30default_config_static_selectorELNS0_4arch9wavefront6targetE1EEEvT1_
    .private_segment_fixed_size: 8
    .sgpr_count:     80
    .sgpr_spill_count: 0
    .symbol:         _ZN7rocprim17ROCPRIM_400000_NS6detail17trampoline_kernelINS0_14default_configENS1_20scan_config_selectorIN3c107complexIdEEEEZZNS1_9scan_implILNS1_25lookback_scan_determinismE0ELb0ELb0ES3_PKS7_PS7_S7_ZZZN2at6native31launch_logcumsumexp_cuda_kernelERKNSE_10TensorBaseESI_lENKUlvE_clEvENKUlvE1_clEvEUlS7_S7_E_S7_EEDaPvRmT3_T4_T5_mT6_P12ihipStream_tbENKUlT_T0_E_clISt17integral_constantIbLb1EESZ_EEDaSU_SV_EUlSU_E0_NS1_11comp_targetILNS1_3genE4ELNS1_11target_archE910ELNS1_3gpuE8ELNS1_3repE0EEENS1_30default_config_static_selectorELNS0_4arch9wavefront6targetE1EEEvT1_.kd
    .uniform_work_group_size: 1
    .uses_dynamic_stack: false
    .vgpr_count:     166
    .vgpr_spill_count: 0
    .wavefront_size: 64
  - .agpr_count:     0
    .args:
      - .offset:         0
        .size:           48
        .value_kind:     by_value
    .group_segment_fixed_size: 0
    .kernarg_segment_align: 16
    .kernarg_segment_size: 48
    .language:       OpenCL C
    .language_version:
      - 2
      - 0
    .max_flat_workgroup_size: 128
    .name:           _ZN7rocprim17ROCPRIM_400000_NS6detail17trampoline_kernelINS0_14default_configENS1_20scan_config_selectorIN3c107complexIdEEEEZZNS1_9scan_implILNS1_25lookback_scan_determinismE0ELb0ELb0ES3_PKS7_PS7_S7_ZZZN2at6native31launch_logcumsumexp_cuda_kernelERKNSE_10TensorBaseESI_lENKUlvE_clEvENKUlvE1_clEvEUlS7_S7_E_S7_EEDaPvRmT3_T4_T5_mT6_P12ihipStream_tbENKUlT_T0_E_clISt17integral_constantIbLb1EESZ_EEDaSU_SV_EUlSU_E0_NS1_11comp_targetILNS1_3genE3ELNS1_11target_archE908ELNS1_3gpuE7ELNS1_3repE0EEENS1_30default_config_static_selectorELNS0_4arch9wavefront6targetE1EEEvT1_
    .private_segment_fixed_size: 0
    .sgpr_count:     4
    .sgpr_spill_count: 0
    .symbol:         _ZN7rocprim17ROCPRIM_400000_NS6detail17trampoline_kernelINS0_14default_configENS1_20scan_config_selectorIN3c107complexIdEEEEZZNS1_9scan_implILNS1_25lookback_scan_determinismE0ELb0ELb0ES3_PKS7_PS7_S7_ZZZN2at6native31launch_logcumsumexp_cuda_kernelERKNSE_10TensorBaseESI_lENKUlvE_clEvENKUlvE1_clEvEUlS7_S7_E_S7_EEDaPvRmT3_T4_T5_mT6_P12ihipStream_tbENKUlT_T0_E_clISt17integral_constantIbLb1EESZ_EEDaSU_SV_EUlSU_E0_NS1_11comp_targetILNS1_3genE3ELNS1_11target_archE908ELNS1_3gpuE7ELNS1_3repE0EEENS1_30default_config_static_selectorELNS0_4arch9wavefront6targetE1EEEvT1_.kd
    .uniform_work_group_size: 1
    .uses_dynamic_stack: false
    .vgpr_count:     0
    .vgpr_spill_count: 0
    .wavefront_size: 64
  - .agpr_count:     0
    .args:
      - .offset:         0
        .size:           48
        .value_kind:     by_value
    .group_segment_fixed_size: 0
    .kernarg_segment_align: 16
    .kernarg_segment_size: 48
    .language:       OpenCL C
    .language_version:
      - 2
      - 0
    .max_flat_workgroup_size: 64
    .name:           _ZN7rocprim17ROCPRIM_400000_NS6detail17trampoline_kernelINS0_14default_configENS1_20scan_config_selectorIN3c107complexIdEEEEZZNS1_9scan_implILNS1_25lookback_scan_determinismE0ELb0ELb0ES3_PKS7_PS7_S7_ZZZN2at6native31launch_logcumsumexp_cuda_kernelERKNSE_10TensorBaseESI_lENKUlvE_clEvENKUlvE1_clEvEUlS7_S7_E_S7_EEDaPvRmT3_T4_T5_mT6_P12ihipStream_tbENKUlT_T0_E_clISt17integral_constantIbLb1EESZ_EEDaSU_SV_EUlSU_E0_NS1_11comp_targetILNS1_3genE2ELNS1_11target_archE906ELNS1_3gpuE6ELNS1_3repE0EEENS1_30default_config_static_selectorELNS0_4arch9wavefront6targetE1EEEvT1_
    .private_segment_fixed_size: 0
    .sgpr_count:     4
    .sgpr_spill_count: 0
    .symbol:         _ZN7rocprim17ROCPRIM_400000_NS6detail17trampoline_kernelINS0_14default_configENS1_20scan_config_selectorIN3c107complexIdEEEEZZNS1_9scan_implILNS1_25lookback_scan_determinismE0ELb0ELb0ES3_PKS7_PS7_S7_ZZZN2at6native31launch_logcumsumexp_cuda_kernelERKNSE_10TensorBaseESI_lENKUlvE_clEvENKUlvE1_clEvEUlS7_S7_E_S7_EEDaPvRmT3_T4_T5_mT6_P12ihipStream_tbENKUlT_T0_E_clISt17integral_constantIbLb1EESZ_EEDaSU_SV_EUlSU_E0_NS1_11comp_targetILNS1_3genE2ELNS1_11target_archE906ELNS1_3gpuE6ELNS1_3repE0EEENS1_30default_config_static_selectorELNS0_4arch9wavefront6targetE1EEEvT1_.kd
    .uniform_work_group_size: 1
    .uses_dynamic_stack: false
    .vgpr_count:     0
    .vgpr_spill_count: 0
    .wavefront_size: 64
  - .agpr_count:     0
    .args:
      - .offset:         0
        .size:           48
        .value_kind:     by_value
    .group_segment_fixed_size: 0
    .kernarg_segment_align: 16
    .kernarg_segment_size: 48
    .language:       OpenCL C
    .language_version:
      - 2
      - 0
    .max_flat_workgroup_size: 256
    .name:           _ZN7rocprim17ROCPRIM_400000_NS6detail17trampoline_kernelINS0_14default_configENS1_20scan_config_selectorIN3c107complexIdEEEEZZNS1_9scan_implILNS1_25lookback_scan_determinismE0ELb0ELb0ES3_PKS7_PS7_S7_ZZZN2at6native31launch_logcumsumexp_cuda_kernelERKNSE_10TensorBaseESI_lENKUlvE_clEvENKUlvE1_clEvEUlS7_S7_E_S7_EEDaPvRmT3_T4_T5_mT6_P12ihipStream_tbENKUlT_T0_E_clISt17integral_constantIbLb1EESZ_EEDaSU_SV_EUlSU_E0_NS1_11comp_targetILNS1_3genE10ELNS1_11target_archE1201ELNS1_3gpuE5ELNS1_3repE0EEENS1_30default_config_static_selectorELNS0_4arch9wavefront6targetE1EEEvT1_
    .private_segment_fixed_size: 0
    .sgpr_count:     4
    .sgpr_spill_count: 0
    .symbol:         _ZN7rocprim17ROCPRIM_400000_NS6detail17trampoline_kernelINS0_14default_configENS1_20scan_config_selectorIN3c107complexIdEEEEZZNS1_9scan_implILNS1_25lookback_scan_determinismE0ELb0ELb0ES3_PKS7_PS7_S7_ZZZN2at6native31launch_logcumsumexp_cuda_kernelERKNSE_10TensorBaseESI_lENKUlvE_clEvENKUlvE1_clEvEUlS7_S7_E_S7_EEDaPvRmT3_T4_T5_mT6_P12ihipStream_tbENKUlT_T0_E_clISt17integral_constantIbLb1EESZ_EEDaSU_SV_EUlSU_E0_NS1_11comp_targetILNS1_3genE10ELNS1_11target_archE1201ELNS1_3gpuE5ELNS1_3repE0EEENS1_30default_config_static_selectorELNS0_4arch9wavefront6targetE1EEEvT1_.kd
    .uniform_work_group_size: 1
    .uses_dynamic_stack: false
    .vgpr_count:     0
    .vgpr_spill_count: 0
    .wavefront_size: 64
  - .agpr_count:     0
    .args:
      - .offset:         0
        .size:           48
        .value_kind:     by_value
    .group_segment_fixed_size: 0
    .kernarg_segment_align: 16
    .kernarg_segment_size: 48
    .language:       OpenCL C
    .language_version:
      - 2
      - 0
    .max_flat_workgroup_size: 256
    .name:           _ZN7rocprim17ROCPRIM_400000_NS6detail17trampoline_kernelINS0_14default_configENS1_20scan_config_selectorIN3c107complexIdEEEEZZNS1_9scan_implILNS1_25lookback_scan_determinismE0ELb0ELb0ES3_PKS7_PS7_S7_ZZZN2at6native31launch_logcumsumexp_cuda_kernelERKNSE_10TensorBaseESI_lENKUlvE_clEvENKUlvE1_clEvEUlS7_S7_E_S7_EEDaPvRmT3_T4_T5_mT6_P12ihipStream_tbENKUlT_T0_E_clISt17integral_constantIbLb1EESZ_EEDaSU_SV_EUlSU_E0_NS1_11comp_targetILNS1_3genE10ELNS1_11target_archE1200ELNS1_3gpuE4ELNS1_3repE0EEENS1_30default_config_static_selectorELNS0_4arch9wavefront6targetE1EEEvT1_
    .private_segment_fixed_size: 0
    .sgpr_count:     4
    .sgpr_spill_count: 0
    .symbol:         _ZN7rocprim17ROCPRIM_400000_NS6detail17trampoline_kernelINS0_14default_configENS1_20scan_config_selectorIN3c107complexIdEEEEZZNS1_9scan_implILNS1_25lookback_scan_determinismE0ELb0ELb0ES3_PKS7_PS7_S7_ZZZN2at6native31launch_logcumsumexp_cuda_kernelERKNSE_10TensorBaseESI_lENKUlvE_clEvENKUlvE1_clEvEUlS7_S7_E_S7_EEDaPvRmT3_T4_T5_mT6_P12ihipStream_tbENKUlT_T0_E_clISt17integral_constantIbLb1EESZ_EEDaSU_SV_EUlSU_E0_NS1_11comp_targetILNS1_3genE10ELNS1_11target_archE1200ELNS1_3gpuE4ELNS1_3repE0EEENS1_30default_config_static_selectorELNS0_4arch9wavefront6targetE1EEEvT1_.kd
    .uniform_work_group_size: 1
    .uses_dynamic_stack: false
    .vgpr_count:     0
    .vgpr_spill_count: 0
    .wavefront_size: 64
  - .agpr_count:     0
    .args:
      - .offset:         0
        .size:           48
        .value_kind:     by_value
    .group_segment_fixed_size: 0
    .kernarg_segment_align: 16
    .kernarg_segment_size: 48
    .language:       OpenCL C
    .language_version:
      - 2
      - 0
    .max_flat_workgroup_size: 256
    .name:           _ZN7rocprim17ROCPRIM_400000_NS6detail17trampoline_kernelINS0_14default_configENS1_20scan_config_selectorIN3c107complexIdEEEEZZNS1_9scan_implILNS1_25lookback_scan_determinismE0ELb0ELb0ES3_PKS7_PS7_S7_ZZZN2at6native31launch_logcumsumexp_cuda_kernelERKNSE_10TensorBaseESI_lENKUlvE_clEvENKUlvE1_clEvEUlS7_S7_E_S7_EEDaPvRmT3_T4_T5_mT6_P12ihipStream_tbENKUlT_T0_E_clISt17integral_constantIbLb1EESZ_EEDaSU_SV_EUlSU_E0_NS1_11comp_targetILNS1_3genE9ELNS1_11target_archE1100ELNS1_3gpuE3ELNS1_3repE0EEENS1_30default_config_static_selectorELNS0_4arch9wavefront6targetE1EEEvT1_
    .private_segment_fixed_size: 0
    .sgpr_count:     4
    .sgpr_spill_count: 0
    .symbol:         _ZN7rocprim17ROCPRIM_400000_NS6detail17trampoline_kernelINS0_14default_configENS1_20scan_config_selectorIN3c107complexIdEEEEZZNS1_9scan_implILNS1_25lookback_scan_determinismE0ELb0ELb0ES3_PKS7_PS7_S7_ZZZN2at6native31launch_logcumsumexp_cuda_kernelERKNSE_10TensorBaseESI_lENKUlvE_clEvENKUlvE1_clEvEUlS7_S7_E_S7_EEDaPvRmT3_T4_T5_mT6_P12ihipStream_tbENKUlT_T0_E_clISt17integral_constantIbLb1EESZ_EEDaSU_SV_EUlSU_E0_NS1_11comp_targetILNS1_3genE9ELNS1_11target_archE1100ELNS1_3gpuE3ELNS1_3repE0EEENS1_30default_config_static_selectorELNS0_4arch9wavefront6targetE1EEEvT1_.kd
    .uniform_work_group_size: 1
    .uses_dynamic_stack: false
    .vgpr_count:     0
    .vgpr_spill_count: 0
    .wavefront_size: 64
  - .agpr_count:     0
    .args:
      - .offset:         0
        .size:           48
        .value_kind:     by_value
    .group_segment_fixed_size: 0
    .kernarg_segment_align: 16
    .kernarg_segment_size: 48
    .language:       OpenCL C
    .language_version:
      - 2
      - 0
    .max_flat_workgroup_size: 256
    .name:           _ZN7rocprim17ROCPRIM_400000_NS6detail17trampoline_kernelINS0_14default_configENS1_20scan_config_selectorIN3c107complexIdEEEEZZNS1_9scan_implILNS1_25lookback_scan_determinismE0ELb0ELb0ES3_PKS7_PS7_S7_ZZZN2at6native31launch_logcumsumexp_cuda_kernelERKNSE_10TensorBaseESI_lENKUlvE_clEvENKUlvE1_clEvEUlS7_S7_E_S7_EEDaPvRmT3_T4_T5_mT6_P12ihipStream_tbENKUlT_T0_E_clISt17integral_constantIbLb1EESZ_EEDaSU_SV_EUlSU_E0_NS1_11comp_targetILNS1_3genE8ELNS1_11target_archE1030ELNS1_3gpuE2ELNS1_3repE0EEENS1_30default_config_static_selectorELNS0_4arch9wavefront6targetE1EEEvT1_
    .private_segment_fixed_size: 0
    .sgpr_count:     4
    .sgpr_spill_count: 0
    .symbol:         _ZN7rocprim17ROCPRIM_400000_NS6detail17trampoline_kernelINS0_14default_configENS1_20scan_config_selectorIN3c107complexIdEEEEZZNS1_9scan_implILNS1_25lookback_scan_determinismE0ELb0ELb0ES3_PKS7_PS7_S7_ZZZN2at6native31launch_logcumsumexp_cuda_kernelERKNSE_10TensorBaseESI_lENKUlvE_clEvENKUlvE1_clEvEUlS7_S7_E_S7_EEDaPvRmT3_T4_T5_mT6_P12ihipStream_tbENKUlT_T0_E_clISt17integral_constantIbLb1EESZ_EEDaSU_SV_EUlSU_E0_NS1_11comp_targetILNS1_3genE8ELNS1_11target_archE1030ELNS1_3gpuE2ELNS1_3repE0EEENS1_30default_config_static_selectorELNS0_4arch9wavefront6targetE1EEEvT1_.kd
    .uniform_work_group_size: 1
    .uses_dynamic_stack: false
    .vgpr_count:     0
    .vgpr_spill_count: 0
    .wavefront_size: 64
  - .agpr_count:     0
    .args:
      - .offset:         0
        .size:           24
        .value_kind:     by_value
      - .offset:         24
        .size:           4
        .value_kind:     by_value
      - .offset:         28
        .size:           1
        .value_kind:     by_value
      - .offset:         32
        .size:           4
        .value_kind:     by_value
      - .address_space:  global
        .offset:         40
        .size:           8
        .value_kind:     global_buffer
      - .offset:         48
        .size:           4
        .value_kind:     hidden_block_count_x
      - .offset:         52
        .size:           4
        .value_kind:     hidden_block_count_y
      - .offset:         56
        .size:           4
        .value_kind:     hidden_block_count_z
      - .offset:         60
        .size:           2
        .value_kind:     hidden_group_size_x
      - .offset:         62
        .size:           2
        .value_kind:     hidden_group_size_y
      - .offset:         64
        .size:           2
        .value_kind:     hidden_group_size_z
      - .offset:         66
        .size:           2
        .value_kind:     hidden_remainder_x
      - .offset:         68
        .size:           2
        .value_kind:     hidden_remainder_y
      - .offset:         70
        .size:           2
        .value_kind:     hidden_remainder_z
      - .offset:         88
        .size:           8
        .value_kind:     hidden_global_offset_x
      - .offset:         96
        .size:           8
        .value_kind:     hidden_global_offset_y
      - .offset:         104
        .size:           8
        .value_kind:     hidden_global_offset_z
      - .offset:         112
        .size:           2
        .value_kind:     hidden_grid_dims
    .group_segment_fixed_size: 0
    .kernarg_segment_align: 8
    .kernarg_segment_size: 304
    .language:       OpenCL C
    .language_version:
      - 2
      - 0
    .max_flat_workgroup_size: 256
    .name:           _ZN7rocprim17ROCPRIM_400000_NS6detail31init_lookback_scan_state_kernelINS1_19lookback_scan_stateIN3c107complexIdEELb1ELb0EEENS1_16block_id_wrapperIjLb0EEEEEvT_jT0_jPNSA_10value_typeE
    .private_segment_fixed_size: 0
    .sgpr_count:     22
    .sgpr_spill_count: 0
    .symbol:         _ZN7rocprim17ROCPRIM_400000_NS6detail31init_lookback_scan_state_kernelINS1_19lookback_scan_stateIN3c107complexIdEELb1ELb0EEENS1_16block_id_wrapperIjLb0EEEEEvT_jT0_jPNSA_10value_typeE.kd
    .uniform_work_group_size: 1
    .uses_dynamic_stack: false
    .vgpr_count:     6
    .vgpr_spill_count: 0
    .wavefront_size: 64
  - .agpr_count:     0
    .args:
      - .offset:         0
        .size:           128
        .value_kind:     by_value
    .group_segment_fixed_size: 0
    .kernarg_segment_align: 16
    .kernarg_segment_size: 128
    .language:       OpenCL C
    .language_version:
      - 2
      - 0
    .max_flat_workgroup_size: 128
    .name:           _ZN7rocprim17ROCPRIM_400000_NS6detail17trampoline_kernelINS0_14default_configENS1_20scan_config_selectorIN3c107complexIdEEEEZZNS1_9scan_implILNS1_25lookback_scan_determinismE0ELb0ELb0ES3_PKS7_PS7_S7_ZZZN2at6native31launch_logcumsumexp_cuda_kernelERKNSE_10TensorBaseESI_lENKUlvE_clEvENKUlvE1_clEvEUlS7_S7_E_S7_EEDaPvRmT3_T4_T5_mT6_P12ihipStream_tbENKUlT_T0_E_clISt17integral_constantIbLb1EESY_IbLb0EEEEDaSU_SV_EUlSU_E_NS1_11comp_targetILNS1_3genE0ELNS1_11target_archE4294967295ELNS1_3gpuE0ELNS1_3repE0EEENS1_30default_config_static_selectorELNS0_4arch9wavefront6targetE1EEEvT1_
    .private_segment_fixed_size: 0
    .sgpr_count:     4
    .sgpr_spill_count: 0
    .symbol:         _ZN7rocprim17ROCPRIM_400000_NS6detail17trampoline_kernelINS0_14default_configENS1_20scan_config_selectorIN3c107complexIdEEEEZZNS1_9scan_implILNS1_25lookback_scan_determinismE0ELb0ELb0ES3_PKS7_PS7_S7_ZZZN2at6native31launch_logcumsumexp_cuda_kernelERKNSE_10TensorBaseESI_lENKUlvE_clEvENKUlvE1_clEvEUlS7_S7_E_S7_EEDaPvRmT3_T4_T5_mT6_P12ihipStream_tbENKUlT_T0_E_clISt17integral_constantIbLb1EESY_IbLb0EEEEDaSU_SV_EUlSU_E_NS1_11comp_targetILNS1_3genE0ELNS1_11target_archE4294967295ELNS1_3gpuE0ELNS1_3repE0EEENS1_30default_config_static_selectorELNS0_4arch9wavefront6targetE1EEEvT1_.kd
    .uniform_work_group_size: 1
    .uses_dynamic_stack: false
    .vgpr_count:     0
    .vgpr_spill_count: 0
    .wavefront_size: 64
  - .agpr_count:     0
    .args:
      - .offset:         0
        .size:           128
        .value_kind:     by_value
    .group_segment_fixed_size: 0
    .kernarg_segment_align: 16
    .kernarg_segment_size: 128
    .language:       OpenCL C
    .language_version:
      - 2
      - 0
    .max_flat_workgroup_size: 256
    .name:           _ZN7rocprim17ROCPRIM_400000_NS6detail17trampoline_kernelINS0_14default_configENS1_20scan_config_selectorIN3c107complexIdEEEEZZNS1_9scan_implILNS1_25lookback_scan_determinismE0ELb0ELb0ES3_PKS7_PS7_S7_ZZZN2at6native31launch_logcumsumexp_cuda_kernelERKNSE_10TensorBaseESI_lENKUlvE_clEvENKUlvE1_clEvEUlS7_S7_E_S7_EEDaPvRmT3_T4_T5_mT6_P12ihipStream_tbENKUlT_T0_E_clISt17integral_constantIbLb1EESY_IbLb0EEEEDaSU_SV_EUlSU_E_NS1_11comp_targetILNS1_3genE5ELNS1_11target_archE942ELNS1_3gpuE9ELNS1_3repE0EEENS1_30default_config_static_selectorELNS0_4arch9wavefront6targetE1EEEvT1_
    .private_segment_fixed_size: 0
    .sgpr_count:     4
    .sgpr_spill_count: 0
    .symbol:         _ZN7rocprim17ROCPRIM_400000_NS6detail17trampoline_kernelINS0_14default_configENS1_20scan_config_selectorIN3c107complexIdEEEEZZNS1_9scan_implILNS1_25lookback_scan_determinismE0ELb0ELb0ES3_PKS7_PS7_S7_ZZZN2at6native31launch_logcumsumexp_cuda_kernelERKNSE_10TensorBaseESI_lENKUlvE_clEvENKUlvE1_clEvEUlS7_S7_E_S7_EEDaPvRmT3_T4_T5_mT6_P12ihipStream_tbENKUlT_T0_E_clISt17integral_constantIbLb1EESY_IbLb0EEEEDaSU_SV_EUlSU_E_NS1_11comp_targetILNS1_3genE5ELNS1_11target_archE942ELNS1_3gpuE9ELNS1_3repE0EEENS1_30default_config_static_selectorELNS0_4arch9wavefront6targetE1EEEvT1_.kd
    .uniform_work_group_size: 1
    .uses_dynamic_stack: false
    .vgpr_count:     0
    .vgpr_spill_count: 0
    .wavefront_size: 64
  - .agpr_count:     0
    .args:
      - .offset:         0
        .size:           128
        .value_kind:     by_value
    .group_segment_fixed_size: 15360
    .kernarg_segment_align: 16
    .kernarg_segment_size: 128
    .language:       OpenCL C
    .language_version:
      - 2
      - 0
    .max_flat_workgroup_size: 64
    .name:           _ZN7rocprim17ROCPRIM_400000_NS6detail17trampoline_kernelINS0_14default_configENS1_20scan_config_selectorIN3c107complexIdEEEEZZNS1_9scan_implILNS1_25lookback_scan_determinismE0ELb0ELb0ES3_PKS7_PS7_S7_ZZZN2at6native31launch_logcumsumexp_cuda_kernelERKNSE_10TensorBaseESI_lENKUlvE_clEvENKUlvE1_clEvEUlS7_S7_E_S7_EEDaPvRmT3_T4_T5_mT6_P12ihipStream_tbENKUlT_T0_E_clISt17integral_constantIbLb1EESY_IbLb0EEEEDaSU_SV_EUlSU_E_NS1_11comp_targetILNS1_3genE4ELNS1_11target_archE910ELNS1_3gpuE8ELNS1_3repE0EEENS1_30default_config_static_selectorELNS0_4arch9wavefront6targetE1EEEvT1_
    .private_segment_fixed_size: 8
    .sgpr_count:     71
    .sgpr_spill_count: 0
    .symbol:         _ZN7rocprim17ROCPRIM_400000_NS6detail17trampoline_kernelINS0_14default_configENS1_20scan_config_selectorIN3c107complexIdEEEEZZNS1_9scan_implILNS1_25lookback_scan_determinismE0ELb0ELb0ES3_PKS7_PS7_S7_ZZZN2at6native31launch_logcumsumexp_cuda_kernelERKNSE_10TensorBaseESI_lENKUlvE_clEvENKUlvE1_clEvEUlS7_S7_E_S7_EEDaPvRmT3_T4_T5_mT6_P12ihipStream_tbENKUlT_T0_E_clISt17integral_constantIbLb1EESY_IbLb0EEEEDaSU_SV_EUlSU_E_NS1_11comp_targetILNS1_3genE4ELNS1_11target_archE910ELNS1_3gpuE8ELNS1_3repE0EEENS1_30default_config_static_selectorELNS0_4arch9wavefront6targetE1EEEvT1_.kd
    .uniform_work_group_size: 1
    .uses_dynamic_stack: false
    .vgpr_count:     171
    .vgpr_spill_count: 0
    .wavefront_size: 64
  - .agpr_count:     0
    .args:
      - .offset:         0
        .size:           128
        .value_kind:     by_value
    .group_segment_fixed_size: 0
    .kernarg_segment_align: 16
    .kernarg_segment_size: 128
    .language:       OpenCL C
    .language_version:
      - 2
      - 0
    .max_flat_workgroup_size: 128
    .name:           _ZN7rocprim17ROCPRIM_400000_NS6detail17trampoline_kernelINS0_14default_configENS1_20scan_config_selectorIN3c107complexIdEEEEZZNS1_9scan_implILNS1_25lookback_scan_determinismE0ELb0ELb0ES3_PKS7_PS7_S7_ZZZN2at6native31launch_logcumsumexp_cuda_kernelERKNSE_10TensorBaseESI_lENKUlvE_clEvENKUlvE1_clEvEUlS7_S7_E_S7_EEDaPvRmT3_T4_T5_mT6_P12ihipStream_tbENKUlT_T0_E_clISt17integral_constantIbLb1EESY_IbLb0EEEEDaSU_SV_EUlSU_E_NS1_11comp_targetILNS1_3genE3ELNS1_11target_archE908ELNS1_3gpuE7ELNS1_3repE0EEENS1_30default_config_static_selectorELNS0_4arch9wavefront6targetE1EEEvT1_
    .private_segment_fixed_size: 0
    .sgpr_count:     4
    .sgpr_spill_count: 0
    .symbol:         _ZN7rocprim17ROCPRIM_400000_NS6detail17trampoline_kernelINS0_14default_configENS1_20scan_config_selectorIN3c107complexIdEEEEZZNS1_9scan_implILNS1_25lookback_scan_determinismE0ELb0ELb0ES3_PKS7_PS7_S7_ZZZN2at6native31launch_logcumsumexp_cuda_kernelERKNSE_10TensorBaseESI_lENKUlvE_clEvENKUlvE1_clEvEUlS7_S7_E_S7_EEDaPvRmT3_T4_T5_mT6_P12ihipStream_tbENKUlT_T0_E_clISt17integral_constantIbLb1EESY_IbLb0EEEEDaSU_SV_EUlSU_E_NS1_11comp_targetILNS1_3genE3ELNS1_11target_archE908ELNS1_3gpuE7ELNS1_3repE0EEENS1_30default_config_static_selectorELNS0_4arch9wavefront6targetE1EEEvT1_.kd
    .uniform_work_group_size: 1
    .uses_dynamic_stack: false
    .vgpr_count:     0
    .vgpr_spill_count: 0
    .wavefront_size: 64
  - .agpr_count:     0
    .args:
      - .offset:         0
        .size:           128
        .value_kind:     by_value
    .group_segment_fixed_size: 0
    .kernarg_segment_align: 16
    .kernarg_segment_size: 128
    .language:       OpenCL C
    .language_version:
      - 2
      - 0
    .max_flat_workgroup_size: 64
    .name:           _ZN7rocprim17ROCPRIM_400000_NS6detail17trampoline_kernelINS0_14default_configENS1_20scan_config_selectorIN3c107complexIdEEEEZZNS1_9scan_implILNS1_25lookback_scan_determinismE0ELb0ELb0ES3_PKS7_PS7_S7_ZZZN2at6native31launch_logcumsumexp_cuda_kernelERKNSE_10TensorBaseESI_lENKUlvE_clEvENKUlvE1_clEvEUlS7_S7_E_S7_EEDaPvRmT3_T4_T5_mT6_P12ihipStream_tbENKUlT_T0_E_clISt17integral_constantIbLb1EESY_IbLb0EEEEDaSU_SV_EUlSU_E_NS1_11comp_targetILNS1_3genE2ELNS1_11target_archE906ELNS1_3gpuE6ELNS1_3repE0EEENS1_30default_config_static_selectorELNS0_4arch9wavefront6targetE1EEEvT1_
    .private_segment_fixed_size: 0
    .sgpr_count:     4
    .sgpr_spill_count: 0
    .symbol:         _ZN7rocprim17ROCPRIM_400000_NS6detail17trampoline_kernelINS0_14default_configENS1_20scan_config_selectorIN3c107complexIdEEEEZZNS1_9scan_implILNS1_25lookback_scan_determinismE0ELb0ELb0ES3_PKS7_PS7_S7_ZZZN2at6native31launch_logcumsumexp_cuda_kernelERKNSE_10TensorBaseESI_lENKUlvE_clEvENKUlvE1_clEvEUlS7_S7_E_S7_EEDaPvRmT3_T4_T5_mT6_P12ihipStream_tbENKUlT_T0_E_clISt17integral_constantIbLb1EESY_IbLb0EEEEDaSU_SV_EUlSU_E_NS1_11comp_targetILNS1_3genE2ELNS1_11target_archE906ELNS1_3gpuE6ELNS1_3repE0EEENS1_30default_config_static_selectorELNS0_4arch9wavefront6targetE1EEEvT1_.kd
    .uniform_work_group_size: 1
    .uses_dynamic_stack: false
    .vgpr_count:     0
    .vgpr_spill_count: 0
    .wavefront_size: 64
  - .agpr_count:     0
    .args:
      - .offset:         0
        .size:           128
        .value_kind:     by_value
    .group_segment_fixed_size: 0
    .kernarg_segment_align: 16
    .kernarg_segment_size: 128
    .language:       OpenCL C
    .language_version:
      - 2
      - 0
    .max_flat_workgroup_size: 256
    .name:           _ZN7rocprim17ROCPRIM_400000_NS6detail17trampoline_kernelINS0_14default_configENS1_20scan_config_selectorIN3c107complexIdEEEEZZNS1_9scan_implILNS1_25lookback_scan_determinismE0ELb0ELb0ES3_PKS7_PS7_S7_ZZZN2at6native31launch_logcumsumexp_cuda_kernelERKNSE_10TensorBaseESI_lENKUlvE_clEvENKUlvE1_clEvEUlS7_S7_E_S7_EEDaPvRmT3_T4_T5_mT6_P12ihipStream_tbENKUlT_T0_E_clISt17integral_constantIbLb1EESY_IbLb0EEEEDaSU_SV_EUlSU_E_NS1_11comp_targetILNS1_3genE10ELNS1_11target_archE1201ELNS1_3gpuE5ELNS1_3repE0EEENS1_30default_config_static_selectorELNS0_4arch9wavefront6targetE1EEEvT1_
    .private_segment_fixed_size: 0
    .sgpr_count:     4
    .sgpr_spill_count: 0
    .symbol:         _ZN7rocprim17ROCPRIM_400000_NS6detail17trampoline_kernelINS0_14default_configENS1_20scan_config_selectorIN3c107complexIdEEEEZZNS1_9scan_implILNS1_25lookback_scan_determinismE0ELb0ELb0ES3_PKS7_PS7_S7_ZZZN2at6native31launch_logcumsumexp_cuda_kernelERKNSE_10TensorBaseESI_lENKUlvE_clEvENKUlvE1_clEvEUlS7_S7_E_S7_EEDaPvRmT3_T4_T5_mT6_P12ihipStream_tbENKUlT_T0_E_clISt17integral_constantIbLb1EESY_IbLb0EEEEDaSU_SV_EUlSU_E_NS1_11comp_targetILNS1_3genE10ELNS1_11target_archE1201ELNS1_3gpuE5ELNS1_3repE0EEENS1_30default_config_static_selectorELNS0_4arch9wavefront6targetE1EEEvT1_.kd
    .uniform_work_group_size: 1
    .uses_dynamic_stack: false
    .vgpr_count:     0
    .vgpr_spill_count: 0
    .wavefront_size: 64
  - .agpr_count:     0
    .args:
      - .offset:         0
        .size:           128
        .value_kind:     by_value
    .group_segment_fixed_size: 0
    .kernarg_segment_align: 16
    .kernarg_segment_size: 128
    .language:       OpenCL C
    .language_version:
      - 2
      - 0
    .max_flat_workgroup_size: 256
    .name:           _ZN7rocprim17ROCPRIM_400000_NS6detail17trampoline_kernelINS0_14default_configENS1_20scan_config_selectorIN3c107complexIdEEEEZZNS1_9scan_implILNS1_25lookback_scan_determinismE0ELb0ELb0ES3_PKS7_PS7_S7_ZZZN2at6native31launch_logcumsumexp_cuda_kernelERKNSE_10TensorBaseESI_lENKUlvE_clEvENKUlvE1_clEvEUlS7_S7_E_S7_EEDaPvRmT3_T4_T5_mT6_P12ihipStream_tbENKUlT_T0_E_clISt17integral_constantIbLb1EESY_IbLb0EEEEDaSU_SV_EUlSU_E_NS1_11comp_targetILNS1_3genE10ELNS1_11target_archE1200ELNS1_3gpuE4ELNS1_3repE0EEENS1_30default_config_static_selectorELNS0_4arch9wavefront6targetE1EEEvT1_
    .private_segment_fixed_size: 0
    .sgpr_count:     4
    .sgpr_spill_count: 0
    .symbol:         _ZN7rocprim17ROCPRIM_400000_NS6detail17trampoline_kernelINS0_14default_configENS1_20scan_config_selectorIN3c107complexIdEEEEZZNS1_9scan_implILNS1_25lookback_scan_determinismE0ELb0ELb0ES3_PKS7_PS7_S7_ZZZN2at6native31launch_logcumsumexp_cuda_kernelERKNSE_10TensorBaseESI_lENKUlvE_clEvENKUlvE1_clEvEUlS7_S7_E_S7_EEDaPvRmT3_T4_T5_mT6_P12ihipStream_tbENKUlT_T0_E_clISt17integral_constantIbLb1EESY_IbLb0EEEEDaSU_SV_EUlSU_E_NS1_11comp_targetILNS1_3genE10ELNS1_11target_archE1200ELNS1_3gpuE4ELNS1_3repE0EEENS1_30default_config_static_selectorELNS0_4arch9wavefront6targetE1EEEvT1_.kd
    .uniform_work_group_size: 1
    .uses_dynamic_stack: false
    .vgpr_count:     0
    .vgpr_spill_count: 0
    .wavefront_size: 64
  - .agpr_count:     0
    .args:
      - .offset:         0
        .size:           128
        .value_kind:     by_value
    .group_segment_fixed_size: 0
    .kernarg_segment_align: 16
    .kernarg_segment_size: 128
    .language:       OpenCL C
    .language_version:
      - 2
      - 0
    .max_flat_workgroup_size: 256
    .name:           _ZN7rocprim17ROCPRIM_400000_NS6detail17trampoline_kernelINS0_14default_configENS1_20scan_config_selectorIN3c107complexIdEEEEZZNS1_9scan_implILNS1_25lookback_scan_determinismE0ELb0ELb0ES3_PKS7_PS7_S7_ZZZN2at6native31launch_logcumsumexp_cuda_kernelERKNSE_10TensorBaseESI_lENKUlvE_clEvENKUlvE1_clEvEUlS7_S7_E_S7_EEDaPvRmT3_T4_T5_mT6_P12ihipStream_tbENKUlT_T0_E_clISt17integral_constantIbLb1EESY_IbLb0EEEEDaSU_SV_EUlSU_E_NS1_11comp_targetILNS1_3genE9ELNS1_11target_archE1100ELNS1_3gpuE3ELNS1_3repE0EEENS1_30default_config_static_selectorELNS0_4arch9wavefront6targetE1EEEvT1_
    .private_segment_fixed_size: 0
    .sgpr_count:     4
    .sgpr_spill_count: 0
    .symbol:         _ZN7rocprim17ROCPRIM_400000_NS6detail17trampoline_kernelINS0_14default_configENS1_20scan_config_selectorIN3c107complexIdEEEEZZNS1_9scan_implILNS1_25lookback_scan_determinismE0ELb0ELb0ES3_PKS7_PS7_S7_ZZZN2at6native31launch_logcumsumexp_cuda_kernelERKNSE_10TensorBaseESI_lENKUlvE_clEvENKUlvE1_clEvEUlS7_S7_E_S7_EEDaPvRmT3_T4_T5_mT6_P12ihipStream_tbENKUlT_T0_E_clISt17integral_constantIbLb1EESY_IbLb0EEEEDaSU_SV_EUlSU_E_NS1_11comp_targetILNS1_3genE9ELNS1_11target_archE1100ELNS1_3gpuE3ELNS1_3repE0EEENS1_30default_config_static_selectorELNS0_4arch9wavefront6targetE1EEEvT1_.kd
    .uniform_work_group_size: 1
    .uses_dynamic_stack: false
    .vgpr_count:     0
    .vgpr_spill_count: 0
    .wavefront_size: 64
  - .agpr_count:     0
    .args:
      - .offset:         0
        .size:           128
        .value_kind:     by_value
    .group_segment_fixed_size: 0
    .kernarg_segment_align: 16
    .kernarg_segment_size: 128
    .language:       OpenCL C
    .language_version:
      - 2
      - 0
    .max_flat_workgroup_size: 256
    .name:           _ZN7rocprim17ROCPRIM_400000_NS6detail17trampoline_kernelINS0_14default_configENS1_20scan_config_selectorIN3c107complexIdEEEEZZNS1_9scan_implILNS1_25lookback_scan_determinismE0ELb0ELb0ES3_PKS7_PS7_S7_ZZZN2at6native31launch_logcumsumexp_cuda_kernelERKNSE_10TensorBaseESI_lENKUlvE_clEvENKUlvE1_clEvEUlS7_S7_E_S7_EEDaPvRmT3_T4_T5_mT6_P12ihipStream_tbENKUlT_T0_E_clISt17integral_constantIbLb1EESY_IbLb0EEEEDaSU_SV_EUlSU_E_NS1_11comp_targetILNS1_3genE8ELNS1_11target_archE1030ELNS1_3gpuE2ELNS1_3repE0EEENS1_30default_config_static_selectorELNS0_4arch9wavefront6targetE1EEEvT1_
    .private_segment_fixed_size: 0
    .sgpr_count:     4
    .sgpr_spill_count: 0
    .symbol:         _ZN7rocprim17ROCPRIM_400000_NS6detail17trampoline_kernelINS0_14default_configENS1_20scan_config_selectorIN3c107complexIdEEEEZZNS1_9scan_implILNS1_25lookback_scan_determinismE0ELb0ELb0ES3_PKS7_PS7_S7_ZZZN2at6native31launch_logcumsumexp_cuda_kernelERKNSE_10TensorBaseESI_lENKUlvE_clEvENKUlvE1_clEvEUlS7_S7_E_S7_EEDaPvRmT3_T4_T5_mT6_P12ihipStream_tbENKUlT_T0_E_clISt17integral_constantIbLb1EESY_IbLb0EEEEDaSU_SV_EUlSU_E_NS1_11comp_targetILNS1_3genE8ELNS1_11target_archE1030ELNS1_3gpuE2ELNS1_3repE0EEENS1_30default_config_static_selectorELNS0_4arch9wavefront6targetE1EEEvT1_.kd
    .uniform_work_group_size: 1
    .uses_dynamic_stack: false
    .vgpr_count:     0
    .vgpr_spill_count: 0
    .wavefront_size: 64
  - .agpr_count:     0
    .args:
      - .offset:         0
        .size:           48
        .value_kind:     by_value
    .group_segment_fixed_size: 0
    .kernarg_segment_align: 16
    .kernarg_segment_size: 48
    .language:       OpenCL C
    .language_version:
      - 2
      - 0
    .max_flat_workgroup_size: 128
    .name:           _ZN7rocprim17ROCPRIM_400000_NS6detail17trampoline_kernelINS0_14default_configENS1_20scan_config_selectorIN3c107complexIdEEEEZZNS1_9scan_implILNS1_25lookback_scan_determinismE0ELb0ELb0ES3_PKS7_PS7_S7_ZZZN2at6native31launch_logcumsumexp_cuda_kernelERKNSE_10TensorBaseESI_lENKUlvE_clEvENKUlvE1_clEvEUlS7_S7_E_S7_EEDaPvRmT3_T4_T5_mT6_P12ihipStream_tbENKUlT_T0_E_clISt17integral_constantIbLb1EESY_IbLb0EEEEDaSU_SV_EUlSU_E0_NS1_11comp_targetILNS1_3genE0ELNS1_11target_archE4294967295ELNS1_3gpuE0ELNS1_3repE0EEENS1_30default_config_static_selectorELNS0_4arch9wavefront6targetE1EEEvT1_
    .private_segment_fixed_size: 0
    .sgpr_count:     4
    .sgpr_spill_count: 0
    .symbol:         _ZN7rocprim17ROCPRIM_400000_NS6detail17trampoline_kernelINS0_14default_configENS1_20scan_config_selectorIN3c107complexIdEEEEZZNS1_9scan_implILNS1_25lookback_scan_determinismE0ELb0ELb0ES3_PKS7_PS7_S7_ZZZN2at6native31launch_logcumsumexp_cuda_kernelERKNSE_10TensorBaseESI_lENKUlvE_clEvENKUlvE1_clEvEUlS7_S7_E_S7_EEDaPvRmT3_T4_T5_mT6_P12ihipStream_tbENKUlT_T0_E_clISt17integral_constantIbLb1EESY_IbLb0EEEEDaSU_SV_EUlSU_E0_NS1_11comp_targetILNS1_3genE0ELNS1_11target_archE4294967295ELNS1_3gpuE0ELNS1_3repE0EEENS1_30default_config_static_selectorELNS0_4arch9wavefront6targetE1EEEvT1_.kd
    .uniform_work_group_size: 1
    .uses_dynamic_stack: false
    .vgpr_count:     0
    .vgpr_spill_count: 0
    .wavefront_size: 64
  - .agpr_count:     0
    .args:
      - .offset:         0
        .size:           48
        .value_kind:     by_value
    .group_segment_fixed_size: 0
    .kernarg_segment_align: 16
    .kernarg_segment_size: 48
    .language:       OpenCL C
    .language_version:
      - 2
      - 0
    .max_flat_workgroup_size: 256
    .name:           _ZN7rocprim17ROCPRIM_400000_NS6detail17trampoline_kernelINS0_14default_configENS1_20scan_config_selectorIN3c107complexIdEEEEZZNS1_9scan_implILNS1_25lookback_scan_determinismE0ELb0ELb0ES3_PKS7_PS7_S7_ZZZN2at6native31launch_logcumsumexp_cuda_kernelERKNSE_10TensorBaseESI_lENKUlvE_clEvENKUlvE1_clEvEUlS7_S7_E_S7_EEDaPvRmT3_T4_T5_mT6_P12ihipStream_tbENKUlT_T0_E_clISt17integral_constantIbLb1EESY_IbLb0EEEEDaSU_SV_EUlSU_E0_NS1_11comp_targetILNS1_3genE5ELNS1_11target_archE942ELNS1_3gpuE9ELNS1_3repE0EEENS1_30default_config_static_selectorELNS0_4arch9wavefront6targetE1EEEvT1_
    .private_segment_fixed_size: 0
    .sgpr_count:     4
    .sgpr_spill_count: 0
    .symbol:         _ZN7rocprim17ROCPRIM_400000_NS6detail17trampoline_kernelINS0_14default_configENS1_20scan_config_selectorIN3c107complexIdEEEEZZNS1_9scan_implILNS1_25lookback_scan_determinismE0ELb0ELb0ES3_PKS7_PS7_S7_ZZZN2at6native31launch_logcumsumexp_cuda_kernelERKNSE_10TensorBaseESI_lENKUlvE_clEvENKUlvE1_clEvEUlS7_S7_E_S7_EEDaPvRmT3_T4_T5_mT6_P12ihipStream_tbENKUlT_T0_E_clISt17integral_constantIbLb1EESY_IbLb0EEEEDaSU_SV_EUlSU_E0_NS1_11comp_targetILNS1_3genE5ELNS1_11target_archE942ELNS1_3gpuE9ELNS1_3repE0EEENS1_30default_config_static_selectorELNS0_4arch9wavefront6targetE1EEEvT1_.kd
    .uniform_work_group_size: 1
    .uses_dynamic_stack: false
    .vgpr_count:     0
    .vgpr_spill_count: 0
    .wavefront_size: 64
  - .agpr_count:     0
    .args:
      - .offset:         0
        .size:           48
        .value_kind:     by_value
    .group_segment_fixed_size: 15360
    .kernarg_segment_align: 16
    .kernarg_segment_size: 48
    .language:       OpenCL C
    .language_version:
      - 2
      - 0
    .max_flat_workgroup_size: 64
    .name:           _ZN7rocprim17ROCPRIM_400000_NS6detail17trampoline_kernelINS0_14default_configENS1_20scan_config_selectorIN3c107complexIdEEEEZZNS1_9scan_implILNS1_25lookback_scan_determinismE0ELb0ELb0ES3_PKS7_PS7_S7_ZZZN2at6native31launch_logcumsumexp_cuda_kernelERKNSE_10TensorBaseESI_lENKUlvE_clEvENKUlvE1_clEvEUlS7_S7_E_S7_EEDaPvRmT3_T4_T5_mT6_P12ihipStream_tbENKUlT_T0_E_clISt17integral_constantIbLb1EESY_IbLb0EEEEDaSU_SV_EUlSU_E0_NS1_11comp_targetILNS1_3genE4ELNS1_11target_archE910ELNS1_3gpuE8ELNS1_3repE0EEENS1_30default_config_static_selectorELNS0_4arch9wavefront6targetE1EEEvT1_
    .private_segment_fixed_size: 8
    .sgpr_count:     80
    .sgpr_spill_count: 0
    .symbol:         _ZN7rocprim17ROCPRIM_400000_NS6detail17trampoline_kernelINS0_14default_configENS1_20scan_config_selectorIN3c107complexIdEEEEZZNS1_9scan_implILNS1_25lookback_scan_determinismE0ELb0ELb0ES3_PKS7_PS7_S7_ZZZN2at6native31launch_logcumsumexp_cuda_kernelERKNSE_10TensorBaseESI_lENKUlvE_clEvENKUlvE1_clEvEUlS7_S7_E_S7_EEDaPvRmT3_T4_T5_mT6_P12ihipStream_tbENKUlT_T0_E_clISt17integral_constantIbLb1EESY_IbLb0EEEEDaSU_SV_EUlSU_E0_NS1_11comp_targetILNS1_3genE4ELNS1_11target_archE910ELNS1_3gpuE8ELNS1_3repE0EEENS1_30default_config_static_selectorELNS0_4arch9wavefront6targetE1EEEvT1_.kd
    .uniform_work_group_size: 1
    .uses_dynamic_stack: false
    .vgpr_count:     166
    .vgpr_spill_count: 0
    .wavefront_size: 64
  - .agpr_count:     0
    .args:
      - .offset:         0
        .size:           48
        .value_kind:     by_value
    .group_segment_fixed_size: 0
    .kernarg_segment_align: 16
    .kernarg_segment_size: 48
    .language:       OpenCL C
    .language_version:
      - 2
      - 0
    .max_flat_workgroup_size: 128
    .name:           _ZN7rocprim17ROCPRIM_400000_NS6detail17trampoline_kernelINS0_14default_configENS1_20scan_config_selectorIN3c107complexIdEEEEZZNS1_9scan_implILNS1_25lookback_scan_determinismE0ELb0ELb0ES3_PKS7_PS7_S7_ZZZN2at6native31launch_logcumsumexp_cuda_kernelERKNSE_10TensorBaseESI_lENKUlvE_clEvENKUlvE1_clEvEUlS7_S7_E_S7_EEDaPvRmT3_T4_T5_mT6_P12ihipStream_tbENKUlT_T0_E_clISt17integral_constantIbLb1EESY_IbLb0EEEEDaSU_SV_EUlSU_E0_NS1_11comp_targetILNS1_3genE3ELNS1_11target_archE908ELNS1_3gpuE7ELNS1_3repE0EEENS1_30default_config_static_selectorELNS0_4arch9wavefront6targetE1EEEvT1_
    .private_segment_fixed_size: 0
    .sgpr_count:     4
    .sgpr_spill_count: 0
    .symbol:         _ZN7rocprim17ROCPRIM_400000_NS6detail17trampoline_kernelINS0_14default_configENS1_20scan_config_selectorIN3c107complexIdEEEEZZNS1_9scan_implILNS1_25lookback_scan_determinismE0ELb0ELb0ES3_PKS7_PS7_S7_ZZZN2at6native31launch_logcumsumexp_cuda_kernelERKNSE_10TensorBaseESI_lENKUlvE_clEvENKUlvE1_clEvEUlS7_S7_E_S7_EEDaPvRmT3_T4_T5_mT6_P12ihipStream_tbENKUlT_T0_E_clISt17integral_constantIbLb1EESY_IbLb0EEEEDaSU_SV_EUlSU_E0_NS1_11comp_targetILNS1_3genE3ELNS1_11target_archE908ELNS1_3gpuE7ELNS1_3repE0EEENS1_30default_config_static_selectorELNS0_4arch9wavefront6targetE1EEEvT1_.kd
    .uniform_work_group_size: 1
    .uses_dynamic_stack: false
    .vgpr_count:     0
    .vgpr_spill_count: 0
    .wavefront_size: 64
  - .agpr_count:     0
    .args:
      - .offset:         0
        .size:           48
        .value_kind:     by_value
    .group_segment_fixed_size: 0
    .kernarg_segment_align: 16
    .kernarg_segment_size: 48
    .language:       OpenCL C
    .language_version:
      - 2
      - 0
    .max_flat_workgroup_size: 64
    .name:           _ZN7rocprim17ROCPRIM_400000_NS6detail17trampoline_kernelINS0_14default_configENS1_20scan_config_selectorIN3c107complexIdEEEEZZNS1_9scan_implILNS1_25lookback_scan_determinismE0ELb0ELb0ES3_PKS7_PS7_S7_ZZZN2at6native31launch_logcumsumexp_cuda_kernelERKNSE_10TensorBaseESI_lENKUlvE_clEvENKUlvE1_clEvEUlS7_S7_E_S7_EEDaPvRmT3_T4_T5_mT6_P12ihipStream_tbENKUlT_T0_E_clISt17integral_constantIbLb1EESY_IbLb0EEEEDaSU_SV_EUlSU_E0_NS1_11comp_targetILNS1_3genE2ELNS1_11target_archE906ELNS1_3gpuE6ELNS1_3repE0EEENS1_30default_config_static_selectorELNS0_4arch9wavefront6targetE1EEEvT1_
    .private_segment_fixed_size: 0
    .sgpr_count:     4
    .sgpr_spill_count: 0
    .symbol:         _ZN7rocprim17ROCPRIM_400000_NS6detail17trampoline_kernelINS0_14default_configENS1_20scan_config_selectorIN3c107complexIdEEEEZZNS1_9scan_implILNS1_25lookback_scan_determinismE0ELb0ELb0ES3_PKS7_PS7_S7_ZZZN2at6native31launch_logcumsumexp_cuda_kernelERKNSE_10TensorBaseESI_lENKUlvE_clEvENKUlvE1_clEvEUlS7_S7_E_S7_EEDaPvRmT3_T4_T5_mT6_P12ihipStream_tbENKUlT_T0_E_clISt17integral_constantIbLb1EESY_IbLb0EEEEDaSU_SV_EUlSU_E0_NS1_11comp_targetILNS1_3genE2ELNS1_11target_archE906ELNS1_3gpuE6ELNS1_3repE0EEENS1_30default_config_static_selectorELNS0_4arch9wavefront6targetE1EEEvT1_.kd
    .uniform_work_group_size: 1
    .uses_dynamic_stack: false
    .vgpr_count:     0
    .vgpr_spill_count: 0
    .wavefront_size: 64
  - .agpr_count:     0
    .args:
      - .offset:         0
        .size:           48
        .value_kind:     by_value
    .group_segment_fixed_size: 0
    .kernarg_segment_align: 16
    .kernarg_segment_size: 48
    .language:       OpenCL C
    .language_version:
      - 2
      - 0
    .max_flat_workgroup_size: 256
    .name:           _ZN7rocprim17ROCPRIM_400000_NS6detail17trampoline_kernelINS0_14default_configENS1_20scan_config_selectorIN3c107complexIdEEEEZZNS1_9scan_implILNS1_25lookback_scan_determinismE0ELb0ELb0ES3_PKS7_PS7_S7_ZZZN2at6native31launch_logcumsumexp_cuda_kernelERKNSE_10TensorBaseESI_lENKUlvE_clEvENKUlvE1_clEvEUlS7_S7_E_S7_EEDaPvRmT3_T4_T5_mT6_P12ihipStream_tbENKUlT_T0_E_clISt17integral_constantIbLb1EESY_IbLb0EEEEDaSU_SV_EUlSU_E0_NS1_11comp_targetILNS1_3genE10ELNS1_11target_archE1201ELNS1_3gpuE5ELNS1_3repE0EEENS1_30default_config_static_selectorELNS0_4arch9wavefront6targetE1EEEvT1_
    .private_segment_fixed_size: 0
    .sgpr_count:     4
    .sgpr_spill_count: 0
    .symbol:         _ZN7rocprim17ROCPRIM_400000_NS6detail17trampoline_kernelINS0_14default_configENS1_20scan_config_selectorIN3c107complexIdEEEEZZNS1_9scan_implILNS1_25lookback_scan_determinismE0ELb0ELb0ES3_PKS7_PS7_S7_ZZZN2at6native31launch_logcumsumexp_cuda_kernelERKNSE_10TensorBaseESI_lENKUlvE_clEvENKUlvE1_clEvEUlS7_S7_E_S7_EEDaPvRmT3_T4_T5_mT6_P12ihipStream_tbENKUlT_T0_E_clISt17integral_constantIbLb1EESY_IbLb0EEEEDaSU_SV_EUlSU_E0_NS1_11comp_targetILNS1_3genE10ELNS1_11target_archE1201ELNS1_3gpuE5ELNS1_3repE0EEENS1_30default_config_static_selectorELNS0_4arch9wavefront6targetE1EEEvT1_.kd
    .uniform_work_group_size: 1
    .uses_dynamic_stack: false
    .vgpr_count:     0
    .vgpr_spill_count: 0
    .wavefront_size: 64
  - .agpr_count:     0
    .args:
      - .offset:         0
        .size:           48
        .value_kind:     by_value
    .group_segment_fixed_size: 0
    .kernarg_segment_align: 16
    .kernarg_segment_size: 48
    .language:       OpenCL C
    .language_version:
      - 2
      - 0
    .max_flat_workgroup_size: 256
    .name:           _ZN7rocprim17ROCPRIM_400000_NS6detail17trampoline_kernelINS0_14default_configENS1_20scan_config_selectorIN3c107complexIdEEEEZZNS1_9scan_implILNS1_25lookback_scan_determinismE0ELb0ELb0ES3_PKS7_PS7_S7_ZZZN2at6native31launch_logcumsumexp_cuda_kernelERKNSE_10TensorBaseESI_lENKUlvE_clEvENKUlvE1_clEvEUlS7_S7_E_S7_EEDaPvRmT3_T4_T5_mT6_P12ihipStream_tbENKUlT_T0_E_clISt17integral_constantIbLb1EESY_IbLb0EEEEDaSU_SV_EUlSU_E0_NS1_11comp_targetILNS1_3genE10ELNS1_11target_archE1200ELNS1_3gpuE4ELNS1_3repE0EEENS1_30default_config_static_selectorELNS0_4arch9wavefront6targetE1EEEvT1_
    .private_segment_fixed_size: 0
    .sgpr_count:     4
    .sgpr_spill_count: 0
    .symbol:         _ZN7rocprim17ROCPRIM_400000_NS6detail17trampoline_kernelINS0_14default_configENS1_20scan_config_selectorIN3c107complexIdEEEEZZNS1_9scan_implILNS1_25lookback_scan_determinismE0ELb0ELb0ES3_PKS7_PS7_S7_ZZZN2at6native31launch_logcumsumexp_cuda_kernelERKNSE_10TensorBaseESI_lENKUlvE_clEvENKUlvE1_clEvEUlS7_S7_E_S7_EEDaPvRmT3_T4_T5_mT6_P12ihipStream_tbENKUlT_T0_E_clISt17integral_constantIbLb1EESY_IbLb0EEEEDaSU_SV_EUlSU_E0_NS1_11comp_targetILNS1_3genE10ELNS1_11target_archE1200ELNS1_3gpuE4ELNS1_3repE0EEENS1_30default_config_static_selectorELNS0_4arch9wavefront6targetE1EEEvT1_.kd
    .uniform_work_group_size: 1
    .uses_dynamic_stack: false
    .vgpr_count:     0
    .vgpr_spill_count: 0
    .wavefront_size: 64
  - .agpr_count:     0
    .args:
      - .offset:         0
        .size:           48
        .value_kind:     by_value
    .group_segment_fixed_size: 0
    .kernarg_segment_align: 16
    .kernarg_segment_size: 48
    .language:       OpenCL C
    .language_version:
      - 2
      - 0
    .max_flat_workgroup_size: 256
    .name:           _ZN7rocprim17ROCPRIM_400000_NS6detail17trampoline_kernelINS0_14default_configENS1_20scan_config_selectorIN3c107complexIdEEEEZZNS1_9scan_implILNS1_25lookback_scan_determinismE0ELb0ELb0ES3_PKS7_PS7_S7_ZZZN2at6native31launch_logcumsumexp_cuda_kernelERKNSE_10TensorBaseESI_lENKUlvE_clEvENKUlvE1_clEvEUlS7_S7_E_S7_EEDaPvRmT3_T4_T5_mT6_P12ihipStream_tbENKUlT_T0_E_clISt17integral_constantIbLb1EESY_IbLb0EEEEDaSU_SV_EUlSU_E0_NS1_11comp_targetILNS1_3genE9ELNS1_11target_archE1100ELNS1_3gpuE3ELNS1_3repE0EEENS1_30default_config_static_selectorELNS0_4arch9wavefront6targetE1EEEvT1_
    .private_segment_fixed_size: 0
    .sgpr_count:     4
    .sgpr_spill_count: 0
    .symbol:         _ZN7rocprim17ROCPRIM_400000_NS6detail17trampoline_kernelINS0_14default_configENS1_20scan_config_selectorIN3c107complexIdEEEEZZNS1_9scan_implILNS1_25lookback_scan_determinismE0ELb0ELb0ES3_PKS7_PS7_S7_ZZZN2at6native31launch_logcumsumexp_cuda_kernelERKNSE_10TensorBaseESI_lENKUlvE_clEvENKUlvE1_clEvEUlS7_S7_E_S7_EEDaPvRmT3_T4_T5_mT6_P12ihipStream_tbENKUlT_T0_E_clISt17integral_constantIbLb1EESY_IbLb0EEEEDaSU_SV_EUlSU_E0_NS1_11comp_targetILNS1_3genE9ELNS1_11target_archE1100ELNS1_3gpuE3ELNS1_3repE0EEENS1_30default_config_static_selectorELNS0_4arch9wavefront6targetE1EEEvT1_.kd
    .uniform_work_group_size: 1
    .uses_dynamic_stack: false
    .vgpr_count:     0
    .vgpr_spill_count: 0
    .wavefront_size: 64
  - .agpr_count:     0
    .args:
      - .offset:         0
        .size:           48
        .value_kind:     by_value
    .group_segment_fixed_size: 0
    .kernarg_segment_align: 16
    .kernarg_segment_size: 48
    .language:       OpenCL C
    .language_version:
      - 2
      - 0
    .max_flat_workgroup_size: 256
    .name:           _ZN7rocprim17ROCPRIM_400000_NS6detail17trampoline_kernelINS0_14default_configENS1_20scan_config_selectorIN3c107complexIdEEEEZZNS1_9scan_implILNS1_25lookback_scan_determinismE0ELb0ELb0ES3_PKS7_PS7_S7_ZZZN2at6native31launch_logcumsumexp_cuda_kernelERKNSE_10TensorBaseESI_lENKUlvE_clEvENKUlvE1_clEvEUlS7_S7_E_S7_EEDaPvRmT3_T4_T5_mT6_P12ihipStream_tbENKUlT_T0_E_clISt17integral_constantIbLb1EESY_IbLb0EEEEDaSU_SV_EUlSU_E0_NS1_11comp_targetILNS1_3genE8ELNS1_11target_archE1030ELNS1_3gpuE2ELNS1_3repE0EEENS1_30default_config_static_selectorELNS0_4arch9wavefront6targetE1EEEvT1_
    .private_segment_fixed_size: 0
    .sgpr_count:     4
    .sgpr_spill_count: 0
    .symbol:         _ZN7rocprim17ROCPRIM_400000_NS6detail17trampoline_kernelINS0_14default_configENS1_20scan_config_selectorIN3c107complexIdEEEEZZNS1_9scan_implILNS1_25lookback_scan_determinismE0ELb0ELb0ES3_PKS7_PS7_S7_ZZZN2at6native31launch_logcumsumexp_cuda_kernelERKNSE_10TensorBaseESI_lENKUlvE_clEvENKUlvE1_clEvEUlS7_S7_E_S7_EEDaPvRmT3_T4_T5_mT6_P12ihipStream_tbENKUlT_T0_E_clISt17integral_constantIbLb1EESY_IbLb0EEEEDaSU_SV_EUlSU_E0_NS1_11comp_targetILNS1_3genE8ELNS1_11target_archE1030ELNS1_3gpuE2ELNS1_3repE0EEENS1_30default_config_static_selectorELNS0_4arch9wavefront6targetE1EEEvT1_.kd
    .uniform_work_group_size: 1
    .uses_dynamic_stack: false
    .vgpr_count:     0
    .vgpr_spill_count: 0
    .wavefront_size: 64
  - .agpr_count:     0
    .args:
      - .offset:         0
        .size:           24
        .value_kind:     by_value
      - .offset:         24
        .size:           4
        .value_kind:     by_value
      - .address_space:  global
        .offset:         32
        .size:           8
        .value_kind:     global_buffer
      - .offset:         40
        .size:           4
        .value_kind:     by_value
      - .address_space:  global
        .offset:         48
        .size:           8
        .value_kind:     global_buffer
      - .offset:         56
        .size:           4
        .value_kind:     hidden_block_count_x
      - .offset:         60
        .size:           4
        .value_kind:     hidden_block_count_y
      - .offset:         64
        .size:           4
        .value_kind:     hidden_block_count_z
      - .offset:         68
        .size:           2
        .value_kind:     hidden_group_size_x
      - .offset:         70
        .size:           2
        .value_kind:     hidden_group_size_y
      - .offset:         72
        .size:           2
        .value_kind:     hidden_group_size_z
      - .offset:         74
        .size:           2
        .value_kind:     hidden_remainder_x
      - .offset:         76
        .size:           2
        .value_kind:     hidden_remainder_y
      - .offset:         78
        .size:           2
        .value_kind:     hidden_remainder_z
      - .offset:         96
        .size:           8
        .value_kind:     hidden_global_offset_x
      - .offset:         104
        .size:           8
        .value_kind:     hidden_global_offset_y
      - .offset:         112
        .size:           8
        .value_kind:     hidden_global_offset_z
      - .offset:         120
        .size:           2
        .value_kind:     hidden_grid_dims
    .group_segment_fixed_size: 0
    .kernarg_segment_align: 8
    .kernarg_segment_size: 312
    .language:       OpenCL C
    .language_version:
      - 2
      - 0
    .max_flat_workgroup_size: 256
    .name:           _ZN7rocprim17ROCPRIM_400000_NS6detail31init_lookback_scan_state_kernelINS1_19lookback_scan_stateIN3c107complexIdEELb0ELb0EEENS1_16block_id_wrapperIjLb1EEEEEvT_jT0_jPNSA_10value_typeE
    .private_segment_fixed_size: 0
    .sgpr_count:     22
    .sgpr_spill_count: 0
    .symbol:         _ZN7rocprim17ROCPRIM_400000_NS6detail31init_lookback_scan_state_kernelINS1_19lookback_scan_stateIN3c107complexIdEELb0ELb0EEENS1_16block_id_wrapperIjLb1EEEEEvT_jT0_jPNSA_10value_typeE.kd
    .uniform_work_group_size: 1
    .uses_dynamic_stack: false
    .vgpr_count:     6
    .vgpr_spill_count: 0
    .wavefront_size: 64
  - .agpr_count:     0
    .args:
      - .offset:         0
        .size:           128
        .value_kind:     by_value
    .group_segment_fixed_size: 0
    .kernarg_segment_align: 16
    .kernarg_segment_size: 128
    .language:       OpenCL C
    .language_version:
      - 2
      - 0
    .max_flat_workgroup_size: 128
    .name:           _ZN7rocprim17ROCPRIM_400000_NS6detail17trampoline_kernelINS0_14default_configENS1_20scan_config_selectorIN3c107complexIdEEEEZZNS1_9scan_implILNS1_25lookback_scan_determinismE0ELb0ELb0ES3_PKS7_PS7_S7_ZZZN2at6native31launch_logcumsumexp_cuda_kernelERKNSE_10TensorBaseESI_lENKUlvE_clEvENKUlvE1_clEvEUlS7_S7_E_S7_EEDaPvRmT3_T4_T5_mT6_P12ihipStream_tbENKUlT_T0_E_clISt17integral_constantIbLb0EESY_IbLb1EEEEDaSU_SV_EUlSU_E_NS1_11comp_targetILNS1_3genE0ELNS1_11target_archE4294967295ELNS1_3gpuE0ELNS1_3repE0EEENS1_30default_config_static_selectorELNS0_4arch9wavefront6targetE1EEEvT1_
    .private_segment_fixed_size: 0
    .sgpr_count:     4
    .sgpr_spill_count: 0
    .symbol:         _ZN7rocprim17ROCPRIM_400000_NS6detail17trampoline_kernelINS0_14default_configENS1_20scan_config_selectorIN3c107complexIdEEEEZZNS1_9scan_implILNS1_25lookback_scan_determinismE0ELb0ELb0ES3_PKS7_PS7_S7_ZZZN2at6native31launch_logcumsumexp_cuda_kernelERKNSE_10TensorBaseESI_lENKUlvE_clEvENKUlvE1_clEvEUlS7_S7_E_S7_EEDaPvRmT3_T4_T5_mT6_P12ihipStream_tbENKUlT_T0_E_clISt17integral_constantIbLb0EESY_IbLb1EEEEDaSU_SV_EUlSU_E_NS1_11comp_targetILNS1_3genE0ELNS1_11target_archE4294967295ELNS1_3gpuE0ELNS1_3repE0EEENS1_30default_config_static_selectorELNS0_4arch9wavefront6targetE1EEEvT1_.kd
    .uniform_work_group_size: 1
    .uses_dynamic_stack: false
    .vgpr_count:     0
    .vgpr_spill_count: 0
    .wavefront_size: 64
  - .agpr_count:     0
    .args:
      - .offset:         0
        .size:           128
        .value_kind:     by_value
    .group_segment_fixed_size: 0
    .kernarg_segment_align: 16
    .kernarg_segment_size: 128
    .language:       OpenCL C
    .language_version:
      - 2
      - 0
    .max_flat_workgroup_size: 256
    .name:           _ZN7rocprim17ROCPRIM_400000_NS6detail17trampoline_kernelINS0_14default_configENS1_20scan_config_selectorIN3c107complexIdEEEEZZNS1_9scan_implILNS1_25lookback_scan_determinismE0ELb0ELb0ES3_PKS7_PS7_S7_ZZZN2at6native31launch_logcumsumexp_cuda_kernelERKNSE_10TensorBaseESI_lENKUlvE_clEvENKUlvE1_clEvEUlS7_S7_E_S7_EEDaPvRmT3_T4_T5_mT6_P12ihipStream_tbENKUlT_T0_E_clISt17integral_constantIbLb0EESY_IbLb1EEEEDaSU_SV_EUlSU_E_NS1_11comp_targetILNS1_3genE5ELNS1_11target_archE942ELNS1_3gpuE9ELNS1_3repE0EEENS1_30default_config_static_selectorELNS0_4arch9wavefront6targetE1EEEvT1_
    .private_segment_fixed_size: 0
    .sgpr_count:     4
    .sgpr_spill_count: 0
    .symbol:         _ZN7rocprim17ROCPRIM_400000_NS6detail17trampoline_kernelINS0_14default_configENS1_20scan_config_selectorIN3c107complexIdEEEEZZNS1_9scan_implILNS1_25lookback_scan_determinismE0ELb0ELb0ES3_PKS7_PS7_S7_ZZZN2at6native31launch_logcumsumexp_cuda_kernelERKNSE_10TensorBaseESI_lENKUlvE_clEvENKUlvE1_clEvEUlS7_S7_E_S7_EEDaPvRmT3_T4_T5_mT6_P12ihipStream_tbENKUlT_T0_E_clISt17integral_constantIbLb0EESY_IbLb1EEEEDaSU_SV_EUlSU_E_NS1_11comp_targetILNS1_3genE5ELNS1_11target_archE942ELNS1_3gpuE9ELNS1_3repE0EEENS1_30default_config_static_selectorELNS0_4arch9wavefront6targetE1EEEvT1_.kd
    .uniform_work_group_size: 1
    .uses_dynamic_stack: false
    .vgpr_count:     0
    .vgpr_spill_count: 0
    .wavefront_size: 64
  - .agpr_count:     0
    .args:
      - .offset:         0
        .size:           128
        .value_kind:     by_value
    .group_segment_fixed_size: 15360
    .kernarg_segment_align: 16
    .kernarg_segment_size: 128
    .language:       OpenCL C
    .language_version:
      - 2
      - 0
    .max_flat_workgroup_size: 64
    .name:           _ZN7rocprim17ROCPRIM_400000_NS6detail17trampoline_kernelINS0_14default_configENS1_20scan_config_selectorIN3c107complexIdEEEEZZNS1_9scan_implILNS1_25lookback_scan_determinismE0ELb0ELb0ES3_PKS7_PS7_S7_ZZZN2at6native31launch_logcumsumexp_cuda_kernelERKNSE_10TensorBaseESI_lENKUlvE_clEvENKUlvE1_clEvEUlS7_S7_E_S7_EEDaPvRmT3_T4_T5_mT6_P12ihipStream_tbENKUlT_T0_E_clISt17integral_constantIbLb0EESY_IbLb1EEEEDaSU_SV_EUlSU_E_NS1_11comp_targetILNS1_3genE4ELNS1_11target_archE910ELNS1_3gpuE8ELNS1_3repE0EEENS1_30default_config_static_selectorELNS0_4arch9wavefront6targetE1EEEvT1_
    .private_segment_fixed_size: 8
    .sgpr_count:     77
    .sgpr_spill_count: 0
    .symbol:         _ZN7rocprim17ROCPRIM_400000_NS6detail17trampoline_kernelINS0_14default_configENS1_20scan_config_selectorIN3c107complexIdEEEEZZNS1_9scan_implILNS1_25lookback_scan_determinismE0ELb0ELb0ES3_PKS7_PS7_S7_ZZZN2at6native31launch_logcumsumexp_cuda_kernelERKNSE_10TensorBaseESI_lENKUlvE_clEvENKUlvE1_clEvEUlS7_S7_E_S7_EEDaPvRmT3_T4_T5_mT6_P12ihipStream_tbENKUlT_T0_E_clISt17integral_constantIbLb0EESY_IbLb1EEEEDaSU_SV_EUlSU_E_NS1_11comp_targetILNS1_3genE4ELNS1_11target_archE910ELNS1_3gpuE8ELNS1_3repE0EEENS1_30default_config_static_selectorELNS0_4arch9wavefront6targetE1EEEvT1_.kd
    .uniform_work_group_size: 1
    .uses_dynamic_stack: false
    .vgpr_count:     171
    .vgpr_spill_count: 0
    .wavefront_size: 64
  - .agpr_count:     0
    .args:
      - .offset:         0
        .size:           128
        .value_kind:     by_value
    .group_segment_fixed_size: 0
    .kernarg_segment_align: 16
    .kernarg_segment_size: 128
    .language:       OpenCL C
    .language_version:
      - 2
      - 0
    .max_flat_workgroup_size: 128
    .name:           _ZN7rocprim17ROCPRIM_400000_NS6detail17trampoline_kernelINS0_14default_configENS1_20scan_config_selectorIN3c107complexIdEEEEZZNS1_9scan_implILNS1_25lookback_scan_determinismE0ELb0ELb0ES3_PKS7_PS7_S7_ZZZN2at6native31launch_logcumsumexp_cuda_kernelERKNSE_10TensorBaseESI_lENKUlvE_clEvENKUlvE1_clEvEUlS7_S7_E_S7_EEDaPvRmT3_T4_T5_mT6_P12ihipStream_tbENKUlT_T0_E_clISt17integral_constantIbLb0EESY_IbLb1EEEEDaSU_SV_EUlSU_E_NS1_11comp_targetILNS1_3genE3ELNS1_11target_archE908ELNS1_3gpuE7ELNS1_3repE0EEENS1_30default_config_static_selectorELNS0_4arch9wavefront6targetE1EEEvT1_
    .private_segment_fixed_size: 0
    .sgpr_count:     4
    .sgpr_spill_count: 0
    .symbol:         _ZN7rocprim17ROCPRIM_400000_NS6detail17trampoline_kernelINS0_14default_configENS1_20scan_config_selectorIN3c107complexIdEEEEZZNS1_9scan_implILNS1_25lookback_scan_determinismE0ELb0ELb0ES3_PKS7_PS7_S7_ZZZN2at6native31launch_logcumsumexp_cuda_kernelERKNSE_10TensorBaseESI_lENKUlvE_clEvENKUlvE1_clEvEUlS7_S7_E_S7_EEDaPvRmT3_T4_T5_mT6_P12ihipStream_tbENKUlT_T0_E_clISt17integral_constantIbLb0EESY_IbLb1EEEEDaSU_SV_EUlSU_E_NS1_11comp_targetILNS1_3genE3ELNS1_11target_archE908ELNS1_3gpuE7ELNS1_3repE0EEENS1_30default_config_static_selectorELNS0_4arch9wavefront6targetE1EEEvT1_.kd
    .uniform_work_group_size: 1
    .uses_dynamic_stack: false
    .vgpr_count:     0
    .vgpr_spill_count: 0
    .wavefront_size: 64
  - .agpr_count:     0
    .args:
      - .offset:         0
        .size:           128
        .value_kind:     by_value
    .group_segment_fixed_size: 0
    .kernarg_segment_align: 16
    .kernarg_segment_size: 128
    .language:       OpenCL C
    .language_version:
      - 2
      - 0
    .max_flat_workgroup_size: 64
    .name:           _ZN7rocprim17ROCPRIM_400000_NS6detail17trampoline_kernelINS0_14default_configENS1_20scan_config_selectorIN3c107complexIdEEEEZZNS1_9scan_implILNS1_25lookback_scan_determinismE0ELb0ELb0ES3_PKS7_PS7_S7_ZZZN2at6native31launch_logcumsumexp_cuda_kernelERKNSE_10TensorBaseESI_lENKUlvE_clEvENKUlvE1_clEvEUlS7_S7_E_S7_EEDaPvRmT3_T4_T5_mT6_P12ihipStream_tbENKUlT_T0_E_clISt17integral_constantIbLb0EESY_IbLb1EEEEDaSU_SV_EUlSU_E_NS1_11comp_targetILNS1_3genE2ELNS1_11target_archE906ELNS1_3gpuE6ELNS1_3repE0EEENS1_30default_config_static_selectorELNS0_4arch9wavefront6targetE1EEEvT1_
    .private_segment_fixed_size: 0
    .sgpr_count:     4
    .sgpr_spill_count: 0
    .symbol:         _ZN7rocprim17ROCPRIM_400000_NS6detail17trampoline_kernelINS0_14default_configENS1_20scan_config_selectorIN3c107complexIdEEEEZZNS1_9scan_implILNS1_25lookback_scan_determinismE0ELb0ELb0ES3_PKS7_PS7_S7_ZZZN2at6native31launch_logcumsumexp_cuda_kernelERKNSE_10TensorBaseESI_lENKUlvE_clEvENKUlvE1_clEvEUlS7_S7_E_S7_EEDaPvRmT3_T4_T5_mT6_P12ihipStream_tbENKUlT_T0_E_clISt17integral_constantIbLb0EESY_IbLb1EEEEDaSU_SV_EUlSU_E_NS1_11comp_targetILNS1_3genE2ELNS1_11target_archE906ELNS1_3gpuE6ELNS1_3repE0EEENS1_30default_config_static_selectorELNS0_4arch9wavefront6targetE1EEEvT1_.kd
    .uniform_work_group_size: 1
    .uses_dynamic_stack: false
    .vgpr_count:     0
    .vgpr_spill_count: 0
    .wavefront_size: 64
  - .agpr_count:     0
    .args:
      - .offset:         0
        .size:           128
        .value_kind:     by_value
    .group_segment_fixed_size: 0
    .kernarg_segment_align: 16
    .kernarg_segment_size: 128
    .language:       OpenCL C
    .language_version:
      - 2
      - 0
    .max_flat_workgroup_size: 256
    .name:           _ZN7rocprim17ROCPRIM_400000_NS6detail17trampoline_kernelINS0_14default_configENS1_20scan_config_selectorIN3c107complexIdEEEEZZNS1_9scan_implILNS1_25lookback_scan_determinismE0ELb0ELb0ES3_PKS7_PS7_S7_ZZZN2at6native31launch_logcumsumexp_cuda_kernelERKNSE_10TensorBaseESI_lENKUlvE_clEvENKUlvE1_clEvEUlS7_S7_E_S7_EEDaPvRmT3_T4_T5_mT6_P12ihipStream_tbENKUlT_T0_E_clISt17integral_constantIbLb0EESY_IbLb1EEEEDaSU_SV_EUlSU_E_NS1_11comp_targetILNS1_3genE10ELNS1_11target_archE1201ELNS1_3gpuE5ELNS1_3repE0EEENS1_30default_config_static_selectorELNS0_4arch9wavefront6targetE1EEEvT1_
    .private_segment_fixed_size: 0
    .sgpr_count:     4
    .sgpr_spill_count: 0
    .symbol:         _ZN7rocprim17ROCPRIM_400000_NS6detail17trampoline_kernelINS0_14default_configENS1_20scan_config_selectorIN3c107complexIdEEEEZZNS1_9scan_implILNS1_25lookback_scan_determinismE0ELb0ELb0ES3_PKS7_PS7_S7_ZZZN2at6native31launch_logcumsumexp_cuda_kernelERKNSE_10TensorBaseESI_lENKUlvE_clEvENKUlvE1_clEvEUlS7_S7_E_S7_EEDaPvRmT3_T4_T5_mT6_P12ihipStream_tbENKUlT_T0_E_clISt17integral_constantIbLb0EESY_IbLb1EEEEDaSU_SV_EUlSU_E_NS1_11comp_targetILNS1_3genE10ELNS1_11target_archE1201ELNS1_3gpuE5ELNS1_3repE0EEENS1_30default_config_static_selectorELNS0_4arch9wavefront6targetE1EEEvT1_.kd
    .uniform_work_group_size: 1
    .uses_dynamic_stack: false
    .vgpr_count:     0
    .vgpr_spill_count: 0
    .wavefront_size: 64
  - .agpr_count:     0
    .args:
      - .offset:         0
        .size:           128
        .value_kind:     by_value
    .group_segment_fixed_size: 0
    .kernarg_segment_align: 16
    .kernarg_segment_size: 128
    .language:       OpenCL C
    .language_version:
      - 2
      - 0
    .max_flat_workgroup_size: 256
    .name:           _ZN7rocprim17ROCPRIM_400000_NS6detail17trampoline_kernelINS0_14default_configENS1_20scan_config_selectorIN3c107complexIdEEEEZZNS1_9scan_implILNS1_25lookback_scan_determinismE0ELb0ELb0ES3_PKS7_PS7_S7_ZZZN2at6native31launch_logcumsumexp_cuda_kernelERKNSE_10TensorBaseESI_lENKUlvE_clEvENKUlvE1_clEvEUlS7_S7_E_S7_EEDaPvRmT3_T4_T5_mT6_P12ihipStream_tbENKUlT_T0_E_clISt17integral_constantIbLb0EESY_IbLb1EEEEDaSU_SV_EUlSU_E_NS1_11comp_targetILNS1_3genE10ELNS1_11target_archE1200ELNS1_3gpuE4ELNS1_3repE0EEENS1_30default_config_static_selectorELNS0_4arch9wavefront6targetE1EEEvT1_
    .private_segment_fixed_size: 0
    .sgpr_count:     4
    .sgpr_spill_count: 0
    .symbol:         _ZN7rocprim17ROCPRIM_400000_NS6detail17trampoline_kernelINS0_14default_configENS1_20scan_config_selectorIN3c107complexIdEEEEZZNS1_9scan_implILNS1_25lookback_scan_determinismE0ELb0ELb0ES3_PKS7_PS7_S7_ZZZN2at6native31launch_logcumsumexp_cuda_kernelERKNSE_10TensorBaseESI_lENKUlvE_clEvENKUlvE1_clEvEUlS7_S7_E_S7_EEDaPvRmT3_T4_T5_mT6_P12ihipStream_tbENKUlT_T0_E_clISt17integral_constantIbLb0EESY_IbLb1EEEEDaSU_SV_EUlSU_E_NS1_11comp_targetILNS1_3genE10ELNS1_11target_archE1200ELNS1_3gpuE4ELNS1_3repE0EEENS1_30default_config_static_selectorELNS0_4arch9wavefront6targetE1EEEvT1_.kd
    .uniform_work_group_size: 1
    .uses_dynamic_stack: false
    .vgpr_count:     0
    .vgpr_spill_count: 0
    .wavefront_size: 64
  - .agpr_count:     0
    .args:
      - .offset:         0
        .size:           128
        .value_kind:     by_value
    .group_segment_fixed_size: 0
    .kernarg_segment_align: 16
    .kernarg_segment_size: 128
    .language:       OpenCL C
    .language_version:
      - 2
      - 0
    .max_flat_workgroup_size: 256
    .name:           _ZN7rocprim17ROCPRIM_400000_NS6detail17trampoline_kernelINS0_14default_configENS1_20scan_config_selectorIN3c107complexIdEEEEZZNS1_9scan_implILNS1_25lookback_scan_determinismE0ELb0ELb0ES3_PKS7_PS7_S7_ZZZN2at6native31launch_logcumsumexp_cuda_kernelERKNSE_10TensorBaseESI_lENKUlvE_clEvENKUlvE1_clEvEUlS7_S7_E_S7_EEDaPvRmT3_T4_T5_mT6_P12ihipStream_tbENKUlT_T0_E_clISt17integral_constantIbLb0EESY_IbLb1EEEEDaSU_SV_EUlSU_E_NS1_11comp_targetILNS1_3genE9ELNS1_11target_archE1100ELNS1_3gpuE3ELNS1_3repE0EEENS1_30default_config_static_selectorELNS0_4arch9wavefront6targetE1EEEvT1_
    .private_segment_fixed_size: 0
    .sgpr_count:     4
    .sgpr_spill_count: 0
    .symbol:         _ZN7rocprim17ROCPRIM_400000_NS6detail17trampoline_kernelINS0_14default_configENS1_20scan_config_selectorIN3c107complexIdEEEEZZNS1_9scan_implILNS1_25lookback_scan_determinismE0ELb0ELb0ES3_PKS7_PS7_S7_ZZZN2at6native31launch_logcumsumexp_cuda_kernelERKNSE_10TensorBaseESI_lENKUlvE_clEvENKUlvE1_clEvEUlS7_S7_E_S7_EEDaPvRmT3_T4_T5_mT6_P12ihipStream_tbENKUlT_T0_E_clISt17integral_constantIbLb0EESY_IbLb1EEEEDaSU_SV_EUlSU_E_NS1_11comp_targetILNS1_3genE9ELNS1_11target_archE1100ELNS1_3gpuE3ELNS1_3repE0EEENS1_30default_config_static_selectorELNS0_4arch9wavefront6targetE1EEEvT1_.kd
    .uniform_work_group_size: 1
    .uses_dynamic_stack: false
    .vgpr_count:     0
    .vgpr_spill_count: 0
    .wavefront_size: 64
  - .agpr_count:     0
    .args:
      - .offset:         0
        .size:           128
        .value_kind:     by_value
    .group_segment_fixed_size: 0
    .kernarg_segment_align: 16
    .kernarg_segment_size: 128
    .language:       OpenCL C
    .language_version:
      - 2
      - 0
    .max_flat_workgroup_size: 256
    .name:           _ZN7rocprim17ROCPRIM_400000_NS6detail17trampoline_kernelINS0_14default_configENS1_20scan_config_selectorIN3c107complexIdEEEEZZNS1_9scan_implILNS1_25lookback_scan_determinismE0ELb0ELb0ES3_PKS7_PS7_S7_ZZZN2at6native31launch_logcumsumexp_cuda_kernelERKNSE_10TensorBaseESI_lENKUlvE_clEvENKUlvE1_clEvEUlS7_S7_E_S7_EEDaPvRmT3_T4_T5_mT6_P12ihipStream_tbENKUlT_T0_E_clISt17integral_constantIbLb0EESY_IbLb1EEEEDaSU_SV_EUlSU_E_NS1_11comp_targetILNS1_3genE8ELNS1_11target_archE1030ELNS1_3gpuE2ELNS1_3repE0EEENS1_30default_config_static_selectorELNS0_4arch9wavefront6targetE1EEEvT1_
    .private_segment_fixed_size: 0
    .sgpr_count:     4
    .sgpr_spill_count: 0
    .symbol:         _ZN7rocprim17ROCPRIM_400000_NS6detail17trampoline_kernelINS0_14default_configENS1_20scan_config_selectorIN3c107complexIdEEEEZZNS1_9scan_implILNS1_25lookback_scan_determinismE0ELb0ELb0ES3_PKS7_PS7_S7_ZZZN2at6native31launch_logcumsumexp_cuda_kernelERKNSE_10TensorBaseESI_lENKUlvE_clEvENKUlvE1_clEvEUlS7_S7_E_S7_EEDaPvRmT3_T4_T5_mT6_P12ihipStream_tbENKUlT_T0_E_clISt17integral_constantIbLb0EESY_IbLb1EEEEDaSU_SV_EUlSU_E_NS1_11comp_targetILNS1_3genE8ELNS1_11target_archE1030ELNS1_3gpuE2ELNS1_3repE0EEENS1_30default_config_static_selectorELNS0_4arch9wavefront6targetE1EEEvT1_.kd
    .uniform_work_group_size: 1
    .uses_dynamic_stack: false
    .vgpr_count:     0
    .vgpr_spill_count: 0
    .wavefront_size: 64
  - .agpr_count:     0
    .args:
      - .offset:         0
        .size:           48
        .value_kind:     by_value
    .group_segment_fixed_size: 0
    .kernarg_segment_align: 16
    .kernarg_segment_size: 48
    .language:       OpenCL C
    .language_version:
      - 2
      - 0
    .max_flat_workgroup_size: 128
    .name:           _ZN7rocprim17ROCPRIM_400000_NS6detail17trampoline_kernelINS0_14default_configENS1_20scan_config_selectorIN3c107complexIdEEEEZZNS1_9scan_implILNS1_25lookback_scan_determinismE0ELb0ELb0ES3_PKS7_PS7_S7_ZZZN2at6native31launch_logcumsumexp_cuda_kernelERKNSE_10TensorBaseESI_lENKUlvE_clEvENKUlvE1_clEvEUlS7_S7_E_S7_EEDaPvRmT3_T4_T5_mT6_P12ihipStream_tbENKUlT_T0_E_clISt17integral_constantIbLb0EESY_IbLb1EEEEDaSU_SV_EUlSU_E0_NS1_11comp_targetILNS1_3genE0ELNS1_11target_archE4294967295ELNS1_3gpuE0ELNS1_3repE0EEENS1_30default_config_static_selectorELNS0_4arch9wavefront6targetE1EEEvT1_
    .private_segment_fixed_size: 0
    .sgpr_count:     4
    .sgpr_spill_count: 0
    .symbol:         _ZN7rocprim17ROCPRIM_400000_NS6detail17trampoline_kernelINS0_14default_configENS1_20scan_config_selectorIN3c107complexIdEEEEZZNS1_9scan_implILNS1_25lookback_scan_determinismE0ELb0ELb0ES3_PKS7_PS7_S7_ZZZN2at6native31launch_logcumsumexp_cuda_kernelERKNSE_10TensorBaseESI_lENKUlvE_clEvENKUlvE1_clEvEUlS7_S7_E_S7_EEDaPvRmT3_T4_T5_mT6_P12ihipStream_tbENKUlT_T0_E_clISt17integral_constantIbLb0EESY_IbLb1EEEEDaSU_SV_EUlSU_E0_NS1_11comp_targetILNS1_3genE0ELNS1_11target_archE4294967295ELNS1_3gpuE0ELNS1_3repE0EEENS1_30default_config_static_selectorELNS0_4arch9wavefront6targetE1EEEvT1_.kd
    .uniform_work_group_size: 1
    .uses_dynamic_stack: false
    .vgpr_count:     0
    .vgpr_spill_count: 0
    .wavefront_size: 64
  - .agpr_count:     0
    .args:
      - .offset:         0
        .size:           48
        .value_kind:     by_value
    .group_segment_fixed_size: 0
    .kernarg_segment_align: 16
    .kernarg_segment_size: 48
    .language:       OpenCL C
    .language_version:
      - 2
      - 0
    .max_flat_workgroup_size: 256
    .name:           _ZN7rocprim17ROCPRIM_400000_NS6detail17trampoline_kernelINS0_14default_configENS1_20scan_config_selectorIN3c107complexIdEEEEZZNS1_9scan_implILNS1_25lookback_scan_determinismE0ELb0ELb0ES3_PKS7_PS7_S7_ZZZN2at6native31launch_logcumsumexp_cuda_kernelERKNSE_10TensorBaseESI_lENKUlvE_clEvENKUlvE1_clEvEUlS7_S7_E_S7_EEDaPvRmT3_T4_T5_mT6_P12ihipStream_tbENKUlT_T0_E_clISt17integral_constantIbLb0EESY_IbLb1EEEEDaSU_SV_EUlSU_E0_NS1_11comp_targetILNS1_3genE5ELNS1_11target_archE942ELNS1_3gpuE9ELNS1_3repE0EEENS1_30default_config_static_selectorELNS0_4arch9wavefront6targetE1EEEvT1_
    .private_segment_fixed_size: 0
    .sgpr_count:     4
    .sgpr_spill_count: 0
    .symbol:         _ZN7rocprim17ROCPRIM_400000_NS6detail17trampoline_kernelINS0_14default_configENS1_20scan_config_selectorIN3c107complexIdEEEEZZNS1_9scan_implILNS1_25lookback_scan_determinismE0ELb0ELb0ES3_PKS7_PS7_S7_ZZZN2at6native31launch_logcumsumexp_cuda_kernelERKNSE_10TensorBaseESI_lENKUlvE_clEvENKUlvE1_clEvEUlS7_S7_E_S7_EEDaPvRmT3_T4_T5_mT6_P12ihipStream_tbENKUlT_T0_E_clISt17integral_constantIbLb0EESY_IbLb1EEEEDaSU_SV_EUlSU_E0_NS1_11comp_targetILNS1_3genE5ELNS1_11target_archE942ELNS1_3gpuE9ELNS1_3repE0EEENS1_30default_config_static_selectorELNS0_4arch9wavefront6targetE1EEEvT1_.kd
    .uniform_work_group_size: 1
    .uses_dynamic_stack: false
    .vgpr_count:     0
    .vgpr_spill_count: 0
    .wavefront_size: 64
  - .agpr_count:     0
    .args:
      - .offset:         0
        .size:           48
        .value_kind:     by_value
    .group_segment_fixed_size: 15360
    .kernarg_segment_align: 16
    .kernarg_segment_size: 48
    .language:       OpenCL C
    .language_version:
      - 2
      - 0
    .max_flat_workgroup_size: 64
    .name:           _ZN7rocprim17ROCPRIM_400000_NS6detail17trampoline_kernelINS0_14default_configENS1_20scan_config_selectorIN3c107complexIdEEEEZZNS1_9scan_implILNS1_25lookback_scan_determinismE0ELb0ELb0ES3_PKS7_PS7_S7_ZZZN2at6native31launch_logcumsumexp_cuda_kernelERKNSE_10TensorBaseESI_lENKUlvE_clEvENKUlvE1_clEvEUlS7_S7_E_S7_EEDaPvRmT3_T4_T5_mT6_P12ihipStream_tbENKUlT_T0_E_clISt17integral_constantIbLb0EESY_IbLb1EEEEDaSU_SV_EUlSU_E0_NS1_11comp_targetILNS1_3genE4ELNS1_11target_archE910ELNS1_3gpuE8ELNS1_3repE0EEENS1_30default_config_static_selectorELNS0_4arch9wavefront6targetE1EEEvT1_
    .private_segment_fixed_size: 8
    .sgpr_count:     80
    .sgpr_spill_count: 0
    .symbol:         _ZN7rocprim17ROCPRIM_400000_NS6detail17trampoline_kernelINS0_14default_configENS1_20scan_config_selectorIN3c107complexIdEEEEZZNS1_9scan_implILNS1_25lookback_scan_determinismE0ELb0ELb0ES3_PKS7_PS7_S7_ZZZN2at6native31launch_logcumsumexp_cuda_kernelERKNSE_10TensorBaseESI_lENKUlvE_clEvENKUlvE1_clEvEUlS7_S7_E_S7_EEDaPvRmT3_T4_T5_mT6_P12ihipStream_tbENKUlT_T0_E_clISt17integral_constantIbLb0EESY_IbLb1EEEEDaSU_SV_EUlSU_E0_NS1_11comp_targetILNS1_3genE4ELNS1_11target_archE910ELNS1_3gpuE8ELNS1_3repE0EEENS1_30default_config_static_selectorELNS0_4arch9wavefront6targetE1EEEvT1_.kd
    .uniform_work_group_size: 1
    .uses_dynamic_stack: false
    .vgpr_count:     166
    .vgpr_spill_count: 0
    .wavefront_size: 64
  - .agpr_count:     0
    .args:
      - .offset:         0
        .size:           48
        .value_kind:     by_value
    .group_segment_fixed_size: 0
    .kernarg_segment_align: 16
    .kernarg_segment_size: 48
    .language:       OpenCL C
    .language_version:
      - 2
      - 0
    .max_flat_workgroup_size: 128
    .name:           _ZN7rocprim17ROCPRIM_400000_NS6detail17trampoline_kernelINS0_14default_configENS1_20scan_config_selectorIN3c107complexIdEEEEZZNS1_9scan_implILNS1_25lookback_scan_determinismE0ELb0ELb0ES3_PKS7_PS7_S7_ZZZN2at6native31launch_logcumsumexp_cuda_kernelERKNSE_10TensorBaseESI_lENKUlvE_clEvENKUlvE1_clEvEUlS7_S7_E_S7_EEDaPvRmT3_T4_T5_mT6_P12ihipStream_tbENKUlT_T0_E_clISt17integral_constantIbLb0EESY_IbLb1EEEEDaSU_SV_EUlSU_E0_NS1_11comp_targetILNS1_3genE3ELNS1_11target_archE908ELNS1_3gpuE7ELNS1_3repE0EEENS1_30default_config_static_selectorELNS0_4arch9wavefront6targetE1EEEvT1_
    .private_segment_fixed_size: 0
    .sgpr_count:     4
    .sgpr_spill_count: 0
    .symbol:         _ZN7rocprim17ROCPRIM_400000_NS6detail17trampoline_kernelINS0_14default_configENS1_20scan_config_selectorIN3c107complexIdEEEEZZNS1_9scan_implILNS1_25lookback_scan_determinismE0ELb0ELb0ES3_PKS7_PS7_S7_ZZZN2at6native31launch_logcumsumexp_cuda_kernelERKNSE_10TensorBaseESI_lENKUlvE_clEvENKUlvE1_clEvEUlS7_S7_E_S7_EEDaPvRmT3_T4_T5_mT6_P12ihipStream_tbENKUlT_T0_E_clISt17integral_constantIbLb0EESY_IbLb1EEEEDaSU_SV_EUlSU_E0_NS1_11comp_targetILNS1_3genE3ELNS1_11target_archE908ELNS1_3gpuE7ELNS1_3repE0EEENS1_30default_config_static_selectorELNS0_4arch9wavefront6targetE1EEEvT1_.kd
    .uniform_work_group_size: 1
    .uses_dynamic_stack: false
    .vgpr_count:     0
    .vgpr_spill_count: 0
    .wavefront_size: 64
  - .agpr_count:     0
    .args:
      - .offset:         0
        .size:           48
        .value_kind:     by_value
    .group_segment_fixed_size: 0
    .kernarg_segment_align: 16
    .kernarg_segment_size: 48
    .language:       OpenCL C
    .language_version:
      - 2
      - 0
    .max_flat_workgroup_size: 64
    .name:           _ZN7rocprim17ROCPRIM_400000_NS6detail17trampoline_kernelINS0_14default_configENS1_20scan_config_selectorIN3c107complexIdEEEEZZNS1_9scan_implILNS1_25lookback_scan_determinismE0ELb0ELb0ES3_PKS7_PS7_S7_ZZZN2at6native31launch_logcumsumexp_cuda_kernelERKNSE_10TensorBaseESI_lENKUlvE_clEvENKUlvE1_clEvEUlS7_S7_E_S7_EEDaPvRmT3_T4_T5_mT6_P12ihipStream_tbENKUlT_T0_E_clISt17integral_constantIbLb0EESY_IbLb1EEEEDaSU_SV_EUlSU_E0_NS1_11comp_targetILNS1_3genE2ELNS1_11target_archE906ELNS1_3gpuE6ELNS1_3repE0EEENS1_30default_config_static_selectorELNS0_4arch9wavefront6targetE1EEEvT1_
    .private_segment_fixed_size: 0
    .sgpr_count:     4
    .sgpr_spill_count: 0
    .symbol:         _ZN7rocprim17ROCPRIM_400000_NS6detail17trampoline_kernelINS0_14default_configENS1_20scan_config_selectorIN3c107complexIdEEEEZZNS1_9scan_implILNS1_25lookback_scan_determinismE0ELb0ELb0ES3_PKS7_PS7_S7_ZZZN2at6native31launch_logcumsumexp_cuda_kernelERKNSE_10TensorBaseESI_lENKUlvE_clEvENKUlvE1_clEvEUlS7_S7_E_S7_EEDaPvRmT3_T4_T5_mT6_P12ihipStream_tbENKUlT_T0_E_clISt17integral_constantIbLb0EESY_IbLb1EEEEDaSU_SV_EUlSU_E0_NS1_11comp_targetILNS1_3genE2ELNS1_11target_archE906ELNS1_3gpuE6ELNS1_3repE0EEENS1_30default_config_static_selectorELNS0_4arch9wavefront6targetE1EEEvT1_.kd
    .uniform_work_group_size: 1
    .uses_dynamic_stack: false
    .vgpr_count:     0
    .vgpr_spill_count: 0
    .wavefront_size: 64
  - .agpr_count:     0
    .args:
      - .offset:         0
        .size:           48
        .value_kind:     by_value
    .group_segment_fixed_size: 0
    .kernarg_segment_align: 16
    .kernarg_segment_size: 48
    .language:       OpenCL C
    .language_version:
      - 2
      - 0
    .max_flat_workgroup_size: 256
    .name:           _ZN7rocprim17ROCPRIM_400000_NS6detail17trampoline_kernelINS0_14default_configENS1_20scan_config_selectorIN3c107complexIdEEEEZZNS1_9scan_implILNS1_25lookback_scan_determinismE0ELb0ELb0ES3_PKS7_PS7_S7_ZZZN2at6native31launch_logcumsumexp_cuda_kernelERKNSE_10TensorBaseESI_lENKUlvE_clEvENKUlvE1_clEvEUlS7_S7_E_S7_EEDaPvRmT3_T4_T5_mT6_P12ihipStream_tbENKUlT_T0_E_clISt17integral_constantIbLb0EESY_IbLb1EEEEDaSU_SV_EUlSU_E0_NS1_11comp_targetILNS1_3genE10ELNS1_11target_archE1201ELNS1_3gpuE5ELNS1_3repE0EEENS1_30default_config_static_selectorELNS0_4arch9wavefront6targetE1EEEvT1_
    .private_segment_fixed_size: 0
    .sgpr_count:     4
    .sgpr_spill_count: 0
    .symbol:         _ZN7rocprim17ROCPRIM_400000_NS6detail17trampoline_kernelINS0_14default_configENS1_20scan_config_selectorIN3c107complexIdEEEEZZNS1_9scan_implILNS1_25lookback_scan_determinismE0ELb0ELb0ES3_PKS7_PS7_S7_ZZZN2at6native31launch_logcumsumexp_cuda_kernelERKNSE_10TensorBaseESI_lENKUlvE_clEvENKUlvE1_clEvEUlS7_S7_E_S7_EEDaPvRmT3_T4_T5_mT6_P12ihipStream_tbENKUlT_T0_E_clISt17integral_constantIbLb0EESY_IbLb1EEEEDaSU_SV_EUlSU_E0_NS1_11comp_targetILNS1_3genE10ELNS1_11target_archE1201ELNS1_3gpuE5ELNS1_3repE0EEENS1_30default_config_static_selectorELNS0_4arch9wavefront6targetE1EEEvT1_.kd
    .uniform_work_group_size: 1
    .uses_dynamic_stack: false
    .vgpr_count:     0
    .vgpr_spill_count: 0
    .wavefront_size: 64
  - .agpr_count:     0
    .args:
      - .offset:         0
        .size:           48
        .value_kind:     by_value
    .group_segment_fixed_size: 0
    .kernarg_segment_align: 16
    .kernarg_segment_size: 48
    .language:       OpenCL C
    .language_version:
      - 2
      - 0
    .max_flat_workgroup_size: 256
    .name:           _ZN7rocprim17ROCPRIM_400000_NS6detail17trampoline_kernelINS0_14default_configENS1_20scan_config_selectorIN3c107complexIdEEEEZZNS1_9scan_implILNS1_25lookback_scan_determinismE0ELb0ELb0ES3_PKS7_PS7_S7_ZZZN2at6native31launch_logcumsumexp_cuda_kernelERKNSE_10TensorBaseESI_lENKUlvE_clEvENKUlvE1_clEvEUlS7_S7_E_S7_EEDaPvRmT3_T4_T5_mT6_P12ihipStream_tbENKUlT_T0_E_clISt17integral_constantIbLb0EESY_IbLb1EEEEDaSU_SV_EUlSU_E0_NS1_11comp_targetILNS1_3genE10ELNS1_11target_archE1200ELNS1_3gpuE4ELNS1_3repE0EEENS1_30default_config_static_selectorELNS0_4arch9wavefront6targetE1EEEvT1_
    .private_segment_fixed_size: 0
    .sgpr_count:     4
    .sgpr_spill_count: 0
    .symbol:         _ZN7rocprim17ROCPRIM_400000_NS6detail17trampoline_kernelINS0_14default_configENS1_20scan_config_selectorIN3c107complexIdEEEEZZNS1_9scan_implILNS1_25lookback_scan_determinismE0ELb0ELb0ES3_PKS7_PS7_S7_ZZZN2at6native31launch_logcumsumexp_cuda_kernelERKNSE_10TensorBaseESI_lENKUlvE_clEvENKUlvE1_clEvEUlS7_S7_E_S7_EEDaPvRmT3_T4_T5_mT6_P12ihipStream_tbENKUlT_T0_E_clISt17integral_constantIbLb0EESY_IbLb1EEEEDaSU_SV_EUlSU_E0_NS1_11comp_targetILNS1_3genE10ELNS1_11target_archE1200ELNS1_3gpuE4ELNS1_3repE0EEENS1_30default_config_static_selectorELNS0_4arch9wavefront6targetE1EEEvT1_.kd
    .uniform_work_group_size: 1
    .uses_dynamic_stack: false
    .vgpr_count:     0
    .vgpr_spill_count: 0
    .wavefront_size: 64
  - .agpr_count:     0
    .args:
      - .offset:         0
        .size:           48
        .value_kind:     by_value
    .group_segment_fixed_size: 0
    .kernarg_segment_align: 16
    .kernarg_segment_size: 48
    .language:       OpenCL C
    .language_version:
      - 2
      - 0
    .max_flat_workgroup_size: 256
    .name:           _ZN7rocprim17ROCPRIM_400000_NS6detail17trampoline_kernelINS0_14default_configENS1_20scan_config_selectorIN3c107complexIdEEEEZZNS1_9scan_implILNS1_25lookback_scan_determinismE0ELb0ELb0ES3_PKS7_PS7_S7_ZZZN2at6native31launch_logcumsumexp_cuda_kernelERKNSE_10TensorBaseESI_lENKUlvE_clEvENKUlvE1_clEvEUlS7_S7_E_S7_EEDaPvRmT3_T4_T5_mT6_P12ihipStream_tbENKUlT_T0_E_clISt17integral_constantIbLb0EESY_IbLb1EEEEDaSU_SV_EUlSU_E0_NS1_11comp_targetILNS1_3genE9ELNS1_11target_archE1100ELNS1_3gpuE3ELNS1_3repE0EEENS1_30default_config_static_selectorELNS0_4arch9wavefront6targetE1EEEvT1_
    .private_segment_fixed_size: 0
    .sgpr_count:     4
    .sgpr_spill_count: 0
    .symbol:         _ZN7rocprim17ROCPRIM_400000_NS6detail17trampoline_kernelINS0_14default_configENS1_20scan_config_selectorIN3c107complexIdEEEEZZNS1_9scan_implILNS1_25lookback_scan_determinismE0ELb0ELb0ES3_PKS7_PS7_S7_ZZZN2at6native31launch_logcumsumexp_cuda_kernelERKNSE_10TensorBaseESI_lENKUlvE_clEvENKUlvE1_clEvEUlS7_S7_E_S7_EEDaPvRmT3_T4_T5_mT6_P12ihipStream_tbENKUlT_T0_E_clISt17integral_constantIbLb0EESY_IbLb1EEEEDaSU_SV_EUlSU_E0_NS1_11comp_targetILNS1_3genE9ELNS1_11target_archE1100ELNS1_3gpuE3ELNS1_3repE0EEENS1_30default_config_static_selectorELNS0_4arch9wavefront6targetE1EEEvT1_.kd
    .uniform_work_group_size: 1
    .uses_dynamic_stack: false
    .vgpr_count:     0
    .vgpr_spill_count: 0
    .wavefront_size: 64
  - .agpr_count:     0
    .args:
      - .offset:         0
        .size:           48
        .value_kind:     by_value
    .group_segment_fixed_size: 0
    .kernarg_segment_align: 16
    .kernarg_segment_size: 48
    .language:       OpenCL C
    .language_version:
      - 2
      - 0
    .max_flat_workgroup_size: 256
    .name:           _ZN7rocprim17ROCPRIM_400000_NS6detail17trampoline_kernelINS0_14default_configENS1_20scan_config_selectorIN3c107complexIdEEEEZZNS1_9scan_implILNS1_25lookback_scan_determinismE0ELb0ELb0ES3_PKS7_PS7_S7_ZZZN2at6native31launch_logcumsumexp_cuda_kernelERKNSE_10TensorBaseESI_lENKUlvE_clEvENKUlvE1_clEvEUlS7_S7_E_S7_EEDaPvRmT3_T4_T5_mT6_P12ihipStream_tbENKUlT_T0_E_clISt17integral_constantIbLb0EESY_IbLb1EEEEDaSU_SV_EUlSU_E0_NS1_11comp_targetILNS1_3genE8ELNS1_11target_archE1030ELNS1_3gpuE2ELNS1_3repE0EEENS1_30default_config_static_selectorELNS0_4arch9wavefront6targetE1EEEvT1_
    .private_segment_fixed_size: 0
    .sgpr_count:     4
    .sgpr_spill_count: 0
    .symbol:         _ZN7rocprim17ROCPRIM_400000_NS6detail17trampoline_kernelINS0_14default_configENS1_20scan_config_selectorIN3c107complexIdEEEEZZNS1_9scan_implILNS1_25lookback_scan_determinismE0ELb0ELb0ES3_PKS7_PS7_S7_ZZZN2at6native31launch_logcumsumexp_cuda_kernelERKNSE_10TensorBaseESI_lENKUlvE_clEvENKUlvE1_clEvEUlS7_S7_E_S7_EEDaPvRmT3_T4_T5_mT6_P12ihipStream_tbENKUlT_T0_E_clISt17integral_constantIbLb0EESY_IbLb1EEEEDaSU_SV_EUlSU_E0_NS1_11comp_targetILNS1_3genE8ELNS1_11target_archE1030ELNS1_3gpuE2ELNS1_3repE0EEENS1_30default_config_static_selectorELNS0_4arch9wavefront6targetE1EEEvT1_.kd
    .uniform_work_group_size: 1
    .uses_dynamic_stack: false
    .vgpr_count:     0
    .vgpr_spill_count: 0
    .wavefront_size: 64
  - .agpr_count:     0
    .args:
      - .address_space:  global
        .offset:         0
        .size:           8
        .value_kind:     global_buffer
      - .address_space:  global
        .offset:         8
        .size:           8
        .value_kind:     global_buffer
      - .offset:         16
        .size:           4
        .value_kind:     by_value
      - .offset:         20
        .size:           4
        .value_kind:     by_value
      - .offset:         24
        .size:           4
        .value_kind:     by_value
      - .offset:         32
        .size:           16
        .value_kind:     by_value
      - .offset:         48
        .size:           1
        .value_kind:     by_value
      - .offset:         56
        .size:           4
        .value_kind:     hidden_block_count_x
      - .offset:         60
        .size:           4
        .value_kind:     hidden_block_count_y
      - .offset:         64
        .size:           4
        .value_kind:     hidden_block_count_z
      - .offset:         68
        .size:           2
        .value_kind:     hidden_group_size_x
      - .offset:         70
        .size:           2
        .value_kind:     hidden_group_size_y
      - .offset:         72
        .size:           2
        .value_kind:     hidden_group_size_z
      - .offset:         74
        .size:           2
        .value_kind:     hidden_remainder_x
      - .offset:         76
        .size:           2
        .value_kind:     hidden_remainder_y
      - .offset:         78
        .size:           2
        .value_kind:     hidden_remainder_z
      - .offset:         96
        .size:           8
        .value_kind:     hidden_global_offset_x
      - .offset:         104
        .size:           8
        .value_kind:     hidden_global_offset_y
      - .offset:         112
        .size:           8
        .value_kind:     hidden_global_offset_z
      - .offset:         120
        .size:           2
        .value_kind:     hidden_grid_dims
      - .offset:         176
        .size:           4
        .value_kind:     hidden_dynamic_lds_size
    .group_segment_fixed_size: 0
    .kernarg_segment_align: 16
    .kernarg_segment_size: 312
    .language:       OpenCL C
    .language_version:
      - 2
      - 0
    .max_flat_workgroup_size: 1024
    .name:           _ZN2at6native32tensor_kernel_scan_innermost_dimIN3c107complexIdEEZZZNS0_31launch_logcumsumexp_cuda_kernelERKNS_10TensorBaseES7_lENKUlvE_clEvENKUlvE1_clEvEUlS4_S4_E_EEvPT_PKSB_jjjSB_T0_
    .private_segment_fixed_size: 8
    .sgpr_count:     76
    .sgpr_spill_count: 0
    .symbol:         _ZN2at6native32tensor_kernel_scan_innermost_dimIN3c107complexIdEEZZZNS0_31launch_logcumsumexp_cuda_kernelERKNS_10TensorBaseES7_lENKUlvE_clEvENKUlvE1_clEvEUlS4_S4_E_EEvPT_PKSB_jjjSB_T0_.kd
    .uniform_work_group_size: 1
    .uses_dynamic_stack: false
    .vgpr_count:     62
    .vgpr_spill_count: 0
    .wavefront_size: 64
  - .agpr_count:     0
    .args:
      - .address_space:  global
        .offset:         0
        .size:           8
        .value_kind:     global_buffer
      - .address_space:  global
        .offset:         8
        .size:           8
        .value_kind:     global_buffer
      - .offset:         16
        .size:           4
        .value_kind:     by_value
      - .offset:         20
        .size:           4
        .value_kind:     by_value
      - .offset:         24
        .size:           4
        .value_kind:     by_value
      - .offset:         32
        .size:           16
        .value_kind:     by_value
      - .offset:         48
        .size:           1
        .value_kind:     by_value
      - .offset:         56
        .size:           4
        .value_kind:     hidden_block_count_x
      - .offset:         60
        .size:           4
        .value_kind:     hidden_block_count_y
      - .offset:         64
        .size:           4
        .value_kind:     hidden_block_count_z
      - .offset:         68
        .size:           2
        .value_kind:     hidden_group_size_x
      - .offset:         70
        .size:           2
        .value_kind:     hidden_group_size_y
      - .offset:         72
        .size:           2
        .value_kind:     hidden_group_size_z
      - .offset:         74
        .size:           2
        .value_kind:     hidden_remainder_x
      - .offset:         76
        .size:           2
        .value_kind:     hidden_remainder_y
      - .offset:         78
        .size:           2
        .value_kind:     hidden_remainder_z
      - .offset:         96
        .size:           8
        .value_kind:     hidden_global_offset_x
      - .offset:         104
        .size:           8
        .value_kind:     hidden_global_offset_y
      - .offset:         112
        .size:           8
        .value_kind:     hidden_global_offset_z
      - .offset:         120
        .size:           2
        .value_kind:     hidden_grid_dims
    .group_segment_fixed_size: 0
    .kernarg_segment_align: 16
    .kernarg_segment_size: 312
    .language:       OpenCL C
    .language_version:
      - 2
      - 0
    .max_flat_workgroup_size: 1024
    .name:           _ZN2at6native28tensor_kernel_scan_outer_dimIN3c107complexIdEEjZZZNS0_31launch_logcumsumexp_cuda_kernelERKNS_10TensorBaseES7_lENKUlvE_clEvENKUlvE1_clEvEUlS4_S4_E_EEvPT_PKSB_jjjSB_T1_
    .private_segment_fixed_size: 8
    .sgpr_count:     75
    .sgpr_spill_count: 0
    .symbol:         _ZN2at6native28tensor_kernel_scan_outer_dimIN3c107complexIdEEjZZZNS0_31launch_logcumsumexp_cuda_kernelERKNS_10TensorBaseES7_lENKUlvE_clEvENKUlvE1_clEvEUlS4_S4_E_EEvPT_PKSB_jjjSB_T1_.kd
    .uniform_work_group_size: 1
    .uses_dynamic_stack: false
    .vgpr_count:     52
    .vgpr_spill_count: 0
    .wavefront_size: 64
  - .agpr_count:     0
    .args:
      - .address_space:  global
        .offset:         0
        .size:           8
        .value_kind:     global_buffer
      - .address_space:  global
        .offset:         8
        .size:           8
        .value_kind:     global_buffer
      - .offset:         16
        .size:           4
        .value_kind:     by_value
      - .offset:         20
        .size:           4
        .value_kind:     by_value
      - .offset:         24
        .size:           4
        .value_kind:     by_value
      - .offset:         32
        .size:           16
        .value_kind:     by_value
      - .offset:         48
        .size:           1
        .value_kind:     by_value
      - .offset:         56
        .size:           4
        .value_kind:     hidden_block_count_x
      - .offset:         60
        .size:           4
        .value_kind:     hidden_block_count_y
      - .offset:         64
        .size:           4
        .value_kind:     hidden_block_count_z
      - .offset:         68
        .size:           2
        .value_kind:     hidden_group_size_x
      - .offset:         70
        .size:           2
        .value_kind:     hidden_group_size_y
      - .offset:         72
        .size:           2
        .value_kind:     hidden_group_size_z
      - .offset:         74
        .size:           2
        .value_kind:     hidden_remainder_x
      - .offset:         76
        .size:           2
        .value_kind:     hidden_remainder_y
      - .offset:         78
        .size:           2
        .value_kind:     hidden_remainder_z
      - .offset:         96
        .size:           8
        .value_kind:     hidden_global_offset_x
      - .offset:         104
        .size:           8
        .value_kind:     hidden_global_offset_y
      - .offset:         112
        .size:           8
        .value_kind:     hidden_global_offset_z
      - .offset:         120
        .size:           2
        .value_kind:     hidden_grid_dims
    .group_segment_fixed_size: 0
    .kernarg_segment_align: 16
    .kernarg_segment_size: 312
    .language:       OpenCL C
    .language_version:
      - 2
      - 0
    .max_flat_workgroup_size: 1024
    .name:           _ZN2at6native28tensor_kernel_scan_outer_dimIN3c107complexIdEEmZZZNS0_31launch_logcumsumexp_cuda_kernelERKNS_10TensorBaseES7_lENKUlvE_clEvENKUlvE1_clEvEUlS4_S4_E_EEvPT_PKSB_jjjSB_T1_
    .private_segment_fixed_size: 8
    .sgpr_count:     74
    .sgpr_spill_count: 0
    .symbol:         _ZN2at6native28tensor_kernel_scan_outer_dimIN3c107complexIdEEmZZZNS0_31launch_logcumsumexp_cuda_kernelERKNS_10TensorBaseES7_lENKUlvE_clEvENKUlvE1_clEvEUlS4_S4_E_EEvPT_PKSB_jjjSB_T1_.kd
    .uniform_work_group_size: 1
    .uses_dynamic_stack: false
    .vgpr_count:     52
    .vgpr_spill_count: 0
    .wavefront_size: 64
  - .agpr_count:     0
    .args:
      - .address_space:  global
        .offset:         0
        .size:           8
        .value_kind:     global_buffer
      - .offset:         8
        .size:           4
        .value_kind:     by_value
      - .offset:         12
        .size:           1
        .value_kind:     by_value
      - .offset:         16
        .size:           4
        .value_kind:     by_value
      - .address_space:  global
        .offset:         24
        .size:           8
        .value_kind:     global_buffer
      - .offset:         32
        .size:           4
        .value_kind:     hidden_block_count_x
      - .offset:         36
        .size:           4
        .value_kind:     hidden_block_count_y
      - .offset:         40
        .size:           4
        .value_kind:     hidden_block_count_z
      - .offset:         44
        .size:           2
        .value_kind:     hidden_group_size_x
      - .offset:         46
        .size:           2
        .value_kind:     hidden_group_size_y
      - .offset:         48
        .size:           2
        .value_kind:     hidden_group_size_z
      - .offset:         50
        .size:           2
        .value_kind:     hidden_remainder_x
      - .offset:         52
        .size:           2
        .value_kind:     hidden_remainder_y
      - .offset:         54
        .size:           2
        .value_kind:     hidden_remainder_z
      - .offset:         72
        .size:           8
        .value_kind:     hidden_global_offset_x
      - .offset:         80
        .size:           8
        .value_kind:     hidden_global_offset_y
      - .offset:         88
        .size:           8
        .value_kind:     hidden_global_offset_z
      - .offset:         96
        .size:           2
        .value_kind:     hidden_grid_dims
    .group_segment_fixed_size: 0
    .kernarg_segment_align: 8
    .kernarg_segment_size: 288
    .language:       OpenCL C
    .language_version:
      - 2
      - 0
    .max_flat_workgroup_size: 256
    .name:           _ZN7rocprim17ROCPRIM_400000_NS6detail31init_lookback_scan_state_kernelINS1_19lookback_scan_stateIN3c107complexIfEELb0ELb1EEENS1_16block_id_wrapperIjLb0EEEEEvT_jT0_jPNSA_10value_typeE
    .private_segment_fixed_size: 0
    .sgpr_count:     17
    .sgpr_spill_count: 0
    .symbol:         _ZN7rocprim17ROCPRIM_400000_NS6detail31init_lookback_scan_state_kernelINS1_19lookback_scan_stateIN3c107complexIfEELb0ELb1EEENS1_16block_id_wrapperIjLb0EEEEEvT_jT0_jPNSA_10value_typeE.kd
    .uniform_work_group_size: 1
    .uses_dynamic_stack: false
    .vgpr_count:     10
    .vgpr_spill_count: 0
    .wavefront_size: 64
  - .agpr_count:     0
    .args:
      - .offset:         0
        .size:           104
        .value_kind:     by_value
    .group_segment_fixed_size: 0
    .kernarg_segment_align: 8
    .kernarg_segment_size: 104
    .language:       OpenCL C
    .language_version:
      - 2
      - 0
    .max_flat_workgroup_size: 256
    .name:           _ZN7rocprim17ROCPRIM_400000_NS6detail17trampoline_kernelINS0_14default_configENS1_20scan_config_selectorIN3c107complexIfEEEEZZNS1_9scan_implILNS1_25lookback_scan_determinismE0ELb0ELb0ES3_PKS7_PS7_S7_ZZZN2at6native31launch_logcumsumexp_cuda_kernelERKNSE_10TensorBaseESI_lENKUlvE_clEvENKUlvE2_clEvEUlS7_S7_E_S7_EEDaPvRmT3_T4_T5_mT6_P12ihipStream_tbENKUlT_T0_E_clISt17integral_constantIbLb0EESZ_EEDaSU_SV_EUlSU_E_NS1_11comp_targetILNS1_3genE0ELNS1_11target_archE4294967295ELNS1_3gpuE0ELNS1_3repE0EEENS1_30default_config_static_selectorELNS0_4arch9wavefront6targetE1EEEvT1_
    .private_segment_fixed_size: 0
    .sgpr_count:     4
    .sgpr_spill_count: 0
    .symbol:         _ZN7rocprim17ROCPRIM_400000_NS6detail17trampoline_kernelINS0_14default_configENS1_20scan_config_selectorIN3c107complexIfEEEEZZNS1_9scan_implILNS1_25lookback_scan_determinismE0ELb0ELb0ES3_PKS7_PS7_S7_ZZZN2at6native31launch_logcumsumexp_cuda_kernelERKNSE_10TensorBaseESI_lENKUlvE_clEvENKUlvE2_clEvEUlS7_S7_E_S7_EEDaPvRmT3_T4_T5_mT6_P12ihipStream_tbENKUlT_T0_E_clISt17integral_constantIbLb0EESZ_EEDaSU_SV_EUlSU_E_NS1_11comp_targetILNS1_3genE0ELNS1_11target_archE4294967295ELNS1_3gpuE0ELNS1_3repE0EEENS1_30default_config_static_selectorELNS0_4arch9wavefront6targetE1EEEvT1_.kd
    .uniform_work_group_size: 1
    .uses_dynamic_stack: false
    .vgpr_count:     0
    .vgpr_spill_count: 0
    .wavefront_size: 64
  - .agpr_count:     0
    .args:
      - .offset:         0
        .size:           104
        .value_kind:     by_value
    .group_segment_fixed_size: 0
    .kernarg_segment_align: 8
    .kernarg_segment_size: 104
    .language:       OpenCL C
    .language_version:
      - 2
      - 0
    .max_flat_workgroup_size: 256
    .name:           _ZN7rocprim17ROCPRIM_400000_NS6detail17trampoline_kernelINS0_14default_configENS1_20scan_config_selectorIN3c107complexIfEEEEZZNS1_9scan_implILNS1_25lookback_scan_determinismE0ELb0ELb0ES3_PKS7_PS7_S7_ZZZN2at6native31launch_logcumsumexp_cuda_kernelERKNSE_10TensorBaseESI_lENKUlvE_clEvENKUlvE2_clEvEUlS7_S7_E_S7_EEDaPvRmT3_T4_T5_mT6_P12ihipStream_tbENKUlT_T0_E_clISt17integral_constantIbLb0EESZ_EEDaSU_SV_EUlSU_E_NS1_11comp_targetILNS1_3genE5ELNS1_11target_archE942ELNS1_3gpuE9ELNS1_3repE0EEENS1_30default_config_static_selectorELNS0_4arch9wavefront6targetE1EEEvT1_
    .private_segment_fixed_size: 0
    .sgpr_count:     4
    .sgpr_spill_count: 0
    .symbol:         _ZN7rocprim17ROCPRIM_400000_NS6detail17trampoline_kernelINS0_14default_configENS1_20scan_config_selectorIN3c107complexIfEEEEZZNS1_9scan_implILNS1_25lookback_scan_determinismE0ELb0ELb0ES3_PKS7_PS7_S7_ZZZN2at6native31launch_logcumsumexp_cuda_kernelERKNSE_10TensorBaseESI_lENKUlvE_clEvENKUlvE2_clEvEUlS7_S7_E_S7_EEDaPvRmT3_T4_T5_mT6_P12ihipStream_tbENKUlT_T0_E_clISt17integral_constantIbLb0EESZ_EEDaSU_SV_EUlSU_E_NS1_11comp_targetILNS1_3genE5ELNS1_11target_archE942ELNS1_3gpuE9ELNS1_3repE0EEENS1_30default_config_static_selectorELNS0_4arch9wavefront6targetE1EEEvT1_.kd
    .uniform_work_group_size: 1
    .uses_dynamic_stack: false
    .vgpr_count:     0
    .vgpr_spill_count: 0
    .wavefront_size: 64
  - .agpr_count:     0
    .args:
      - .offset:         0
        .size:           104
        .value_kind:     by_value
    .group_segment_fixed_size: 7168
    .kernarg_segment_align: 8
    .kernarg_segment_size: 104
    .language:       OpenCL C
    .language_version:
      - 2
      - 0
    .max_flat_workgroup_size: 128
    .name:           _ZN7rocprim17ROCPRIM_400000_NS6detail17trampoline_kernelINS0_14default_configENS1_20scan_config_selectorIN3c107complexIfEEEEZZNS1_9scan_implILNS1_25lookback_scan_determinismE0ELb0ELb0ES3_PKS7_PS7_S7_ZZZN2at6native31launch_logcumsumexp_cuda_kernelERKNSE_10TensorBaseESI_lENKUlvE_clEvENKUlvE2_clEvEUlS7_S7_E_S7_EEDaPvRmT3_T4_T5_mT6_P12ihipStream_tbENKUlT_T0_E_clISt17integral_constantIbLb0EESZ_EEDaSU_SV_EUlSU_E_NS1_11comp_targetILNS1_3genE4ELNS1_11target_archE910ELNS1_3gpuE8ELNS1_3repE0EEENS1_30default_config_static_selectorELNS0_4arch9wavefront6targetE1EEEvT1_
    .private_segment_fixed_size: 0
    .sgpr_count:     63
    .sgpr_spill_count: 0
    .symbol:         _ZN7rocprim17ROCPRIM_400000_NS6detail17trampoline_kernelINS0_14default_configENS1_20scan_config_selectorIN3c107complexIfEEEEZZNS1_9scan_implILNS1_25lookback_scan_determinismE0ELb0ELb0ES3_PKS7_PS7_S7_ZZZN2at6native31launch_logcumsumexp_cuda_kernelERKNSE_10TensorBaseESI_lENKUlvE_clEvENKUlvE2_clEvEUlS7_S7_E_S7_EEDaPvRmT3_T4_T5_mT6_P12ihipStream_tbENKUlT_T0_E_clISt17integral_constantIbLb0EESZ_EEDaSU_SV_EUlSU_E_NS1_11comp_targetILNS1_3genE4ELNS1_11target_archE910ELNS1_3gpuE8ELNS1_3repE0EEENS1_30default_config_static_selectorELNS0_4arch9wavefront6targetE1EEEvT1_.kd
    .uniform_work_group_size: 1
    .uses_dynamic_stack: false
    .vgpr_count:     73
    .vgpr_spill_count: 0
    .wavefront_size: 64
  - .agpr_count:     0
    .args:
      - .offset:         0
        .size:           104
        .value_kind:     by_value
    .group_segment_fixed_size: 0
    .kernarg_segment_align: 8
    .kernarg_segment_size: 104
    .language:       OpenCL C
    .language_version:
      - 2
      - 0
    .max_flat_workgroup_size: 256
    .name:           _ZN7rocprim17ROCPRIM_400000_NS6detail17trampoline_kernelINS0_14default_configENS1_20scan_config_selectorIN3c107complexIfEEEEZZNS1_9scan_implILNS1_25lookback_scan_determinismE0ELb0ELb0ES3_PKS7_PS7_S7_ZZZN2at6native31launch_logcumsumexp_cuda_kernelERKNSE_10TensorBaseESI_lENKUlvE_clEvENKUlvE2_clEvEUlS7_S7_E_S7_EEDaPvRmT3_T4_T5_mT6_P12ihipStream_tbENKUlT_T0_E_clISt17integral_constantIbLb0EESZ_EEDaSU_SV_EUlSU_E_NS1_11comp_targetILNS1_3genE3ELNS1_11target_archE908ELNS1_3gpuE7ELNS1_3repE0EEENS1_30default_config_static_selectorELNS0_4arch9wavefront6targetE1EEEvT1_
    .private_segment_fixed_size: 0
    .sgpr_count:     4
    .sgpr_spill_count: 0
    .symbol:         _ZN7rocprim17ROCPRIM_400000_NS6detail17trampoline_kernelINS0_14default_configENS1_20scan_config_selectorIN3c107complexIfEEEEZZNS1_9scan_implILNS1_25lookback_scan_determinismE0ELb0ELb0ES3_PKS7_PS7_S7_ZZZN2at6native31launch_logcumsumexp_cuda_kernelERKNSE_10TensorBaseESI_lENKUlvE_clEvENKUlvE2_clEvEUlS7_S7_E_S7_EEDaPvRmT3_T4_T5_mT6_P12ihipStream_tbENKUlT_T0_E_clISt17integral_constantIbLb0EESZ_EEDaSU_SV_EUlSU_E_NS1_11comp_targetILNS1_3genE3ELNS1_11target_archE908ELNS1_3gpuE7ELNS1_3repE0EEENS1_30default_config_static_selectorELNS0_4arch9wavefront6targetE1EEEvT1_.kd
    .uniform_work_group_size: 1
    .uses_dynamic_stack: false
    .vgpr_count:     0
    .vgpr_spill_count: 0
    .wavefront_size: 64
  - .agpr_count:     0
    .args:
      - .offset:         0
        .size:           104
        .value_kind:     by_value
    .group_segment_fixed_size: 0
    .kernarg_segment_align: 8
    .kernarg_segment_size: 104
    .language:       OpenCL C
    .language_version:
      - 2
      - 0
    .max_flat_workgroup_size: 64
    .name:           _ZN7rocprim17ROCPRIM_400000_NS6detail17trampoline_kernelINS0_14default_configENS1_20scan_config_selectorIN3c107complexIfEEEEZZNS1_9scan_implILNS1_25lookback_scan_determinismE0ELb0ELb0ES3_PKS7_PS7_S7_ZZZN2at6native31launch_logcumsumexp_cuda_kernelERKNSE_10TensorBaseESI_lENKUlvE_clEvENKUlvE2_clEvEUlS7_S7_E_S7_EEDaPvRmT3_T4_T5_mT6_P12ihipStream_tbENKUlT_T0_E_clISt17integral_constantIbLb0EESZ_EEDaSU_SV_EUlSU_E_NS1_11comp_targetILNS1_3genE2ELNS1_11target_archE906ELNS1_3gpuE6ELNS1_3repE0EEENS1_30default_config_static_selectorELNS0_4arch9wavefront6targetE1EEEvT1_
    .private_segment_fixed_size: 0
    .sgpr_count:     4
    .sgpr_spill_count: 0
    .symbol:         _ZN7rocprim17ROCPRIM_400000_NS6detail17trampoline_kernelINS0_14default_configENS1_20scan_config_selectorIN3c107complexIfEEEEZZNS1_9scan_implILNS1_25lookback_scan_determinismE0ELb0ELb0ES3_PKS7_PS7_S7_ZZZN2at6native31launch_logcumsumexp_cuda_kernelERKNSE_10TensorBaseESI_lENKUlvE_clEvENKUlvE2_clEvEUlS7_S7_E_S7_EEDaPvRmT3_T4_T5_mT6_P12ihipStream_tbENKUlT_T0_E_clISt17integral_constantIbLb0EESZ_EEDaSU_SV_EUlSU_E_NS1_11comp_targetILNS1_3genE2ELNS1_11target_archE906ELNS1_3gpuE6ELNS1_3repE0EEENS1_30default_config_static_selectorELNS0_4arch9wavefront6targetE1EEEvT1_.kd
    .uniform_work_group_size: 1
    .uses_dynamic_stack: false
    .vgpr_count:     0
    .vgpr_spill_count: 0
    .wavefront_size: 64
  - .agpr_count:     0
    .args:
      - .offset:         0
        .size:           104
        .value_kind:     by_value
    .group_segment_fixed_size: 0
    .kernarg_segment_align: 8
    .kernarg_segment_size: 104
    .language:       OpenCL C
    .language_version:
      - 2
      - 0
    .max_flat_workgroup_size: 256
    .name:           _ZN7rocprim17ROCPRIM_400000_NS6detail17trampoline_kernelINS0_14default_configENS1_20scan_config_selectorIN3c107complexIfEEEEZZNS1_9scan_implILNS1_25lookback_scan_determinismE0ELb0ELb0ES3_PKS7_PS7_S7_ZZZN2at6native31launch_logcumsumexp_cuda_kernelERKNSE_10TensorBaseESI_lENKUlvE_clEvENKUlvE2_clEvEUlS7_S7_E_S7_EEDaPvRmT3_T4_T5_mT6_P12ihipStream_tbENKUlT_T0_E_clISt17integral_constantIbLb0EESZ_EEDaSU_SV_EUlSU_E_NS1_11comp_targetILNS1_3genE10ELNS1_11target_archE1201ELNS1_3gpuE5ELNS1_3repE0EEENS1_30default_config_static_selectorELNS0_4arch9wavefront6targetE1EEEvT1_
    .private_segment_fixed_size: 0
    .sgpr_count:     4
    .sgpr_spill_count: 0
    .symbol:         _ZN7rocprim17ROCPRIM_400000_NS6detail17trampoline_kernelINS0_14default_configENS1_20scan_config_selectorIN3c107complexIfEEEEZZNS1_9scan_implILNS1_25lookback_scan_determinismE0ELb0ELb0ES3_PKS7_PS7_S7_ZZZN2at6native31launch_logcumsumexp_cuda_kernelERKNSE_10TensorBaseESI_lENKUlvE_clEvENKUlvE2_clEvEUlS7_S7_E_S7_EEDaPvRmT3_T4_T5_mT6_P12ihipStream_tbENKUlT_T0_E_clISt17integral_constantIbLb0EESZ_EEDaSU_SV_EUlSU_E_NS1_11comp_targetILNS1_3genE10ELNS1_11target_archE1201ELNS1_3gpuE5ELNS1_3repE0EEENS1_30default_config_static_selectorELNS0_4arch9wavefront6targetE1EEEvT1_.kd
    .uniform_work_group_size: 1
    .uses_dynamic_stack: false
    .vgpr_count:     0
    .vgpr_spill_count: 0
    .wavefront_size: 64
  - .agpr_count:     0
    .args:
      - .offset:         0
        .size:           104
        .value_kind:     by_value
    .group_segment_fixed_size: 0
    .kernarg_segment_align: 8
    .kernarg_segment_size: 104
    .language:       OpenCL C
    .language_version:
      - 2
      - 0
    .max_flat_workgroup_size: 256
    .name:           _ZN7rocprim17ROCPRIM_400000_NS6detail17trampoline_kernelINS0_14default_configENS1_20scan_config_selectorIN3c107complexIfEEEEZZNS1_9scan_implILNS1_25lookback_scan_determinismE0ELb0ELb0ES3_PKS7_PS7_S7_ZZZN2at6native31launch_logcumsumexp_cuda_kernelERKNSE_10TensorBaseESI_lENKUlvE_clEvENKUlvE2_clEvEUlS7_S7_E_S7_EEDaPvRmT3_T4_T5_mT6_P12ihipStream_tbENKUlT_T0_E_clISt17integral_constantIbLb0EESZ_EEDaSU_SV_EUlSU_E_NS1_11comp_targetILNS1_3genE10ELNS1_11target_archE1200ELNS1_3gpuE4ELNS1_3repE0EEENS1_30default_config_static_selectorELNS0_4arch9wavefront6targetE1EEEvT1_
    .private_segment_fixed_size: 0
    .sgpr_count:     4
    .sgpr_spill_count: 0
    .symbol:         _ZN7rocprim17ROCPRIM_400000_NS6detail17trampoline_kernelINS0_14default_configENS1_20scan_config_selectorIN3c107complexIfEEEEZZNS1_9scan_implILNS1_25lookback_scan_determinismE0ELb0ELb0ES3_PKS7_PS7_S7_ZZZN2at6native31launch_logcumsumexp_cuda_kernelERKNSE_10TensorBaseESI_lENKUlvE_clEvENKUlvE2_clEvEUlS7_S7_E_S7_EEDaPvRmT3_T4_T5_mT6_P12ihipStream_tbENKUlT_T0_E_clISt17integral_constantIbLb0EESZ_EEDaSU_SV_EUlSU_E_NS1_11comp_targetILNS1_3genE10ELNS1_11target_archE1200ELNS1_3gpuE4ELNS1_3repE0EEENS1_30default_config_static_selectorELNS0_4arch9wavefront6targetE1EEEvT1_.kd
    .uniform_work_group_size: 1
    .uses_dynamic_stack: false
    .vgpr_count:     0
    .vgpr_spill_count: 0
    .wavefront_size: 64
  - .agpr_count:     0
    .args:
      - .offset:         0
        .size:           104
        .value_kind:     by_value
    .group_segment_fixed_size: 0
    .kernarg_segment_align: 8
    .kernarg_segment_size: 104
    .language:       OpenCL C
    .language_version:
      - 2
      - 0
    .max_flat_workgroup_size: 256
    .name:           _ZN7rocprim17ROCPRIM_400000_NS6detail17trampoline_kernelINS0_14default_configENS1_20scan_config_selectorIN3c107complexIfEEEEZZNS1_9scan_implILNS1_25lookback_scan_determinismE0ELb0ELb0ES3_PKS7_PS7_S7_ZZZN2at6native31launch_logcumsumexp_cuda_kernelERKNSE_10TensorBaseESI_lENKUlvE_clEvENKUlvE2_clEvEUlS7_S7_E_S7_EEDaPvRmT3_T4_T5_mT6_P12ihipStream_tbENKUlT_T0_E_clISt17integral_constantIbLb0EESZ_EEDaSU_SV_EUlSU_E_NS1_11comp_targetILNS1_3genE9ELNS1_11target_archE1100ELNS1_3gpuE3ELNS1_3repE0EEENS1_30default_config_static_selectorELNS0_4arch9wavefront6targetE1EEEvT1_
    .private_segment_fixed_size: 0
    .sgpr_count:     4
    .sgpr_spill_count: 0
    .symbol:         _ZN7rocprim17ROCPRIM_400000_NS6detail17trampoline_kernelINS0_14default_configENS1_20scan_config_selectorIN3c107complexIfEEEEZZNS1_9scan_implILNS1_25lookback_scan_determinismE0ELb0ELb0ES3_PKS7_PS7_S7_ZZZN2at6native31launch_logcumsumexp_cuda_kernelERKNSE_10TensorBaseESI_lENKUlvE_clEvENKUlvE2_clEvEUlS7_S7_E_S7_EEDaPvRmT3_T4_T5_mT6_P12ihipStream_tbENKUlT_T0_E_clISt17integral_constantIbLb0EESZ_EEDaSU_SV_EUlSU_E_NS1_11comp_targetILNS1_3genE9ELNS1_11target_archE1100ELNS1_3gpuE3ELNS1_3repE0EEENS1_30default_config_static_selectorELNS0_4arch9wavefront6targetE1EEEvT1_.kd
    .uniform_work_group_size: 1
    .uses_dynamic_stack: false
    .vgpr_count:     0
    .vgpr_spill_count: 0
    .wavefront_size: 64
  - .agpr_count:     0
    .args:
      - .offset:         0
        .size:           104
        .value_kind:     by_value
    .group_segment_fixed_size: 0
    .kernarg_segment_align: 8
    .kernarg_segment_size: 104
    .language:       OpenCL C
    .language_version:
      - 2
      - 0
    .max_flat_workgroup_size: 256
    .name:           _ZN7rocprim17ROCPRIM_400000_NS6detail17trampoline_kernelINS0_14default_configENS1_20scan_config_selectorIN3c107complexIfEEEEZZNS1_9scan_implILNS1_25lookback_scan_determinismE0ELb0ELb0ES3_PKS7_PS7_S7_ZZZN2at6native31launch_logcumsumexp_cuda_kernelERKNSE_10TensorBaseESI_lENKUlvE_clEvENKUlvE2_clEvEUlS7_S7_E_S7_EEDaPvRmT3_T4_T5_mT6_P12ihipStream_tbENKUlT_T0_E_clISt17integral_constantIbLb0EESZ_EEDaSU_SV_EUlSU_E_NS1_11comp_targetILNS1_3genE8ELNS1_11target_archE1030ELNS1_3gpuE2ELNS1_3repE0EEENS1_30default_config_static_selectorELNS0_4arch9wavefront6targetE1EEEvT1_
    .private_segment_fixed_size: 0
    .sgpr_count:     4
    .sgpr_spill_count: 0
    .symbol:         _ZN7rocprim17ROCPRIM_400000_NS6detail17trampoline_kernelINS0_14default_configENS1_20scan_config_selectorIN3c107complexIfEEEEZZNS1_9scan_implILNS1_25lookback_scan_determinismE0ELb0ELb0ES3_PKS7_PS7_S7_ZZZN2at6native31launch_logcumsumexp_cuda_kernelERKNSE_10TensorBaseESI_lENKUlvE_clEvENKUlvE2_clEvEUlS7_S7_E_S7_EEDaPvRmT3_T4_T5_mT6_P12ihipStream_tbENKUlT_T0_E_clISt17integral_constantIbLb0EESZ_EEDaSU_SV_EUlSU_E_NS1_11comp_targetILNS1_3genE8ELNS1_11target_archE1030ELNS1_3gpuE2ELNS1_3repE0EEENS1_30default_config_static_selectorELNS0_4arch9wavefront6targetE1EEEvT1_.kd
    .uniform_work_group_size: 1
    .uses_dynamic_stack: false
    .vgpr_count:     0
    .vgpr_spill_count: 0
    .wavefront_size: 64
  - .agpr_count:     0
    .args:
      - .offset:         0
        .size:           40
        .value_kind:     by_value
    .group_segment_fixed_size: 0
    .kernarg_segment_align: 8
    .kernarg_segment_size: 40
    .language:       OpenCL C
    .language_version:
      - 2
      - 0
    .max_flat_workgroup_size: 128
    .name:           _ZN7rocprim17ROCPRIM_400000_NS6detail17trampoline_kernelINS0_14default_configENS1_25transform_config_selectorIN3c107complexIfEELb1EEEZNS1_14transform_implILb1ES3_S8_PS7_SA_NS0_8identityIS7_EEEE10hipError_tT2_T3_mT4_P12ihipStream_tbEUlT_E_NS1_11comp_targetILNS1_3genE0ELNS1_11target_archE4294967295ELNS1_3gpuE0ELNS1_3repE0EEENS1_30default_config_static_selectorELNS0_4arch9wavefront6targetE1EEEvT1_
    .private_segment_fixed_size: 0
    .sgpr_count:     4
    .sgpr_spill_count: 0
    .symbol:         _ZN7rocprim17ROCPRIM_400000_NS6detail17trampoline_kernelINS0_14default_configENS1_25transform_config_selectorIN3c107complexIfEELb1EEEZNS1_14transform_implILb1ES3_S8_PS7_SA_NS0_8identityIS7_EEEE10hipError_tT2_T3_mT4_P12ihipStream_tbEUlT_E_NS1_11comp_targetILNS1_3genE0ELNS1_11target_archE4294967295ELNS1_3gpuE0ELNS1_3repE0EEENS1_30default_config_static_selectorELNS0_4arch9wavefront6targetE1EEEvT1_.kd
    .uniform_work_group_size: 1
    .uses_dynamic_stack: false
    .vgpr_count:     0
    .vgpr_spill_count: 0
    .wavefront_size: 64
  - .agpr_count:     0
    .args:
      - .offset:         0
        .size:           40
        .value_kind:     by_value
    .group_segment_fixed_size: 0
    .kernarg_segment_align: 8
    .kernarg_segment_size: 40
    .language:       OpenCL C
    .language_version:
      - 2
      - 0
    .max_flat_workgroup_size: 1024
    .name:           _ZN7rocprim17ROCPRIM_400000_NS6detail17trampoline_kernelINS0_14default_configENS1_25transform_config_selectorIN3c107complexIfEELb1EEEZNS1_14transform_implILb1ES3_S8_PS7_SA_NS0_8identityIS7_EEEE10hipError_tT2_T3_mT4_P12ihipStream_tbEUlT_E_NS1_11comp_targetILNS1_3genE10ELNS1_11target_archE1201ELNS1_3gpuE5ELNS1_3repE0EEENS1_30default_config_static_selectorELNS0_4arch9wavefront6targetE1EEEvT1_
    .private_segment_fixed_size: 0
    .sgpr_count:     4
    .sgpr_spill_count: 0
    .symbol:         _ZN7rocprim17ROCPRIM_400000_NS6detail17trampoline_kernelINS0_14default_configENS1_25transform_config_selectorIN3c107complexIfEELb1EEEZNS1_14transform_implILb1ES3_S8_PS7_SA_NS0_8identityIS7_EEEE10hipError_tT2_T3_mT4_P12ihipStream_tbEUlT_E_NS1_11comp_targetILNS1_3genE10ELNS1_11target_archE1201ELNS1_3gpuE5ELNS1_3repE0EEENS1_30default_config_static_selectorELNS0_4arch9wavefront6targetE1EEEvT1_.kd
    .uniform_work_group_size: 1
    .uses_dynamic_stack: false
    .vgpr_count:     0
    .vgpr_spill_count: 0
    .wavefront_size: 64
  - .agpr_count:     0
    .args:
      - .offset:         0
        .size:           40
        .value_kind:     by_value
    .group_segment_fixed_size: 0
    .kernarg_segment_align: 8
    .kernarg_segment_size: 40
    .language:       OpenCL C
    .language_version:
      - 2
      - 0
    .max_flat_workgroup_size: 512
    .name:           _ZN7rocprim17ROCPRIM_400000_NS6detail17trampoline_kernelINS0_14default_configENS1_25transform_config_selectorIN3c107complexIfEELb1EEEZNS1_14transform_implILb1ES3_S8_PS7_SA_NS0_8identityIS7_EEEE10hipError_tT2_T3_mT4_P12ihipStream_tbEUlT_E_NS1_11comp_targetILNS1_3genE5ELNS1_11target_archE942ELNS1_3gpuE9ELNS1_3repE0EEENS1_30default_config_static_selectorELNS0_4arch9wavefront6targetE1EEEvT1_
    .private_segment_fixed_size: 0
    .sgpr_count:     4
    .sgpr_spill_count: 0
    .symbol:         _ZN7rocprim17ROCPRIM_400000_NS6detail17trampoline_kernelINS0_14default_configENS1_25transform_config_selectorIN3c107complexIfEELb1EEEZNS1_14transform_implILb1ES3_S8_PS7_SA_NS0_8identityIS7_EEEE10hipError_tT2_T3_mT4_P12ihipStream_tbEUlT_E_NS1_11comp_targetILNS1_3genE5ELNS1_11target_archE942ELNS1_3gpuE9ELNS1_3repE0EEENS1_30default_config_static_selectorELNS0_4arch9wavefront6targetE1EEEvT1_.kd
    .uniform_work_group_size: 1
    .uses_dynamic_stack: false
    .vgpr_count:     0
    .vgpr_spill_count: 0
    .wavefront_size: 64
  - .agpr_count:     0
    .args:
      - .offset:         0
        .size:           40
        .value_kind:     by_value
      - .offset:         40
        .size:           4
        .value_kind:     hidden_block_count_x
      - .offset:         44
        .size:           4
        .value_kind:     hidden_block_count_y
      - .offset:         48
        .size:           4
        .value_kind:     hidden_block_count_z
      - .offset:         52
        .size:           2
        .value_kind:     hidden_group_size_x
      - .offset:         54
        .size:           2
        .value_kind:     hidden_group_size_y
      - .offset:         56
        .size:           2
        .value_kind:     hidden_group_size_z
      - .offset:         58
        .size:           2
        .value_kind:     hidden_remainder_x
      - .offset:         60
        .size:           2
        .value_kind:     hidden_remainder_y
      - .offset:         62
        .size:           2
        .value_kind:     hidden_remainder_z
      - .offset:         80
        .size:           8
        .value_kind:     hidden_global_offset_x
      - .offset:         88
        .size:           8
        .value_kind:     hidden_global_offset_y
      - .offset:         96
        .size:           8
        .value_kind:     hidden_global_offset_z
      - .offset:         104
        .size:           2
        .value_kind:     hidden_grid_dims
    .group_segment_fixed_size: 0
    .kernarg_segment_align: 8
    .kernarg_segment_size: 296
    .language:       OpenCL C
    .language_version:
      - 2
      - 0
    .max_flat_workgroup_size: 1024
    .name:           _ZN7rocprim17ROCPRIM_400000_NS6detail17trampoline_kernelINS0_14default_configENS1_25transform_config_selectorIN3c107complexIfEELb1EEEZNS1_14transform_implILb1ES3_S8_PS7_SA_NS0_8identityIS7_EEEE10hipError_tT2_T3_mT4_P12ihipStream_tbEUlT_E_NS1_11comp_targetILNS1_3genE4ELNS1_11target_archE910ELNS1_3gpuE8ELNS1_3repE0EEENS1_30default_config_static_selectorELNS0_4arch9wavefront6targetE1EEEvT1_
    .private_segment_fixed_size: 0
    .sgpr_count:     20
    .sgpr_spill_count: 0
    .symbol:         _ZN7rocprim17ROCPRIM_400000_NS6detail17trampoline_kernelINS0_14default_configENS1_25transform_config_selectorIN3c107complexIfEELb1EEEZNS1_14transform_implILb1ES3_S8_PS7_SA_NS0_8identityIS7_EEEE10hipError_tT2_T3_mT4_P12ihipStream_tbEUlT_E_NS1_11comp_targetILNS1_3genE4ELNS1_11target_archE910ELNS1_3gpuE8ELNS1_3repE0EEENS1_30default_config_static_selectorELNS0_4arch9wavefront6targetE1EEEvT1_.kd
    .uniform_work_group_size: 1
    .uses_dynamic_stack: false
    .vgpr_count:     7
    .vgpr_spill_count: 0
    .wavefront_size: 64
  - .agpr_count:     0
    .args:
      - .offset:         0
        .size:           40
        .value_kind:     by_value
    .group_segment_fixed_size: 0
    .kernarg_segment_align: 8
    .kernarg_segment_size: 40
    .language:       OpenCL C
    .language_version:
      - 2
      - 0
    .max_flat_workgroup_size: 128
    .name:           _ZN7rocprim17ROCPRIM_400000_NS6detail17trampoline_kernelINS0_14default_configENS1_25transform_config_selectorIN3c107complexIfEELb1EEEZNS1_14transform_implILb1ES3_S8_PS7_SA_NS0_8identityIS7_EEEE10hipError_tT2_T3_mT4_P12ihipStream_tbEUlT_E_NS1_11comp_targetILNS1_3genE3ELNS1_11target_archE908ELNS1_3gpuE7ELNS1_3repE0EEENS1_30default_config_static_selectorELNS0_4arch9wavefront6targetE1EEEvT1_
    .private_segment_fixed_size: 0
    .sgpr_count:     4
    .sgpr_spill_count: 0
    .symbol:         _ZN7rocprim17ROCPRIM_400000_NS6detail17trampoline_kernelINS0_14default_configENS1_25transform_config_selectorIN3c107complexIfEELb1EEEZNS1_14transform_implILb1ES3_S8_PS7_SA_NS0_8identityIS7_EEEE10hipError_tT2_T3_mT4_P12ihipStream_tbEUlT_E_NS1_11comp_targetILNS1_3genE3ELNS1_11target_archE908ELNS1_3gpuE7ELNS1_3repE0EEENS1_30default_config_static_selectorELNS0_4arch9wavefront6targetE1EEEvT1_.kd
    .uniform_work_group_size: 1
    .uses_dynamic_stack: false
    .vgpr_count:     0
    .vgpr_spill_count: 0
    .wavefront_size: 64
  - .agpr_count:     0
    .args:
      - .offset:         0
        .size:           40
        .value_kind:     by_value
    .group_segment_fixed_size: 0
    .kernarg_segment_align: 8
    .kernarg_segment_size: 40
    .language:       OpenCL C
    .language_version:
      - 2
      - 0
    .max_flat_workgroup_size: 512
    .name:           _ZN7rocprim17ROCPRIM_400000_NS6detail17trampoline_kernelINS0_14default_configENS1_25transform_config_selectorIN3c107complexIfEELb1EEEZNS1_14transform_implILb1ES3_S8_PS7_SA_NS0_8identityIS7_EEEE10hipError_tT2_T3_mT4_P12ihipStream_tbEUlT_E_NS1_11comp_targetILNS1_3genE2ELNS1_11target_archE906ELNS1_3gpuE6ELNS1_3repE0EEENS1_30default_config_static_selectorELNS0_4arch9wavefront6targetE1EEEvT1_
    .private_segment_fixed_size: 0
    .sgpr_count:     4
    .sgpr_spill_count: 0
    .symbol:         _ZN7rocprim17ROCPRIM_400000_NS6detail17trampoline_kernelINS0_14default_configENS1_25transform_config_selectorIN3c107complexIfEELb1EEEZNS1_14transform_implILb1ES3_S8_PS7_SA_NS0_8identityIS7_EEEE10hipError_tT2_T3_mT4_P12ihipStream_tbEUlT_E_NS1_11comp_targetILNS1_3genE2ELNS1_11target_archE906ELNS1_3gpuE6ELNS1_3repE0EEENS1_30default_config_static_selectorELNS0_4arch9wavefront6targetE1EEEvT1_.kd
    .uniform_work_group_size: 1
    .uses_dynamic_stack: false
    .vgpr_count:     0
    .vgpr_spill_count: 0
    .wavefront_size: 64
  - .agpr_count:     0
    .args:
      - .offset:         0
        .size:           40
        .value_kind:     by_value
    .group_segment_fixed_size: 0
    .kernarg_segment_align: 8
    .kernarg_segment_size: 40
    .language:       OpenCL C
    .language_version:
      - 2
      - 0
    .max_flat_workgroup_size: 1024
    .name:           _ZN7rocprim17ROCPRIM_400000_NS6detail17trampoline_kernelINS0_14default_configENS1_25transform_config_selectorIN3c107complexIfEELb1EEEZNS1_14transform_implILb1ES3_S8_PS7_SA_NS0_8identityIS7_EEEE10hipError_tT2_T3_mT4_P12ihipStream_tbEUlT_E_NS1_11comp_targetILNS1_3genE9ELNS1_11target_archE1100ELNS1_3gpuE3ELNS1_3repE0EEENS1_30default_config_static_selectorELNS0_4arch9wavefront6targetE1EEEvT1_
    .private_segment_fixed_size: 0
    .sgpr_count:     4
    .sgpr_spill_count: 0
    .symbol:         _ZN7rocprim17ROCPRIM_400000_NS6detail17trampoline_kernelINS0_14default_configENS1_25transform_config_selectorIN3c107complexIfEELb1EEEZNS1_14transform_implILb1ES3_S8_PS7_SA_NS0_8identityIS7_EEEE10hipError_tT2_T3_mT4_P12ihipStream_tbEUlT_E_NS1_11comp_targetILNS1_3genE9ELNS1_11target_archE1100ELNS1_3gpuE3ELNS1_3repE0EEENS1_30default_config_static_selectorELNS0_4arch9wavefront6targetE1EEEvT1_.kd
    .uniform_work_group_size: 1
    .uses_dynamic_stack: false
    .vgpr_count:     0
    .vgpr_spill_count: 0
    .wavefront_size: 64
  - .agpr_count:     0
    .args:
      - .offset:         0
        .size:           40
        .value_kind:     by_value
    .group_segment_fixed_size: 0
    .kernarg_segment_align: 8
    .kernarg_segment_size: 40
    .language:       OpenCL C
    .language_version:
      - 2
      - 0
    .max_flat_workgroup_size: 1024
    .name:           _ZN7rocprim17ROCPRIM_400000_NS6detail17trampoline_kernelINS0_14default_configENS1_25transform_config_selectorIN3c107complexIfEELb1EEEZNS1_14transform_implILb1ES3_S8_PS7_SA_NS0_8identityIS7_EEEE10hipError_tT2_T3_mT4_P12ihipStream_tbEUlT_E_NS1_11comp_targetILNS1_3genE8ELNS1_11target_archE1030ELNS1_3gpuE2ELNS1_3repE0EEENS1_30default_config_static_selectorELNS0_4arch9wavefront6targetE1EEEvT1_
    .private_segment_fixed_size: 0
    .sgpr_count:     4
    .sgpr_spill_count: 0
    .symbol:         _ZN7rocprim17ROCPRIM_400000_NS6detail17trampoline_kernelINS0_14default_configENS1_25transform_config_selectorIN3c107complexIfEELb1EEEZNS1_14transform_implILb1ES3_S8_PS7_SA_NS0_8identityIS7_EEEE10hipError_tT2_T3_mT4_P12ihipStream_tbEUlT_E_NS1_11comp_targetILNS1_3genE8ELNS1_11target_archE1030ELNS1_3gpuE2ELNS1_3repE0EEENS1_30default_config_static_selectorELNS0_4arch9wavefront6targetE1EEEvT1_.kd
    .uniform_work_group_size: 1
    .uses_dynamic_stack: false
    .vgpr_count:     0
    .vgpr_spill_count: 0
    .wavefront_size: 64
  - .agpr_count:     0
    .args:
      - .offset:         0
        .size:           40
        .value_kind:     by_value
    .group_segment_fixed_size: 0
    .kernarg_segment_align: 8
    .kernarg_segment_size: 40
    .language:       OpenCL C
    .language_version:
      - 2
      - 0
    .max_flat_workgroup_size: 256
    .name:           _ZN7rocprim17ROCPRIM_400000_NS6detail17trampoline_kernelINS0_14default_configENS1_20scan_config_selectorIN3c107complexIfEEEEZZNS1_9scan_implILNS1_25lookback_scan_determinismE0ELb0ELb0ES3_PKS7_PS7_S7_ZZZN2at6native31launch_logcumsumexp_cuda_kernelERKNSE_10TensorBaseESI_lENKUlvE_clEvENKUlvE2_clEvEUlS7_S7_E_S7_EEDaPvRmT3_T4_T5_mT6_P12ihipStream_tbENKUlT_T0_E_clISt17integral_constantIbLb0EESZ_EEDaSU_SV_EUlSU_E0_NS1_11comp_targetILNS1_3genE0ELNS1_11target_archE4294967295ELNS1_3gpuE0ELNS1_3repE0EEENS1_30default_config_static_selectorELNS0_4arch9wavefront6targetE1EEEvT1_
    .private_segment_fixed_size: 0
    .sgpr_count:     4
    .sgpr_spill_count: 0
    .symbol:         _ZN7rocprim17ROCPRIM_400000_NS6detail17trampoline_kernelINS0_14default_configENS1_20scan_config_selectorIN3c107complexIfEEEEZZNS1_9scan_implILNS1_25lookback_scan_determinismE0ELb0ELb0ES3_PKS7_PS7_S7_ZZZN2at6native31launch_logcumsumexp_cuda_kernelERKNSE_10TensorBaseESI_lENKUlvE_clEvENKUlvE2_clEvEUlS7_S7_E_S7_EEDaPvRmT3_T4_T5_mT6_P12ihipStream_tbENKUlT_T0_E_clISt17integral_constantIbLb0EESZ_EEDaSU_SV_EUlSU_E0_NS1_11comp_targetILNS1_3genE0ELNS1_11target_archE4294967295ELNS1_3gpuE0ELNS1_3repE0EEENS1_30default_config_static_selectorELNS0_4arch9wavefront6targetE1EEEvT1_.kd
    .uniform_work_group_size: 1
    .uses_dynamic_stack: false
    .vgpr_count:     0
    .vgpr_spill_count: 0
    .wavefront_size: 64
  - .agpr_count:     0
    .args:
      - .offset:         0
        .size:           40
        .value_kind:     by_value
    .group_segment_fixed_size: 0
    .kernarg_segment_align: 8
    .kernarg_segment_size: 40
    .language:       OpenCL C
    .language_version:
      - 2
      - 0
    .max_flat_workgroup_size: 256
    .name:           _ZN7rocprim17ROCPRIM_400000_NS6detail17trampoline_kernelINS0_14default_configENS1_20scan_config_selectorIN3c107complexIfEEEEZZNS1_9scan_implILNS1_25lookback_scan_determinismE0ELb0ELb0ES3_PKS7_PS7_S7_ZZZN2at6native31launch_logcumsumexp_cuda_kernelERKNSE_10TensorBaseESI_lENKUlvE_clEvENKUlvE2_clEvEUlS7_S7_E_S7_EEDaPvRmT3_T4_T5_mT6_P12ihipStream_tbENKUlT_T0_E_clISt17integral_constantIbLb0EESZ_EEDaSU_SV_EUlSU_E0_NS1_11comp_targetILNS1_3genE5ELNS1_11target_archE942ELNS1_3gpuE9ELNS1_3repE0EEENS1_30default_config_static_selectorELNS0_4arch9wavefront6targetE1EEEvT1_
    .private_segment_fixed_size: 0
    .sgpr_count:     4
    .sgpr_spill_count: 0
    .symbol:         _ZN7rocprim17ROCPRIM_400000_NS6detail17trampoline_kernelINS0_14default_configENS1_20scan_config_selectorIN3c107complexIfEEEEZZNS1_9scan_implILNS1_25lookback_scan_determinismE0ELb0ELb0ES3_PKS7_PS7_S7_ZZZN2at6native31launch_logcumsumexp_cuda_kernelERKNSE_10TensorBaseESI_lENKUlvE_clEvENKUlvE2_clEvEUlS7_S7_E_S7_EEDaPvRmT3_T4_T5_mT6_P12ihipStream_tbENKUlT_T0_E_clISt17integral_constantIbLb0EESZ_EEDaSU_SV_EUlSU_E0_NS1_11comp_targetILNS1_3genE5ELNS1_11target_archE942ELNS1_3gpuE9ELNS1_3repE0EEENS1_30default_config_static_selectorELNS0_4arch9wavefront6targetE1EEEvT1_.kd
    .uniform_work_group_size: 1
    .uses_dynamic_stack: false
    .vgpr_count:     0
    .vgpr_spill_count: 0
    .wavefront_size: 64
  - .agpr_count:     0
    .args:
      - .offset:         0
        .size:           40
        .value_kind:     by_value
    .group_segment_fixed_size: 7168
    .kernarg_segment_align: 8
    .kernarg_segment_size: 40
    .language:       OpenCL C
    .language_version:
      - 2
      - 0
    .max_flat_workgroup_size: 128
    .name:           _ZN7rocprim17ROCPRIM_400000_NS6detail17trampoline_kernelINS0_14default_configENS1_20scan_config_selectorIN3c107complexIfEEEEZZNS1_9scan_implILNS1_25lookback_scan_determinismE0ELb0ELb0ES3_PKS7_PS7_S7_ZZZN2at6native31launch_logcumsumexp_cuda_kernelERKNSE_10TensorBaseESI_lENKUlvE_clEvENKUlvE2_clEvEUlS7_S7_E_S7_EEDaPvRmT3_T4_T5_mT6_P12ihipStream_tbENKUlT_T0_E_clISt17integral_constantIbLb0EESZ_EEDaSU_SV_EUlSU_E0_NS1_11comp_targetILNS1_3genE4ELNS1_11target_archE910ELNS1_3gpuE8ELNS1_3repE0EEENS1_30default_config_static_selectorELNS0_4arch9wavefront6targetE1EEEvT1_
    .private_segment_fixed_size: 0
    .sgpr_count:     50
    .sgpr_spill_count: 0
    .symbol:         _ZN7rocprim17ROCPRIM_400000_NS6detail17trampoline_kernelINS0_14default_configENS1_20scan_config_selectorIN3c107complexIfEEEEZZNS1_9scan_implILNS1_25lookback_scan_determinismE0ELb0ELb0ES3_PKS7_PS7_S7_ZZZN2at6native31launch_logcumsumexp_cuda_kernelERKNSE_10TensorBaseESI_lENKUlvE_clEvENKUlvE2_clEvEUlS7_S7_E_S7_EEDaPvRmT3_T4_T5_mT6_P12ihipStream_tbENKUlT_T0_E_clISt17integral_constantIbLb0EESZ_EEDaSU_SV_EUlSU_E0_NS1_11comp_targetILNS1_3genE4ELNS1_11target_archE910ELNS1_3gpuE8ELNS1_3repE0EEENS1_30default_config_static_selectorELNS0_4arch9wavefront6targetE1EEEvT1_.kd
    .uniform_work_group_size: 1
    .uses_dynamic_stack: false
    .vgpr_count:     61
    .vgpr_spill_count: 0
    .wavefront_size: 64
  - .agpr_count:     0
    .args:
      - .offset:         0
        .size:           40
        .value_kind:     by_value
    .group_segment_fixed_size: 0
    .kernarg_segment_align: 8
    .kernarg_segment_size: 40
    .language:       OpenCL C
    .language_version:
      - 2
      - 0
    .max_flat_workgroup_size: 256
    .name:           _ZN7rocprim17ROCPRIM_400000_NS6detail17trampoline_kernelINS0_14default_configENS1_20scan_config_selectorIN3c107complexIfEEEEZZNS1_9scan_implILNS1_25lookback_scan_determinismE0ELb0ELb0ES3_PKS7_PS7_S7_ZZZN2at6native31launch_logcumsumexp_cuda_kernelERKNSE_10TensorBaseESI_lENKUlvE_clEvENKUlvE2_clEvEUlS7_S7_E_S7_EEDaPvRmT3_T4_T5_mT6_P12ihipStream_tbENKUlT_T0_E_clISt17integral_constantIbLb0EESZ_EEDaSU_SV_EUlSU_E0_NS1_11comp_targetILNS1_3genE3ELNS1_11target_archE908ELNS1_3gpuE7ELNS1_3repE0EEENS1_30default_config_static_selectorELNS0_4arch9wavefront6targetE1EEEvT1_
    .private_segment_fixed_size: 0
    .sgpr_count:     4
    .sgpr_spill_count: 0
    .symbol:         _ZN7rocprim17ROCPRIM_400000_NS6detail17trampoline_kernelINS0_14default_configENS1_20scan_config_selectorIN3c107complexIfEEEEZZNS1_9scan_implILNS1_25lookback_scan_determinismE0ELb0ELb0ES3_PKS7_PS7_S7_ZZZN2at6native31launch_logcumsumexp_cuda_kernelERKNSE_10TensorBaseESI_lENKUlvE_clEvENKUlvE2_clEvEUlS7_S7_E_S7_EEDaPvRmT3_T4_T5_mT6_P12ihipStream_tbENKUlT_T0_E_clISt17integral_constantIbLb0EESZ_EEDaSU_SV_EUlSU_E0_NS1_11comp_targetILNS1_3genE3ELNS1_11target_archE908ELNS1_3gpuE7ELNS1_3repE0EEENS1_30default_config_static_selectorELNS0_4arch9wavefront6targetE1EEEvT1_.kd
    .uniform_work_group_size: 1
    .uses_dynamic_stack: false
    .vgpr_count:     0
    .vgpr_spill_count: 0
    .wavefront_size: 64
  - .agpr_count:     0
    .args:
      - .offset:         0
        .size:           40
        .value_kind:     by_value
    .group_segment_fixed_size: 0
    .kernarg_segment_align: 8
    .kernarg_segment_size: 40
    .language:       OpenCL C
    .language_version:
      - 2
      - 0
    .max_flat_workgroup_size: 64
    .name:           _ZN7rocprim17ROCPRIM_400000_NS6detail17trampoline_kernelINS0_14default_configENS1_20scan_config_selectorIN3c107complexIfEEEEZZNS1_9scan_implILNS1_25lookback_scan_determinismE0ELb0ELb0ES3_PKS7_PS7_S7_ZZZN2at6native31launch_logcumsumexp_cuda_kernelERKNSE_10TensorBaseESI_lENKUlvE_clEvENKUlvE2_clEvEUlS7_S7_E_S7_EEDaPvRmT3_T4_T5_mT6_P12ihipStream_tbENKUlT_T0_E_clISt17integral_constantIbLb0EESZ_EEDaSU_SV_EUlSU_E0_NS1_11comp_targetILNS1_3genE2ELNS1_11target_archE906ELNS1_3gpuE6ELNS1_3repE0EEENS1_30default_config_static_selectorELNS0_4arch9wavefront6targetE1EEEvT1_
    .private_segment_fixed_size: 0
    .sgpr_count:     4
    .sgpr_spill_count: 0
    .symbol:         _ZN7rocprim17ROCPRIM_400000_NS6detail17trampoline_kernelINS0_14default_configENS1_20scan_config_selectorIN3c107complexIfEEEEZZNS1_9scan_implILNS1_25lookback_scan_determinismE0ELb0ELb0ES3_PKS7_PS7_S7_ZZZN2at6native31launch_logcumsumexp_cuda_kernelERKNSE_10TensorBaseESI_lENKUlvE_clEvENKUlvE2_clEvEUlS7_S7_E_S7_EEDaPvRmT3_T4_T5_mT6_P12ihipStream_tbENKUlT_T0_E_clISt17integral_constantIbLb0EESZ_EEDaSU_SV_EUlSU_E0_NS1_11comp_targetILNS1_3genE2ELNS1_11target_archE906ELNS1_3gpuE6ELNS1_3repE0EEENS1_30default_config_static_selectorELNS0_4arch9wavefront6targetE1EEEvT1_.kd
    .uniform_work_group_size: 1
    .uses_dynamic_stack: false
    .vgpr_count:     0
    .vgpr_spill_count: 0
    .wavefront_size: 64
  - .agpr_count:     0
    .args:
      - .offset:         0
        .size:           40
        .value_kind:     by_value
    .group_segment_fixed_size: 0
    .kernarg_segment_align: 8
    .kernarg_segment_size: 40
    .language:       OpenCL C
    .language_version:
      - 2
      - 0
    .max_flat_workgroup_size: 256
    .name:           _ZN7rocprim17ROCPRIM_400000_NS6detail17trampoline_kernelINS0_14default_configENS1_20scan_config_selectorIN3c107complexIfEEEEZZNS1_9scan_implILNS1_25lookback_scan_determinismE0ELb0ELb0ES3_PKS7_PS7_S7_ZZZN2at6native31launch_logcumsumexp_cuda_kernelERKNSE_10TensorBaseESI_lENKUlvE_clEvENKUlvE2_clEvEUlS7_S7_E_S7_EEDaPvRmT3_T4_T5_mT6_P12ihipStream_tbENKUlT_T0_E_clISt17integral_constantIbLb0EESZ_EEDaSU_SV_EUlSU_E0_NS1_11comp_targetILNS1_3genE10ELNS1_11target_archE1201ELNS1_3gpuE5ELNS1_3repE0EEENS1_30default_config_static_selectorELNS0_4arch9wavefront6targetE1EEEvT1_
    .private_segment_fixed_size: 0
    .sgpr_count:     4
    .sgpr_spill_count: 0
    .symbol:         _ZN7rocprim17ROCPRIM_400000_NS6detail17trampoline_kernelINS0_14default_configENS1_20scan_config_selectorIN3c107complexIfEEEEZZNS1_9scan_implILNS1_25lookback_scan_determinismE0ELb0ELb0ES3_PKS7_PS7_S7_ZZZN2at6native31launch_logcumsumexp_cuda_kernelERKNSE_10TensorBaseESI_lENKUlvE_clEvENKUlvE2_clEvEUlS7_S7_E_S7_EEDaPvRmT3_T4_T5_mT6_P12ihipStream_tbENKUlT_T0_E_clISt17integral_constantIbLb0EESZ_EEDaSU_SV_EUlSU_E0_NS1_11comp_targetILNS1_3genE10ELNS1_11target_archE1201ELNS1_3gpuE5ELNS1_3repE0EEENS1_30default_config_static_selectorELNS0_4arch9wavefront6targetE1EEEvT1_.kd
    .uniform_work_group_size: 1
    .uses_dynamic_stack: false
    .vgpr_count:     0
    .vgpr_spill_count: 0
    .wavefront_size: 64
  - .agpr_count:     0
    .args:
      - .offset:         0
        .size:           40
        .value_kind:     by_value
    .group_segment_fixed_size: 0
    .kernarg_segment_align: 8
    .kernarg_segment_size: 40
    .language:       OpenCL C
    .language_version:
      - 2
      - 0
    .max_flat_workgroup_size: 256
    .name:           _ZN7rocprim17ROCPRIM_400000_NS6detail17trampoline_kernelINS0_14default_configENS1_20scan_config_selectorIN3c107complexIfEEEEZZNS1_9scan_implILNS1_25lookback_scan_determinismE0ELb0ELb0ES3_PKS7_PS7_S7_ZZZN2at6native31launch_logcumsumexp_cuda_kernelERKNSE_10TensorBaseESI_lENKUlvE_clEvENKUlvE2_clEvEUlS7_S7_E_S7_EEDaPvRmT3_T4_T5_mT6_P12ihipStream_tbENKUlT_T0_E_clISt17integral_constantIbLb0EESZ_EEDaSU_SV_EUlSU_E0_NS1_11comp_targetILNS1_3genE10ELNS1_11target_archE1200ELNS1_3gpuE4ELNS1_3repE0EEENS1_30default_config_static_selectorELNS0_4arch9wavefront6targetE1EEEvT1_
    .private_segment_fixed_size: 0
    .sgpr_count:     4
    .sgpr_spill_count: 0
    .symbol:         _ZN7rocprim17ROCPRIM_400000_NS6detail17trampoline_kernelINS0_14default_configENS1_20scan_config_selectorIN3c107complexIfEEEEZZNS1_9scan_implILNS1_25lookback_scan_determinismE0ELb0ELb0ES3_PKS7_PS7_S7_ZZZN2at6native31launch_logcumsumexp_cuda_kernelERKNSE_10TensorBaseESI_lENKUlvE_clEvENKUlvE2_clEvEUlS7_S7_E_S7_EEDaPvRmT3_T4_T5_mT6_P12ihipStream_tbENKUlT_T0_E_clISt17integral_constantIbLb0EESZ_EEDaSU_SV_EUlSU_E0_NS1_11comp_targetILNS1_3genE10ELNS1_11target_archE1200ELNS1_3gpuE4ELNS1_3repE0EEENS1_30default_config_static_selectorELNS0_4arch9wavefront6targetE1EEEvT1_.kd
    .uniform_work_group_size: 1
    .uses_dynamic_stack: false
    .vgpr_count:     0
    .vgpr_spill_count: 0
    .wavefront_size: 64
  - .agpr_count:     0
    .args:
      - .offset:         0
        .size:           40
        .value_kind:     by_value
    .group_segment_fixed_size: 0
    .kernarg_segment_align: 8
    .kernarg_segment_size: 40
    .language:       OpenCL C
    .language_version:
      - 2
      - 0
    .max_flat_workgroup_size: 256
    .name:           _ZN7rocprim17ROCPRIM_400000_NS6detail17trampoline_kernelINS0_14default_configENS1_20scan_config_selectorIN3c107complexIfEEEEZZNS1_9scan_implILNS1_25lookback_scan_determinismE0ELb0ELb0ES3_PKS7_PS7_S7_ZZZN2at6native31launch_logcumsumexp_cuda_kernelERKNSE_10TensorBaseESI_lENKUlvE_clEvENKUlvE2_clEvEUlS7_S7_E_S7_EEDaPvRmT3_T4_T5_mT6_P12ihipStream_tbENKUlT_T0_E_clISt17integral_constantIbLb0EESZ_EEDaSU_SV_EUlSU_E0_NS1_11comp_targetILNS1_3genE9ELNS1_11target_archE1100ELNS1_3gpuE3ELNS1_3repE0EEENS1_30default_config_static_selectorELNS0_4arch9wavefront6targetE1EEEvT1_
    .private_segment_fixed_size: 0
    .sgpr_count:     4
    .sgpr_spill_count: 0
    .symbol:         _ZN7rocprim17ROCPRIM_400000_NS6detail17trampoline_kernelINS0_14default_configENS1_20scan_config_selectorIN3c107complexIfEEEEZZNS1_9scan_implILNS1_25lookback_scan_determinismE0ELb0ELb0ES3_PKS7_PS7_S7_ZZZN2at6native31launch_logcumsumexp_cuda_kernelERKNSE_10TensorBaseESI_lENKUlvE_clEvENKUlvE2_clEvEUlS7_S7_E_S7_EEDaPvRmT3_T4_T5_mT6_P12ihipStream_tbENKUlT_T0_E_clISt17integral_constantIbLb0EESZ_EEDaSU_SV_EUlSU_E0_NS1_11comp_targetILNS1_3genE9ELNS1_11target_archE1100ELNS1_3gpuE3ELNS1_3repE0EEENS1_30default_config_static_selectorELNS0_4arch9wavefront6targetE1EEEvT1_.kd
    .uniform_work_group_size: 1
    .uses_dynamic_stack: false
    .vgpr_count:     0
    .vgpr_spill_count: 0
    .wavefront_size: 64
  - .agpr_count:     0
    .args:
      - .offset:         0
        .size:           40
        .value_kind:     by_value
    .group_segment_fixed_size: 0
    .kernarg_segment_align: 8
    .kernarg_segment_size: 40
    .language:       OpenCL C
    .language_version:
      - 2
      - 0
    .max_flat_workgroup_size: 256
    .name:           _ZN7rocprim17ROCPRIM_400000_NS6detail17trampoline_kernelINS0_14default_configENS1_20scan_config_selectorIN3c107complexIfEEEEZZNS1_9scan_implILNS1_25lookback_scan_determinismE0ELb0ELb0ES3_PKS7_PS7_S7_ZZZN2at6native31launch_logcumsumexp_cuda_kernelERKNSE_10TensorBaseESI_lENKUlvE_clEvENKUlvE2_clEvEUlS7_S7_E_S7_EEDaPvRmT3_T4_T5_mT6_P12ihipStream_tbENKUlT_T0_E_clISt17integral_constantIbLb0EESZ_EEDaSU_SV_EUlSU_E0_NS1_11comp_targetILNS1_3genE8ELNS1_11target_archE1030ELNS1_3gpuE2ELNS1_3repE0EEENS1_30default_config_static_selectorELNS0_4arch9wavefront6targetE1EEEvT1_
    .private_segment_fixed_size: 0
    .sgpr_count:     4
    .sgpr_spill_count: 0
    .symbol:         _ZN7rocprim17ROCPRIM_400000_NS6detail17trampoline_kernelINS0_14default_configENS1_20scan_config_selectorIN3c107complexIfEEEEZZNS1_9scan_implILNS1_25lookback_scan_determinismE0ELb0ELb0ES3_PKS7_PS7_S7_ZZZN2at6native31launch_logcumsumexp_cuda_kernelERKNSE_10TensorBaseESI_lENKUlvE_clEvENKUlvE2_clEvEUlS7_S7_E_S7_EEDaPvRmT3_T4_T5_mT6_P12ihipStream_tbENKUlT_T0_E_clISt17integral_constantIbLb0EESZ_EEDaSU_SV_EUlSU_E0_NS1_11comp_targetILNS1_3genE8ELNS1_11target_archE1030ELNS1_3gpuE2ELNS1_3repE0EEENS1_30default_config_static_selectorELNS0_4arch9wavefront6targetE1EEEvT1_.kd
    .uniform_work_group_size: 1
    .uses_dynamic_stack: false
    .vgpr_count:     0
    .vgpr_spill_count: 0
    .wavefront_size: 64
  - .agpr_count:     0
    .args:
      - .address_space:  global
        .offset:         0
        .size:           8
        .value_kind:     global_buffer
      - .offset:         8
        .size:           4
        .value_kind:     by_value
      - .address_space:  global
        .offset:         16
        .size:           8
        .value_kind:     global_buffer
      - .offset:         24
        .size:           4
        .value_kind:     by_value
      - .address_space:  global
        .offset:         32
        .size:           8
        .value_kind:     global_buffer
      - .offset:         40
        .size:           4
        .value_kind:     hidden_block_count_x
      - .offset:         44
        .size:           4
        .value_kind:     hidden_block_count_y
      - .offset:         48
        .size:           4
        .value_kind:     hidden_block_count_z
      - .offset:         52
        .size:           2
        .value_kind:     hidden_group_size_x
      - .offset:         54
        .size:           2
        .value_kind:     hidden_group_size_y
      - .offset:         56
        .size:           2
        .value_kind:     hidden_group_size_z
      - .offset:         58
        .size:           2
        .value_kind:     hidden_remainder_x
      - .offset:         60
        .size:           2
        .value_kind:     hidden_remainder_y
      - .offset:         62
        .size:           2
        .value_kind:     hidden_remainder_z
      - .offset:         80
        .size:           8
        .value_kind:     hidden_global_offset_x
      - .offset:         88
        .size:           8
        .value_kind:     hidden_global_offset_y
      - .offset:         96
        .size:           8
        .value_kind:     hidden_global_offset_z
      - .offset:         104
        .size:           2
        .value_kind:     hidden_grid_dims
    .group_segment_fixed_size: 0
    .kernarg_segment_align: 8
    .kernarg_segment_size: 296
    .language:       OpenCL C
    .language_version:
      - 2
      - 0
    .max_flat_workgroup_size: 256
    .name:           _ZN7rocprim17ROCPRIM_400000_NS6detail31init_lookback_scan_state_kernelINS1_19lookback_scan_stateIN3c107complexIfEELb1ELb1EEENS1_16block_id_wrapperIjLb1EEEEEvT_jT0_jPNSA_10value_typeE
    .private_segment_fixed_size: 0
    .sgpr_count:     20
    .sgpr_spill_count: 0
    .symbol:         _ZN7rocprim17ROCPRIM_400000_NS6detail31init_lookback_scan_state_kernelINS1_19lookback_scan_stateIN3c107complexIfEELb1ELb1EEENS1_16block_id_wrapperIjLb1EEEEEvT_jT0_jPNSA_10value_typeE.kd
    .uniform_work_group_size: 1
    .uses_dynamic_stack: false
    .vgpr_count:     10
    .vgpr_spill_count: 0
    .wavefront_size: 64
  - .agpr_count:     0
    .args:
      - .offset:         0
        .size:           104
        .value_kind:     by_value
    .group_segment_fixed_size: 0
    .kernarg_segment_align: 8
    .kernarg_segment_size: 104
    .language:       OpenCL C
    .language_version:
      - 2
      - 0
    .max_flat_workgroup_size: 256
    .name:           _ZN7rocprim17ROCPRIM_400000_NS6detail17trampoline_kernelINS0_14default_configENS1_20scan_config_selectorIN3c107complexIfEEEEZZNS1_9scan_implILNS1_25lookback_scan_determinismE0ELb0ELb0ES3_PKS7_PS7_S7_ZZZN2at6native31launch_logcumsumexp_cuda_kernelERKNSE_10TensorBaseESI_lENKUlvE_clEvENKUlvE2_clEvEUlS7_S7_E_S7_EEDaPvRmT3_T4_T5_mT6_P12ihipStream_tbENKUlT_T0_E_clISt17integral_constantIbLb1EESZ_EEDaSU_SV_EUlSU_E_NS1_11comp_targetILNS1_3genE0ELNS1_11target_archE4294967295ELNS1_3gpuE0ELNS1_3repE0EEENS1_30default_config_static_selectorELNS0_4arch9wavefront6targetE1EEEvT1_
    .private_segment_fixed_size: 0
    .sgpr_count:     4
    .sgpr_spill_count: 0
    .symbol:         _ZN7rocprim17ROCPRIM_400000_NS6detail17trampoline_kernelINS0_14default_configENS1_20scan_config_selectorIN3c107complexIfEEEEZZNS1_9scan_implILNS1_25lookback_scan_determinismE0ELb0ELb0ES3_PKS7_PS7_S7_ZZZN2at6native31launch_logcumsumexp_cuda_kernelERKNSE_10TensorBaseESI_lENKUlvE_clEvENKUlvE2_clEvEUlS7_S7_E_S7_EEDaPvRmT3_T4_T5_mT6_P12ihipStream_tbENKUlT_T0_E_clISt17integral_constantIbLb1EESZ_EEDaSU_SV_EUlSU_E_NS1_11comp_targetILNS1_3genE0ELNS1_11target_archE4294967295ELNS1_3gpuE0ELNS1_3repE0EEENS1_30default_config_static_selectorELNS0_4arch9wavefront6targetE1EEEvT1_.kd
    .uniform_work_group_size: 1
    .uses_dynamic_stack: false
    .vgpr_count:     0
    .vgpr_spill_count: 0
    .wavefront_size: 64
  - .agpr_count:     0
    .args:
      - .offset:         0
        .size:           104
        .value_kind:     by_value
    .group_segment_fixed_size: 0
    .kernarg_segment_align: 8
    .kernarg_segment_size: 104
    .language:       OpenCL C
    .language_version:
      - 2
      - 0
    .max_flat_workgroup_size: 256
    .name:           _ZN7rocprim17ROCPRIM_400000_NS6detail17trampoline_kernelINS0_14default_configENS1_20scan_config_selectorIN3c107complexIfEEEEZZNS1_9scan_implILNS1_25lookback_scan_determinismE0ELb0ELb0ES3_PKS7_PS7_S7_ZZZN2at6native31launch_logcumsumexp_cuda_kernelERKNSE_10TensorBaseESI_lENKUlvE_clEvENKUlvE2_clEvEUlS7_S7_E_S7_EEDaPvRmT3_T4_T5_mT6_P12ihipStream_tbENKUlT_T0_E_clISt17integral_constantIbLb1EESZ_EEDaSU_SV_EUlSU_E_NS1_11comp_targetILNS1_3genE5ELNS1_11target_archE942ELNS1_3gpuE9ELNS1_3repE0EEENS1_30default_config_static_selectorELNS0_4arch9wavefront6targetE1EEEvT1_
    .private_segment_fixed_size: 0
    .sgpr_count:     4
    .sgpr_spill_count: 0
    .symbol:         _ZN7rocprim17ROCPRIM_400000_NS6detail17trampoline_kernelINS0_14default_configENS1_20scan_config_selectorIN3c107complexIfEEEEZZNS1_9scan_implILNS1_25lookback_scan_determinismE0ELb0ELb0ES3_PKS7_PS7_S7_ZZZN2at6native31launch_logcumsumexp_cuda_kernelERKNSE_10TensorBaseESI_lENKUlvE_clEvENKUlvE2_clEvEUlS7_S7_E_S7_EEDaPvRmT3_T4_T5_mT6_P12ihipStream_tbENKUlT_T0_E_clISt17integral_constantIbLb1EESZ_EEDaSU_SV_EUlSU_E_NS1_11comp_targetILNS1_3genE5ELNS1_11target_archE942ELNS1_3gpuE9ELNS1_3repE0EEENS1_30default_config_static_selectorELNS0_4arch9wavefront6targetE1EEEvT1_.kd
    .uniform_work_group_size: 1
    .uses_dynamic_stack: false
    .vgpr_count:     0
    .vgpr_spill_count: 0
    .wavefront_size: 64
  - .agpr_count:     0
    .args:
      - .offset:         0
        .size:           104
        .value_kind:     by_value
    .group_segment_fixed_size: 7168
    .kernarg_segment_align: 8
    .kernarg_segment_size: 104
    .language:       OpenCL C
    .language_version:
      - 2
      - 0
    .max_flat_workgroup_size: 128
    .name:           _ZN7rocprim17ROCPRIM_400000_NS6detail17trampoline_kernelINS0_14default_configENS1_20scan_config_selectorIN3c107complexIfEEEEZZNS1_9scan_implILNS1_25lookback_scan_determinismE0ELb0ELb0ES3_PKS7_PS7_S7_ZZZN2at6native31launch_logcumsumexp_cuda_kernelERKNSE_10TensorBaseESI_lENKUlvE_clEvENKUlvE2_clEvEUlS7_S7_E_S7_EEDaPvRmT3_T4_T5_mT6_P12ihipStream_tbENKUlT_T0_E_clISt17integral_constantIbLb1EESZ_EEDaSU_SV_EUlSU_E_NS1_11comp_targetILNS1_3genE4ELNS1_11target_archE910ELNS1_3gpuE8ELNS1_3repE0EEENS1_30default_config_static_selectorELNS0_4arch9wavefront6targetE1EEEvT1_
    .private_segment_fixed_size: 0
    .sgpr_count:     69
    .sgpr_spill_count: 0
    .symbol:         _ZN7rocprim17ROCPRIM_400000_NS6detail17trampoline_kernelINS0_14default_configENS1_20scan_config_selectorIN3c107complexIfEEEEZZNS1_9scan_implILNS1_25lookback_scan_determinismE0ELb0ELb0ES3_PKS7_PS7_S7_ZZZN2at6native31launch_logcumsumexp_cuda_kernelERKNSE_10TensorBaseESI_lENKUlvE_clEvENKUlvE2_clEvEUlS7_S7_E_S7_EEDaPvRmT3_T4_T5_mT6_P12ihipStream_tbENKUlT_T0_E_clISt17integral_constantIbLb1EESZ_EEDaSU_SV_EUlSU_E_NS1_11comp_targetILNS1_3genE4ELNS1_11target_archE910ELNS1_3gpuE8ELNS1_3repE0EEENS1_30default_config_static_selectorELNS0_4arch9wavefront6targetE1EEEvT1_.kd
    .uniform_work_group_size: 1
    .uses_dynamic_stack: false
    .vgpr_count:     73
    .vgpr_spill_count: 0
    .wavefront_size: 64
  - .agpr_count:     0
    .args:
      - .offset:         0
        .size:           104
        .value_kind:     by_value
    .group_segment_fixed_size: 0
    .kernarg_segment_align: 8
    .kernarg_segment_size: 104
    .language:       OpenCL C
    .language_version:
      - 2
      - 0
    .max_flat_workgroup_size: 256
    .name:           _ZN7rocprim17ROCPRIM_400000_NS6detail17trampoline_kernelINS0_14default_configENS1_20scan_config_selectorIN3c107complexIfEEEEZZNS1_9scan_implILNS1_25lookback_scan_determinismE0ELb0ELb0ES3_PKS7_PS7_S7_ZZZN2at6native31launch_logcumsumexp_cuda_kernelERKNSE_10TensorBaseESI_lENKUlvE_clEvENKUlvE2_clEvEUlS7_S7_E_S7_EEDaPvRmT3_T4_T5_mT6_P12ihipStream_tbENKUlT_T0_E_clISt17integral_constantIbLb1EESZ_EEDaSU_SV_EUlSU_E_NS1_11comp_targetILNS1_3genE3ELNS1_11target_archE908ELNS1_3gpuE7ELNS1_3repE0EEENS1_30default_config_static_selectorELNS0_4arch9wavefront6targetE1EEEvT1_
    .private_segment_fixed_size: 0
    .sgpr_count:     4
    .sgpr_spill_count: 0
    .symbol:         _ZN7rocprim17ROCPRIM_400000_NS6detail17trampoline_kernelINS0_14default_configENS1_20scan_config_selectorIN3c107complexIfEEEEZZNS1_9scan_implILNS1_25lookback_scan_determinismE0ELb0ELb0ES3_PKS7_PS7_S7_ZZZN2at6native31launch_logcumsumexp_cuda_kernelERKNSE_10TensorBaseESI_lENKUlvE_clEvENKUlvE2_clEvEUlS7_S7_E_S7_EEDaPvRmT3_T4_T5_mT6_P12ihipStream_tbENKUlT_T0_E_clISt17integral_constantIbLb1EESZ_EEDaSU_SV_EUlSU_E_NS1_11comp_targetILNS1_3genE3ELNS1_11target_archE908ELNS1_3gpuE7ELNS1_3repE0EEENS1_30default_config_static_selectorELNS0_4arch9wavefront6targetE1EEEvT1_.kd
    .uniform_work_group_size: 1
    .uses_dynamic_stack: false
    .vgpr_count:     0
    .vgpr_spill_count: 0
    .wavefront_size: 64
  - .agpr_count:     0
    .args:
      - .offset:         0
        .size:           104
        .value_kind:     by_value
    .group_segment_fixed_size: 0
    .kernarg_segment_align: 8
    .kernarg_segment_size: 104
    .language:       OpenCL C
    .language_version:
      - 2
      - 0
    .max_flat_workgroup_size: 64
    .name:           _ZN7rocprim17ROCPRIM_400000_NS6detail17trampoline_kernelINS0_14default_configENS1_20scan_config_selectorIN3c107complexIfEEEEZZNS1_9scan_implILNS1_25lookback_scan_determinismE0ELb0ELb0ES3_PKS7_PS7_S7_ZZZN2at6native31launch_logcumsumexp_cuda_kernelERKNSE_10TensorBaseESI_lENKUlvE_clEvENKUlvE2_clEvEUlS7_S7_E_S7_EEDaPvRmT3_T4_T5_mT6_P12ihipStream_tbENKUlT_T0_E_clISt17integral_constantIbLb1EESZ_EEDaSU_SV_EUlSU_E_NS1_11comp_targetILNS1_3genE2ELNS1_11target_archE906ELNS1_3gpuE6ELNS1_3repE0EEENS1_30default_config_static_selectorELNS0_4arch9wavefront6targetE1EEEvT1_
    .private_segment_fixed_size: 0
    .sgpr_count:     4
    .sgpr_spill_count: 0
    .symbol:         _ZN7rocprim17ROCPRIM_400000_NS6detail17trampoline_kernelINS0_14default_configENS1_20scan_config_selectorIN3c107complexIfEEEEZZNS1_9scan_implILNS1_25lookback_scan_determinismE0ELb0ELb0ES3_PKS7_PS7_S7_ZZZN2at6native31launch_logcumsumexp_cuda_kernelERKNSE_10TensorBaseESI_lENKUlvE_clEvENKUlvE2_clEvEUlS7_S7_E_S7_EEDaPvRmT3_T4_T5_mT6_P12ihipStream_tbENKUlT_T0_E_clISt17integral_constantIbLb1EESZ_EEDaSU_SV_EUlSU_E_NS1_11comp_targetILNS1_3genE2ELNS1_11target_archE906ELNS1_3gpuE6ELNS1_3repE0EEENS1_30default_config_static_selectorELNS0_4arch9wavefront6targetE1EEEvT1_.kd
    .uniform_work_group_size: 1
    .uses_dynamic_stack: false
    .vgpr_count:     0
    .vgpr_spill_count: 0
    .wavefront_size: 64
  - .agpr_count:     0
    .args:
      - .offset:         0
        .size:           104
        .value_kind:     by_value
    .group_segment_fixed_size: 0
    .kernarg_segment_align: 8
    .kernarg_segment_size: 104
    .language:       OpenCL C
    .language_version:
      - 2
      - 0
    .max_flat_workgroup_size: 256
    .name:           _ZN7rocprim17ROCPRIM_400000_NS6detail17trampoline_kernelINS0_14default_configENS1_20scan_config_selectorIN3c107complexIfEEEEZZNS1_9scan_implILNS1_25lookback_scan_determinismE0ELb0ELb0ES3_PKS7_PS7_S7_ZZZN2at6native31launch_logcumsumexp_cuda_kernelERKNSE_10TensorBaseESI_lENKUlvE_clEvENKUlvE2_clEvEUlS7_S7_E_S7_EEDaPvRmT3_T4_T5_mT6_P12ihipStream_tbENKUlT_T0_E_clISt17integral_constantIbLb1EESZ_EEDaSU_SV_EUlSU_E_NS1_11comp_targetILNS1_3genE10ELNS1_11target_archE1201ELNS1_3gpuE5ELNS1_3repE0EEENS1_30default_config_static_selectorELNS0_4arch9wavefront6targetE1EEEvT1_
    .private_segment_fixed_size: 0
    .sgpr_count:     4
    .sgpr_spill_count: 0
    .symbol:         _ZN7rocprim17ROCPRIM_400000_NS6detail17trampoline_kernelINS0_14default_configENS1_20scan_config_selectorIN3c107complexIfEEEEZZNS1_9scan_implILNS1_25lookback_scan_determinismE0ELb0ELb0ES3_PKS7_PS7_S7_ZZZN2at6native31launch_logcumsumexp_cuda_kernelERKNSE_10TensorBaseESI_lENKUlvE_clEvENKUlvE2_clEvEUlS7_S7_E_S7_EEDaPvRmT3_T4_T5_mT6_P12ihipStream_tbENKUlT_T0_E_clISt17integral_constantIbLb1EESZ_EEDaSU_SV_EUlSU_E_NS1_11comp_targetILNS1_3genE10ELNS1_11target_archE1201ELNS1_3gpuE5ELNS1_3repE0EEENS1_30default_config_static_selectorELNS0_4arch9wavefront6targetE1EEEvT1_.kd
    .uniform_work_group_size: 1
    .uses_dynamic_stack: false
    .vgpr_count:     0
    .vgpr_spill_count: 0
    .wavefront_size: 64
  - .agpr_count:     0
    .args:
      - .offset:         0
        .size:           104
        .value_kind:     by_value
    .group_segment_fixed_size: 0
    .kernarg_segment_align: 8
    .kernarg_segment_size: 104
    .language:       OpenCL C
    .language_version:
      - 2
      - 0
    .max_flat_workgroup_size: 256
    .name:           _ZN7rocprim17ROCPRIM_400000_NS6detail17trampoline_kernelINS0_14default_configENS1_20scan_config_selectorIN3c107complexIfEEEEZZNS1_9scan_implILNS1_25lookback_scan_determinismE0ELb0ELb0ES3_PKS7_PS7_S7_ZZZN2at6native31launch_logcumsumexp_cuda_kernelERKNSE_10TensorBaseESI_lENKUlvE_clEvENKUlvE2_clEvEUlS7_S7_E_S7_EEDaPvRmT3_T4_T5_mT6_P12ihipStream_tbENKUlT_T0_E_clISt17integral_constantIbLb1EESZ_EEDaSU_SV_EUlSU_E_NS1_11comp_targetILNS1_3genE10ELNS1_11target_archE1200ELNS1_3gpuE4ELNS1_3repE0EEENS1_30default_config_static_selectorELNS0_4arch9wavefront6targetE1EEEvT1_
    .private_segment_fixed_size: 0
    .sgpr_count:     4
    .sgpr_spill_count: 0
    .symbol:         _ZN7rocprim17ROCPRIM_400000_NS6detail17trampoline_kernelINS0_14default_configENS1_20scan_config_selectorIN3c107complexIfEEEEZZNS1_9scan_implILNS1_25lookback_scan_determinismE0ELb0ELb0ES3_PKS7_PS7_S7_ZZZN2at6native31launch_logcumsumexp_cuda_kernelERKNSE_10TensorBaseESI_lENKUlvE_clEvENKUlvE2_clEvEUlS7_S7_E_S7_EEDaPvRmT3_T4_T5_mT6_P12ihipStream_tbENKUlT_T0_E_clISt17integral_constantIbLb1EESZ_EEDaSU_SV_EUlSU_E_NS1_11comp_targetILNS1_3genE10ELNS1_11target_archE1200ELNS1_3gpuE4ELNS1_3repE0EEENS1_30default_config_static_selectorELNS0_4arch9wavefront6targetE1EEEvT1_.kd
    .uniform_work_group_size: 1
    .uses_dynamic_stack: false
    .vgpr_count:     0
    .vgpr_spill_count: 0
    .wavefront_size: 64
  - .agpr_count:     0
    .args:
      - .offset:         0
        .size:           104
        .value_kind:     by_value
    .group_segment_fixed_size: 0
    .kernarg_segment_align: 8
    .kernarg_segment_size: 104
    .language:       OpenCL C
    .language_version:
      - 2
      - 0
    .max_flat_workgroup_size: 256
    .name:           _ZN7rocprim17ROCPRIM_400000_NS6detail17trampoline_kernelINS0_14default_configENS1_20scan_config_selectorIN3c107complexIfEEEEZZNS1_9scan_implILNS1_25lookback_scan_determinismE0ELb0ELb0ES3_PKS7_PS7_S7_ZZZN2at6native31launch_logcumsumexp_cuda_kernelERKNSE_10TensorBaseESI_lENKUlvE_clEvENKUlvE2_clEvEUlS7_S7_E_S7_EEDaPvRmT3_T4_T5_mT6_P12ihipStream_tbENKUlT_T0_E_clISt17integral_constantIbLb1EESZ_EEDaSU_SV_EUlSU_E_NS1_11comp_targetILNS1_3genE9ELNS1_11target_archE1100ELNS1_3gpuE3ELNS1_3repE0EEENS1_30default_config_static_selectorELNS0_4arch9wavefront6targetE1EEEvT1_
    .private_segment_fixed_size: 0
    .sgpr_count:     4
    .sgpr_spill_count: 0
    .symbol:         _ZN7rocprim17ROCPRIM_400000_NS6detail17trampoline_kernelINS0_14default_configENS1_20scan_config_selectorIN3c107complexIfEEEEZZNS1_9scan_implILNS1_25lookback_scan_determinismE0ELb0ELb0ES3_PKS7_PS7_S7_ZZZN2at6native31launch_logcumsumexp_cuda_kernelERKNSE_10TensorBaseESI_lENKUlvE_clEvENKUlvE2_clEvEUlS7_S7_E_S7_EEDaPvRmT3_T4_T5_mT6_P12ihipStream_tbENKUlT_T0_E_clISt17integral_constantIbLb1EESZ_EEDaSU_SV_EUlSU_E_NS1_11comp_targetILNS1_3genE9ELNS1_11target_archE1100ELNS1_3gpuE3ELNS1_3repE0EEENS1_30default_config_static_selectorELNS0_4arch9wavefront6targetE1EEEvT1_.kd
    .uniform_work_group_size: 1
    .uses_dynamic_stack: false
    .vgpr_count:     0
    .vgpr_spill_count: 0
    .wavefront_size: 64
  - .agpr_count:     0
    .args:
      - .offset:         0
        .size:           104
        .value_kind:     by_value
    .group_segment_fixed_size: 0
    .kernarg_segment_align: 8
    .kernarg_segment_size: 104
    .language:       OpenCL C
    .language_version:
      - 2
      - 0
    .max_flat_workgroup_size: 256
    .name:           _ZN7rocprim17ROCPRIM_400000_NS6detail17trampoline_kernelINS0_14default_configENS1_20scan_config_selectorIN3c107complexIfEEEEZZNS1_9scan_implILNS1_25lookback_scan_determinismE0ELb0ELb0ES3_PKS7_PS7_S7_ZZZN2at6native31launch_logcumsumexp_cuda_kernelERKNSE_10TensorBaseESI_lENKUlvE_clEvENKUlvE2_clEvEUlS7_S7_E_S7_EEDaPvRmT3_T4_T5_mT6_P12ihipStream_tbENKUlT_T0_E_clISt17integral_constantIbLb1EESZ_EEDaSU_SV_EUlSU_E_NS1_11comp_targetILNS1_3genE8ELNS1_11target_archE1030ELNS1_3gpuE2ELNS1_3repE0EEENS1_30default_config_static_selectorELNS0_4arch9wavefront6targetE1EEEvT1_
    .private_segment_fixed_size: 0
    .sgpr_count:     4
    .sgpr_spill_count: 0
    .symbol:         _ZN7rocprim17ROCPRIM_400000_NS6detail17trampoline_kernelINS0_14default_configENS1_20scan_config_selectorIN3c107complexIfEEEEZZNS1_9scan_implILNS1_25lookback_scan_determinismE0ELb0ELb0ES3_PKS7_PS7_S7_ZZZN2at6native31launch_logcumsumexp_cuda_kernelERKNSE_10TensorBaseESI_lENKUlvE_clEvENKUlvE2_clEvEUlS7_S7_E_S7_EEDaPvRmT3_T4_T5_mT6_P12ihipStream_tbENKUlT_T0_E_clISt17integral_constantIbLb1EESZ_EEDaSU_SV_EUlSU_E_NS1_11comp_targetILNS1_3genE8ELNS1_11target_archE1030ELNS1_3gpuE2ELNS1_3repE0EEENS1_30default_config_static_selectorELNS0_4arch9wavefront6targetE1EEEvT1_.kd
    .uniform_work_group_size: 1
    .uses_dynamic_stack: false
    .vgpr_count:     0
    .vgpr_spill_count: 0
    .wavefront_size: 64
  - .agpr_count:     0
    .args:
      - .offset:         0
        .size:           40
        .value_kind:     by_value
    .group_segment_fixed_size: 0
    .kernarg_segment_align: 8
    .kernarg_segment_size: 40
    .language:       OpenCL C
    .language_version:
      - 2
      - 0
    .max_flat_workgroup_size: 256
    .name:           _ZN7rocprim17ROCPRIM_400000_NS6detail17trampoline_kernelINS0_14default_configENS1_20scan_config_selectorIN3c107complexIfEEEEZZNS1_9scan_implILNS1_25lookback_scan_determinismE0ELb0ELb0ES3_PKS7_PS7_S7_ZZZN2at6native31launch_logcumsumexp_cuda_kernelERKNSE_10TensorBaseESI_lENKUlvE_clEvENKUlvE2_clEvEUlS7_S7_E_S7_EEDaPvRmT3_T4_T5_mT6_P12ihipStream_tbENKUlT_T0_E_clISt17integral_constantIbLb1EESZ_EEDaSU_SV_EUlSU_E0_NS1_11comp_targetILNS1_3genE0ELNS1_11target_archE4294967295ELNS1_3gpuE0ELNS1_3repE0EEENS1_30default_config_static_selectorELNS0_4arch9wavefront6targetE1EEEvT1_
    .private_segment_fixed_size: 0
    .sgpr_count:     4
    .sgpr_spill_count: 0
    .symbol:         _ZN7rocprim17ROCPRIM_400000_NS6detail17trampoline_kernelINS0_14default_configENS1_20scan_config_selectorIN3c107complexIfEEEEZZNS1_9scan_implILNS1_25lookback_scan_determinismE0ELb0ELb0ES3_PKS7_PS7_S7_ZZZN2at6native31launch_logcumsumexp_cuda_kernelERKNSE_10TensorBaseESI_lENKUlvE_clEvENKUlvE2_clEvEUlS7_S7_E_S7_EEDaPvRmT3_T4_T5_mT6_P12ihipStream_tbENKUlT_T0_E_clISt17integral_constantIbLb1EESZ_EEDaSU_SV_EUlSU_E0_NS1_11comp_targetILNS1_3genE0ELNS1_11target_archE4294967295ELNS1_3gpuE0ELNS1_3repE0EEENS1_30default_config_static_selectorELNS0_4arch9wavefront6targetE1EEEvT1_.kd
    .uniform_work_group_size: 1
    .uses_dynamic_stack: false
    .vgpr_count:     0
    .vgpr_spill_count: 0
    .wavefront_size: 64
  - .agpr_count:     0
    .args:
      - .offset:         0
        .size:           40
        .value_kind:     by_value
    .group_segment_fixed_size: 0
    .kernarg_segment_align: 8
    .kernarg_segment_size: 40
    .language:       OpenCL C
    .language_version:
      - 2
      - 0
    .max_flat_workgroup_size: 256
    .name:           _ZN7rocprim17ROCPRIM_400000_NS6detail17trampoline_kernelINS0_14default_configENS1_20scan_config_selectorIN3c107complexIfEEEEZZNS1_9scan_implILNS1_25lookback_scan_determinismE0ELb0ELb0ES3_PKS7_PS7_S7_ZZZN2at6native31launch_logcumsumexp_cuda_kernelERKNSE_10TensorBaseESI_lENKUlvE_clEvENKUlvE2_clEvEUlS7_S7_E_S7_EEDaPvRmT3_T4_T5_mT6_P12ihipStream_tbENKUlT_T0_E_clISt17integral_constantIbLb1EESZ_EEDaSU_SV_EUlSU_E0_NS1_11comp_targetILNS1_3genE5ELNS1_11target_archE942ELNS1_3gpuE9ELNS1_3repE0EEENS1_30default_config_static_selectorELNS0_4arch9wavefront6targetE1EEEvT1_
    .private_segment_fixed_size: 0
    .sgpr_count:     4
    .sgpr_spill_count: 0
    .symbol:         _ZN7rocprim17ROCPRIM_400000_NS6detail17trampoline_kernelINS0_14default_configENS1_20scan_config_selectorIN3c107complexIfEEEEZZNS1_9scan_implILNS1_25lookback_scan_determinismE0ELb0ELb0ES3_PKS7_PS7_S7_ZZZN2at6native31launch_logcumsumexp_cuda_kernelERKNSE_10TensorBaseESI_lENKUlvE_clEvENKUlvE2_clEvEUlS7_S7_E_S7_EEDaPvRmT3_T4_T5_mT6_P12ihipStream_tbENKUlT_T0_E_clISt17integral_constantIbLb1EESZ_EEDaSU_SV_EUlSU_E0_NS1_11comp_targetILNS1_3genE5ELNS1_11target_archE942ELNS1_3gpuE9ELNS1_3repE0EEENS1_30default_config_static_selectorELNS0_4arch9wavefront6targetE1EEEvT1_.kd
    .uniform_work_group_size: 1
    .uses_dynamic_stack: false
    .vgpr_count:     0
    .vgpr_spill_count: 0
    .wavefront_size: 64
  - .agpr_count:     0
    .args:
      - .offset:         0
        .size:           40
        .value_kind:     by_value
    .group_segment_fixed_size: 7168
    .kernarg_segment_align: 8
    .kernarg_segment_size: 40
    .language:       OpenCL C
    .language_version:
      - 2
      - 0
    .max_flat_workgroup_size: 128
    .name:           _ZN7rocprim17ROCPRIM_400000_NS6detail17trampoline_kernelINS0_14default_configENS1_20scan_config_selectorIN3c107complexIfEEEEZZNS1_9scan_implILNS1_25lookback_scan_determinismE0ELb0ELb0ES3_PKS7_PS7_S7_ZZZN2at6native31launch_logcumsumexp_cuda_kernelERKNSE_10TensorBaseESI_lENKUlvE_clEvENKUlvE2_clEvEUlS7_S7_E_S7_EEDaPvRmT3_T4_T5_mT6_P12ihipStream_tbENKUlT_T0_E_clISt17integral_constantIbLb1EESZ_EEDaSU_SV_EUlSU_E0_NS1_11comp_targetILNS1_3genE4ELNS1_11target_archE910ELNS1_3gpuE8ELNS1_3repE0EEENS1_30default_config_static_selectorELNS0_4arch9wavefront6targetE1EEEvT1_
    .private_segment_fixed_size: 0
    .sgpr_count:     50
    .sgpr_spill_count: 0
    .symbol:         _ZN7rocprim17ROCPRIM_400000_NS6detail17trampoline_kernelINS0_14default_configENS1_20scan_config_selectorIN3c107complexIfEEEEZZNS1_9scan_implILNS1_25lookback_scan_determinismE0ELb0ELb0ES3_PKS7_PS7_S7_ZZZN2at6native31launch_logcumsumexp_cuda_kernelERKNSE_10TensorBaseESI_lENKUlvE_clEvENKUlvE2_clEvEUlS7_S7_E_S7_EEDaPvRmT3_T4_T5_mT6_P12ihipStream_tbENKUlT_T0_E_clISt17integral_constantIbLb1EESZ_EEDaSU_SV_EUlSU_E0_NS1_11comp_targetILNS1_3genE4ELNS1_11target_archE910ELNS1_3gpuE8ELNS1_3repE0EEENS1_30default_config_static_selectorELNS0_4arch9wavefront6targetE1EEEvT1_.kd
    .uniform_work_group_size: 1
    .uses_dynamic_stack: false
    .vgpr_count:     61
    .vgpr_spill_count: 0
    .wavefront_size: 64
  - .agpr_count:     0
    .args:
      - .offset:         0
        .size:           40
        .value_kind:     by_value
    .group_segment_fixed_size: 0
    .kernarg_segment_align: 8
    .kernarg_segment_size: 40
    .language:       OpenCL C
    .language_version:
      - 2
      - 0
    .max_flat_workgroup_size: 256
    .name:           _ZN7rocprim17ROCPRIM_400000_NS6detail17trampoline_kernelINS0_14default_configENS1_20scan_config_selectorIN3c107complexIfEEEEZZNS1_9scan_implILNS1_25lookback_scan_determinismE0ELb0ELb0ES3_PKS7_PS7_S7_ZZZN2at6native31launch_logcumsumexp_cuda_kernelERKNSE_10TensorBaseESI_lENKUlvE_clEvENKUlvE2_clEvEUlS7_S7_E_S7_EEDaPvRmT3_T4_T5_mT6_P12ihipStream_tbENKUlT_T0_E_clISt17integral_constantIbLb1EESZ_EEDaSU_SV_EUlSU_E0_NS1_11comp_targetILNS1_3genE3ELNS1_11target_archE908ELNS1_3gpuE7ELNS1_3repE0EEENS1_30default_config_static_selectorELNS0_4arch9wavefront6targetE1EEEvT1_
    .private_segment_fixed_size: 0
    .sgpr_count:     4
    .sgpr_spill_count: 0
    .symbol:         _ZN7rocprim17ROCPRIM_400000_NS6detail17trampoline_kernelINS0_14default_configENS1_20scan_config_selectorIN3c107complexIfEEEEZZNS1_9scan_implILNS1_25lookback_scan_determinismE0ELb0ELb0ES3_PKS7_PS7_S7_ZZZN2at6native31launch_logcumsumexp_cuda_kernelERKNSE_10TensorBaseESI_lENKUlvE_clEvENKUlvE2_clEvEUlS7_S7_E_S7_EEDaPvRmT3_T4_T5_mT6_P12ihipStream_tbENKUlT_T0_E_clISt17integral_constantIbLb1EESZ_EEDaSU_SV_EUlSU_E0_NS1_11comp_targetILNS1_3genE3ELNS1_11target_archE908ELNS1_3gpuE7ELNS1_3repE0EEENS1_30default_config_static_selectorELNS0_4arch9wavefront6targetE1EEEvT1_.kd
    .uniform_work_group_size: 1
    .uses_dynamic_stack: false
    .vgpr_count:     0
    .vgpr_spill_count: 0
    .wavefront_size: 64
  - .agpr_count:     0
    .args:
      - .offset:         0
        .size:           40
        .value_kind:     by_value
    .group_segment_fixed_size: 0
    .kernarg_segment_align: 8
    .kernarg_segment_size: 40
    .language:       OpenCL C
    .language_version:
      - 2
      - 0
    .max_flat_workgroup_size: 64
    .name:           _ZN7rocprim17ROCPRIM_400000_NS6detail17trampoline_kernelINS0_14default_configENS1_20scan_config_selectorIN3c107complexIfEEEEZZNS1_9scan_implILNS1_25lookback_scan_determinismE0ELb0ELb0ES3_PKS7_PS7_S7_ZZZN2at6native31launch_logcumsumexp_cuda_kernelERKNSE_10TensorBaseESI_lENKUlvE_clEvENKUlvE2_clEvEUlS7_S7_E_S7_EEDaPvRmT3_T4_T5_mT6_P12ihipStream_tbENKUlT_T0_E_clISt17integral_constantIbLb1EESZ_EEDaSU_SV_EUlSU_E0_NS1_11comp_targetILNS1_3genE2ELNS1_11target_archE906ELNS1_3gpuE6ELNS1_3repE0EEENS1_30default_config_static_selectorELNS0_4arch9wavefront6targetE1EEEvT1_
    .private_segment_fixed_size: 0
    .sgpr_count:     4
    .sgpr_spill_count: 0
    .symbol:         _ZN7rocprim17ROCPRIM_400000_NS6detail17trampoline_kernelINS0_14default_configENS1_20scan_config_selectorIN3c107complexIfEEEEZZNS1_9scan_implILNS1_25lookback_scan_determinismE0ELb0ELb0ES3_PKS7_PS7_S7_ZZZN2at6native31launch_logcumsumexp_cuda_kernelERKNSE_10TensorBaseESI_lENKUlvE_clEvENKUlvE2_clEvEUlS7_S7_E_S7_EEDaPvRmT3_T4_T5_mT6_P12ihipStream_tbENKUlT_T0_E_clISt17integral_constantIbLb1EESZ_EEDaSU_SV_EUlSU_E0_NS1_11comp_targetILNS1_3genE2ELNS1_11target_archE906ELNS1_3gpuE6ELNS1_3repE0EEENS1_30default_config_static_selectorELNS0_4arch9wavefront6targetE1EEEvT1_.kd
    .uniform_work_group_size: 1
    .uses_dynamic_stack: false
    .vgpr_count:     0
    .vgpr_spill_count: 0
    .wavefront_size: 64
  - .agpr_count:     0
    .args:
      - .offset:         0
        .size:           40
        .value_kind:     by_value
    .group_segment_fixed_size: 0
    .kernarg_segment_align: 8
    .kernarg_segment_size: 40
    .language:       OpenCL C
    .language_version:
      - 2
      - 0
    .max_flat_workgroup_size: 256
    .name:           _ZN7rocprim17ROCPRIM_400000_NS6detail17trampoline_kernelINS0_14default_configENS1_20scan_config_selectorIN3c107complexIfEEEEZZNS1_9scan_implILNS1_25lookback_scan_determinismE0ELb0ELb0ES3_PKS7_PS7_S7_ZZZN2at6native31launch_logcumsumexp_cuda_kernelERKNSE_10TensorBaseESI_lENKUlvE_clEvENKUlvE2_clEvEUlS7_S7_E_S7_EEDaPvRmT3_T4_T5_mT6_P12ihipStream_tbENKUlT_T0_E_clISt17integral_constantIbLb1EESZ_EEDaSU_SV_EUlSU_E0_NS1_11comp_targetILNS1_3genE10ELNS1_11target_archE1201ELNS1_3gpuE5ELNS1_3repE0EEENS1_30default_config_static_selectorELNS0_4arch9wavefront6targetE1EEEvT1_
    .private_segment_fixed_size: 0
    .sgpr_count:     4
    .sgpr_spill_count: 0
    .symbol:         _ZN7rocprim17ROCPRIM_400000_NS6detail17trampoline_kernelINS0_14default_configENS1_20scan_config_selectorIN3c107complexIfEEEEZZNS1_9scan_implILNS1_25lookback_scan_determinismE0ELb0ELb0ES3_PKS7_PS7_S7_ZZZN2at6native31launch_logcumsumexp_cuda_kernelERKNSE_10TensorBaseESI_lENKUlvE_clEvENKUlvE2_clEvEUlS7_S7_E_S7_EEDaPvRmT3_T4_T5_mT6_P12ihipStream_tbENKUlT_T0_E_clISt17integral_constantIbLb1EESZ_EEDaSU_SV_EUlSU_E0_NS1_11comp_targetILNS1_3genE10ELNS1_11target_archE1201ELNS1_3gpuE5ELNS1_3repE0EEENS1_30default_config_static_selectorELNS0_4arch9wavefront6targetE1EEEvT1_.kd
    .uniform_work_group_size: 1
    .uses_dynamic_stack: false
    .vgpr_count:     0
    .vgpr_spill_count: 0
    .wavefront_size: 64
  - .agpr_count:     0
    .args:
      - .offset:         0
        .size:           40
        .value_kind:     by_value
    .group_segment_fixed_size: 0
    .kernarg_segment_align: 8
    .kernarg_segment_size: 40
    .language:       OpenCL C
    .language_version:
      - 2
      - 0
    .max_flat_workgroup_size: 256
    .name:           _ZN7rocprim17ROCPRIM_400000_NS6detail17trampoline_kernelINS0_14default_configENS1_20scan_config_selectorIN3c107complexIfEEEEZZNS1_9scan_implILNS1_25lookback_scan_determinismE0ELb0ELb0ES3_PKS7_PS7_S7_ZZZN2at6native31launch_logcumsumexp_cuda_kernelERKNSE_10TensorBaseESI_lENKUlvE_clEvENKUlvE2_clEvEUlS7_S7_E_S7_EEDaPvRmT3_T4_T5_mT6_P12ihipStream_tbENKUlT_T0_E_clISt17integral_constantIbLb1EESZ_EEDaSU_SV_EUlSU_E0_NS1_11comp_targetILNS1_3genE10ELNS1_11target_archE1200ELNS1_3gpuE4ELNS1_3repE0EEENS1_30default_config_static_selectorELNS0_4arch9wavefront6targetE1EEEvT1_
    .private_segment_fixed_size: 0
    .sgpr_count:     4
    .sgpr_spill_count: 0
    .symbol:         _ZN7rocprim17ROCPRIM_400000_NS6detail17trampoline_kernelINS0_14default_configENS1_20scan_config_selectorIN3c107complexIfEEEEZZNS1_9scan_implILNS1_25lookback_scan_determinismE0ELb0ELb0ES3_PKS7_PS7_S7_ZZZN2at6native31launch_logcumsumexp_cuda_kernelERKNSE_10TensorBaseESI_lENKUlvE_clEvENKUlvE2_clEvEUlS7_S7_E_S7_EEDaPvRmT3_T4_T5_mT6_P12ihipStream_tbENKUlT_T0_E_clISt17integral_constantIbLb1EESZ_EEDaSU_SV_EUlSU_E0_NS1_11comp_targetILNS1_3genE10ELNS1_11target_archE1200ELNS1_3gpuE4ELNS1_3repE0EEENS1_30default_config_static_selectorELNS0_4arch9wavefront6targetE1EEEvT1_.kd
    .uniform_work_group_size: 1
    .uses_dynamic_stack: false
    .vgpr_count:     0
    .vgpr_spill_count: 0
    .wavefront_size: 64
  - .agpr_count:     0
    .args:
      - .offset:         0
        .size:           40
        .value_kind:     by_value
    .group_segment_fixed_size: 0
    .kernarg_segment_align: 8
    .kernarg_segment_size: 40
    .language:       OpenCL C
    .language_version:
      - 2
      - 0
    .max_flat_workgroup_size: 256
    .name:           _ZN7rocprim17ROCPRIM_400000_NS6detail17trampoline_kernelINS0_14default_configENS1_20scan_config_selectorIN3c107complexIfEEEEZZNS1_9scan_implILNS1_25lookback_scan_determinismE0ELb0ELb0ES3_PKS7_PS7_S7_ZZZN2at6native31launch_logcumsumexp_cuda_kernelERKNSE_10TensorBaseESI_lENKUlvE_clEvENKUlvE2_clEvEUlS7_S7_E_S7_EEDaPvRmT3_T4_T5_mT6_P12ihipStream_tbENKUlT_T0_E_clISt17integral_constantIbLb1EESZ_EEDaSU_SV_EUlSU_E0_NS1_11comp_targetILNS1_3genE9ELNS1_11target_archE1100ELNS1_3gpuE3ELNS1_3repE0EEENS1_30default_config_static_selectorELNS0_4arch9wavefront6targetE1EEEvT1_
    .private_segment_fixed_size: 0
    .sgpr_count:     4
    .sgpr_spill_count: 0
    .symbol:         _ZN7rocprim17ROCPRIM_400000_NS6detail17trampoline_kernelINS0_14default_configENS1_20scan_config_selectorIN3c107complexIfEEEEZZNS1_9scan_implILNS1_25lookback_scan_determinismE0ELb0ELb0ES3_PKS7_PS7_S7_ZZZN2at6native31launch_logcumsumexp_cuda_kernelERKNSE_10TensorBaseESI_lENKUlvE_clEvENKUlvE2_clEvEUlS7_S7_E_S7_EEDaPvRmT3_T4_T5_mT6_P12ihipStream_tbENKUlT_T0_E_clISt17integral_constantIbLb1EESZ_EEDaSU_SV_EUlSU_E0_NS1_11comp_targetILNS1_3genE9ELNS1_11target_archE1100ELNS1_3gpuE3ELNS1_3repE0EEENS1_30default_config_static_selectorELNS0_4arch9wavefront6targetE1EEEvT1_.kd
    .uniform_work_group_size: 1
    .uses_dynamic_stack: false
    .vgpr_count:     0
    .vgpr_spill_count: 0
    .wavefront_size: 64
  - .agpr_count:     0
    .args:
      - .offset:         0
        .size:           40
        .value_kind:     by_value
    .group_segment_fixed_size: 0
    .kernarg_segment_align: 8
    .kernarg_segment_size: 40
    .language:       OpenCL C
    .language_version:
      - 2
      - 0
    .max_flat_workgroup_size: 256
    .name:           _ZN7rocprim17ROCPRIM_400000_NS6detail17trampoline_kernelINS0_14default_configENS1_20scan_config_selectorIN3c107complexIfEEEEZZNS1_9scan_implILNS1_25lookback_scan_determinismE0ELb0ELb0ES3_PKS7_PS7_S7_ZZZN2at6native31launch_logcumsumexp_cuda_kernelERKNSE_10TensorBaseESI_lENKUlvE_clEvENKUlvE2_clEvEUlS7_S7_E_S7_EEDaPvRmT3_T4_T5_mT6_P12ihipStream_tbENKUlT_T0_E_clISt17integral_constantIbLb1EESZ_EEDaSU_SV_EUlSU_E0_NS1_11comp_targetILNS1_3genE8ELNS1_11target_archE1030ELNS1_3gpuE2ELNS1_3repE0EEENS1_30default_config_static_selectorELNS0_4arch9wavefront6targetE1EEEvT1_
    .private_segment_fixed_size: 0
    .sgpr_count:     4
    .sgpr_spill_count: 0
    .symbol:         _ZN7rocprim17ROCPRIM_400000_NS6detail17trampoline_kernelINS0_14default_configENS1_20scan_config_selectorIN3c107complexIfEEEEZZNS1_9scan_implILNS1_25lookback_scan_determinismE0ELb0ELb0ES3_PKS7_PS7_S7_ZZZN2at6native31launch_logcumsumexp_cuda_kernelERKNSE_10TensorBaseESI_lENKUlvE_clEvENKUlvE2_clEvEUlS7_S7_E_S7_EEDaPvRmT3_T4_T5_mT6_P12ihipStream_tbENKUlT_T0_E_clISt17integral_constantIbLb1EESZ_EEDaSU_SV_EUlSU_E0_NS1_11comp_targetILNS1_3genE8ELNS1_11target_archE1030ELNS1_3gpuE2ELNS1_3repE0EEENS1_30default_config_static_selectorELNS0_4arch9wavefront6targetE1EEEvT1_.kd
    .uniform_work_group_size: 1
    .uses_dynamic_stack: false
    .vgpr_count:     0
    .vgpr_spill_count: 0
    .wavefront_size: 64
  - .agpr_count:     0
    .args:
      - .address_space:  global
        .offset:         0
        .size:           8
        .value_kind:     global_buffer
      - .offset:         8
        .size:           4
        .value_kind:     by_value
      - .offset:         12
        .size:           1
        .value_kind:     by_value
      - .offset:         16
        .size:           4
        .value_kind:     by_value
      - .address_space:  global
        .offset:         24
        .size:           8
        .value_kind:     global_buffer
      - .offset:         32
        .size:           4
        .value_kind:     hidden_block_count_x
      - .offset:         36
        .size:           4
        .value_kind:     hidden_block_count_y
      - .offset:         40
        .size:           4
        .value_kind:     hidden_block_count_z
      - .offset:         44
        .size:           2
        .value_kind:     hidden_group_size_x
      - .offset:         46
        .size:           2
        .value_kind:     hidden_group_size_y
      - .offset:         48
        .size:           2
        .value_kind:     hidden_group_size_z
      - .offset:         50
        .size:           2
        .value_kind:     hidden_remainder_x
      - .offset:         52
        .size:           2
        .value_kind:     hidden_remainder_y
      - .offset:         54
        .size:           2
        .value_kind:     hidden_remainder_z
      - .offset:         72
        .size:           8
        .value_kind:     hidden_global_offset_x
      - .offset:         80
        .size:           8
        .value_kind:     hidden_global_offset_y
      - .offset:         88
        .size:           8
        .value_kind:     hidden_global_offset_z
      - .offset:         96
        .size:           2
        .value_kind:     hidden_grid_dims
    .group_segment_fixed_size: 0
    .kernarg_segment_align: 8
    .kernarg_segment_size: 288
    .language:       OpenCL C
    .language_version:
      - 2
      - 0
    .max_flat_workgroup_size: 256
    .name:           _ZN7rocprim17ROCPRIM_400000_NS6detail31init_lookback_scan_state_kernelINS1_19lookback_scan_stateIN3c107complexIfEELb1ELb1EEENS1_16block_id_wrapperIjLb0EEEEEvT_jT0_jPNSA_10value_typeE
    .private_segment_fixed_size: 0
    .sgpr_count:     18
    .sgpr_spill_count: 0
    .symbol:         _ZN7rocprim17ROCPRIM_400000_NS6detail31init_lookback_scan_state_kernelINS1_19lookback_scan_stateIN3c107complexIfEELb1ELb1EEENS1_16block_id_wrapperIjLb0EEEEEvT_jT0_jPNSA_10value_typeE.kd
    .uniform_work_group_size: 1
    .uses_dynamic_stack: false
    .vgpr_count:     10
    .vgpr_spill_count: 0
    .wavefront_size: 64
  - .agpr_count:     0
    .args:
      - .offset:         0
        .size:           104
        .value_kind:     by_value
    .group_segment_fixed_size: 0
    .kernarg_segment_align: 8
    .kernarg_segment_size: 104
    .language:       OpenCL C
    .language_version:
      - 2
      - 0
    .max_flat_workgroup_size: 256
    .name:           _ZN7rocprim17ROCPRIM_400000_NS6detail17trampoline_kernelINS0_14default_configENS1_20scan_config_selectorIN3c107complexIfEEEEZZNS1_9scan_implILNS1_25lookback_scan_determinismE0ELb0ELb0ES3_PKS7_PS7_S7_ZZZN2at6native31launch_logcumsumexp_cuda_kernelERKNSE_10TensorBaseESI_lENKUlvE_clEvENKUlvE2_clEvEUlS7_S7_E_S7_EEDaPvRmT3_T4_T5_mT6_P12ihipStream_tbENKUlT_T0_E_clISt17integral_constantIbLb1EESY_IbLb0EEEEDaSU_SV_EUlSU_E_NS1_11comp_targetILNS1_3genE0ELNS1_11target_archE4294967295ELNS1_3gpuE0ELNS1_3repE0EEENS1_30default_config_static_selectorELNS0_4arch9wavefront6targetE1EEEvT1_
    .private_segment_fixed_size: 0
    .sgpr_count:     4
    .sgpr_spill_count: 0
    .symbol:         _ZN7rocprim17ROCPRIM_400000_NS6detail17trampoline_kernelINS0_14default_configENS1_20scan_config_selectorIN3c107complexIfEEEEZZNS1_9scan_implILNS1_25lookback_scan_determinismE0ELb0ELb0ES3_PKS7_PS7_S7_ZZZN2at6native31launch_logcumsumexp_cuda_kernelERKNSE_10TensorBaseESI_lENKUlvE_clEvENKUlvE2_clEvEUlS7_S7_E_S7_EEDaPvRmT3_T4_T5_mT6_P12ihipStream_tbENKUlT_T0_E_clISt17integral_constantIbLb1EESY_IbLb0EEEEDaSU_SV_EUlSU_E_NS1_11comp_targetILNS1_3genE0ELNS1_11target_archE4294967295ELNS1_3gpuE0ELNS1_3repE0EEENS1_30default_config_static_selectorELNS0_4arch9wavefront6targetE1EEEvT1_.kd
    .uniform_work_group_size: 1
    .uses_dynamic_stack: false
    .vgpr_count:     0
    .vgpr_spill_count: 0
    .wavefront_size: 64
  - .agpr_count:     0
    .args:
      - .offset:         0
        .size:           104
        .value_kind:     by_value
    .group_segment_fixed_size: 0
    .kernarg_segment_align: 8
    .kernarg_segment_size: 104
    .language:       OpenCL C
    .language_version:
      - 2
      - 0
    .max_flat_workgroup_size: 256
    .name:           _ZN7rocprim17ROCPRIM_400000_NS6detail17trampoline_kernelINS0_14default_configENS1_20scan_config_selectorIN3c107complexIfEEEEZZNS1_9scan_implILNS1_25lookback_scan_determinismE0ELb0ELb0ES3_PKS7_PS7_S7_ZZZN2at6native31launch_logcumsumexp_cuda_kernelERKNSE_10TensorBaseESI_lENKUlvE_clEvENKUlvE2_clEvEUlS7_S7_E_S7_EEDaPvRmT3_T4_T5_mT6_P12ihipStream_tbENKUlT_T0_E_clISt17integral_constantIbLb1EESY_IbLb0EEEEDaSU_SV_EUlSU_E_NS1_11comp_targetILNS1_3genE5ELNS1_11target_archE942ELNS1_3gpuE9ELNS1_3repE0EEENS1_30default_config_static_selectorELNS0_4arch9wavefront6targetE1EEEvT1_
    .private_segment_fixed_size: 0
    .sgpr_count:     4
    .sgpr_spill_count: 0
    .symbol:         _ZN7rocprim17ROCPRIM_400000_NS6detail17trampoline_kernelINS0_14default_configENS1_20scan_config_selectorIN3c107complexIfEEEEZZNS1_9scan_implILNS1_25lookback_scan_determinismE0ELb0ELb0ES3_PKS7_PS7_S7_ZZZN2at6native31launch_logcumsumexp_cuda_kernelERKNSE_10TensorBaseESI_lENKUlvE_clEvENKUlvE2_clEvEUlS7_S7_E_S7_EEDaPvRmT3_T4_T5_mT6_P12ihipStream_tbENKUlT_T0_E_clISt17integral_constantIbLb1EESY_IbLb0EEEEDaSU_SV_EUlSU_E_NS1_11comp_targetILNS1_3genE5ELNS1_11target_archE942ELNS1_3gpuE9ELNS1_3repE0EEENS1_30default_config_static_selectorELNS0_4arch9wavefront6targetE1EEEvT1_.kd
    .uniform_work_group_size: 1
    .uses_dynamic_stack: false
    .vgpr_count:     0
    .vgpr_spill_count: 0
    .wavefront_size: 64
  - .agpr_count:     0
    .args:
      - .offset:         0
        .size:           104
        .value_kind:     by_value
    .group_segment_fixed_size: 7168
    .kernarg_segment_align: 8
    .kernarg_segment_size: 104
    .language:       OpenCL C
    .language_version:
      - 2
      - 0
    .max_flat_workgroup_size: 128
    .name:           _ZN7rocprim17ROCPRIM_400000_NS6detail17trampoline_kernelINS0_14default_configENS1_20scan_config_selectorIN3c107complexIfEEEEZZNS1_9scan_implILNS1_25lookback_scan_determinismE0ELb0ELb0ES3_PKS7_PS7_S7_ZZZN2at6native31launch_logcumsumexp_cuda_kernelERKNSE_10TensorBaseESI_lENKUlvE_clEvENKUlvE2_clEvEUlS7_S7_E_S7_EEDaPvRmT3_T4_T5_mT6_P12ihipStream_tbENKUlT_T0_E_clISt17integral_constantIbLb1EESY_IbLb0EEEEDaSU_SV_EUlSU_E_NS1_11comp_targetILNS1_3genE4ELNS1_11target_archE910ELNS1_3gpuE8ELNS1_3repE0EEENS1_30default_config_static_selectorELNS0_4arch9wavefront6targetE1EEEvT1_
    .private_segment_fixed_size: 0
    .sgpr_count:     63
    .sgpr_spill_count: 0
    .symbol:         _ZN7rocprim17ROCPRIM_400000_NS6detail17trampoline_kernelINS0_14default_configENS1_20scan_config_selectorIN3c107complexIfEEEEZZNS1_9scan_implILNS1_25lookback_scan_determinismE0ELb0ELb0ES3_PKS7_PS7_S7_ZZZN2at6native31launch_logcumsumexp_cuda_kernelERKNSE_10TensorBaseESI_lENKUlvE_clEvENKUlvE2_clEvEUlS7_S7_E_S7_EEDaPvRmT3_T4_T5_mT6_P12ihipStream_tbENKUlT_T0_E_clISt17integral_constantIbLb1EESY_IbLb0EEEEDaSU_SV_EUlSU_E_NS1_11comp_targetILNS1_3genE4ELNS1_11target_archE910ELNS1_3gpuE8ELNS1_3repE0EEENS1_30default_config_static_selectorELNS0_4arch9wavefront6targetE1EEEvT1_.kd
    .uniform_work_group_size: 1
    .uses_dynamic_stack: false
    .vgpr_count:     73
    .vgpr_spill_count: 0
    .wavefront_size: 64
  - .agpr_count:     0
    .args:
      - .offset:         0
        .size:           104
        .value_kind:     by_value
    .group_segment_fixed_size: 0
    .kernarg_segment_align: 8
    .kernarg_segment_size: 104
    .language:       OpenCL C
    .language_version:
      - 2
      - 0
    .max_flat_workgroup_size: 256
    .name:           _ZN7rocprim17ROCPRIM_400000_NS6detail17trampoline_kernelINS0_14default_configENS1_20scan_config_selectorIN3c107complexIfEEEEZZNS1_9scan_implILNS1_25lookback_scan_determinismE0ELb0ELb0ES3_PKS7_PS7_S7_ZZZN2at6native31launch_logcumsumexp_cuda_kernelERKNSE_10TensorBaseESI_lENKUlvE_clEvENKUlvE2_clEvEUlS7_S7_E_S7_EEDaPvRmT3_T4_T5_mT6_P12ihipStream_tbENKUlT_T0_E_clISt17integral_constantIbLb1EESY_IbLb0EEEEDaSU_SV_EUlSU_E_NS1_11comp_targetILNS1_3genE3ELNS1_11target_archE908ELNS1_3gpuE7ELNS1_3repE0EEENS1_30default_config_static_selectorELNS0_4arch9wavefront6targetE1EEEvT1_
    .private_segment_fixed_size: 0
    .sgpr_count:     4
    .sgpr_spill_count: 0
    .symbol:         _ZN7rocprim17ROCPRIM_400000_NS6detail17trampoline_kernelINS0_14default_configENS1_20scan_config_selectorIN3c107complexIfEEEEZZNS1_9scan_implILNS1_25lookback_scan_determinismE0ELb0ELb0ES3_PKS7_PS7_S7_ZZZN2at6native31launch_logcumsumexp_cuda_kernelERKNSE_10TensorBaseESI_lENKUlvE_clEvENKUlvE2_clEvEUlS7_S7_E_S7_EEDaPvRmT3_T4_T5_mT6_P12ihipStream_tbENKUlT_T0_E_clISt17integral_constantIbLb1EESY_IbLb0EEEEDaSU_SV_EUlSU_E_NS1_11comp_targetILNS1_3genE3ELNS1_11target_archE908ELNS1_3gpuE7ELNS1_3repE0EEENS1_30default_config_static_selectorELNS0_4arch9wavefront6targetE1EEEvT1_.kd
    .uniform_work_group_size: 1
    .uses_dynamic_stack: false
    .vgpr_count:     0
    .vgpr_spill_count: 0
    .wavefront_size: 64
  - .agpr_count:     0
    .args:
      - .offset:         0
        .size:           104
        .value_kind:     by_value
    .group_segment_fixed_size: 0
    .kernarg_segment_align: 8
    .kernarg_segment_size: 104
    .language:       OpenCL C
    .language_version:
      - 2
      - 0
    .max_flat_workgroup_size: 64
    .name:           _ZN7rocprim17ROCPRIM_400000_NS6detail17trampoline_kernelINS0_14default_configENS1_20scan_config_selectorIN3c107complexIfEEEEZZNS1_9scan_implILNS1_25lookback_scan_determinismE0ELb0ELb0ES3_PKS7_PS7_S7_ZZZN2at6native31launch_logcumsumexp_cuda_kernelERKNSE_10TensorBaseESI_lENKUlvE_clEvENKUlvE2_clEvEUlS7_S7_E_S7_EEDaPvRmT3_T4_T5_mT6_P12ihipStream_tbENKUlT_T0_E_clISt17integral_constantIbLb1EESY_IbLb0EEEEDaSU_SV_EUlSU_E_NS1_11comp_targetILNS1_3genE2ELNS1_11target_archE906ELNS1_3gpuE6ELNS1_3repE0EEENS1_30default_config_static_selectorELNS0_4arch9wavefront6targetE1EEEvT1_
    .private_segment_fixed_size: 0
    .sgpr_count:     4
    .sgpr_spill_count: 0
    .symbol:         _ZN7rocprim17ROCPRIM_400000_NS6detail17trampoline_kernelINS0_14default_configENS1_20scan_config_selectorIN3c107complexIfEEEEZZNS1_9scan_implILNS1_25lookback_scan_determinismE0ELb0ELb0ES3_PKS7_PS7_S7_ZZZN2at6native31launch_logcumsumexp_cuda_kernelERKNSE_10TensorBaseESI_lENKUlvE_clEvENKUlvE2_clEvEUlS7_S7_E_S7_EEDaPvRmT3_T4_T5_mT6_P12ihipStream_tbENKUlT_T0_E_clISt17integral_constantIbLb1EESY_IbLb0EEEEDaSU_SV_EUlSU_E_NS1_11comp_targetILNS1_3genE2ELNS1_11target_archE906ELNS1_3gpuE6ELNS1_3repE0EEENS1_30default_config_static_selectorELNS0_4arch9wavefront6targetE1EEEvT1_.kd
    .uniform_work_group_size: 1
    .uses_dynamic_stack: false
    .vgpr_count:     0
    .vgpr_spill_count: 0
    .wavefront_size: 64
  - .agpr_count:     0
    .args:
      - .offset:         0
        .size:           104
        .value_kind:     by_value
    .group_segment_fixed_size: 0
    .kernarg_segment_align: 8
    .kernarg_segment_size: 104
    .language:       OpenCL C
    .language_version:
      - 2
      - 0
    .max_flat_workgroup_size: 256
    .name:           _ZN7rocprim17ROCPRIM_400000_NS6detail17trampoline_kernelINS0_14default_configENS1_20scan_config_selectorIN3c107complexIfEEEEZZNS1_9scan_implILNS1_25lookback_scan_determinismE0ELb0ELb0ES3_PKS7_PS7_S7_ZZZN2at6native31launch_logcumsumexp_cuda_kernelERKNSE_10TensorBaseESI_lENKUlvE_clEvENKUlvE2_clEvEUlS7_S7_E_S7_EEDaPvRmT3_T4_T5_mT6_P12ihipStream_tbENKUlT_T0_E_clISt17integral_constantIbLb1EESY_IbLb0EEEEDaSU_SV_EUlSU_E_NS1_11comp_targetILNS1_3genE10ELNS1_11target_archE1201ELNS1_3gpuE5ELNS1_3repE0EEENS1_30default_config_static_selectorELNS0_4arch9wavefront6targetE1EEEvT1_
    .private_segment_fixed_size: 0
    .sgpr_count:     4
    .sgpr_spill_count: 0
    .symbol:         _ZN7rocprim17ROCPRIM_400000_NS6detail17trampoline_kernelINS0_14default_configENS1_20scan_config_selectorIN3c107complexIfEEEEZZNS1_9scan_implILNS1_25lookback_scan_determinismE0ELb0ELb0ES3_PKS7_PS7_S7_ZZZN2at6native31launch_logcumsumexp_cuda_kernelERKNSE_10TensorBaseESI_lENKUlvE_clEvENKUlvE2_clEvEUlS7_S7_E_S7_EEDaPvRmT3_T4_T5_mT6_P12ihipStream_tbENKUlT_T0_E_clISt17integral_constantIbLb1EESY_IbLb0EEEEDaSU_SV_EUlSU_E_NS1_11comp_targetILNS1_3genE10ELNS1_11target_archE1201ELNS1_3gpuE5ELNS1_3repE0EEENS1_30default_config_static_selectorELNS0_4arch9wavefront6targetE1EEEvT1_.kd
    .uniform_work_group_size: 1
    .uses_dynamic_stack: false
    .vgpr_count:     0
    .vgpr_spill_count: 0
    .wavefront_size: 64
  - .agpr_count:     0
    .args:
      - .offset:         0
        .size:           104
        .value_kind:     by_value
    .group_segment_fixed_size: 0
    .kernarg_segment_align: 8
    .kernarg_segment_size: 104
    .language:       OpenCL C
    .language_version:
      - 2
      - 0
    .max_flat_workgroup_size: 256
    .name:           _ZN7rocprim17ROCPRIM_400000_NS6detail17trampoline_kernelINS0_14default_configENS1_20scan_config_selectorIN3c107complexIfEEEEZZNS1_9scan_implILNS1_25lookback_scan_determinismE0ELb0ELb0ES3_PKS7_PS7_S7_ZZZN2at6native31launch_logcumsumexp_cuda_kernelERKNSE_10TensorBaseESI_lENKUlvE_clEvENKUlvE2_clEvEUlS7_S7_E_S7_EEDaPvRmT3_T4_T5_mT6_P12ihipStream_tbENKUlT_T0_E_clISt17integral_constantIbLb1EESY_IbLb0EEEEDaSU_SV_EUlSU_E_NS1_11comp_targetILNS1_3genE10ELNS1_11target_archE1200ELNS1_3gpuE4ELNS1_3repE0EEENS1_30default_config_static_selectorELNS0_4arch9wavefront6targetE1EEEvT1_
    .private_segment_fixed_size: 0
    .sgpr_count:     4
    .sgpr_spill_count: 0
    .symbol:         _ZN7rocprim17ROCPRIM_400000_NS6detail17trampoline_kernelINS0_14default_configENS1_20scan_config_selectorIN3c107complexIfEEEEZZNS1_9scan_implILNS1_25lookback_scan_determinismE0ELb0ELb0ES3_PKS7_PS7_S7_ZZZN2at6native31launch_logcumsumexp_cuda_kernelERKNSE_10TensorBaseESI_lENKUlvE_clEvENKUlvE2_clEvEUlS7_S7_E_S7_EEDaPvRmT3_T4_T5_mT6_P12ihipStream_tbENKUlT_T0_E_clISt17integral_constantIbLb1EESY_IbLb0EEEEDaSU_SV_EUlSU_E_NS1_11comp_targetILNS1_3genE10ELNS1_11target_archE1200ELNS1_3gpuE4ELNS1_3repE0EEENS1_30default_config_static_selectorELNS0_4arch9wavefront6targetE1EEEvT1_.kd
    .uniform_work_group_size: 1
    .uses_dynamic_stack: false
    .vgpr_count:     0
    .vgpr_spill_count: 0
    .wavefront_size: 64
  - .agpr_count:     0
    .args:
      - .offset:         0
        .size:           104
        .value_kind:     by_value
    .group_segment_fixed_size: 0
    .kernarg_segment_align: 8
    .kernarg_segment_size: 104
    .language:       OpenCL C
    .language_version:
      - 2
      - 0
    .max_flat_workgroup_size: 256
    .name:           _ZN7rocprim17ROCPRIM_400000_NS6detail17trampoline_kernelINS0_14default_configENS1_20scan_config_selectorIN3c107complexIfEEEEZZNS1_9scan_implILNS1_25lookback_scan_determinismE0ELb0ELb0ES3_PKS7_PS7_S7_ZZZN2at6native31launch_logcumsumexp_cuda_kernelERKNSE_10TensorBaseESI_lENKUlvE_clEvENKUlvE2_clEvEUlS7_S7_E_S7_EEDaPvRmT3_T4_T5_mT6_P12ihipStream_tbENKUlT_T0_E_clISt17integral_constantIbLb1EESY_IbLb0EEEEDaSU_SV_EUlSU_E_NS1_11comp_targetILNS1_3genE9ELNS1_11target_archE1100ELNS1_3gpuE3ELNS1_3repE0EEENS1_30default_config_static_selectorELNS0_4arch9wavefront6targetE1EEEvT1_
    .private_segment_fixed_size: 0
    .sgpr_count:     4
    .sgpr_spill_count: 0
    .symbol:         _ZN7rocprim17ROCPRIM_400000_NS6detail17trampoline_kernelINS0_14default_configENS1_20scan_config_selectorIN3c107complexIfEEEEZZNS1_9scan_implILNS1_25lookback_scan_determinismE0ELb0ELb0ES3_PKS7_PS7_S7_ZZZN2at6native31launch_logcumsumexp_cuda_kernelERKNSE_10TensorBaseESI_lENKUlvE_clEvENKUlvE2_clEvEUlS7_S7_E_S7_EEDaPvRmT3_T4_T5_mT6_P12ihipStream_tbENKUlT_T0_E_clISt17integral_constantIbLb1EESY_IbLb0EEEEDaSU_SV_EUlSU_E_NS1_11comp_targetILNS1_3genE9ELNS1_11target_archE1100ELNS1_3gpuE3ELNS1_3repE0EEENS1_30default_config_static_selectorELNS0_4arch9wavefront6targetE1EEEvT1_.kd
    .uniform_work_group_size: 1
    .uses_dynamic_stack: false
    .vgpr_count:     0
    .vgpr_spill_count: 0
    .wavefront_size: 64
  - .agpr_count:     0
    .args:
      - .offset:         0
        .size:           104
        .value_kind:     by_value
    .group_segment_fixed_size: 0
    .kernarg_segment_align: 8
    .kernarg_segment_size: 104
    .language:       OpenCL C
    .language_version:
      - 2
      - 0
    .max_flat_workgroup_size: 256
    .name:           _ZN7rocprim17ROCPRIM_400000_NS6detail17trampoline_kernelINS0_14default_configENS1_20scan_config_selectorIN3c107complexIfEEEEZZNS1_9scan_implILNS1_25lookback_scan_determinismE0ELb0ELb0ES3_PKS7_PS7_S7_ZZZN2at6native31launch_logcumsumexp_cuda_kernelERKNSE_10TensorBaseESI_lENKUlvE_clEvENKUlvE2_clEvEUlS7_S7_E_S7_EEDaPvRmT3_T4_T5_mT6_P12ihipStream_tbENKUlT_T0_E_clISt17integral_constantIbLb1EESY_IbLb0EEEEDaSU_SV_EUlSU_E_NS1_11comp_targetILNS1_3genE8ELNS1_11target_archE1030ELNS1_3gpuE2ELNS1_3repE0EEENS1_30default_config_static_selectorELNS0_4arch9wavefront6targetE1EEEvT1_
    .private_segment_fixed_size: 0
    .sgpr_count:     4
    .sgpr_spill_count: 0
    .symbol:         _ZN7rocprim17ROCPRIM_400000_NS6detail17trampoline_kernelINS0_14default_configENS1_20scan_config_selectorIN3c107complexIfEEEEZZNS1_9scan_implILNS1_25lookback_scan_determinismE0ELb0ELb0ES3_PKS7_PS7_S7_ZZZN2at6native31launch_logcumsumexp_cuda_kernelERKNSE_10TensorBaseESI_lENKUlvE_clEvENKUlvE2_clEvEUlS7_S7_E_S7_EEDaPvRmT3_T4_T5_mT6_P12ihipStream_tbENKUlT_T0_E_clISt17integral_constantIbLb1EESY_IbLb0EEEEDaSU_SV_EUlSU_E_NS1_11comp_targetILNS1_3genE8ELNS1_11target_archE1030ELNS1_3gpuE2ELNS1_3repE0EEENS1_30default_config_static_selectorELNS0_4arch9wavefront6targetE1EEEvT1_.kd
    .uniform_work_group_size: 1
    .uses_dynamic_stack: false
    .vgpr_count:     0
    .vgpr_spill_count: 0
    .wavefront_size: 64
  - .agpr_count:     0
    .args:
      - .offset:         0
        .size:           40
        .value_kind:     by_value
    .group_segment_fixed_size: 0
    .kernarg_segment_align: 8
    .kernarg_segment_size: 40
    .language:       OpenCL C
    .language_version:
      - 2
      - 0
    .max_flat_workgroup_size: 256
    .name:           _ZN7rocprim17ROCPRIM_400000_NS6detail17trampoline_kernelINS0_14default_configENS1_20scan_config_selectorIN3c107complexIfEEEEZZNS1_9scan_implILNS1_25lookback_scan_determinismE0ELb0ELb0ES3_PKS7_PS7_S7_ZZZN2at6native31launch_logcumsumexp_cuda_kernelERKNSE_10TensorBaseESI_lENKUlvE_clEvENKUlvE2_clEvEUlS7_S7_E_S7_EEDaPvRmT3_T4_T5_mT6_P12ihipStream_tbENKUlT_T0_E_clISt17integral_constantIbLb1EESY_IbLb0EEEEDaSU_SV_EUlSU_E0_NS1_11comp_targetILNS1_3genE0ELNS1_11target_archE4294967295ELNS1_3gpuE0ELNS1_3repE0EEENS1_30default_config_static_selectorELNS0_4arch9wavefront6targetE1EEEvT1_
    .private_segment_fixed_size: 0
    .sgpr_count:     4
    .sgpr_spill_count: 0
    .symbol:         _ZN7rocprim17ROCPRIM_400000_NS6detail17trampoline_kernelINS0_14default_configENS1_20scan_config_selectorIN3c107complexIfEEEEZZNS1_9scan_implILNS1_25lookback_scan_determinismE0ELb0ELb0ES3_PKS7_PS7_S7_ZZZN2at6native31launch_logcumsumexp_cuda_kernelERKNSE_10TensorBaseESI_lENKUlvE_clEvENKUlvE2_clEvEUlS7_S7_E_S7_EEDaPvRmT3_T4_T5_mT6_P12ihipStream_tbENKUlT_T0_E_clISt17integral_constantIbLb1EESY_IbLb0EEEEDaSU_SV_EUlSU_E0_NS1_11comp_targetILNS1_3genE0ELNS1_11target_archE4294967295ELNS1_3gpuE0ELNS1_3repE0EEENS1_30default_config_static_selectorELNS0_4arch9wavefront6targetE1EEEvT1_.kd
    .uniform_work_group_size: 1
    .uses_dynamic_stack: false
    .vgpr_count:     0
    .vgpr_spill_count: 0
    .wavefront_size: 64
  - .agpr_count:     0
    .args:
      - .offset:         0
        .size:           40
        .value_kind:     by_value
    .group_segment_fixed_size: 0
    .kernarg_segment_align: 8
    .kernarg_segment_size: 40
    .language:       OpenCL C
    .language_version:
      - 2
      - 0
    .max_flat_workgroup_size: 256
    .name:           _ZN7rocprim17ROCPRIM_400000_NS6detail17trampoline_kernelINS0_14default_configENS1_20scan_config_selectorIN3c107complexIfEEEEZZNS1_9scan_implILNS1_25lookback_scan_determinismE0ELb0ELb0ES3_PKS7_PS7_S7_ZZZN2at6native31launch_logcumsumexp_cuda_kernelERKNSE_10TensorBaseESI_lENKUlvE_clEvENKUlvE2_clEvEUlS7_S7_E_S7_EEDaPvRmT3_T4_T5_mT6_P12ihipStream_tbENKUlT_T0_E_clISt17integral_constantIbLb1EESY_IbLb0EEEEDaSU_SV_EUlSU_E0_NS1_11comp_targetILNS1_3genE5ELNS1_11target_archE942ELNS1_3gpuE9ELNS1_3repE0EEENS1_30default_config_static_selectorELNS0_4arch9wavefront6targetE1EEEvT1_
    .private_segment_fixed_size: 0
    .sgpr_count:     4
    .sgpr_spill_count: 0
    .symbol:         _ZN7rocprim17ROCPRIM_400000_NS6detail17trampoline_kernelINS0_14default_configENS1_20scan_config_selectorIN3c107complexIfEEEEZZNS1_9scan_implILNS1_25lookback_scan_determinismE0ELb0ELb0ES3_PKS7_PS7_S7_ZZZN2at6native31launch_logcumsumexp_cuda_kernelERKNSE_10TensorBaseESI_lENKUlvE_clEvENKUlvE2_clEvEUlS7_S7_E_S7_EEDaPvRmT3_T4_T5_mT6_P12ihipStream_tbENKUlT_T0_E_clISt17integral_constantIbLb1EESY_IbLb0EEEEDaSU_SV_EUlSU_E0_NS1_11comp_targetILNS1_3genE5ELNS1_11target_archE942ELNS1_3gpuE9ELNS1_3repE0EEENS1_30default_config_static_selectorELNS0_4arch9wavefront6targetE1EEEvT1_.kd
    .uniform_work_group_size: 1
    .uses_dynamic_stack: false
    .vgpr_count:     0
    .vgpr_spill_count: 0
    .wavefront_size: 64
  - .agpr_count:     0
    .args:
      - .offset:         0
        .size:           40
        .value_kind:     by_value
    .group_segment_fixed_size: 7168
    .kernarg_segment_align: 8
    .kernarg_segment_size: 40
    .language:       OpenCL C
    .language_version:
      - 2
      - 0
    .max_flat_workgroup_size: 128
    .name:           _ZN7rocprim17ROCPRIM_400000_NS6detail17trampoline_kernelINS0_14default_configENS1_20scan_config_selectorIN3c107complexIfEEEEZZNS1_9scan_implILNS1_25lookback_scan_determinismE0ELb0ELb0ES3_PKS7_PS7_S7_ZZZN2at6native31launch_logcumsumexp_cuda_kernelERKNSE_10TensorBaseESI_lENKUlvE_clEvENKUlvE2_clEvEUlS7_S7_E_S7_EEDaPvRmT3_T4_T5_mT6_P12ihipStream_tbENKUlT_T0_E_clISt17integral_constantIbLb1EESY_IbLb0EEEEDaSU_SV_EUlSU_E0_NS1_11comp_targetILNS1_3genE4ELNS1_11target_archE910ELNS1_3gpuE8ELNS1_3repE0EEENS1_30default_config_static_selectorELNS0_4arch9wavefront6targetE1EEEvT1_
    .private_segment_fixed_size: 0
    .sgpr_count:     50
    .sgpr_spill_count: 0
    .symbol:         _ZN7rocprim17ROCPRIM_400000_NS6detail17trampoline_kernelINS0_14default_configENS1_20scan_config_selectorIN3c107complexIfEEEEZZNS1_9scan_implILNS1_25lookback_scan_determinismE0ELb0ELb0ES3_PKS7_PS7_S7_ZZZN2at6native31launch_logcumsumexp_cuda_kernelERKNSE_10TensorBaseESI_lENKUlvE_clEvENKUlvE2_clEvEUlS7_S7_E_S7_EEDaPvRmT3_T4_T5_mT6_P12ihipStream_tbENKUlT_T0_E_clISt17integral_constantIbLb1EESY_IbLb0EEEEDaSU_SV_EUlSU_E0_NS1_11comp_targetILNS1_3genE4ELNS1_11target_archE910ELNS1_3gpuE8ELNS1_3repE0EEENS1_30default_config_static_selectorELNS0_4arch9wavefront6targetE1EEEvT1_.kd
    .uniform_work_group_size: 1
    .uses_dynamic_stack: false
    .vgpr_count:     61
    .vgpr_spill_count: 0
    .wavefront_size: 64
  - .agpr_count:     0
    .args:
      - .offset:         0
        .size:           40
        .value_kind:     by_value
    .group_segment_fixed_size: 0
    .kernarg_segment_align: 8
    .kernarg_segment_size: 40
    .language:       OpenCL C
    .language_version:
      - 2
      - 0
    .max_flat_workgroup_size: 256
    .name:           _ZN7rocprim17ROCPRIM_400000_NS6detail17trampoline_kernelINS0_14default_configENS1_20scan_config_selectorIN3c107complexIfEEEEZZNS1_9scan_implILNS1_25lookback_scan_determinismE0ELb0ELb0ES3_PKS7_PS7_S7_ZZZN2at6native31launch_logcumsumexp_cuda_kernelERKNSE_10TensorBaseESI_lENKUlvE_clEvENKUlvE2_clEvEUlS7_S7_E_S7_EEDaPvRmT3_T4_T5_mT6_P12ihipStream_tbENKUlT_T0_E_clISt17integral_constantIbLb1EESY_IbLb0EEEEDaSU_SV_EUlSU_E0_NS1_11comp_targetILNS1_3genE3ELNS1_11target_archE908ELNS1_3gpuE7ELNS1_3repE0EEENS1_30default_config_static_selectorELNS0_4arch9wavefront6targetE1EEEvT1_
    .private_segment_fixed_size: 0
    .sgpr_count:     4
    .sgpr_spill_count: 0
    .symbol:         _ZN7rocprim17ROCPRIM_400000_NS6detail17trampoline_kernelINS0_14default_configENS1_20scan_config_selectorIN3c107complexIfEEEEZZNS1_9scan_implILNS1_25lookback_scan_determinismE0ELb0ELb0ES3_PKS7_PS7_S7_ZZZN2at6native31launch_logcumsumexp_cuda_kernelERKNSE_10TensorBaseESI_lENKUlvE_clEvENKUlvE2_clEvEUlS7_S7_E_S7_EEDaPvRmT3_T4_T5_mT6_P12ihipStream_tbENKUlT_T0_E_clISt17integral_constantIbLb1EESY_IbLb0EEEEDaSU_SV_EUlSU_E0_NS1_11comp_targetILNS1_3genE3ELNS1_11target_archE908ELNS1_3gpuE7ELNS1_3repE0EEENS1_30default_config_static_selectorELNS0_4arch9wavefront6targetE1EEEvT1_.kd
    .uniform_work_group_size: 1
    .uses_dynamic_stack: false
    .vgpr_count:     0
    .vgpr_spill_count: 0
    .wavefront_size: 64
  - .agpr_count:     0
    .args:
      - .offset:         0
        .size:           40
        .value_kind:     by_value
    .group_segment_fixed_size: 0
    .kernarg_segment_align: 8
    .kernarg_segment_size: 40
    .language:       OpenCL C
    .language_version:
      - 2
      - 0
    .max_flat_workgroup_size: 64
    .name:           _ZN7rocprim17ROCPRIM_400000_NS6detail17trampoline_kernelINS0_14default_configENS1_20scan_config_selectorIN3c107complexIfEEEEZZNS1_9scan_implILNS1_25lookback_scan_determinismE0ELb0ELb0ES3_PKS7_PS7_S7_ZZZN2at6native31launch_logcumsumexp_cuda_kernelERKNSE_10TensorBaseESI_lENKUlvE_clEvENKUlvE2_clEvEUlS7_S7_E_S7_EEDaPvRmT3_T4_T5_mT6_P12ihipStream_tbENKUlT_T0_E_clISt17integral_constantIbLb1EESY_IbLb0EEEEDaSU_SV_EUlSU_E0_NS1_11comp_targetILNS1_3genE2ELNS1_11target_archE906ELNS1_3gpuE6ELNS1_3repE0EEENS1_30default_config_static_selectorELNS0_4arch9wavefront6targetE1EEEvT1_
    .private_segment_fixed_size: 0
    .sgpr_count:     4
    .sgpr_spill_count: 0
    .symbol:         _ZN7rocprim17ROCPRIM_400000_NS6detail17trampoline_kernelINS0_14default_configENS1_20scan_config_selectorIN3c107complexIfEEEEZZNS1_9scan_implILNS1_25lookback_scan_determinismE0ELb0ELb0ES3_PKS7_PS7_S7_ZZZN2at6native31launch_logcumsumexp_cuda_kernelERKNSE_10TensorBaseESI_lENKUlvE_clEvENKUlvE2_clEvEUlS7_S7_E_S7_EEDaPvRmT3_T4_T5_mT6_P12ihipStream_tbENKUlT_T0_E_clISt17integral_constantIbLb1EESY_IbLb0EEEEDaSU_SV_EUlSU_E0_NS1_11comp_targetILNS1_3genE2ELNS1_11target_archE906ELNS1_3gpuE6ELNS1_3repE0EEENS1_30default_config_static_selectorELNS0_4arch9wavefront6targetE1EEEvT1_.kd
    .uniform_work_group_size: 1
    .uses_dynamic_stack: false
    .vgpr_count:     0
    .vgpr_spill_count: 0
    .wavefront_size: 64
  - .agpr_count:     0
    .args:
      - .offset:         0
        .size:           40
        .value_kind:     by_value
    .group_segment_fixed_size: 0
    .kernarg_segment_align: 8
    .kernarg_segment_size: 40
    .language:       OpenCL C
    .language_version:
      - 2
      - 0
    .max_flat_workgroup_size: 256
    .name:           _ZN7rocprim17ROCPRIM_400000_NS6detail17trampoline_kernelINS0_14default_configENS1_20scan_config_selectorIN3c107complexIfEEEEZZNS1_9scan_implILNS1_25lookback_scan_determinismE0ELb0ELb0ES3_PKS7_PS7_S7_ZZZN2at6native31launch_logcumsumexp_cuda_kernelERKNSE_10TensorBaseESI_lENKUlvE_clEvENKUlvE2_clEvEUlS7_S7_E_S7_EEDaPvRmT3_T4_T5_mT6_P12ihipStream_tbENKUlT_T0_E_clISt17integral_constantIbLb1EESY_IbLb0EEEEDaSU_SV_EUlSU_E0_NS1_11comp_targetILNS1_3genE10ELNS1_11target_archE1201ELNS1_3gpuE5ELNS1_3repE0EEENS1_30default_config_static_selectorELNS0_4arch9wavefront6targetE1EEEvT1_
    .private_segment_fixed_size: 0
    .sgpr_count:     4
    .sgpr_spill_count: 0
    .symbol:         _ZN7rocprim17ROCPRIM_400000_NS6detail17trampoline_kernelINS0_14default_configENS1_20scan_config_selectorIN3c107complexIfEEEEZZNS1_9scan_implILNS1_25lookback_scan_determinismE0ELb0ELb0ES3_PKS7_PS7_S7_ZZZN2at6native31launch_logcumsumexp_cuda_kernelERKNSE_10TensorBaseESI_lENKUlvE_clEvENKUlvE2_clEvEUlS7_S7_E_S7_EEDaPvRmT3_T4_T5_mT6_P12ihipStream_tbENKUlT_T0_E_clISt17integral_constantIbLb1EESY_IbLb0EEEEDaSU_SV_EUlSU_E0_NS1_11comp_targetILNS1_3genE10ELNS1_11target_archE1201ELNS1_3gpuE5ELNS1_3repE0EEENS1_30default_config_static_selectorELNS0_4arch9wavefront6targetE1EEEvT1_.kd
    .uniform_work_group_size: 1
    .uses_dynamic_stack: false
    .vgpr_count:     0
    .vgpr_spill_count: 0
    .wavefront_size: 64
  - .agpr_count:     0
    .args:
      - .offset:         0
        .size:           40
        .value_kind:     by_value
    .group_segment_fixed_size: 0
    .kernarg_segment_align: 8
    .kernarg_segment_size: 40
    .language:       OpenCL C
    .language_version:
      - 2
      - 0
    .max_flat_workgroup_size: 256
    .name:           _ZN7rocprim17ROCPRIM_400000_NS6detail17trampoline_kernelINS0_14default_configENS1_20scan_config_selectorIN3c107complexIfEEEEZZNS1_9scan_implILNS1_25lookback_scan_determinismE0ELb0ELb0ES3_PKS7_PS7_S7_ZZZN2at6native31launch_logcumsumexp_cuda_kernelERKNSE_10TensorBaseESI_lENKUlvE_clEvENKUlvE2_clEvEUlS7_S7_E_S7_EEDaPvRmT3_T4_T5_mT6_P12ihipStream_tbENKUlT_T0_E_clISt17integral_constantIbLb1EESY_IbLb0EEEEDaSU_SV_EUlSU_E0_NS1_11comp_targetILNS1_3genE10ELNS1_11target_archE1200ELNS1_3gpuE4ELNS1_3repE0EEENS1_30default_config_static_selectorELNS0_4arch9wavefront6targetE1EEEvT1_
    .private_segment_fixed_size: 0
    .sgpr_count:     4
    .sgpr_spill_count: 0
    .symbol:         _ZN7rocprim17ROCPRIM_400000_NS6detail17trampoline_kernelINS0_14default_configENS1_20scan_config_selectorIN3c107complexIfEEEEZZNS1_9scan_implILNS1_25lookback_scan_determinismE0ELb0ELb0ES3_PKS7_PS7_S7_ZZZN2at6native31launch_logcumsumexp_cuda_kernelERKNSE_10TensorBaseESI_lENKUlvE_clEvENKUlvE2_clEvEUlS7_S7_E_S7_EEDaPvRmT3_T4_T5_mT6_P12ihipStream_tbENKUlT_T0_E_clISt17integral_constantIbLb1EESY_IbLb0EEEEDaSU_SV_EUlSU_E0_NS1_11comp_targetILNS1_3genE10ELNS1_11target_archE1200ELNS1_3gpuE4ELNS1_3repE0EEENS1_30default_config_static_selectorELNS0_4arch9wavefront6targetE1EEEvT1_.kd
    .uniform_work_group_size: 1
    .uses_dynamic_stack: false
    .vgpr_count:     0
    .vgpr_spill_count: 0
    .wavefront_size: 64
  - .agpr_count:     0
    .args:
      - .offset:         0
        .size:           40
        .value_kind:     by_value
    .group_segment_fixed_size: 0
    .kernarg_segment_align: 8
    .kernarg_segment_size: 40
    .language:       OpenCL C
    .language_version:
      - 2
      - 0
    .max_flat_workgroup_size: 256
    .name:           _ZN7rocprim17ROCPRIM_400000_NS6detail17trampoline_kernelINS0_14default_configENS1_20scan_config_selectorIN3c107complexIfEEEEZZNS1_9scan_implILNS1_25lookback_scan_determinismE0ELb0ELb0ES3_PKS7_PS7_S7_ZZZN2at6native31launch_logcumsumexp_cuda_kernelERKNSE_10TensorBaseESI_lENKUlvE_clEvENKUlvE2_clEvEUlS7_S7_E_S7_EEDaPvRmT3_T4_T5_mT6_P12ihipStream_tbENKUlT_T0_E_clISt17integral_constantIbLb1EESY_IbLb0EEEEDaSU_SV_EUlSU_E0_NS1_11comp_targetILNS1_3genE9ELNS1_11target_archE1100ELNS1_3gpuE3ELNS1_3repE0EEENS1_30default_config_static_selectorELNS0_4arch9wavefront6targetE1EEEvT1_
    .private_segment_fixed_size: 0
    .sgpr_count:     4
    .sgpr_spill_count: 0
    .symbol:         _ZN7rocprim17ROCPRIM_400000_NS6detail17trampoline_kernelINS0_14default_configENS1_20scan_config_selectorIN3c107complexIfEEEEZZNS1_9scan_implILNS1_25lookback_scan_determinismE0ELb0ELb0ES3_PKS7_PS7_S7_ZZZN2at6native31launch_logcumsumexp_cuda_kernelERKNSE_10TensorBaseESI_lENKUlvE_clEvENKUlvE2_clEvEUlS7_S7_E_S7_EEDaPvRmT3_T4_T5_mT6_P12ihipStream_tbENKUlT_T0_E_clISt17integral_constantIbLb1EESY_IbLb0EEEEDaSU_SV_EUlSU_E0_NS1_11comp_targetILNS1_3genE9ELNS1_11target_archE1100ELNS1_3gpuE3ELNS1_3repE0EEENS1_30default_config_static_selectorELNS0_4arch9wavefront6targetE1EEEvT1_.kd
    .uniform_work_group_size: 1
    .uses_dynamic_stack: false
    .vgpr_count:     0
    .vgpr_spill_count: 0
    .wavefront_size: 64
  - .agpr_count:     0
    .args:
      - .offset:         0
        .size:           40
        .value_kind:     by_value
    .group_segment_fixed_size: 0
    .kernarg_segment_align: 8
    .kernarg_segment_size: 40
    .language:       OpenCL C
    .language_version:
      - 2
      - 0
    .max_flat_workgroup_size: 256
    .name:           _ZN7rocprim17ROCPRIM_400000_NS6detail17trampoline_kernelINS0_14default_configENS1_20scan_config_selectorIN3c107complexIfEEEEZZNS1_9scan_implILNS1_25lookback_scan_determinismE0ELb0ELb0ES3_PKS7_PS7_S7_ZZZN2at6native31launch_logcumsumexp_cuda_kernelERKNSE_10TensorBaseESI_lENKUlvE_clEvENKUlvE2_clEvEUlS7_S7_E_S7_EEDaPvRmT3_T4_T5_mT6_P12ihipStream_tbENKUlT_T0_E_clISt17integral_constantIbLb1EESY_IbLb0EEEEDaSU_SV_EUlSU_E0_NS1_11comp_targetILNS1_3genE8ELNS1_11target_archE1030ELNS1_3gpuE2ELNS1_3repE0EEENS1_30default_config_static_selectorELNS0_4arch9wavefront6targetE1EEEvT1_
    .private_segment_fixed_size: 0
    .sgpr_count:     4
    .sgpr_spill_count: 0
    .symbol:         _ZN7rocprim17ROCPRIM_400000_NS6detail17trampoline_kernelINS0_14default_configENS1_20scan_config_selectorIN3c107complexIfEEEEZZNS1_9scan_implILNS1_25lookback_scan_determinismE0ELb0ELb0ES3_PKS7_PS7_S7_ZZZN2at6native31launch_logcumsumexp_cuda_kernelERKNSE_10TensorBaseESI_lENKUlvE_clEvENKUlvE2_clEvEUlS7_S7_E_S7_EEDaPvRmT3_T4_T5_mT6_P12ihipStream_tbENKUlT_T0_E_clISt17integral_constantIbLb1EESY_IbLb0EEEEDaSU_SV_EUlSU_E0_NS1_11comp_targetILNS1_3genE8ELNS1_11target_archE1030ELNS1_3gpuE2ELNS1_3repE0EEENS1_30default_config_static_selectorELNS0_4arch9wavefront6targetE1EEEvT1_.kd
    .uniform_work_group_size: 1
    .uses_dynamic_stack: false
    .vgpr_count:     0
    .vgpr_spill_count: 0
    .wavefront_size: 64
  - .agpr_count:     0
    .args:
      - .address_space:  global
        .offset:         0
        .size:           8
        .value_kind:     global_buffer
      - .offset:         8
        .size:           4
        .value_kind:     by_value
      - .address_space:  global
        .offset:         16
        .size:           8
        .value_kind:     global_buffer
      - .offset:         24
        .size:           4
        .value_kind:     by_value
      - .address_space:  global
        .offset:         32
        .size:           8
        .value_kind:     global_buffer
      - .offset:         40
        .size:           4
        .value_kind:     hidden_block_count_x
      - .offset:         44
        .size:           4
        .value_kind:     hidden_block_count_y
      - .offset:         48
        .size:           4
        .value_kind:     hidden_block_count_z
      - .offset:         52
        .size:           2
        .value_kind:     hidden_group_size_x
      - .offset:         54
        .size:           2
        .value_kind:     hidden_group_size_y
      - .offset:         56
        .size:           2
        .value_kind:     hidden_group_size_z
      - .offset:         58
        .size:           2
        .value_kind:     hidden_remainder_x
      - .offset:         60
        .size:           2
        .value_kind:     hidden_remainder_y
      - .offset:         62
        .size:           2
        .value_kind:     hidden_remainder_z
      - .offset:         80
        .size:           8
        .value_kind:     hidden_global_offset_x
      - .offset:         88
        .size:           8
        .value_kind:     hidden_global_offset_y
      - .offset:         96
        .size:           8
        .value_kind:     hidden_global_offset_z
      - .offset:         104
        .size:           2
        .value_kind:     hidden_grid_dims
    .group_segment_fixed_size: 0
    .kernarg_segment_align: 8
    .kernarg_segment_size: 296
    .language:       OpenCL C
    .language_version:
      - 2
      - 0
    .max_flat_workgroup_size: 256
    .name:           _ZN7rocprim17ROCPRIM_400000_NS6detail31init_lookback_scan_state_kernelINS1_19lookback_scan_stateIN3c107complexIfEELb0ELb1EEENS1_16block_id_wrapperIjLb1EEEEEvT_jT0_jPNSA_10value_typeE
    .private_segment_fixed_size: 0
    .sgpr_count:     19
    .sgpr_spill_count: 0
    .symbol:         _ZN7rocprim17ROCPRIM_400000_NS6detail31init_lookback_scan_state_kernelINS1_19lookback_scan_stateIN3c107complexIfEELb0ELb1EEENS1_16block_id_wrapperIjLb1EEEEEvT_jT0_jPNSA_10value_typeE.kd
    .uniform_work_group_size: 1
    .uses_dynamic_stack: false
    .vgpr_count:     10
    .vgpr_spill_count: 0
    .wavefront_size: 64
  - .agpr_count:     0
    .args:
      - .offset:         0
        .size:           104
        .value_kind:     by_value
    .group_segment_fixed_size: 0
    .kernarg_segment_align: 8
    .kernarg_segment_size: 104
    .language:       OpenCL C
    .language_version:
      - 2
      - 0
    .max_flat_workgroup_size: 256
    .name:           _ZN7rocprim17ROCPRIM_400000_NS6detail17trampoline_kernelINS0_14default_configENS1_20scan_config_selectorIN3c107complexIfEEEEZZNS1_9scan_implILNS1_25lookback_scan_determinismE0ELb0ELb0ES3_PKS7_PS7_S7_ZZZN2at6native31launch_logcumsumexp_cuda_kernelERKNSE_10TensorBaseESI_lENKUlvE_clEvENKUlvE2_clEvEUlS7_S7_E_S7_EEDaPvRmT3_T4_T5_mT6_P12ihipStream_tbENKUlT_T0_E_clISt17integral_constantIbLb0EESY_IbLb1EEEEDaSU_SV_EUlSU_E_NS1_11comp_targetILNS1_3genE0ELNS1_11target_archE4294967295ELNS1_3gpuE0ELNS1_3repE0EEENS1_30default_config_static_selectorELNS0_4arch9wavefront6targetE1EEEvT1_
    .private_segment_fixed_size: 0
    .sgpr_count:     4
    .sgpr_spill_count: 0
    .symbol:         _ZN7rocprim17ROCPRIM_400000_NS6detail17trampoline_kernelINS0_14default_configENS1_20scan_config_selectorIN3c107complexIfEEEEZZNS1_9scan_implILNS1_25lookback_scan_determinismE0ELb0ELb0ES3_PKS7_PS7_S7_ZZZN2at6native31launch_logcumsumexp_cuda_kernelERKNSE_10TensorBaseESI_lENKUlvE_clEvENKUlvE2_clEvEUlS7_S7_E_S7_EEDaPvRmT3_T4_T5_mT6_P12ihipStream_tbENKUlT_T0_E_clISt17integral_constantIbLb0EESY_IbLb1EEEEDaSU_SV_EUlSU_E_NS1_11comp_targetILNS1_3genE0ELNS1_11target_archE4294967295ELNS1_3gpuE0ELNS1_3repE0EEENS1_30default_config_static_selectorELNS0_4arch9wavefront6targetE1EEEvT1_.kd
    .uniform_work_group_size: 1
    .uses_dynamic_stack: false
    .vgpr_count:     0
    .vgpr_spill_count: 0
    .wavefront_size: 64
  - .agpr_count:     0
    .args:
      - .offset:         0
        .size:           104
        .value_kind:     by_value
    .group_segment_fixed_size: 0
    .kernarg_segment_align: 8
    .kernarg_segment_size: 104
    .language:       OpenCL C
    .language_version:
      - 2
      - 0
    .max_flat_workgroup_size: 256
    .name:           _ZN7rocprim17ROCPRIM_400000_NS6detail17trampoline_kernelINS0_14default_configENS1_20scan_config_selectorIN3c107complexIfEEEEZZNS1_9scan_implILNS1_25lookback_scan_determinismE0ELb0ELb0ES3_PKS7_PS7_S7_ZZZN2at6native31launch_logcumsumexp_cuda_kernelERKNSE_10TensorBaseESI_lENKUlvE_clEvENKUlvE2_clEvEUlS7_S7_E_S7_EEDaPvRmT3_T4_T5_mT6_P12ihipStream_tbENKUlT_T0_E_clISt17integral_constantIbLb0EESY_IbLb1EEEEDaSU_SV_EUlSU_E_NS1_11comp_targetILNS1_3genE5ELNS1_11target_archE942ELNS1_3gpuE9ELNS1_3repE0EEENS1_30default_config_static_selectorELNS0_4arch9wavefront6targetE1EEEvT1_
    .private_segment_fixed_size: 0
    .sgpr_count:     4
    .sgpr_spill_count: 0
    .symbol:         _ZN7rocprim17ROCPRIM_400000_NS6detail17trampoline_kernelINS0_14default_configENS1_20scan_config_selectorIN3c107complexIfEEEEZZNS1_9scan_implILNS1_25lookback_scan_determinismE0ELb0ELb0ES3_PKS7_PS7_S7_ZZZN2at6native31launch_logcumsumexp_cuda_kernelERKNSE_10TensorBaseESI_lENKUlvE_clEvENKUlvE2_clEvEUlS7_S7_E_S7_EEDaPvRmT3_T4_T5_mT6_P12ihipStream_tbENKUlT_T0_E_clISt17integral_constantIbLb0EESY_IbLb1EEEEDaSU_SV_EUlSU_E_NS1_11comp_targetILNS1_3genE5ELNS1_11target_archE942ELNS1_3gpuE9ELNS1_3repE0EEENS1_30default_config_static_selectorELNS0_4arch9wavefront6targetE1EEEvT1_.kd
    .uniform_work_group_size: 1
    .uses_dynamic_stack: false
    .vgpr_count:     0
    .vgpr_spill_count: 0
    .wavefront_size: 64
  - .agpr_count:     0
    .args:
      - .offset:         0
        .size:           104
        .value_kind:     by_value
    .group_segment_fixed_size: 7168
    .kernarg_segment_align: 8
    .kernarg_segment_size: 104
    .language:       OpenCL C
    .language_version:
      - 2
      - 0
    .max_flat_workgroup_size: 128
    .name:           _ZN7rocprim17ROCPRIM_400000_NS6detail17trampoline_kernelINS0_14default_configENS1_20scan_config_selectorIN3c107complexIfEEEEZZNS1_9scan_implILNS1_25lookback_scan_determinismE0ELb0ELb0ES3_PKS7_PS7_S7_ZZZN2at6native31launch_logcumsumexp_cuda_kernelERKNSE_10TensorBaseESI_lENKUlvE_clEvENKUlvE2_clEvEUlS7_S7_E_S7_EEDaPvRmT3_T4_T5_mT6_P12ihipStream_tbENKUlT_T0_E_clISt17integral_constantIbLb0EESY_IbLb1EEEEDaSU_SV_EUlSU_E_NS1_11comp_targetILNS1_3genE4ELNS1_11target_archE910ELNS1_3gpuE8ELNS1_3repE0EEENS1_30default_config_static_selectorELNS0_4arch9wavefront6targetE1EEEvT1_
    .private_segment_fixed_size: 0
    .sgpr_count:     69
    .sgpr_spill_count: 0
    .symbol:         _ZN7rocprim17ROCPRIM_400000_NS6detail17trampoline_kernelINS0_14default_configENS1_20scan_config_selectorIN3c107complexIfEEEEZZNS1_9scan_implILNS1_25lookback_scan_determinismE0ELb0ELb0ES3_PKS7_PS7_S7_ZZZN2at6native31launch_logcumsumexp_cuda_kernelERKNSE_10TensorBaseESI_lENKUlvE_clEvENKUlvE2_clEvEUlS7_S7_E_S7_EEDaPvRmT3_T4_T5_mT6_P12ihipStream_tbENKUlT_T0_E_clISt17integral_constantIbLb0EESY_IbLb1EEEEDaSU_SV_EUlSU_E_NS1_11comp_targetILNS1_3genE4ELNS1_11target_archE910ELNS1_3gpuE8ELNS1_3repE0EEENS1_30default_config_static_selectorELNS0_4arch9wavefront6targetE1EEEvT1_.kd
    .uniform_work_group_size: 1
    .uses_dynamic_stack: false
    .vgpr_count:     73
    .vgpr_spill_count: 0
    .wavefront_size: 64
  - .agpr_count:     0
    .args:
      - .offset:         0
        .size:           104
        .value_kind:     by_value
    .group_segment_fixed_size: 0
    .kernarg_segment_align: 8
    .kernarg_segment_size: 104
    .language:       OpenCL C
    .language_version:
      - 2
      - 0
    .max_flat_workgroup_size: 256
    .name:           _ZN7rocprim17ROCPRIM_400000_NS6detail17trampoline_kernelINS0_14default_configENS1_20scan_config_selectorIN3c107complexIfEEEEZZNS1_9scan_implILNS1_25lookback_scan_determinismE0ELb0ELb0ES3_PKS7_PS7_S7_ZZZN2at6native31launch_logcumsumexp_cuda_kernelERKNSE_10TensorBaseESI_lENKUlvE_clEvENKUlvE2_clEvEUlS7_S7_E_S7_EEDaPvRmT3_T4_T5_mT6_P12ihipStream_tbENKUlT_T0_E_clISt17integral_constantIbLb0EESY_IbLb1EEEEDaSU_SV_EUlSU_E_NS1_11comp_targetILNS1_3genE3ELNS1_11target_archE908ELNS1_3gpuE7ELNS1_3repE0EEENS1_30default_config_static_selectorELNS0_4arch9wavefront6targetE1EEEvT1_
    .private_segment_fixed_size: 0
    .sgpr_count:     4
    .sgpr_spill_count: 0
    .symbol:         _ZN7rocprim17ROCPRIM_400000_NS6detail17trampoline_kernelINS0_14default_configENS1_20scan_config_selectorIN3c107complexIfEEEEZZNS1_9scan_implILNS1_25lookback_scan_determinismE0ELb0ELb0ES3_PKS7_PS7_S7_ZZZN2at6native31launch_logcumsumexp_cuda_kernelERKNSE_10TensorBaseESI_lENKUlvE_clEvENKUlvE2_clEvEUlS7_S7_E_S7_EEDaPvRmT3_T4_T5_mT6_P12ihipStream_tbENKUlT_T0_E_clISt17integral_constantIbLb0EESY_IbLb1EEEEDaSU_SV_EUlSU_E_NS1_11comp_targetILNS1_3genE3ELNS1_11target_archE908ELNS1_3gpuE7ELNS1_3repE0EEENS1_30default_config_static_selectorELNS0_4arch9wavefront6targetE1EEEvT1_.kd
    .uniform_work_group_size: 1
    .uses_dynamic_stack: false
    .vgpr_count:     0
    .vgpr_spill_count: 0
    .wavefront_size: 64
  - .agpr_count:     0
    .args:
      - .offset:         0
        .size:           104
        .value_kind:     by_value
    .group_segment_fixed_size: 0
    .kernarg_segment_align: 8
    .kernarg_segment_size: 104
    .language:       OpenCL C
    .language_version:
      - 2
      - 0
    .max_flat_workgroup_size: 64
    .name:           _ZN7rocprim17ROCPRIM_400000_NS6detail17trampoline_kernelINS0_14default_configENS1_20scan_config_selectorIN3c107complexIfEEEEZZNS1_9scan_implILNS1_25lookback_scan_determinismE0ELb0ELb0ES3_PKS7_PS7_S7_ZZZN2at6native31launch_logcumsumexp_cuda_kernelERKNSE_10TensorBaseESI_lENKUlvE_clEvENKUlvE2_clEvEUlS7_S7_E_S7_EEDaPvRmT3_T4_T5_mT6_P12ihipStream_tbENKUlT_T0_E_clISt17integral_constantIbLb0EESY_IbLb1EEEEDaSU_SV_EUlSU_E_NS1_11comp_targetILNS1_3genE2ELNS1_11target_archE906ELNS1_3gpuE6ELNS1_3repE0EEENS1_30default_config_static_selectorELNS0_4arch9wavefront6targetE1EEEvT1_
    .private_segment_fixed_size: 0
    .sgpr_count:     4
    .sgpr_spill_count: 0
    .symbol:         _ZN7rocprim17ROCPRIM_400000_NS6detail17trampoline_kernelINS0_14default_configENS1_20scan_config_selectorIN3c107complexIfEEEEZZNS1_9scan_implILNS1_25lookback_scan_determinismE0ELb0ELb0ES3_PKS7_PS7_S7_ZZZN2at6native31launch_logcumsumexp_cuda_kernelERKNSE_10TensorBaseESI_lENKUlvE_clEvENKUlvE2_clEvEUlS7_S7_E_S7_EEDaPvRmT3_T4_T5_mT6_P12ihipStream_tbENKUlT_T0_E_clISt17integral_constantIbLb0EESY_IbLb1EEEEDaSU_SV_EUlSU_E_NS1_11comp_targetILNS1_3genE2ELNS1_11target_archE906ELNS1_3gpuE6ELNS1_3repE0EEENS1_30default_config_static_selectorELNS0_4arch9wavefront6targetE1EEEvT1_.kd
    .uniform_work_group_size: 1
    .uses_dynamic_stack: false
    .vgpr_count:     0
    .vgpr_spill_count: 0
    .wavefront_size: 64
  - .agpr_count:     0
    .args:
      - .offset:         0
        .size:           104
        .value_kind:     by_value
    .group_segment_fixed_size: 0
    .kernarg_segment_align: 8
    .kernarg_segment_size: 104
    .language:       OpenCL C
    .language_version:
      - 2
      - 0
    .max_flat_workgroup_size: 256
    .name:           _ZN7rocprim17ROCPRIM_400000_NS6detail17trampoline_kernelINS0_14default_configENS1_20scan_config_selectorIN3c107complexIfEEEEZZNS1_9scan_implILNS1_25lookback_scan_determinismE0ELb0ELb0ES3_PKS7_PS7_S7_ZZZN2at6native31launch_logcumsumexp_cuda_kernelERKNSE_10TensorBaseESI_lENKUlvE_clEvENKUlvE2_clEvEUlS7_S7_E_S7_EEDaPvRmT3_T4_T5_mT6_P12ihipStream_tbENKUlT_T0_E_clISt17integral_constantIbLb0EESY_IbLb1EEEEDaSU_SV_EUlSU_E_NS1_11comp_targetILNS1_3genE10ELNS1_11target_archE1201ELNS1_3gpuE5ELNS1_3repE0EEENS1_30default_config_static_selectorELNS0_4arch9wavefront6targetE1EEEvT1_
    .private_segment_fixed_size: 0
    .sgpr_count:     4
    .sgpr_spill_count: 0
    .symbol:         _ZN7rocprim17ROCPRIM_400000_NS6detail17trampoline_kernelINS0_14default_configENS1_20scan_config_selectorIN3c107complexIfEEEEZZNS1_9scan_implILNS1_25lookback_scan_determinismE0ELb0ELb0ES3_PKS7_PS7_S7_ZZZN2at6native31launch_logcumsumexp_cuda_kernelERKNSE_10TensorBaseESI_lENKUlvE_clEvENKUlvE2_clEvEUlS7_S7_E_S7_EEDaPvRmT3_T4_T5_mT6_P12ihipStream_tbENKUlT_T0_E_clISt17integral_constantIbLb0EESY_IbLb1EEEEDaSU_SV_EUlSU_E_NS1_11comp_targetILNS1_3genE10ELNS1_11target_archE1201ELNS1_3gpuE5ELNS1_3repE0EEENS1_30default_config_static_selectorELNS0_4arch9wavefront6targetE1EEEvT1_.kd
    .uniform_work_group_size: 1
    .uses_dynamic_stack: false
    .vgpr_count:     0
    .vgpr_spill_count: 0
    .wavefront_size: 64
  - .agpr_count:     0
    .args:
      - .offset:         0
        .size:           104
        .value_kind:     by_value
    .group_segment_fixed_size: 0
    .kernarg_segment_align: 8
    .kernarg_segment_size: 104
    .language:       OpenCL C
    .language_version:
      - 2
      - 0
    .max_flat_workgroup_size: 256
    .name:           _ZN7rocprim17ROCPRIM_400000_NS6detail17trampoline_kernelINS0_14default_configENS1_20scan_config_selectorIN3c107complexIfEEEEZZNS1_9scan_implILNS1_25lookback_scan_determinismE0ELb0ELb0ES3_PKS7_PS7_S7_ZZZN2at6native31launch_logcumsumexp_cuda_kernelERKNSE_10TensorBaseESI_lENKUlvE_clEvENKUlvE2_clEvEUlS7_S7_E_S7_EEDaPvRmT3_T4_T5_mT6_P12ihipStream_tbENKUlT_T0_E_clISt17integral_constantIbLb0EESY_IbLb1EEEEDaSU_SV_EUlSU_E_NS1_11comp_targetILNS1_3genE10ELNS1_11target_archE1200ELNS1_3gpuE4ELNS1_3repE0EEENS1_30default_config_static_selectorELNS0_4arch9wavefront6targetE1EEEvT1_
    .private_segment_fixed_size: 0
    .sgpr_count:     4
    .sgpr_spill_count: 0
    .symbol:         _ZN7rocprim17ROCPRIM_400000_NS6detail17trampoline_kernelINS0_14default_configENS1_20scan_config_selectorIN3c107complexIfEEEEZZNS1_9scan_implILNS1_25lookback_scan_determinismE0ELb0ELb0ES3_PKS7_PS7_S7_ZZZN2at6native31launch_logcumsumexp_cuda_kernelERKNSE_10TensorBaseESI_lENKUlvE_clEvENKUlvE2_clEvEUlS7_S7_E_S7_EEDaPvRmT3_T4_T5_mT6_P12ihipStream_tbENKUlT_T0_E_clISt17integral_constantIbLb0EESY_IbLb1EEEEDaSU_SV_EUlSU_E_NS1_11comp_targetILNS1_3genE10ELNS1_11target_archE1200ELNS1_3gpuE4ELNS1_3repE0EEENS1_30default_config_static_selectorELNS0_4arch9wavefront6targetE1EEEvT1_.kd
    .uniform_work_group_size: 1
    .uses_dynamic_stack: false
    .vgpr_count:     0
    .vgpr_spill_count: 0
    .wavefront_size: 64
  - .agpr_count:     0
    .args:
      - .offset:         0
        .size:           104
        .value_kind:     by_value
    .group_segment_fixed_size: 0
    .kernarg_segment_align: 8
    .kernarg_segment_size: 104
    .language:       OpenCL C
    .language_version:
      - 2
      - 0
    .max_flat_workgroup_size: 256
    .name:           _ZN7rocprim17ROCPRIM_400000_NS6detail17trampoline_kernelINS0_14default_configENS1_20scan_config_selectorIN3c107complexIfEEEEZZNS1_9scan_implILNS1_25lookback_scan_determinismE0ELb0ELb0ES3_PKS7_PS7_S7_ZZZN2at6native31launch_logcumsumexp_cuda_kernelERKNSE_10TensorBaseESI_lENKUlvE_clEvENKUlvE2_clEvEUlS7_S7_E_S7_EEDaPvRmT3_T4_T5_mT6_P12ihipStream_tbENKUlT_T0_E_clISt17integral_constantIbLb0EESY_IbLb1EEEEDaSU_SV_EUlSU_E_NS1_11comp_targetILNS1_3genE9ELNS1_11target_archE1100ELNS1_3gpuE3ELNS1_3repE0EEENS1_30default_config_static_selectorELNS0_4arch9wavefront6targetE1EEEvT1_
    .private_segment_fixed_size: 0
    .sgpr_count:     4
    .sgpr_spill_count: 0
    .symbol:         _ZN7rocprim17ROCPRIM_400000_NS6detail17trampoline_kernelINS0_14default_configENS1_20scan_config_selectorIN3c107complexIfEEEEZZNS1_9scan_implILNS1_25lookback_scan_determinismE0ELb0ELb0ES3_PKS7_PS7_S7_ZZZN2at6native31launch_logcumsumexp_cuda_kernelERKNSE_10TensorBaseESI_lENKUlvE_clEvENKUlvE2_clEvEUlS7_S7_E_S7_EEDaPvRmT3_T4_T5_mT6_P12ihipStream_tbENKUlT_T0_E_clISt17integral_constantIbLb0EESY_IbLb1EEEEDaSU_SV_EUlSU_E_NS1_11comp_targetILNS1_3genE9ELNS1_11target_archE1100ELNS1_3gpuE3ELNS1_3repE0EEENS1_30default_config_static_selectorELNS0_4arch9wavefront6targetE1EEEvT1_.kd
    .uniform_work_group_size: 1
    .uses_dynamic_stack: false
    .vgpr_count:     0
    .vgpr_spill_count: 0
    .wavefront_size: 64
  - .agpr_count:     0
    .args:
      - .offset:         0
        .size:           104
        .value_kind:     by_value
    .group_segment_fixed_size: 0
    .kernarg_segment_align: 8
    .kernarg_segment_size: 104
    .language:       OpenCL C
    .language_version:
      - 2
      - 0
    .max_flat_workgroup_size: 256
    .name:           _ZN7rocprim17ROCPRIM_400000_NS6detail17trampoline_kernelINS0_14default_configENS1_20scan_config_selectorIN3c107complexIfEEEEZZNS1_9scan_implILNS1_25lookback_scan_determinismE0ELb0ELb0ES3_PKS7_PS7_S7_ZZZN2at6native31launch_logcumsumexp_cuda_kernelERKNSE_10TensorBaseESI_lENKUlvE_clEvENKUlvE2_clEvEUlS7_S7_E_S7_EEDaPvRmT3_T4_T5_mT6_P12ihipStream_tbENKUlT_T0_E_clISt17integral_constantIbLb0EESY_IbLb1EEEEDaSU_SV_EUlSU_E_NS1_11comp_targetILNS1_3genE8ELNS1_11target_archE1030ELNS1_3gpuE2ELNS1_3repE0EEENS1_30default_config_static_selectorELNS0_4arch9wavefront6targetE1EEEvT1_
    .private_segment_fixed_size: 0
    .sgpr_count:     4
    .sgpr_spill_count: 0
    .symbol:         _ZN7rocprim17ROCPRIM_400000_NS6detail17trampoline_kernelINS0_14default_configENS1_20scan_config_selectorIN3c107complexIfEEEEZZNS1_9scan_implILNS1_25lookback_scan_determinismE0ELb0ELb0ES3_PKS7_PS7_S7_ZZZN2at6native31launch_logcumsumexp_cuda_kernelERKNSE_10TensorBaseESI_lENKUlvE_clEvENKUlvE2_clEvEUlS7_S7_E_S7_EEDaPvRmT3_T4_T5_mT6_P12ihipStream_tbENKUlT_T0_E_clISt17integral_constantIbLb0EESY_IbLb1EEEEDaSU_SV_EUlSU_E_NS1_11comp_targetILNS1_3genE8ELNS1_11target_archE1030ELNS1_3gpuE2ELNS1_3repE0EEENS1_30default_config_static_selectorELNS0_4arch9wavefront6targetE1EEEvT1_.kd
    .uniform_work_group_size: 1
    .uses_dynamic_stack: false
    .vgpr_count:     0
    .vgpr_spill_count: 0
    .wavefront_size: 64
  - .agpr_count:     0
    .args:
      - .offset:         0
        .size:           40
        .value_kind:     by_value
    .group_segment_fixed_size: 0
    .kernarg_segment_align: 8
    .kernarg_segment_size: 40
    .language:       OpenCL C
    .language_version:
      - 2
      - 0
    .max_flat_workgroup_size: 256
    .name:           _ZN7rocprim17ROCPRIM_400000_NS6detail17trampoline_kernelINS0_14default_configENS1_20scan_config_selectorIN3c107complexIfEEEEZZNS1_9scan_implILNS1_25lookback_scan_determinismE0ELb0ELb0ES3_PKS7_PS7_S7_ZZZN2at6native31launch_logcumsumexp_cuda_kernelERKNSE_10TensorBaseESI_lENKUlvE_clEvENKUlvE2_clEvEUlS7_S7_E_S7_EEDaPvRmT3_T4_T5_mT6_P12ihipStream_tbENKUlT_T0_E_clISt17integral_constantIbLb0EESY_IbLb1EEEEDaSU_SV_EUlSU_E0_NS1_11comp_targetILNS1_3genE0ELNS1_11target_archE4294967295ELNS1_3gpuE0ELNS1_3repE0EEENS1_30default_config_static_selectorELNS0_4arch9wavefront6targetE1EEEvT1_
    .private_segment_fixed_size: 0
    .sgpr_count:     4
    .sgpr_spill_count: 0
    .symbol:         _ZN7rocprim17ROCPRIM_400000_NS6detail17trampoline_kernelINS0_14default_configENS1_20scan_config_selectorIN3c107complexIfEEEEZZNS1_9scan_implILNS1_25lookback_scan_determinismE0ELb0ELb0ES3_PKS7_PS7_S7_ZZZN2at6native31launch_logcumsumexp_cuda_kernelERKNSE_10TensorBaseESI_lENKUlvE_clEvENKUlvE2_clEvEUlS7_S7_E_S7_EEDaPvRmT3_T4_T5_mT6_P12ihipStream_tbENKUlT_T0_E_clISt17integral_constantIbLb0EESY_IbLb1EEEEDaSU_SV_EUlSU_E0_NS1_11comp_targetILNS1_3genE0ELNS1_11target_archE4294967295ELNS1_3gpuE0ELNS1_3repE0EEENS1_30default_config_static_selectorELNS0_4arch9wavefront6targetE1EEEvT1_.kd
    .uniform_work_group_size: 1
    .uses_dynamic_stack: false
    .vgpr_count:     0
    .vgpr_spill_count: 0
    .wavefront_size: 64
  - .agpr_count:     0
    .args:
      - .offset:         0
        .size:           40
        .value_kind:     by_value
    .group_segment_fixed_size: 0
    .kernarg_segment_align: 8
    .kernarg_segment_size: 40
    .language:       OpenCL C
    .language_version:
      - 2
      - 0
    .max_flat_workgroup_size: 256
    .name:           _ZN7rocprim17ROCPRIM_400000_NS6detail17trampoline_kernelINS0_14default_configENS1_20scan_config_selectorIN3c107complexIfEEEEZZNS1_9scan_implILNS1_25lookback_scan_determinismE0ELb0ELb0ES3_PKS7_PS7_S7_ZZZN2at6native31launch_logcumsumexp_cuda_kernelERKNSE_10TensorBaseESI_lENKUlvE_clEvENKUlvE2_clEvEUlS7_S7_E_S7_EEDaPvRmT3_T4_T5_mT6_P12ihipStream_tbENKUlT_T0_E_clISt17integral_constantIbLb0EESY_IbLb1EEEEDaSU_SV_EUlSU_E0_NS1_11comp_targetILNS1_3genE5ELNS1_11target_archE942ELNS1_3gpuE9ELNS1_3repE0EEENS1_30default_config_static_selectorELNS0_4arch9wavefront6targetE1EEEvT1_
    .private_segment_fixed_size: 0
    .sgpr_count:     4
    .sgpr_spill_count: 0
    .symbol:         _ZN7rocprim17ROCPRIM_400000_NS6detail17trampoline_kernelINS0_14default_configENS1_20scan_config_selectorIN3c107complexIfEEEEZZNS1_9scan_implILNS1_25lookback_scan_determinismE0ELb0ELb0ES3_PKS7_PS7_S7_ZZZN2at6native31launch_logcumsumexp_cuda_kernelERKNSE_10TensorBaseESI_lENKUlvE_clEvENKUlvE2_clEvEUlS7_S7_E_S7_EEDaPvRmT3_T4_T5_mT6_P12ihipStream_tbENKUlT_T0_E_clISt17integral_constantIbLb0EESY_IbLb1EEEEDaSU_SV_EUlSU_E0_NS1_11comp_targetILNS1_3genE5ELNS1_11target_archE942ELNS1_3gpuE9ELNS1_3repE0EEENS1_30default_config_static_selectorELNS0_4arch9wavefront6targetE1EEEvT1_.kd
    .uniform_work_group_size: 1
    .uses_dynamic_stack: false
    .vgpr_count:     0
    .vgpr_spill_count: 0
    .wavefront_size: 64
  - .agpr_count:     0
    .args:
      - .offset:         0
        .size:           40
        .value_kind:     by_value
    .group_segment_fixed_size: 7168
    .kernarg_segment_align: 8
    .kernarg_segment_size: 40
    .language:       OpenCL C
    .language_version:
      - 2
      - 0
    .max_flat_workgroup_size: 128
    .name:           _ZN7rocprim17ROCPRIM_400000_NS6detail17trampoline_kernelINS0_14default_configENS1_20scan_config_selectorIN3c107complexIfEEEEZZNS1_9scan_implILNS1_25lookback_scan_determinismE0ELb0ELb0ES3_PKS7_PS7_S7_ZZZN2at6native31launch_logcumsumexp_cuda_kernelERKNSE_10TensorBaseESI_lENKUlvE_clEvENKUlvE2_clEvEUlS7_S7_E_S7_EEDaPvRmT3_T4_T5_mT6_P12ihipStream_tbENKUlT_T0_E_clISt17integral_constantIbLb0EESY_IbLb1EEEEDaSU_SV_EUlSU_E0_NS1_11comp_targetILNS1_3genE4ELNS1_11target_archE910ELNS1_3gpuE8ELNS1_3repE0EEENS1_30default_config_static_selectorELNS0_4arch9wavefront6targetE1EEEvT1_
    .private_segment_fixed_size: 0
    .sgpr_count:     50
    .sgpr_spill_count: 0
    .symbol:         _ZN7rocprim17ROCPRIM_400000_NS6detail17trampoline_kernelINS0_14default_configENS1_20scan_config_selectorIN3c107complexIfEEEEZZNS1_9scan_implILNS1_25lookback_scan_determinismE0ELb0ELb0ES3_PKS7_PS7_S7_ZZZN2at6native31launch_logcumsumexp_cuda_kernelERKNSE_10TensorBaseESI_lENKUlvE_clEvENKUlvE2_clEvEUlS7_S7_E_S7_EEDaPvRmT3_T4_T5_mT6_P12ihipStream_tbENKUlT_T0_E_clISt17integral_constantIbLb0EESY_IbLb1EEEEDaSU_SV_EUlSU_E0_NS1_11comp_targetILNS1_3genE4ELNS1_11target_archE910ELNS1_3gpuE8ELNS1_3repE0EEENS1_30default_config_static_selectorELNS0_4arch9wavefront6targetE1EEEvT1_.kd
    .uniform_work_group_size: 1
    .uses_dynamic_stack: false
    .vgpr_count:     61
    .vgpr_spill_count: 0
    .wavefront_size: 64
  - .agpr_count:     0
    .args:
      - .offset:         0
        .size:           40
        .value_kind:     by_value
    .group_segment_fixed_size: 0
    .kernarg_segment_align: 8
    .kernarg_segment_size: 40
    .language:       OpenCL C
    .language_version:
      - 2
      - 0
    .max_flat_workgroup_size: 256
    .name:           _ZN7rocprim17ROCPRIM_400000_NS6detail17trampoline_kernelINS0_14default_configENS1_20scan_config_selectorIN3c107complexIfEEEEZZNS1_9scan_implILNS1_25lookback_scan_determinismE0ELb0ELb0ES3_PKS7_PS7_S7_ZZZN2at6native31launch_logcumsumexp_cuda_kernelERKNSE_10TensorBaseESI_lENKUlvE_clEvENKUlvE2_clEvEUlS7_S7_E_S7_EEDaPvRmT3_T4_T5_mT6_P12ihipStream_tbENKUlT_T0_E_clISt17integral_constantIbLb0EESY_IbLb1EEEEDaSU_SV_EUlSU_E0_NS1_11comp_targetILNS1_3genE3ELNS1_11target_archE908ELNS1_3gpuE7ELNS1_3repE0EEENS1_30default_config_static_selectorELNS0_4arch9wavefront6targetE1EEEvT1_
    .private_segment_fixed_size: 0
    .sgpr_count:     4
    .sgpr_spill_count: 0
    .symbol:         _ZN7rocprim17ROCPRIM_400000_NS6detail17trampoline_kernelINS0_14default_configENS1_20scan_config_selectorIN3c107complexIfEEEEZZNS1_9scan_implILNS1_25lookback_scan_determinismE0ELb0ELb0ES3_PKS7_PS7_S7_ZZZN2at6native31launch_logcumsumexp_cuda_kernelERKNSE_10TensorBaseESI_lENKUlvE_clEvENKUlvE2_clEvEUlS7_S7_E_S7_EEDaPvRmT3_T4_T5_mT6_P12ihipStream_tbENKUlT_T0_E_clISt17integral_constantIbLb0EESY_IbLb1EEEEDaSU_SV_EUlSU_E0_NS1_11comp_targetILNS1_3genE3ELNS1_11target_archE908ELNS1_3gpuE7ELNS1_3repE0EEENS1_30default_config_static_selectorELNS0_4arch9wavefront6targetE1EEEvT1_.kd
    .uniform_work_group_size: 1
    .uses_dynamic_stack: false
    .vgpr_count:     0
    .vgpr_spill_count: 0
    .wavefront_size: 64
  - .agpr_count:     0
    .args:
      - .offset:         0
        .size:           40
        .value_kind:     by_value
    .group_segment_fixed_size: 0
    .kernarg_segment_align: 8
    .kernarg_segment_size: 40
    .language:       OpenCL C
    .language_version:
      - 2
      - 0
    .max_flat_workgroup_size: 64
    .name:           _ZN7rocprim17ROCPRIM_400000_NS6detail17trampoline_kernelINS0_14default_configENS1_20scan_config_selectorIN3c107complexIfEEEEZZNS1_9scan_implILNS1_25lookback_scan_determinismE0ELb0ELb0ES3_PKS7_PS7_S7_ZZZN2at6native31launch_logcumsumexp_cuda_kernelERKNSE_10TensorBaseESI_lENKUlvE_clEvENKUlvE2_clEvEUlS7_S7_E_S7_EEDaPvRmT3_T4_T5_mT6_P12ihipStream_tbENKUlT_T0_E_clISt17integral_constantIbLb0EESY_IbLb1EEEEDaSU_SV_EUlSU_E0_NS1_11comp_targetILNS1_3genE2ELNS1_11target_archE906ELNS1_3gpuE6ELNS1_3repE0EEENS1_30default_config_static_selectorELNS0_4arch9wavefront6targetE1EEEvT1_
    .private_segment_fixed_size: 0
    .sgpr_count:     4
    .sgpr_spill_count: 0
    .symbol:         _ZN7rocprim17ROCPRIM_400000_NS6detail17trampoline_kernelINS0_14default_configENS1_20scan_config_selectorIN3c107complexIfEEEEZZNS1_9scan_implILNS1_25lookback_scan_determinismE0ELb0ELb0ES3_PKS7_PS7_S7_ZZZN2at6native31launch_logcumsumexp_cuda_kernelERKNSE_10TensorBaseESI_lENKUlvE_clEvENKUlvE2_clEvEUlS7_S7_E_S7_EEDaPvRmT3_T4_T5_mT6_P12ihipStream_tbENKUlT_T0_E_clISt17integral_constantIbLb0EESY_IbLb1EEEEDaSU_SV_EUlSU_E0_NS1_11comp_targetILNS1_3genE2ELNS1_11target_archE906ELNS1_3gpuE6ELNS1_3repE0EEENS1_30default_config_static_selectorELNS0_4arch9wavefront6targetE1EEEvT1_.kd
    .uniform_work_group_size: 1
    .uses_dynamic_stack: false
    .vgpr_count:     0
    .vgpr_spill_count: 0
    .wavefront_size: 64
  - .agpr_count:     0
    .args:
      - .offset:         0
        .size:           40
        .value_kind:     by_value
    .group_segment_fixed_size: 0
    .kernarg_segment_align: 8
    .kernarg_segment_size: 40
    .language:       OpenCL C
    .language_version:
      - 2
      - 0
    .max_flat_workgroup_size: 256
    .name:           _ZN7rocprim17ROCPRIM_400000_NS6detail17trampoline_kernelINS0_14default_configENS1_20scan_config_selectorIN3c107complexIfEEEEZZNS1_9scan_implILNS1_25lookback_scan_determinismE0ELb0ELb0ES3_PKS7_PS7_S7_ZZZN2at6native31launch_logcumsumexp_cuda_kernelERKNSE_10TensorBaseESI_lENKUlvE_clEvENKUlvE2_clEvEUlS7_S7_E_S7_EEDaPvRmT3_T4_T5_mT6_P12ihipStream_tbENKUlT_T0_E_clISt17integral_constantIbLb0EESY_IbLb1EEEEDaSU_SV_EUlSU_E0_NS1_11comp_targetILNS1_3genE10ELNS1_11target_archE1201ELNS1_3gpuE5ELNS1_3repE0EEENS1_30default_config_static_selectorELNS0_4arch9wavefront6targetE1EEEvT1_
    .private_segment_fixed_size: 0
    .sgpr_count:     4
    .sgpr_spill_count: 0
    .symbol:         _ZN7rocprim17ROCPRIM_400000_NS6detail17trampoline_kernelINS0_14default_configENS1_20scan_config_selectorIN3c107complexIfEEEEZZNS1_9scan_implILNS1_25lookback_scan_determinismE0ELb0ELb0ES3_PKS7_PS7_S7_ZZZN2at6native31launch_logcumsumexp_cuda_kernelERKNSE_10TensorBaseESI_lENKUlvE_clEvENKUlvE2_clEvEUlS7_S7_E_S7_EEDaPvRmT3_T4_T5_mT6_P12ihipStream_tbENKUlT_T0_E_clISt17integral_constantIbLb0EESY_IbLb1EEEEDaSU_SV_EUlSU_E0_NS1_11comp_targetILNS1_3genE10ELNS1_11target_archE1201ELNS1_3gpuE5ELNS1_3repE0EEENS1_30default_config_static_selectorELNS0_4arch9wavefront6targetE1EEEvT1_.kd
    .uniform_work_group_size: 1
    .uses_dynamic_stack: false
    .vgpr_count:     0
    .vgpr_spill_count: 0
    .wavefront_size: 64
  - .agpr_count:     0
    .args:
      - .offset:         0
        .size:           40
        .value_kind:     by_value
    .group_segment_fixed_size: 0
    .kernarg_segment_align: 8
    .kernarg_segment_size: 40
    .language:       OpenCL C
    .language_version:
      - 2
      - 0
    .max_flat_workgroup_size: 256
    .name:           _ZN7rocprim17ROCPRIM_400000_NS6detail17trampoline_kernelINS0_14default_configENS1_20scan_config_selectorIN3c107complexIfEEEEZZNS1_9scan_implILNS1_25lookback_scan_determinismE0ELb0ELb0ES3_PKS7_PS7_S7_ZZZN2at6native31launch_logcumsumexp_cuda_kernelERKNSE_10TensorBaseESI_lENKUlvE_clEvENKUlvE2_clEvEUlS7_S7_E_S7_EEDaPvRmT3_T4_T5_mT6_P12ihipStream_tbENKUlT_T0_E_clISt17integral_constantIbLb0EESY_IbLb1EEEEDaSU_SV_EUlSU_E0_NS1_11comp_targetILNS1_3genE10ELNS1_11target_archE1200ELNS1_3gpuE4ELNS1_3repE0EEENS1_30default_config_static_selectorELNS0_4arch9wavefront6targetE1EEEvT1_
    .private_segment_fixed_size: 0
    .sgpr_count:     4
    .sgpr_spill_count: 0
    .symbol:         _ZN7rocprim17ROCPRIM_400000_NS6detail17trampoline_kernelINS0_14default_configENS1_20scan_config_selectorIN3c107complexIfEEEEZZNS1_9scan_implILNS1_25lookback_scan_determinismE0ELb0ELb0ES3_PKS7_PS7_S7_ZZZN2at6native31launch_logcumsumexp_cuda_kernelERKNSE_10TensorBaseESI_lENKUlvE_clEvENKUlvE2_clEvEUlS7_S7_E_S7_EEDaPvRmT3_T4_T5_mT6_P12ihipStream_tbENKUlT_T0_E_clISt17integral_constantIbLb0EESY_IbLb1EEEEDaSU_SV_EUlSU_E0_NS1_11comp_targetILNS1_3genE10ELNS1_11target_archE1200ELNS1_3gpuE4ELNS1_3repE0EEENS1_30default_config_static_selectorELNS0_4arch9wavefront6targetE1EEEvT1_.kd
    .uniform_work_group_size: 1
    .uses_dynamic_stack: false
    .vgpr_count:     0
    .vgpr_spill_count: 0
    .wavefront_size: 64
  - .agpr_count:     0
    .args:
      - .offset:         0
        .size:           40
        .value_kind:     by_value
    .group_segment_fixed_size: 0
    .kernarg_segment_align: 8
    .kernarg_segment_size: 40
    .language:       OpenCL C
    .language_version:
      - 2
      - 0
    .max_flat_workgroup_size: 256
    .name:           _ZN7rocprim17ROCPRIM_400000_NS6detail17trampoline_kernelINS0_14default_configENS1_20scan_config_selectorIN3c107complexIfEEEEZZNS1_9scan_implILNS1_25lookback_scan_determinismE0ELb0ELb0ES3_PKS7_PS7_S7_ZZZN2at6native31launch_logcumsumexp_cuda_kernelERKNSE_10TensorBaseESI_lENKUlvE_clEvENKUlvE2_clEvEUlS7_S7_E_S7_EEDaPvRmT3_T4_T5_mT6_P12ihipStream_tbENKUlT_T0_E_clISt17integral_constantIbLb0EESY_IbLb1EEEEDaSU_SV_EUlSU_E0_NS1_11comp_targetILNS1_3genE9ELNS1_11target_archE1100ELNS1_3gpuE3ELNS1_3repE0EEENS1_30default_config_static_selectorELNS0_4arch9wavefront6targetE1EEEvT1_
    .private_segment_fixed_size: 0
    .sgpr_count:     4
    .sgpr_spill_count: 0
    .symbol:         _ZN7rocprim17ROCPRIM_400000_NS6detail17trampoline_kernelINS0_14default_configENS1_20scan_config_selectorIN3c107complexIfEEEEZZNS1_9scan_implILNS1_25lookback_scan_determinismE0ELb0ELb0ES3_PKS7_PS7_S7_ZZZN2at6native31launch_logcumsumexp_cuda_kernelERKNSE_10TensorBaseESI_lENKUlvE_clEvENKUlvE2_clEvEUlS7_S7_E_S7_EEDaPvRmT3_T4_T5_mT6_P12ihipStream_tbENKUlT_T0_E_clISt17integral_constantIbLb0EESY_IbLb1EEEEDaSU_SV_EUlSU_E0_NS1_11comp_targetILNS1_3genE9ELNS1_11target_archE1100ELNS1_3gpuE3ELNS1_3repE0EEENS1_30default_config_static_selectorELNS0_4arch9wavefront6targetE1EEEvT1_.kd
    .uniform_work_group_size: 1
    .uses_dynamic_stack: false
    .vgpr_count:     0
    .vgpr_spill_count: 0
    .wavefront_size: 64
  - .agpr_count:     0
    .args:
      - .offset:         0
        .size:           40
        .value_kind:     by_value
    .group_segment_fixed_size: 0
    .kernarg_segment_align: 8
    .kernarg_segment_size: 40
    .language:       OpenCL C
    .language_version:
      - 2
      - 0
    .max_flat_workgroup_size: 256
    .name:           _ZN7rocprim17ROCPRIM_400000_NS6detail17trampoline_kernelINS0_14default_configENS1_20scan_config_selectorIN3c107complexIfEEEEZZNS1_9scan_implILNS1_25lookback_scan_determinismE0ELb0ELb0ES3_PKS7_PS7_S7_ZZZN2at6native31launch_logcumsumexp_cuda_kernelERKNSE_10TensorBaseESI_lENKUlvE_clEvENKUlvE2_clEvEUlS7_S7_E_S7_EEDaPvRmT3_T4_T5_mT6_P12ihipStream_tbENKUlT_T0_E_clISt17integral_constantIbLb0EESY_IbLb1EEEEDaSU_SV_EUlSU_E0_NS1_11comp_targetILNS1_3genE8ELNS1_11target_archE1030ELNS1_3gpuE2ELNS1_3repE0EEENS1_30default_config_static_selectorELNS0_4arch9wavefront6targetE1EEEvT1_
    .private_segment_fixed_size: 0
    .sgpr_count:     4
    .sgpr_spill_count: 0
    .symbol:         _ZN7rocprim17ROCPRIM_400000_NS6detail17trampoline_kernelINS0_14default_configENS1_20scan_config_selectorIN3c107complexIfEEEEZZNS1_9scan_implILNS1_25lookback_scan_determinismE0ELb0ELb0ES3_PKS7_PS7_S7_ZZZN2at6native31launch_logcumsumexp_cuda_kernelERKNSE_10TensorBaseESI_lENKUlvE_clEvENKUlvE2_clEvEUlS7_S7_E_S7_EEDaPvRmT3_T4_T5_mT6_P12ihipStream_tbENKUlT_T0_E_clISt17integral_constantIbLb0EESY_IbLb1EEEEDaSU_SV_EUlSU_E0_NS1_11comp_targetILNS1_3genE8ELNS1_11target_archE1030ELNS1_3gpuE2ELNS1_3repE0EEENS1_30default_config_static_selectorELNS0_4arch9wavefront6targetE1EEEvT1_.kd
    .uniform_work_group_size: 1
    .uses_dynamic_stack: false
    .vgpr_count:     0
    .vgpr_spill_count: 0
    .wavefront_size: 64
  - .agpr_count:     0
    .args:
      - .address_space:  global
        .offset:         0
        .size:           8
        .value_kind:     global_buffer
      - .address_space:  global
        .offset:         8
        .size:           8
        .value_kind:     global_buffer
      - .offset:         16
        .size:           4
        .value_kind:     by_value
      - .offset:         20
        .size:           4
        .value_kind:     by_value
      - .offset:         24
        .size:           4
        .value_kind:     by_value
      - .offset:         32
        .size:           8
        .value_kind:     by_value
      - .offset:         40
        .size:           1
        .value_kind:     by_value
      - .offset:         48
        .size:           4
        .value_kind:     hidden_block_count_x
      - .offset:         52
        .size:           4
        .value_kind:     hidden_block_count_y
      - .offset:         56
        .size:           4
        .value_kind:     hidden_block_count_z
      - .offset:         60
        .size:           2
        .value_kind:     hidden_group_size_x
      - .offset:         62
        .size:           2
        .value_kind:     hidden_group_size_y
      - .offset:         64
        .size:           2
        .value_kind:     hidden_group_size_z
      - .offset:         66
        .size:           2
        .value_kind:     hidden_remainder_x
      - .offset:         68
        .size:           2
        .value_kind:     hidden_remainder_y
      - .offset:         70
        .size:           2
        .value_kind:     hidden_remainder_z
      - .offset:         88
        .size:           8
        .value_kind:     hidden_global_offset_x
      - .offset:         96
        .size:           8
        .value_kind:     hidden_global_offset_y
      - .offset:         104
        .size:           8
        .value_kind:     hidden_global_offset_z
      - .offset:         112
        .size:           2
        .value_kind:     hidden_grid_dims
      - .offset:         168
        .size:           4
        .value_kind:     hidden_dynamic_lds_size
    .group_segment_fixed_size: 0
    .kernarg_segment_align: 8
    .kernarg_segment_size: 304
    .language:       OpenCL C
    .language_version:
      - 2
      - 0
    .max_flat_workgroup_size: 1024
    .name:           _ZN2at6native32tensor_kernel_scan_innermost_dimIN3c107complexIfEEZZZNS0_31launch_logcumsumexp_cuda_kernelERKNS_10TensorBaseES7_lENKUlvE_clEvENKUlvE2_clEvEUlS4_S4_E_EEvPT_PKSB_jjjSB_T0_
    .private_segment_fixed_size: 0
    .sgpr_count:     78
    .sgpr_spill_count: 0
    .symbol:         _ZN2at6native32tensor_kernel_scan_innermost_dimIN3c107complexIfEEZZZNS0_31launch_logcumsumexp_cuda_kernelERKNS_10TensorBaseES7_lENKUlvE_clEvENKUlvE2_clEvEUlS4_S4_E_EEvPT_PKSB_jjjSB_T0_.kd
    .uniform_work_group_size: 1
    .uses_dynamic_stack: false
    .vgpr_count:     68
    .vgpr_spill_count: 0
    .wavefront_size: 64
  - .agpr_count:     0
    .args:
      - .address_space:  global
        .offset:         0
        .size:           8
        .value_kind:     global_buffer
      - .address_space:  global
        .offset:         8
        .size:           8
        .value_kind:     global_buffer
      - .offset:         16
        .size:           4
        .value_kind:     by_value
      - .offset:         20
        .size:           4
        .value_kind:     by_value
      - .offset:         24
        .size:           4
        .value_kind:     by_value
      - .offset:         32
        .size:           8
        .value_kind:     by_value
      - .offset:         40
        .size:           1
        .value_kind:     by_value
      - .offset:         48
        .size:           4
        .value_kind:     hidden_block_count_x
      - .offset:         52
        .size:           4
        .value_kind:     hidden_block_count_y
      - .offset:         56
        .size:           4
        .value_kind:     hidden_block_count_z
      - .offset:         60
        .size:           2
        .value_kind:     hidden_group_size_x
      - .offset:         62
        .size:           2
        .value_kind:     hidden_group_size_y
      - .offset:         64
        .size:           2
        .value_kind:     hidden_group_size_z
      - .offset:         66
        .size:           2
        .value_kind:     hidden_remainder_x
      - .offset:         68
        .size:           2
        .value_kind:     hidden_remainder_y
      - .offset:         70
        .size:           2
        .value_kind:     hidden_remainder_z
      - .offset:         88
        .size:           8
        .value_kind:     hidden_global_offset_x
      - .offset:         96
        .size:           8
        .value_kind:     hidden_global_offset_y
      - .offset:         104
        .size:           8
        .value_kind:     hidden_global_offset_z
      - .offset:         112
        .size:           2
        .value_kind:     hidden_grid_dims
    .group_segment_fixed_size: 0
    .kernarg_segment_align: 8
    .kernarg_segment_size: 304
    .language:       OpenCL C
    .language_version:
      - 2
      - 0
    .max_flat_workgroup_size: 1024
    .name:           _ZN2at6native28tensor_kernel_scan_outer_dimIN3c107complexIfEEjZZZNS0_31launch_logcumsumexp_cuda_kernelERKNS_10TensorBaseES7_lENKUlvE_clEvENKUlvE2_clEvEUlS4_S4_E_EEvPT_PKSB_jjjSB_T1_
    .private_segment_fixed_size: 0
    .sgpr_count:     77
    .sgpr_spill_count: 0
    .symbol:         _ZN2at6native28tensor_kernel_scan_outer_dimIN3c107complexIfEEjZZZNS0_31launch_logcumsumexp_cuda_kernelERKNS_10TensorBaseES7_lENKUlvE_clEvENKUlvE2_clEvEUlS4_S4_E_EEvPT_PKSB_jjjSB_T1_.kd
    .uniform_work_group_size: 1
    .uses_dynamic_stack: false
    .vgpr_count:     56
    .vgpr_spill_count: 0
    .wavefront_size: 64
  - .agpr_count:     0
    .args:
      - .address_space:  global
        .offset:         0
        .size:           8
        .value_kind:     global_buffer
      - .address_space:  global
        .offset:         8
        .size:           8
        .value_kind:     global_buffer
      - .offset:         16
        .size:           4
        .value_kind:     by_value
      - .offset:         20
        .size:           4
        .value_kind:     by_value
      - .offset:         24
        .size:           4
        .value_kind:     by_value
      - .offset:         32
        .size:           8
        .value_kind:     by_value
      - .offset:         40
        .size:           1
        .value_kind:     by_value
      - .offset:         48
        .size:           4
        .value_kind:     hidden_block_count_x
      - .offset:         52
        .size:           4
        .value_kind:     hidden_block_count_y
      - .offset:         56
        .size:           4
        .value_kind:     hidden_block_count_z
      - .offset:         60
        .size:           2
        .value_kind:     hidden_group_size_x
      - .offset:         62
        .size:           2
        .value_kind:     hidden_group_size_y
      - .offset:         64
        .size:           2
        .value_kind:     hidden_group_size_z
      - .offset:         66
        .size:           2
        .value_kind:     hidden_remainder_x
      - .offset:         68
        .size:           2
        .value_kind:     hidden_remainder_y
      - .offset:         70
        .size:           2
        .value_kind:     hidden_remainder_z
      - .offset:         88
        .size:           8
        .value_kind:     hidden_global_offset_x
      - .offset:         96
        .size:           8
        .value_kind:     hidden_global_offset_y
      - .offset:         104
        .size:           8
        .value_kind:     hidden_global_offset_z
      - .offset:         112
        .size:           2
        .value_kind:     hidden_grid_dims
    .group_segment_fixed_size: 0
    .kernarg_segment_align: 8
    .kernarg_segment_size: 304
    .language:       OpenCL C
    .language_version:
      - 2
      - 0
    .max_flat_workgroup_size: 1024
    .name:           _ZN2at6native28tensor_kernel_scan_outer_dimIN3c107complexIfEEmZZZNS0_31launch_logcumsumexp_cuda_kernelERKNS_10TensorBaseES7_lENKUlvE_clEvENKUlvE2_clEvEUlS4_S4_E_EEvPT_PKSB_jjjSB_T1_
    .private_segment_fixed_size: 0
    .sgpr_count:     76
    .sgpr_spill_count: 0
    .symbol:         _ZN2at6native28tensor_kernel_scan_outer_dimIN3c107complexIfEEmZZZNS0_31launch_logcumsumexp_cuda_kernelERKNS_10TensorBaseES7_lENKUlvE_clEvENKUlvE2_clEvEUlS4_S4_E_EEvPT_PKSB_jjjSB_T1_.kd
    .uniform_work_group_size: 1
    .uses_dynamic_stack: false
    .vgpr_count:     56
    .vgpr_spill_count: 0
    .wavefront_size: 64
  - .agpr_count:     0
    .args:
      - .address_space:  global
        .offset:         0
        .size:           8
        .value_kind:     global_buffer
      - .offset:         8
        .size:           4
        .value_kind:     by_value
      - .offset:         12
        .size:           1
        .value_kind:     by_value
      - .offset:         16
        .size:           4
        .value_kind:     by_value
      - .address_space:  global
        .offset:         24
        .size:           8
        .value_kind:     global_buffer
      - .offset:         32
        .size:           4
        .value_kind:     hidden_block_count_x
      - .offset:         36
        .size:           4
        .value_kind:     hidden_block_count_y
      - .offset:         40
        .size:           4
        .value_kind:     hidden_block_count_z
      - .offset:         44
        .size:           2
        .value_kind:     hidden_group_size_x
      - .offset:         46
        .size:           2
        .value_kind:     hidden_group_size_y
      - .offset:         48
        .size:           2
        .value_kind:     hidden_group_size_z
      - .offset:         50
        .size:           2
        .value_kind:     hidden_remainder_x
      - .offset:         52
        .size:           2
        .value_kind:     hidden_remainder_y
      - .offset:         54
        .size:           2
        .value_kind:     hidden_remainder_z
      - .offset:         72
        .size:           8
        .value_kind:     hidden_global_offset_x
      - .offset:         80
        .size:           8
        .value_kind:     hidden_global_offset_y
      - .offset:         88
        .size:           8
        .value_kind:     hidden_global_offset_z
      - .offset:         96
        .size:           2
        .value_kind:     hidden_grid_dims
    .group_segment_fixed_size: 0
    .kernarg_segment_align: 8
    .kernarg_segment_size: 288
    .language:       OpenCL C
    .language_version:
      - 2
      - 0
    .max_flat_workgroup_size: 256
    .name:           _ZN7rocprim17ROCPRIM_400000_NS6detail31init_lookback_scan_state_kernelINS1_19lookback_scan_stateIN3c104HalfELb0ELb1EEENS1_16block_id_wrapperIjLb0EEEEEvT_jT0_jPNS9_10value_typeE
    .private_segment_fixed_size: 0
    .sgpr_count:     13
    .sgpr_spill_count: 0
    .symbol:         _ZN7rocprim17ROCPRIM_400000_NS6detail31init_lookback_scan_state_kernelINS1_19lookback_scan_stateIN3c104HalfELb0ELb1EEENS1_16block_id_wrapperIjLb0EEEEEvT_jT0_jPNS9_10value_typeE.kd
    .uniform_work_group_size: 1
    .uses_dynamic_stack: false
    .vgpr_count:     6
    .vgpr_spill_count: 0
    .wavefront_size: 64
  - .agpr_count:     0
    .args:
      - .offset:         0
        .size:           96
        .value_kind:     by_value
    .group_segment_fixed_size: 0
    .kernarg_segment_align: 8
    .kernarg_segment_size: 96
    .language:       OpenCL C
    .language_version:
      - 2
      - 0
    .max_flat_workgroup_size: 128
    .name:           _ZN7rocprim17ROCPRIM_400000_NS6detail17trampoline_kernelINS0_14default_configENS1_20scan_config_selectorIN3c104HalfEEEZZNS1_9scan_implILNS1_25lookback_scan_determinismE0ELb0ELb0ES3_PKS6_PS6_S6_ZZZN2at6native31launch_logcumsumexp_cuda_kernelERKNSD_10TensorBaseESH_lENKUlvE_clEvENKUlvE3_clEvEUlS6_S6_E_S6_EEDaPvRmT3_T4_T5_mT6_P12ihipStream_tbENKUlT_T0_E_clISt17integral_constantIbLb0EESY_EEDaST_SU_EUlST_E_NS1_11comp_targetILNS1_3genE0ELNS1_11target_archE4294967295ELNS1_3gpuE0ELNS1_3repE0EEENS1_30default_config_static_selectorELNS0_4arch9wavefront6targetE1EEEvT1_
    .private_segment_fixed_size: 0
    .sgpr_count:     4
    .sgpr_spill_count: 0
    .symbol:         _ZN7rocprim17ROCPRIM_400000_NS6detail17trampoline_kernelINS0_14default_configENS1_20scan_config_selectorIN3c104HalfEEEZZNS1_9scan_implILNS1_25lookback_scan_determinismE0ELb0ELb0ES3_PKS6_PS6_S6_ZZZN2at6native31launch_logcumsumexp_cuda_kernelERKNSD_10TensorBaseESH_lENKUlvE_clEvENKUlvE3_clEvEUlS6_S6_E_S6_EEDaPvRmT3_T4_T5_mT6_P12ihipStream_tbENKUlT_T0_E_clISt17integral_constantIbLb0EESY_EEDaST_SU_EUlST_E_NS1_11comp_targetILNS1_3genE0ELNS1_11target_archE4294967295ELNS1_3gpuE0ELNS1_3repE0EEENS1_30default_config_static_selectorELNS0_4arch9wavefront6targetE1EEEvT1_.kd
    .uniform_work_group_size: 1
    .uses_dynamic_stack: false
    .vgpr_count:     0
    .vgpr_spill_count: 0
    .wavefront_size: 64
  - .agpr_count:     0
    .args:
      - .offset:         0
        .size:           96
        .value_kind:     by_value
    .group_segment_fixed_size: 0
    .kernarg_segment_align: 8
    .kernarg_segment_size: 96
    .language:       OpenCL C
    .language_version:
      - 2
      - 0
    .max_flat_workgroup_size: 256
    .name:           _ZN7rocprim17ROCPRIM_400000_NS6detail17trampoline_kernelINS0_14default_configENS1_20scan_config_selectorIN3c104HalfEEEZZNS1_9scan_implILNS1_25lookback_scan_determinismE0ELb0ELb0ES3_PKS6_PS6_S6_ZZZN2at6native31launch_logcumsumexp_cuda_kernelERKNSD_10TensorBaseESH_lENKUlvE_clEvENKUlvE3_clEvEUlS6_S6_E_S6_EEDaPvRmT3_T4_T5_mT6_P12ihipStream_tbENKUlT_T0_E_clISt17integral_constantIbLb0EESY_EEDaST_SU_EUlST_E_NS1_11comp_targetILNS1_3genE5ELNS1_11target_archE942ELNS1_3gpuE9ELNS1_3repE0EEENS1_30default_config_static_selectorELNS0_4arch9wavefront6targetE1EEEvT1_
    .private_segment_fixed_size: 0
    .sgpr_count:     4
    .sgpr_spill_count: 0
    .symbol:         _ZN7rocprim17ROCPRIM_400000_NS6detail17trampoline_kernelINS0_14default_configENS1_20scan_config_selectorIN3c104HalfEEEZZNS1_9scan_implILNS1_25lookback_scan_determinismE0ELb0ELb0ES3_PKS6_PS6_S6_ZZZN2at6native31launch_logcumsumexp_cuda_kernelERKNSD_10TensorBaseESH_lENKUlvE_clEvENKUlvE3_clEvEUlS6_S6_E_S6_EEDaPvRmT3_T4_T5_mT6_P12ihipStream_tbENKUlT_T0_E_clISt17integral_constantIbLb0EESY_EEDaST_SU_EUlST_E_NS1_11comp_targetILNS1_3genE5ELNS1_11target_archE942ELNS1_3gpuE9ELNS1_3repE0EEENS1_30default_config_static_selectorELNS0_4arch9wavefront6targetE1EEEvT1_.kd
    .uniform_work_group_size: 1
    .uses_dynamic_stack: false
    .vgpr_count:     0
    .vgpr_spill_count: 0
    .wavefront_size: 64
  - .agpr_count:     0
    .args:
      - .offset:         0
        .size:           96
        .value_kind:     by_value
      - .offset:         96
        .size:           4
        .value_kind:     hidden_block_count_x
      - .offset:         100
        .size:           4
        .value_kind:     hidden_block_count_y
      - .offset:         104
        .size:           4
        .value_kind:     hidden_block_count_z
      - .offset:         108
        .size:           2
        .value_kind:     hidden_group_size_x
      - .offset:         110
        .size:           2
        .value_kind:     hidden_group_size_y
      - .offset:         112
        .size:           2
        .value_kind:     hidden_group_size_z
      - .offset:         114
        .size:           2
        .value_kind:     hidden_remainder_x
      - .offset:         116
        .size:           2
        .value_kind:     hidden_remainder_y
      - .offset:         118
        .size:           2
        .value_kind:     hidden_remainder_z
      - .offset:         136
        .size:           8
        .value_kind:     hidden_global_offset_x
      - .offset:         144
        .size:           8
        .value_kind:     hidden_global_offset_y
      - .offset:         152
        .size:           8
        .value_kind:     hidden_global_offset_z
      - .offset:         160
        .size:           2
        .value_kind:     hidden_grid_dims
    .group_segment_fixed_size: 3072
    .kernarg_segment_align: 8
    .kernarg_segment_size: 352
    .language:       OpenCL C
    .language_version:
      - 2
      - 0
    .max_flat_workgroup_size: 64
    .name:           _ZN7rocprim17ROCPRIM_400000_NS6detail17trampoline_kernelINS0_14default_configENS1_20scan_config_selectorIN3c104HalfEEEZZNS1_9scan_implILNS1_25lookback_scan_determinismE0ELb0ELb0ES3_PKS6_PS6_S6_ZZZN2at6native31launch_logcumsumexp_cuda_kernelERKNSD_10TensorBaseESH_lENKUlvE_clEvENKUlvE3_clEvEUlS6_S6_E_S6_EEDaPvRmT3_T4_T5_mT6_P12ihipStream_tbENKUlT_T0_E_clISt17integral_constantIbLb0EESY_EEDaST_SU_EUlST_E_NS1_11comp_targetILNS1_3genE4ELNS1_11target_archE910ELNS1_3gpuE8ELNS1_3repE0EEENS1_30default_config_static_selectorELNS0_4arch9wavefront6targetE1EEEvT1_
    .private_segment_fixed_size: 120
    .sgpr_count:     84
    .sgpr_spill_count: 0
    .symbol:         _ZN7rocprim17ROCPRIM_400000_NS6detail17trampoline_kernelINS0_14default_configENS1_20scan_config_selectorIN3c104HalfEEEZZNS1_9scan_implILNS1_25lookback_scan_determinismE0ELb0ELb0ES3_PKS6_PS6_S6_ZZZN2at6native31launch_logcumsumexp_cuda_kernelERKNSD_10TensorBaseESH_lENKUlvE_clEvENKUlvE3_clEvEUlS6_S6_E_S6_EEDaPvRmT3_T4_T5_mT6_P12ihipStream_tbENKUlT_T0_E_clISt17integral_constantIbLb0EESY_EEDaST_SU_EUlST_E_NS1_11comp_targetILNS1_3genE4ELNS1_11target_archE910ELNS1_3gpuE8ELNS1_3repE0EEENS1_30default_config_static_selectorELNS0_4arch9wavefront6targetE1EEEvT1_.kd
    .uniform_work_group_size: 1
    .uses_dynamic_stack: false
    .vgpr_count:     164
    .vgpr_spill_count: 0
    .wavefront_size: 64
  - .agpr_count:     0
    .args:
      - .offset:         0
        .size:           96
        .value_kind:     by_value
    .group_segment_fixed_size: 0
    .kernarg_segment_align: 8
    .kernarg_segment_size: 96
    .language:       OpenCL C
    .language_version:
      - 2
      - 0
    .max_flat_workgroup_size: 128
    .name:           _ZN7rocprim17ROCPRIM_400000_NS6detail17trampoline_kernelINS0_14default_configENS1_20scan_config_selectorIN3c104HalfEEEZZNS1_9scan_implILNS1_25lookback_scan_determinismE0ELb0ELb0ES3_PKS6_PS6_S6_ZZZN2at6native31launch_logcumsumexp_cuda_kernelERKNSD_10TensorBaseESH_lENKUlvE_clEvENKUlvE3_clEvEUlS6_S6_E_S6_EEDaPvRmT3_T4_T5_mT6_P12ihipStream_tbENKUlT_T0_E_clISt17integral_constantIbLb0EESY_EEDaST_SU_EUlST_E_NS1_11comp_targetILNS1_3genE3ELNS1_11target_archE908ELNS1_3gpuE7ELNS1_3repE0EEENS1_30default_config_static_selectorELNS0_4arch9wavefront6targetE1EEEvT1_
    .private_segment_fixed_size: 0
    .sgpr_count:     4
    .sgpr_spill_count: 0
    .symbol:         _ZN7rocprim17ROCPRIM_400000_NS6detail17trampoline_kernelINS0_14default_configENS1_20scan_config_selectorIN3c104HalfEEEZZNS1_9scan_implILNS1_25lookback_scan_determinismE0ELb0ELb0ES3_PKS6_PS6_S6_ZZZN2at6native31launch_logcumsumexp_cuda_kernelERKNSD_10TensorBaseESH_lENKUlvE_clEvENKUlvE3_clEvEUlS6_S6_E_S6_EEDaPvRmT3_T4_T5_mT6_P12ihipStream_tbENKUlT_T0_E_clISt17integral_constantIbLb0EESY_EEDaST_SU_EUlST_E_NS1_11comp_targetILNS1_3genE3ELNS1_11target_archE908ELNS1_3gpuE7ELNS1_3repE0EEENS1_30default_config_static_selectorELNS0_4arch9wavefront6targetE1EEEvT1_.kd
    .uniform_work_group_size: 1
    .uses_dynamic_stack: false
    .vgpr_count:     0
    .vgpr_spill_count: 0
    .wavefront_size: 64
  - .agpr_count:     0
    .args:
      - .offset:         0
        .size:           96
        .value_kind:     by_value
    .group_segment_fixed_size: 0
    .kernarg_segment_align: 8
    .kernarg_segment_size: 96
    .language:       OpenCL C
    .language_version:
      - 2
      - 0
    .max_flat_workgroup_size: 256
    .name:           _ZN7rocprim17ROCPRIM_400000_NS6detail17trampoline_kernelINS0_14default_configENS1_20scan_config_selectorIN3c104HalfEEEZZNS1_9scan_implILNS1_25lookback_scan_determinismE0ELb0ELb0ES3_PKS6_PS6_S6_ZZZN2at6native31launch_logcumsumexp_cuda_kernelERKNSD_10TensorBaseESH_lENKUlvE_clEvENKUlvE3_clEvEUlS6_S6_E_S6_EEDaPvRmT3_T4_T5_mT6_P12ihipStream_tbENKUlT_T0_E_clISt17integral_constantIbLb0EESY_EEDaST_SU_EUlST_E_NS1_11comp_targetILNS1_3genE2ELNS1_11target_archE906ELNS1_3gpuE6ELNS1_3repE0EEENS1_30default_config_static_selectorELNS0_4arch9wavefront6targetE1EEEvT1_
    .private_segment_fixed_size: 0
    .sgpr_count:     4
    .sgpr_spill_count: 0
    .symbol:         _ZN7rocprim17ROCPRIM_400000_NS6detail17trampoline_kernelINS0_14default_configENS1_20scan_config_selectorIN3c104HalfEEEZZNS1_9scan_implILNS1_25lookback_scan_determinismE0ELb0ELb0ES3_PKS6_PS6_S6_ZZZN2at6native31launch_logcumsumexp_cuda_kernelERKNSD_10TensorBaseESH_lENKUlvE_clEvENKUlvE3_clEvEUlS6_S6_E_S6_EEDaPvRmT3_T4_T5_mT6_P12ihipStream_tbENKUlT_T0_E_clISt17integral_constantIbLb0EESY_EEDaST_SU_EUlST_E_NS1_11comp_targetILNS1_3genE2ELNS1_11target_archE906ELNS1_3gpuE6ELNS1_3repE0EEENS1_30default_config_static_selectorELNS0_4arch9wavefront6targetE1EEEvT1_.kd
    .uniform_work_group_size: 1
    .uses_dynamic_stack: false
    .vgpr_count:     0
    .vgpr_spill_count: 0
    .wavefront_size: 64
  - .agpr_count:     0
    .args:
      - .offset:         0
        .size:           96
        .value_kind:     by_value
    .group_segment_fixed_size: 0
    .kernarg_segment_align: 8
    .kernarg_segment_size: 96
    .language:       OpenCL C
    .language_version:
      - 2
      - 0
    .max_flat_workgroup_size: 256
    .name:           _ZN7rocprim17ROCPRIM_400000_NS6detail17trampoline_kernelINS0_14default_configENS1_20scan_config_selectorIN3c104HalfEEEZZNS1_9scan_implILNS1_25lookback_scan_determinismE0ELb0ELb0ES3_PKS6_PS6_S6_ZZZN2at6native31launch_logcumsumexp_cuda_kernelERKNSD_10TensorBaseESH_lENKUlvE_clEvENKUlvE3_clEvEUlS6_S6_E_S6_EEDaPvRmT3_T4_T5_mT6_P12ihipStream_tbENKUlT_T0_E_clISt17integral_constantIbLb0EESY_EEDaST_SU_EUlST_E_NS1_11comp_targetILNS1_3genE10ELNS1_11target_archE1201ELNS1_3gpuE5ELNS1_3repE0EEENS1_30default_config_static_selectorELNS0_4arch9wavefront6targetE1EEEvT1_
    .private_segment_fixed_size: 0
    .sgpr_count:     4
    .sgpr_spill_count: 0
    .symbol:         _ZN7rocprim17ROCPRIM_400000_NS6detail17trampoline_kernelINS0_14default_configENS1_20scan_config_selectorIN3c104HalfEEEZZNS1_9scan_implILNS1_25lookback_scan_determinismE0ELb0ELb0ES3_PKS6_PS6_S6_ZZZN2at6native31launch_logcumsumexp_cuda_kernelERKNSD_10TensorBaseESH_lENKUlvE_clEvENKUlvE3_clEvEUlS6_S6_E_S6_EEDaPvRmT3_T4_T5_mT6_P12ihipStream_tbENKUlT_T0_E_clISt17integral_constantIbLb0EESY_EEDaST_SU_EUlST_E_NS1_11comp_targetILNS1_3genE10ELNS1_11target_archE1201ELNS1_3gpuE5ELNS1_3repE0EEENS1_30default_config_static_selectorELNS0_4arch9wavefront6targetE1EEEvT1_.kd
    .uniform_work_group_size: 1
    .uses_dynamic_stack: false
    .vgpr_count:     0
    .vgpr_spill_count: 0
    .wavefront_size: 64
  - .agpr_count:     0
    .args:
      - .offset:         0
        .size:           96
        .value_kind:     by_value
    .group_segment_fixed_size: 0
    .kernarg_segment_align: 8
    .kernarg_segment_size: 96
    .language:       OpenCL C
    .language_version:
      - 2
      - 0
    .max_flat_workgroup_size: 256
    .name:           _ZN7rocprim17ROCPRIM_400000_NS6detail17trampoline_kernelINS0_14default_configENS1_20scan_config_selectorIN3c104HalfEEEZZNS1_9scan_implILNS1_25lookback_scan_determinismE0ELb0ELb0ES3_PKS6_PS6_S6_ZZZN2at6native31launch_logcumsumexp_cuda_kernelERKNSD_10TensorBaseESH_lENKUlvE_clEvENKUlvE3_clEvEUlS6_S6_E_S6_EEDaPvRmT3_T4_T5_mT6_P12ihipStream_tbENKUlT_T0_E_clISt17integral_constantIbLb0EESY_EEDaST_SU_EUlST_E_NS1_11comp_targetILNS1_3genE10ELNS1_11target_archE1200ELNS1_3gpuE4ELNS1_3repE0EEENS1_30default_config_static_selectorELNS0_4arch9wavefront6targetE1EEEvT1_
    .private_segment_fixed_size: 0
    .sgpr_count:     4
    .sgpr_spill_count: 0
    .symbol:         _ZN7rocprim17ROCPRIM_400000_NS6detail17trampoline_kernelINS0_14default_configENS1_20scan_config_selectorIN3c104HalfEEEZZNS1_9scan_implILNS1_25lookback_scan_determinismE0ELb0ELb0ES3_PKS6_PS6_S6_ZZZN2at6native31launch_logcumsumexp_cuda_kernelERKNSD_10TensorBaseESH_lENKUlvE_clEvENKUlvE3_clEvEUlS6_S6_E_S6_EEDaPvRmT3_T4_T5_mT6_P12ihipStream_tbENKUlT_T0_E_clISt17integral_constantIbLb0EESY_EEDaST_SU_EUlST_E_NS1_11comp_targetILNS1_3genE10ELNS1_11target_archE1200ELNS1_3gpuE4ELNS1_3repE0EEENS1_30default_config_static_selectorELNS0_4arch9wavefront6targetE1EEEvT1_.kd
    .uniform_work_group_size: 1
    .uses_dynamic_stack: false
    .vgpr_count:     0
    .vgpr_spill_count: 0
    .wavefront_size: 64
  - .agpr_count:     0
    .args:
      - .offset:         0
        .size:           96
        .value_kind:     by_value
    .group_segment_fixed_size: 0
    .kernarg_segment_align: 8
    .kernarg_segment_size: 96
    .language:       OpenCL C
    .language_version:
      - 2
      - 0
    .max_flat_workgroup_size: 64
    .name:           _ZN7rocprim17ROCPRIM_400000_NS6detail17trampoline_kernelINS0_14default_configENS1_20scan_config_selectorIN3c104HalfEEEZZNS1_9scan_implILNS1_25lookback_scan_determinismE0ELb0ELb0ES3_PKS6_PS6_S6_ZZZN2at6native31launch_logcumsumexp_cuda_kernelERKNSD_10TensorBaseESH_lENKUlvE_clEvENKUlvE3_clEvEUlS6_S6_E_S6_EEDaPvRmT3_T4_T5_mT6_P12ihipStream_tbENKUlT_T0_E_clISt17integral_constantIbLb0EESY_EEDaST_SU_EUlST_E_NS1_11comp_targetILNS1_3genE9ELNS1_11target_archE1100ELNS1_3gpuE3ELNS1_3repE0EEENS1_30default_config_static_selectorELNS0_4arch9wavefront6targetE1EEEvT1_
    .private_segment_fixed_size: 0
    .sgpr_count:     4
    .sgpr_spill_count: 0
    .symbol:         _ZN7rocprim17ROCPRIM_400000_NS6detail17trampoline_kernelINS0_14default_configENS1_20scan_config_selectorIN3c104HalfEEEZZNS1_9scan_implILNS1_25lookback_scan_determinismE0ELb0ELb0ES3_PKS6_PS6_S6_ZZZN2at6native31launch_logcumsumexp_cuda_kernelERKNSD_10TensorBaseESH_lENKUlvE_clEvENKUlvE3_clEvEUlS6_S6_E_S6_EEDaPvRmT3_T4_T5_mT6_P12ihipStream_tbENKUlT_T0_E_clISt17integral_constantIbLb0EESY_EEDaST_SU_EUlST_E_NS1_11comp_targetILNS1_3genE9ELNS1_11target_archE1100ELNS1_3gpuE3ELNS1_3repE0EEENS1_30default_config_static_selectorELNS0_4arch9wavefront6targetE1EEEvT1_.kd
    .uniform_work_group_size: 1
    .uses_dynamic_stack: false
    .vgpr_count:     0
    .vgpr_spill_count: 0
    .wavefront_size: 64
  - .agpr_count:     0
    .args:
      - .offset:         0
        .size:           96
        .value_kind:     by_value
    .group_segment_fixed_size: 0
    .kernarg_segment_align: 8
    .kernarg_segment_size: 96
    .language:       OpenCL C
    .language_version:
      - 2
      - 0
    .max_flat_workgroup_size: 64
    .name:           _ZN7rocprim17ROCPRIM_400000_NS6detail17trampoline_kernelINS0_14default_configENS1_20scan_config_selectorIN3c104HalfEEEZZNS1_9scan_implILNS1_25lookback_scan_determinismE0ELb0ELb0ES3_PKS6_PS6_S6_ZZZN2at6native31launch_logcumsumexp_cuda_kernelERKNSD_10TensorBaseESH_lENKUlvE_clEvENKUlvE3_clEvEUlS6_S6_E_S6_EEDaPvRmT3_T4_T5_mT6_P12ihipStream_tbENKUlT_T0_E_clISt17integral_constantIbLb0EESY_EEDaST_SU_EUlST_E_NS1_11comp_targetILNS1_3genE8ELNS1_11target_archE1030ELNS1_3gpuE2ELNS1_3repE0EEENS1_30default_config_static_selectorELNS0_4arch9wavefront6targetE1EEEvT1_
    .private_segment_fixed_size: 0
    .sgpr_count:     4
    .sgpr_spill_count: 0
    .symbol:         _ZN7rocprim17ROCPRIM_400000_NS6detail17trampoline_kernelINS0_14default_configENS1_20scan_config_selectorIN3c104HalfEEEZZNS1_9scan_implILNS1_25lookback_scan_determinismE0ELb0ELb0ES3_PKS6_PS6_S6_ZZZN2at6native31launch_logcumsumexp_cuda_kernelERKNSD_10TensorBaseESH_lENKUlvE_clEvENKUlvE3_clEvEUlS6_S6_E_S6_EEDaPvRmT3_T4_T5_mT6_P12ihipStream_tbENKUlT_T0_E_clISt17integral_constantIbLb0EESY_EEDaST_SU_EUlST_E_NS1_11comp_targetILNS1_3genE8ELNS1_11target_archE1030ELNS1_3gpuE2ELNS1_3repE0EEENS1_30default_config_static_selectorELNS0_4arch9wavefront6targetE1EEEvT1_.kd
    .uniform_work_group_size: 1
    .uses_dynamic_stack: false
    .vgpr_count:     0
    .vgpr_spill_count: 0
    .wavefront_size: 64
  - .agpr_count:     0
    .args:
      - .offset:         0
        .size:           40
        .value_kind:     by_value
    .group_segment_fixed_size: 0
    .kernarg_segment_align: 8
    .kernarg_segment_size: 40
    .language:       OpenCL C
    .language_version:
      - 2
      - 0
    .max_flat_workgroup_size: 128
    .name:           _ZN7rocprim17ROCPRIM_400000_NS6detail17trampoline_kernelINS0_14default_configENS1_25transform_config_selectorIN3c104HalfELb1EEEZNS1_14transform_implILb1ES3_S7_PS6_S9_NS0_8identityIS6_EEEE10hipError_tT2_T3_mT4_P12ihipStream_tbEUlT_E_NS1_11comp_targetILNS1_3genE0ELNS1_11target_archE4294967295ELNS1_3gpuE0ELNS1_3repE0EEENS1_30default_config_static_selectorELNS0_4arch9wavefront6targetE1EEEvT1_
    .private_segment_fixed_size: 0
    .sgpr_count:     4
    .sgpr_spill_count: 0
    .symbol:         _ZN7rocprim17ROCPRIM_400000_NS6detail17trampoline_kernelINS0_14default_configENS1_25transform_config_selectorIN3c104HalfELb1EEEZNS1_14transform_implILb1ES3_S7_PS6_S9_NS0_8identityIS6_EEEE10hipError_tT2_T3_mT4_P12ihipStream_tbEUlT_E_NS1_11comp_targetILNS1_3genE0ELNS1_11target_archE4294967295ELNS1_3gpuE0ELNS1_3repE0EEENS1_30default_config_static_selectorELNS0_4arch9wavefront6targetE1EEEvT1_.kd
    .uniform_work_group_size: 1
    .uses_dynamic_stack: false
    .vgpr_count:     0
    .vgpr_spill_count: 0
    .wavefront_size: 64
  - .agpr_count:     0
    .args:
      - .offset:         0
        .size:           40
        .value_kind:     by_value
    .group_segment_fixed_size: 0
    .kernarg_segment_align: 8
    .kernarg_segment_size: 40
    .language:       OpenCL C
    .language_version:
      - 2
      - 0
    .max_flat_workgroup_size: 64
    .name:           _ZN7rocprim17ROCPRIM_400000_NS6detail17trampoline_kernelINS0_14default_configENS1_25transform_config_selectorIN3c104HalfELb1EEEZNS1_14transform_implILb1ES3_S7_PS6_S9_NS0_8identityIS6_EEEE10hipError_tT2_T3_mT4_P12ihipStream_tbEUlT_E_NS1_11comp_targetILNS1_3genE10ELNS1_11target_archE1201ELNS1_3gpuE5ELNS1_3repE0EEENS1_30default_config_static_selectorELNS0_4arch9wavefront6targetE1EEEvT1_
    .private_segment_fixed_size: 0
    .sgpr_count:     4
    .sgpr_spill_count: 0
    .symbol:         _ZN7rocprim17ROCPRIM_400000_NS6detail17trampoline_kernelINS0_14default_configENS1_25transform_config_selectorIN3c104HalfELb1EEEZNS1_14transform_implILb1ES3_S7_PS6_S9_NS0_8identityIS6_EEEE10hipError_tT2_T3_mT4_P12ihipStream_tbEUlT_E_NS1_11comp_targetILNS1_3genE10ELNS1_11target_archE1201ELNS1_3gpuE5ELNS1_3repE0EEENS1_30default_config_static_selectorELNS0_4arch9wavefront6targetE1EEEvT1_.kd
    .uniform_work_group_size: 1
    .uses_dynamic_stack: false
    .vgpr_count:     0
    .vgpr_spill_count: 0
    .wavefront_size: 64
  - .agpr_count:     0
    .args:
      - .offset:         0
        .size:           40
        .value_kind:     by_value
    .group_segment_fixed_size: 0
    .kernarg_segment_align: 8
    .kernarg_segment_size: 40
    .language:       OpenCL C
    .language_version:
      - 2
      - 0
    .max_flat_workgroup_size: 256
    .name:           _ZN7rocprim17ROCPRIM_400000_NS6detail17trampoline_kernelINS0_14default_configENS1_25transform_config_selectorIN3c104HalfELb1EEEZNS1_14transform_implILb1ES3_S7_PS6_S9_NS0_8identityIS6_EEEE10hipError_tT2_T3_mT4_P12ihipStream_tbEUlT_E_NS1_11comp_targetILNS1_3genE5ELNS1_11target_archE942ELNS1_3gpuE9ELNS1_3repE0EEENS1_30default_config_static_selectorELNS0_4arch9wavefront6targetE1EEEvT1_
    .private_segment_fixed_size: 0
    .sgpr_count:     4
    .sgpr_spill_count: 0
    .symbol:         _ZN7rocprim17ROCPRIM_400000_NS6detail17trampoline_kernelINS0_14default_configENS1_25transform_config_selectorIN3c104HalfELb1EEEZNS1_14transform_implILb1ES3_S7_PS6_S9_NS0_8identityIS6_EEEE10hipError_tT2_T3_mT4_P12ihipStream_tbEUlT_E_NS1_11comp_targetILNS1_3genE5ELNS1_11target_archE942ELNS1_3gpuE9ELNS1_3repE0EEENS1_30default_config_static_selectorELNS0_4arch9wavefront6targetE1EEEvT1_.kd
    .uniform_work_group_size: 1
    .uses_dynamic_stack: false
    .vgpr_count:     0
    .vgpr_spill_count: 0
    .wavefront_size: 64
  - .agpr_count:     0
    .args:
      - .offset:         0
        .size:           40
        .value_kind:     by_value
      - .offset:         40
        .size:           4
        .value_kind:     hidden_block_count_x
      - .offset:         44
        .size:           4
        .value_kind:     hidden_block_count_y
      - .offset:         48
        .size:           4
        .value_kind:     hidden_block_count_z
      - .offset:         52
        .size:           2
        .value_kind:     hidden_group_size_x
      - .offset:         54
        .size:           2
        .value_kind:     hidden_group_size_y
      - .offset:         56
        .size:           2
        .value_kind:     hidden_group_size_z
      - .offset:         58
        .size:           2
        .value_kind:     hidden_remainder_x
      - .offset:         60
        .size:           2
        .value_kind:     hidden_remainder_y
      - .offset:         62
        .size:           2
        .value_kind:     hidden_remainder_z
      - .offset:         80
        .size:           8
        .value_kind:     hidden_global_offset_x
      - .offset:         88
        .size:           8
        .value_kind:     hidden_global_offset_y
      - .offset:         96
        .size:           8
        .value_kind:     hidden_global_offset_z
      - .offset:         104
        .size:           2
        .value_kind:     hidden_grid_dims
    .group_segment_fixed_size: 0
    .kernarg_segment_align: 8
    .kernarg_segment_size: 296
    .language:       OpenCL C
    .language_version:
      - 2
      - 0
    .max_flat_workgroup_size: 1024
    .name:           _ZN7rocprim17ROCPRIM_400000_NS6detail17trampoline_kernelINS0_14default_configENS1_25transform_config_selectorIN3c104HalfELb1EEEZNS1_14transform_implILb1ES3_S7_PS6_S9_NS0_8identityIS6_EEEE10hipError_tT2_T3_mT4_P12ihipStream_tbEUlT_E_NS1_11comp_targetILNS1_3genE4ELNS1_11target_archE910ELNS1_3gpuE8ELNS1_3repE0EEENS1_30default_config_static_selectorELNS0_4arch9wavefront6targetE1EEEvT1_
    .private_segment_fixed_size: 0
    .sgpr_count:     26
    .sgpr_spill_count: 0
    .symbol:         _ZN7rocprim17ROCPRIM_400000_NS6detail17trampoline_kernelINS0_14default_configENS1_25transform_config_selectorIN3c104HalfELb1EEEZNS1_14transform_implILb1ES3_S7_PS6_S9_NS0_8identityIS6_EEEE10hipError_tT2_T3_mT4_P12ihipStream_tbEUlT_E_NS1_11comp_targetILNS1_3genE4ELNS1_11target_archE910ELNS1_3gpuE8ELNS1_3repE0EEENS1_30default_config_static_selectorELNS0_4arch9wavefront6targetE1EEEvT1_.kd
    .uniform_work_group_size: 1
    .uses_dynamic_stack: false
    .vgpr_count:     11
    .vgpr_spill_count: 0
    .wavefront_size: 64
  - .agpr_count:     0
    .args:
      - .offset:         0
        .size:           40
        .value_kind:     by_value
    .group_segment_fixed_size: 0
    .kernarg_segment_align: 8
    .kernarg_segment_size: 40
    .language:       OpenCL C
    .language_version:
      - 2
      - 0
    .max_flat_workgroup_size: 128
    .name:           _ZN7rocprim17ROCPRIM_400000_NS6detail17trampoline_kernelINS0_14default_configENS1_25transform_config_selectorIN3c104HalfELb1EEEZNS1_14transform_implILb1ES3_S7_PS6_S9_NS0_8identityIS6_EEEE10hipError_tT2_T3_mT4_P12ihipStream_tbEUlT_E_NS1_11comp_targetILNS1_3genE3ELNS1_11target_archE908ELNS1_3gpuE7ELNS1_3repE0EEENS1_30default_config_static_selectorELNS0_4arch9wavefront6targetE1EEEvT1_
    .private_segment_fixed_size: 0
    .sgpr_count:     4
    .sgpr_spill_count: 0
    .symbol:         _ZN7rocprim17ROCPRIM_400000_NS6detail17trampoline_kernelINS0_14default_configENS1_25transform_config_selectorIN3c104HalfELb1EEEZNS1_14transform_implILb1ES3_S7_PS6_S9_NS0_8identityIS6_EEEE10hipError_tT2_T3_mT4_P12ihipStream_tbEUlT_E_NS1_11comp_targetILNS1_3genE3ELNS1_11target_archE908ELNS1_3gpuE7ELNS1_3repE0EEENS1_30default_config_static_selectorELNS0_4arch9wavefront6targetE1EEEvT1_.kd
    .uniform_work_group_size: 1
    .uses_dynamic_stack: false
    .vgpr_count:     0
    .vgpr_spill_count: 0
    .wavefront_size: 64
  - .agpr_count:     0
    .args:
      - .offset:         0
        .size:           40
        .value_kind:     by_value
    .group_segment_fixed_size: 0
    .kernarg_segment_align: 8
    .kernarg_segment_size: 40
    .language:       OpenCL C
    .language_version:
      - 2
      - 0
    .max_flat_workgroup_size: 1024
    .name:           _ZN7rocprim17ROCPRIM_400000_NS6detail17trampoline_kernelINS0_14default_configENS1_25transform_config_selectorIN3c104HalfELb1EEEZNS1_14transform_implILb1ES3_S7_PS6_S9_NS0_8identityIS6_EEEE10hipError_tT2_T3_mT4_P12ihipStream_tbEUlT_E_NS1_11comp_targetILNS1_3genE2ELNS1_11target_archE906ELNS1_3gpuE6ELNS1_3repE0EEENS1_30default_config_static_selectorELNS0_4arch9wavefront6targetE1EEEvT1_
    .private_segment_fixed_size: 0
    .sgpr_count:     4
    .sgpr_spill_count: 0
    .symbol:         _ZN7rocprim17ROCPRIM_400000_NS6detail17trampoline_kernelINS0_14default_configENS1_25transform_config_selectorIN3c104HalfELb1EEEZNS1_14transform_implILb1ES3_S7_PS6_S9_NS0_8identityIS6_EEEE10hipError_tT2_T3_mT4_P12ihipStream_tbEUlT_E_NS1_11comp_targetILNS1_3genE2ELNS1_11target_archE906ELNS1_3gpuE6ELNS1_3repE0EEENS1_30default_config_static_selectorELNS0_4arch9wavefront6targetE1EEEvT1_.kd
    .uniform_work_group_size: 1
    .uses_dynamic_stack: false
    .vgpr_count:     0
    .vgpr_spill_count: 0
    .wavefront_size: 64
  - .agpr_count:     0
    .args:
      - .offset:         0
        .size:           40
        .value_kind:     by_value
    .group_segment_fixed_size: 0
    .kernarg_segment_align: 8
    .kernarg_segment_size: 40
    .language:       OpenCL C
    .language_version:
      - 2
      - 0
    .max_flat_workgroup_size: 1024
    .name:           _ZN7rocprim17ROCPRIM_400000_NS6detail17trampoline_kernelINS0_14default_configENS1_25transform_config_selectorIN3c104HalfELb1EEEZNS1_14transform_implILb1ES3_S7_PS6_S9_NS0_8identityIS6_EEEE10hipError_tT2_T3_mT4_P12ihipStream_tbEUlT_E_NS1_11comp_targetILNS1_3genE9ELNS1_11target_archE1100ELNS1_3gpuE3ELNS1_3repE0EEENS1_30default_config_static_selectorELNS0_4arch9wavefront6targetE1EEEvT1_
    .private_segment_fixed_size: 0
    .sgpr_count:     4
    .sgpr_spill_count: 0
    .symbol:         _ZN7rocprim17ROCPRIM_400000_NS6detail17trampoline_kernelINS0_14default_configENS1_25transform_config_selectorIN3c104HalfELb1EEEZNS1_14transform_implILb1ES3_S7_PS6_S9_NS0_8identityIS6_EEEE10hipError_tT2_T3_mT4_P12ihipStream_tbEUlT_E_NS1_11comp_targetILNS1_3genE9ELNS1_11target_archE1100ELNS1_3gpuE3ELNS1_3repE0EEENS1_30default_config_static_selectorELNS0_4arch9wavefront6targetE1EEEvT1_.kd
    .uniform_work_group_size: 1
    .uses_dynamic_stack: false
    .vgpr_count:     0
    .vgpr_spill_count: 0
    .wavefront_size: 64
  - .agpr_count:     0
    .args:
      - .offset:         0
        .size:           40
        .value_kind:     by_value
    .group_segment_fixed_size: 0
    .kernarg_segment_align: 8
    .kernarg_segment_size: 40
    .language:       OpenCL C
    .language_version:
      - 2
      - 0
    .max_flat_workgroup_size: 1024
    .name:           _ZN7rocprim17ROCPRIM_400000_NS6detail17trampoline_kernelINS0_14default_configENS1_25transform_config_selectorIN3c104HalfELb1EEEZNS1_14transform_implILb1ES3_S7_PS6_S9_NS0_8identityIS6_EEEE10hipError_tT2_T3_mT4_P12ihipStream_tbEUlT_E_NS1_11comp_targetILNS1_3genE8ELNS1_11target_archE1030ELNS1_3gpuE2ELNS1_3repE0EEENS1_30default_config_static_selectorELNS0_4arch9wavefront6targetE1EEEvT1_
    .private_segment_fixed_size: 0
    .sgpr_count:     4
    .sgpr_spill_count: 0
    .symbol:         _ZN7rocprim17ROCPRIM_400000_NS6detail17trampoline_kernelINS0_14default_configENS1_25transform_config_selectorIN3c104HalfELb1EEEZNS1_14transform_implILb1ES3_S7_PS6_S9_NS0_8identityIS6_EEEE10hipError_tT2_T3_mT4_P12ihipStream_tbEUlT_E_NS1_11comp_targetILNS1_3genE8ELNS1_11target_archE1030ELNS1_3gpuE2ELNS1_3repE0EEENS1_30default_config_static_selectorELNS0_4arch9wavefront6targetE1EEEvT1_.kd
    .uniform_work_group_size: 1
    .uses_dynamic_stack: false
    .vgpr_count:     0
    .vgpr_spill_count: 0
    .wavefront_size: 64
  - .agpr_count:     0
    .args:
      - .offset:         0
        .size:           32
        .value_kind:     by_value
    .group_segment_fixed_size: 0
    .kernarg_segment_align: 8
    .kernarg_segment_size: 32
    .language:       OpenCL C
    .language_version:
      - 2
      - 0
    .max_flat_workgroup_size: 128
    .name:           _ZN7rocprim17ROCPRIM_400000_NS6detail17trampoline_kernelINS0_14default_configENS1_20scan_config_selectorIN3c104HalfEEEZZNS1_9scan_implILNS1_25lookback_scan_determinismE0ELb0ELb0ES3_PKS6_PS6_S6_ZZZN2at6native31launch_logcumsumexp_cuda_kernelERKNSD_10TensorBaseESH_lENKUlvE_clEvENKUlvE3_clEvEUlS6_S6_E_S6_EEDaPvRmT3_T4_T5_mT6_P12ihipStream_tbENKUlT_T0_E_clISt17integral_constantIbLb0EESY_EEDaST_SU_EUlST_E0_NS1_11comp_targetILNS1_3genE0ELNS1_11target_archE4294967295ELNS1_3gpuE0ELNS1_3repE0EEENS1_30default_config_static_selectorELNS0_4arch9wavefront6targetE1EEEvT1_
    .private_segment_fixed_size: 0
    .sgpr_count:     4
    .sgpr_spill_count: 0
    .symbol:         _ZN7rocprim17ROCPRIM_400000_NS6detail17trampoline_kernelINS0_14default_configENS1_20scan_config_selectorIN3c104HalfEEEZZNS1_9scan_implILNS1_25lookback_scan_determinismE0ELb0ELb0ES3_PKS6_PS6_S6_ZZZN2at6native31launch_logcumsumexp_cuda_kernelERKNSD_10TensorBaseESH_lENKUlvE_clEvENKUlvE3_clEvEUlS6_S6_E_S6_EEDaPvRmT3_T4_T5_mT6_P12ihipStream_tbENKUlT_T0_E_clISt17integral_constantIbLb0EESY_EEDaST_SU_EUlST_E0_NS1_11comp_targetILNS1_3genE0ELNS1_11target_archE4294967295ELNS1_3gpuE0ELNS1_3repE0EEENS1_30default_config_static_selectorELNS0_4arch9wavefront6targetE1EEEvT1_.kd
    .uniform_work_group_size: 1
    .uses_dynamic_stack: false
    .vgpr_count:     0
    .vgpr_spill_count: 0
    .wavefront_size: 64
  - .agpr_count:     0
    .args:
      - .offset:         0
        .size:           32
        .value_kind:     by_value
    .group_segment_fixed_size: 0
    .kernarg_segment_align: 8
    .kernarg_segment_size: 32
    .language:       OpenCL C
    .language_version:
      - 2
      - 0
    .max_flat_workgroup_size: 256
    .name:           _ZN7rocprim17ROCPRIM_400000_NS6detail17trampoline_kernelINS0_14default_configENS1_20scan_config_selectorIN3c104HalfEEEZZNS1_9scan_implILNS1_25lookback_scan_determinismE0ELb0ELb0ES3_PKS6_PS6_S6_ZZZN2at6native31launch_logcumsumexp_cuda_kernelERKNSD_10TensorBaseESH_lENKUlvE_clEvENKUlvE3_clEvEUlS6_S6_E_S6_EEDaPvRmT3_T4_T5_mT6_P12ihipStream_tbENKUlT_T0_E_clISt17integral_constantIbLb0EESY_EEDaST_SU_EUlST_E0_NS1_11comp_targetILNS1_3genE5ELNS1_11target_archE942ELNS1_3gpuE9ELNS1_3repE0EEENS1_30default_config_static_selectorELNS0_4arch9wavefront6targetE1EEEvT1_
    .private_segment_fixed_size: 0
    .sgpr_count:     4
    .sgpr_spill_count: 0
    .symbol:         _ZN7rocprim17ROCPRIM_400000_NS6detail17trampoline_kernelINS0_14default_configENS1_20scan_config_selectorIN3c104HalfEEEZZNS1_9scan_implILNS1_25lookback_scan_determinismE0ELb0ELb0ES3_PKS6_PS6_S6_ZZZN2at6native31launch_logcumsumexp_cuda_kernelERKNSD_10TensorBaseESH_lENKUlvE_clEvENKUlvE3_clEvEUlS6_S6_E_S6_EEDaPvRmT3_T4_T5_mT6_P12ihipStream_tbENKUlT_T0_E_clISt17integral_constantIbLb0EESY_EEDaST_SU_EUlST_E0_NS1_11comp_targetILNS1_3genE5ELNS1_11target_archE942ELNS1_3gpuE9ELNS1_3repE0EEENS1_30default_config_static_selectorELNS0_4arch9wavefront6targetE1EEEvT1_.kd
    .uniform_work_group_size: 1
    .uses_dynamic_stack: false
    .vgpr_count:     0
    .vgpr_spill_count: 0
    .wavefront_size: 64
  - .agpr_count:     0
    .args:
      - .offset:         0
        .size:           32
        .value_kind:     by_value
    .group_segment_fixed_size: 3072
    .kernarg_segment_align: 8
    .kernarg_segment_size: 32
    .language:       OpenCL C
    .language_version:
      - 2
      - 0
    .max_flat_workgroup_size: 64
    .name:           _ZN7rocprim17ROCPRIM_400000_NS6detail17trampoline_kernelINS0_14default_configENS1_20scan_config_selectorIN3c104HalfEEEZZNS1_9scan_implILNS1_25lookback_scan_determinismE0ELb0ELb0ES3_PKS6_PS6_S6_ZZZN2at6native31launch_logcumsumexp_cuda_kernelERKNSD_10TensorBaseESH_lENKUlvE_clEvENKUlvE3_clEvEUlS6_S6_E_S6_EEDaPvRmT3_T4_T5_mT6_P12ihipStream_tbENKUlT_T0_E_clISt17integral_constantIbLb0EESY_EEDaST_SU_EUlST_E0_NS1_11comp_targetILNS1_3genE4ELNS1_11target_archE910ELNS1_3gpuE8ELNS1_3repE0EEENS1_30default_config_static_selectorELNS0_4arch9wavefront6targetE1EEEvT1_
    .private_segment_fixed_size: 0
    .sgpr_count:     100
    .sgpr_spill_count: 10
    .symbol:         _ZN7rocprim17ROCPRIM_400000_NS6detail17trampoline_kernelINS0_14default_configENS1_20scan_config_selectorIN3c104HalfEEEZZNS1_9scan_implILNS1_25lookback_scan_determinismE0ELb0ELb0ES3_PKS6_PS6_S6_ZZZN2at6native31launch_logcumsumexp_cuda_kernelERKNSD_10TensorBaseESH_lENKUlvE_clEvENKUlvE3_clEvEUlS6_S6_E_S6_EEDaPvRmT3_T4_T5_mT6_P12ihipStream_tbENKUlT_T0_E_clISt17integral_constantIbLb0EESY_EEDaST_SU_EUlST_E0_NS1_11comp_targetILNS1_3genE4ELNS1_11target_archE910ELNS1_3gpuE8ELNS1_3repE0EEENS1_30default_config_static_selectorELNS0_4arch9wavefront6targetE1EEEvT1_.kd
    .uniform_work_group_size: 1
    .uses_dynamic_stack: false
    .vgpr_count:     52
    .vgpr_spill_count: 0
    .wavefront_size: 64
  - .agpr_count:     0
    .args:
      - .offset:         0
        .size:           32
        .value_kind:     by_value
    .group_segment_fixed_size: 0
    .kernarg_segment_align: 8
    .kernarg_segment_size: 32
    .language:       OpenCL C
    .language_version:
      - 2
      - 0
    .max_flat_workgroup_size: 128
    .name:           _ZN7rocprim17ROCPRIM_400000_NS6detail17trampoline_kernelINS0_14default_configENS1_20scan_config_selectorIN3c104HalfEEEZZNS1_9scan_implILNS1_25lookback_scan_determinismE0ELb0ELb0ES3_PKS6_PS6_S6_ZZZN2at6native31launch_logcumsumexp_cuda_kernelERKNSD_10TensorBaseESH_lENKUlvE_clEvENKUlvE3_clEvEUlS6_S6_E_S6_EEDaPvRmT3_T4_T5_mT6_P12ihipStream_tbENKUlT_T0_E_clISt17integral_constantIbLb0EESY_EEDaST_SU_EUlST_E0_NS1_11comp_targetILNS1_3genE3ELNS1_11target_archE908ELNS1_3gpuE7ELNS1_3repE0EEENS1_30default_config_static_selectorELNS0_4arch9wavefront6targetE1EEEvT1_
    .private_segment_fixed_size: 0
    .sgpr_count:     4
    .sgpr_spill_count: 0
    .symbol:         _ZN7rocprim17ROCPRIM_400000_NS6detail17trampoline_kernelINS0_14default_configENS1_20scan_config_selectorIN3c104HalfEEEZZNS1_9scan_implILNS1_25lookback_scan_determinismE0ELb0ELb0ES3_PKS6_PS6_S6_ZZZN2at6native31launch_logcumsumexp_cuda_kernelERKNSD_10TensorBaseESH_lENKUlvE_clEvENKUlvE3_clEvEUlS6_S6_E_S6_EEDaPvRmT3_T4_T5_mT6_P12ihipStream_tbENKUlT_T0_E_clISt17integral_constantIbLb0EESY_EEDaST_SU_EUlST_E0_NS1_11comp_targetILNS1_3genE3ELNS1_11target_archE908ELNS1_3gpuE7ELNS1_3repE0EEENS1_30default_config_static_selectorELNS0_4arch9wavefront6targetE1EEEvT1_.kd
    .uniform_work_group_size: 1
    .uses_dynamic_stack: false
    .vgpr_count:     0
    .vgpr_spill_count: 0
    .wavefront_size: 64
  - .agpr_count:     0
    .args:
      - .offset:         0
        .size:           32
        .value_kind:     by_value
    .group_segment_fixed_size: 0
    .kernarg_segment_align: 8
    .kernarg_segment_size: 32
    .language:       OpenCL C
    .language_version:
      - 2
      - 0
    .max_flat_workgroup_size: 256
    .name:           _ZN7rocprim17ROCPRIM_400000_NS6detail17trampoline_kernelINS0_14default_configENS1_20scan_config_selectorIN3c104HalfEEEZZNS1_9scan_implILNS1_25lookback_scan_determinismE0ELb0ELb0ES3_PKS6_PS6_S6_ZZZN2at6native31launch_logcumsumexp_cuda_kernelERKNSD_10TensorBaseESH_lENKUlvE_clEvENKUlvE3_clEvEUlS6_S6_E_S6_EEDaPvRmT3_T4_T5_mT6_P12ihipStream_tbENKUlT_T0_E_clISt17integral_constantIbLb0EESY_EEDaST_SU_EUlST_E0_NS1_11comp_targetILNS1_3genE2ELNS1_11target_archE906ELNS1_3gpuE6ELNS1_3repE0EEENS1_30default_config_static_selectorELNS0_4arch9wavefront6targetE1EEEvT1_
    .private_segment_fixed_size: 0
    .sgpr_count:     4
    .sgpr_spill_count: 0
    .symbol:         _ZN7rocprim17ROCPRIM_400000_NS6detail17trampoline_kernelINS0_14default_configENS1_20scan_config_selectorIN3c104HalfEEEZZNS1_9scan_implILNS1_25lookback_scan_determinismE0ELb0ELb0ES3_PKS6_PS6_S6_ZZZN2at6native31launch_logcumsumexp_cuda_kernelERKNSD_10TensorBaseESH_lENKUlvE_clEvENKUlvE3_clEvEUlS6_S6_E_S6_EEDaPvRmT3_T4_T5_mT6_P12ihipStream_tbENKUlT_T0_E_clISt17integral_constantIbLb0EESY_EEDaST_SU_EUlST_E0_NS1_11comp_targetILNS1_3genE2ELNS1_11target_archE906ELNS1_3gpuE6ELNS1_3repE0EEENS1_30default_config_static_selectorELNS0_4arch9wavefront6targetE1EEEvT1_.kd
    .uniform_work_group_size: 1
    .uses_dynamic_stack: false
    .vgpr_count:     0
    .vgpr_spill_count: 0
    .wavefront_size: 64
  - .agpr_count:     0
    .args:
      - .offset:         0
        .size:           32
        .value_kind:     by_value
    .group_segment_fixed_size: 0
    .kernarg_segment_align: 8
    .kernarg_segment_size: 32
    .language:       OpenCL C
    .language_version:
      - 2
      - 0
    .max_flat_workgroup_size: 256
    .name:           _ZN7rocprim17ROCPRIM_400000_NS6detail17trampoline_kernelINS0_14default_configENS1_20scan_config_selectorIN3c104HalfEEEZZNS1_9scan_implILNS1_25lookback_scan_determinismE0ELb0ELb0ES3_PKS6_PS6_S6_ZZZN2at6native31launch_logcumsumexp_cuda_kernelERKNSD_10TensorBaseESH_lENKUlvE_clEvENKUlvE3_clEvEUlS6_S6_E_S6_EEDaPvRmT3_T4_T5_mT6_P12ihipStream_tbENKUlT_T0_E_clISt17integral_constantIbLb0EESY_EEDaST_SU_EUlST_E0_NS1_11comp_targetILNS1_3genE10ELNS1_11target_archE1201ELNS1_3gpuE5ELNS1_3repE0EEENS1_30default_config_static_selectorELNS0_4arch9wavefront6targetE1EEEvT1_
    .private_segment_fixed_size: 0
    .sgpr_count:     4
    .sgpr_spill_count: 0
    .symbol:         _ZN7rocprim17ROCPRIM_400000_NS6detail17trampoline_kernelINS0_14default_configENS1_20scan_config_selectorIN3c104HalfEEEZZNS1_9scan_implILNS1_25lookback_scan_determinismE0ELb0ELb0ES3_PKS6_PS6_S6_ZZZN2at6native31launch_logcumsumexp_cuda_kernelERKNSD_10TensorBaseESH_lENKUlvE_clEvENKUlvE3_clEvEUlS6_S6_E_S6_EEDaPvRmT3_T4_T5_mT6_P12ihipStream_tbENKUlT_T0_E_clISt17integral_constantIbLb0EESY_EEDaST_SU_EUlST_E0_NS1_11comp_targetILNS1_3genE10ELNS1_11target_archE1201ELNS1_3gpuE5ELNS1_3repE0EEENS1_30default_config_static_selectorELNS0_4arch9wavefront6targetE1EEEvT1_.kd
    .uniform_work_group_size: 1
    .uses_dynamic_stack: false
    .vgpr_count:     0
    .vgpr_spill_count: 0
    .wavefront_size: 64
  - .agpr_count:     0
    .args:
      - .offset:         0
        .size:           32
        .value_kind:     by_value
    .group_segment_fixed_size: 0
    .kernarg_segment_align: 8
    .kernarg_segment_size: 32
    .language:       OpenCL C
    .language_version:
      - 2
      - 0
    .max_flat_workgroup_size: 256
    .name:           _ZN7rocprim17ROCPRIM_400000_NS6detail17trampoline_kernelINS0_14default_configENS1_20scan_config_selectorIN3c104HalfEEEZZNS1_9scan_implILNS1_25lookback_scan_determinismE0ELb0ELb0ES3_PKS6_PS6_S6_ZZZN2at6native31launch_logcumsumexp_cuda_kernelERKNSD_10TensorBaseESH_lENKUlvE_clEvENKUlvE3_clEvEUlS6_S6_E_S6_EEDaPvRmT3_T4_T5_mT6_P12ihipStream_tbENKUlT_T0_E_clISt17integral_constantIbLb0EESY_EEDaST_SU_EUlST_E0_NS1_11comp_targetILNS1_3genE10ELNS1_11target_archE1200ELNS1_3gpuE4ELNS1_3repE0EEENS1_30default_config_static_selectorELNS0_4arch9wavefront6targetE1EEEvT1_
    .private_segment_fixed_size: 0
    .sgpr_count:     4
    .sgpr_spill_count: 0
    .symbol:         _ZN7rocprim17ROCPRIM_400000_NS6detail17trampoline_kernelINS0_14default_configENS1_20scan_config_selectorIN3c104HalfEEEZZNS1_9scan_implILNS1_25lookback_scan_determinismE0ELb0ELb0ES3_PKS6_PS6_S6_ZZZN2at6native31launch_logcumsumexp_cuda_kernelERKNSD_10TensorBaseESH_lENKUlvE_clEvENKUlvE3_clEvEUlS6_S6_E_S6_EEDaPvRmT3_T4_T5_mT6_P12ihipStream_tbENKUlT_T0_E_clISt17integral_constantIbLb0EESY_EEDaST_SU_EUlST_E0_NS1_11comp_targetILNS1_3genE10ELNS1_11target_archE1200ELNS1_3gpuE4ELNS1_3repE0EEENS1_30default_config_static_selectorELNS0_4arch9wavefront6targetE1EEEvT1_.kd
    .uniform_work_group_size: 1
    .uses_dynamic_stack: false
    .vgpr_count:     0
    .vgpr_spill_count: 0
    .wavefront_size: 64
  - .agpr_count:     0
    .args:
      - .offset:         0
        .size:           32
        .value_kind:     by_value
    .group_segment_fixed_size: 0
    .kernarg_segment_align: 8
    .kernarg_segment_size: 32
    .language:       OpenCL C
    .language_version:
      - 2
      - 0
    .max_flat_workgroup_size: 64
    .name:           _ZN7rocprim17ROCPRIM_400000_NS6detail17trampoline_kernelINS0_14default_configENS1_20scan_config_selectorIN3c104HalfEEEZZNS1_9scan_implILNS1_25lookback_scan_determinismE0ELb0ELb0ES3_PKS6_PS6_S6_ZZZN2at6native31launch_logcumsumexp_cuda_kernelERKNSD_10TensorBaseESH_lENKUlvE_clEvENKUlvE3_clEvEUlS6_S6_E_S6_EEDaPvRmT3_T4_T5_mT6_P12ihipStream_tbENKUlT_T0_E_clISt17integral_constantIbLb0EESY_EEDaST_SU_EUlST_E0_NS1_11comp_targetILNS1_3genE9ELNS1_11target_archE1100ELNS1_3gpuE3ELNS1_3repE0EEENS1_30default_config_static_selectorELNS0_4arch9wavefront6targetE1EEEvT1_
    .private_segment_fixed_size: 0
    .sgpr_count:     4
    .sgpr_spill_count: 0
    .symbol:         _ZN7rocprim17ROCPRIM_400000_NS6detail17trampoline_kernelINS0_14default_configENS1_20scan_config_selectorIN3c104HalfEEEZZNS1_9scan_implILNS1_25lookback_scan_determinismE0ELb0ELb0ES3_PKS6_PS6_S6_ZZZN2at6native31launch_logcumsumexp_cuda_kernelERKNSD_10TensorBaseESH_lENKUlvE_clEvENKUlvE3_clEvEUlS6_S6_E_S6_EEDaPvRmT3_T4_T5_mT6_P12ihipStream_tbENKUlT_T0_E_clISt17integral_constantIbLb0EESY_EEDaST_SU_EUlST_E0_NS1_11comp_targetILNS1_3genE9ELNS1_11target_archE1100ELNS1_3gpuE3ELNS1_3repE0EEENS1_30default_config_static_selectorELNS0_4arch9wavefront6targetE1EEEvT1_.kd
    .uniform_work_group_size: 1
    .uses_dynamic_stack: false
    .vgpr_count:     0
    .vgpr_spill_count: 0
    .wavefront_size: 64
  - .agpr_count:     0
    .args:
      - .offset:         0
        .size:           32
        .value_kind:     by_value
    .group_segment_fixed_size: 0
    .kernarg_segment_align: 8
    .kernarg_segment_size: 32
    .language:       OpenCL C
    .language_version:
      - 2
      - 0
    .max_flat_workgroup_size: 64
    .name:           _ZN7rocprim17ROCPRIM_400000_NS6detail17trampoline_kernelINS0_14default_configENS1_20scan_config_selectorIN3c104HalfEEEZZNS1_9scan_implILNS1_25lookback_scan_determinismE0ELb0ELb0ES3_PKS6_PS6_S6_ZZZN2at6native31launch_logcumsumexp_cuda_kernelERKNSD_10TensorBaseESH_lENKUlvE_clEvENKUlvE3_clEvEUlS6_S6_E_S6_EEDaPvRmT3_T4_T5_mT6_P12ihipStream_tbENKUlT_T0_E_clISt17integral_constantIbLb0EESY_EEDaST_SU_EUlST_E0_NS1_11comp_targetILNS1_3genE8ELNS1_11target_archE1030ELNS1_3gpuE2ELNS1_3repE0EEENS1_30default_config_static_selectorELNS0_4arch9wavefront6targetE1EEEvT1_
    .private_segment_fixed_size: 0
    .sgpr_count:     4
    .sgpr_spill_count: 0
    .symbol:         _ZN7rocprim17ROCPRIM_400000_NS6detail17trampoline_kernelINS0_14default_configENS1_20scan_config_selectorIN3c104HalfEEEZZNS1_9scan_implILNS1_25lookback_scan_determinismE0ELb0ELb0ES3_PKS6_PS6_S6_ZZZN2at6native31launch_logcumsumexp_cuda_kernelERKNSD_10TensorBaseESH_lENKUlvE_clEvENKUlvE3_clEvEUlS6_S6_E_S6_EEDaPvRmT3_T4_T5_mT6_P12ihipStream_tbENKUlT_T0_E_clISt17integral_constantIbLb0EESY_EEDaST_SU_EUlST_E0_NS1_11comp_targetILNS1_3genE8ELNS1_11target_archE1030ELNS1_3gpuE2ELNS1_3repE0EEENS1_30default_config_static_selectorELNS0_4arch9wavefront6targetE1EEEvT1_.kd
    .uniform_work_group_size: 1
    .uses_dynamic_stack: false
    .vgpr_count:     0
    .vgpr_spill_count: 0
    .wavefront_size: 64
  - .agpr_count:     0
    .args:
      - .address_space:  global
        .offset:         0
        .size:           8
        .value_kind:     global_buffer
      - .offset:         8
        .size:           4
        .value_kind:     by_value
      - .address_space:  global
        .offset:         16
        .size:           8
        .value_kind:     global_buffer
      - .offset:         24
        .size:           4
        .value_kind:     by_value
      - .address_space:  global
        .offset:         32
        .size:           8
        .value_kind:     global_buffer
      - .offset:         40
        .size:           4
        .value_kind:     hidden_block_count_x
      - .offset:         44
        .size:           4
        .value_kind:     hidden_block_count_y
      - .offset:         48
        .size:           4
        .value_kind:     hidden_block_count_z
      - .offset:         52
        .size:           2
        .value_kind:     hidden_group_size_x
      - .offset:         54
        .size:           2
        .value_kind:     hidden_group_size_y
      - .offset:         56
        .size:           2
        .value_kind:     hidden_group_size_z
      - .offset:         58
        .size:           2
        .value_kind:     hidden_remainder_x
      - .offset:         60
        .size:           2
        .value_kind:     hidden_remainder_y
      - .offset:         62
        .size:           2
        .value_kind:     hidden_remainder_z
      - .offset:         80
        .size:           8
        .value_kind:     hidden_global_offset_x
      - .offset:         88
        .size:           8
        .value_kind:     hidden_global_offset_y
      - .offset:         96
        .size:           8
        .value_kind:     hidden_global_offset_z
      - .offset:         104
        .size:           2
        .value_kind:     hidden_grid_dims
    .group_segment_fixed_size: 0
    .kernarg_segment_align: 8
    .kernarg_segment_size: 296
    .language:       OpenCL C
    .language_version:
      - 2
      - 0
    .max_flat_workgroup_size: 256
    .name:           _ZN7rocprim17ROCPRIM_400000_NS6detail31init_lookback_scan_state_kernelINS1_19lookback_scan_stateIN3c104HalfELb1ELb1EEENS1_16block_id_wrapperIjLb1EEEEEvT_jT0_jPNS9_10value_typeE
    .private_segment_fixed_size: 0
    .sgpr_count:     18
    .sgpr_spill_count: 0
    .symbol:         _ZN7rocprim17ROCPRIM_400000_NS6detail31init_lookback_scan_state_kernelINS1_19lookback_scan_stateIN3c104HalfELb1ELb1EEENS1_16block_id_wrapperIjLb1EEEEEvT_jT0_jPNS9_10value_typeE.kd
    .uniform_work_group_size: 1
    .uses_dynamic_stack: false
    .vgpr_count:     6
    .vgpr_spill_count: 0
    .wavefront_size: 64
  - .agpr_count:     0
    .args:
      - .offset:         0
        .size:           96
        .value_kind:     by_value
    .group_segment_fixed_size: 0
    .kernarg_segment_align: 8
    .kernarg_segment_size: 96
    .language:       OpenCL C
    .language_version:
      - 2
      - 0
    .max_flat_workgroup_size: 128
    .name:           _ZN7rocprim17ROCPRIM_400000_NS6detail17trampoline_kernelINS0_14default_configENS1_20scan_config_selectorIN3c104HalfEEEZZNS1_9scan_implILNS1_25lookback_scan_determinismE0ELb0ELb0ES3_PKS6_PS6_S6_ZZZN2at6native31launch_logcumsumexp_cuda_kernelERKNSD_10TensorBaseESH_lENKUlvE_clEvENKUlvE3_clEvEUlS6_S6_E_S6_EEDaPvRmT3_T4_T5_mT6_P12ihipStream_tbENKUlT_T0_E_clISt17integral_constantIbLb1EESY_EEDaST_SU_EUlST_E_NS1_11comp_targetILNS1_3genE0ELNS1_11target_archE4294967295ELNS1_3gpuE0ELNS1_3repE0EEENS1_30default_config_static_selectorELNS0_4arch9wavefront6targetE1EEEvT1_
    .private_segment_fixed_size: 0
    .sgpr_count:     4
    .sgpr_spill_count: 0
    .symbol:         _ZN7rocprim17ROCPRIM_400000_NS6detail17trampoline_kernelINS0_14default_configENS1_20scan_config_selectorIN3c104HalfEEEZZNS1_9scan_implILNS1_25lookback_scan_determinismE0ELb0ELb0ES3_PKS6_PS6_S6_ZZZN2at6native31launch_logcumsumexp_cuda_kernelERKNSD_10TensorBaseESH_lENKUlvE_clEvENKUlvE3_clEvEUlS6_S6_E_S6_EEDaPvRmT3_T4_T5_mT6_P12ihipStream_tbENKUlT_T0_E_clISt17integral_constantIbLb1EESY_EEDaST_SU_EUlST_E_NS1_11comp_targetILNS1_3genE0ELNS1_11target_archE4294967295ELNS1_3gpuE0ELNS1_3repE0EEENS1_30default_config_static_selectorELNS0_4arch9wavefront6targetE1EEEvT1_.kd
    .uniform_work_group_size: 1
    .uses_dynamic_stack: false
    .vgpr_count:     0
    .vgpr_spill_count: 0
    .wavefront_size: 64
  - .agpr_count:     0
    .args:
      - .offset:         0
        .size:           96
        .value_kind:     by_value
    .group_segment_fixed_size: 0
    .kernarg_segment_align: 8
    .kernarg_segment_size: 96
    .language:       OpenCL C
    .language_version:
      - 2
      - 0
    .max_flat_workgroup_size: 256
    .name:           _ZN7rocprim17ROCPRIM_400000_NS6detail17trampoline_kernelINS0_14default_configENS1_20scan_config_selectorIN3c104HalfEEEZZNS1_9scan_implILNS1_25lookback_scan_determinismE0ELb0ELb0ES3_PKS6_PS6_S6_ZZZN2at6native31launch_logcumsumexp_cuda_kernelERKNSD_10TensorBaseESH_lENKUlvE_clEvENKUlvE3_clEvEUlS6_S6_E_S6_EEDaPvRmT3_T4_T5_mT6_P12ihipStream_tbENKUlT_T0_E_clISt17integral_constantIbLb1EESY_EEDaST_SU_EUlST_E_NS1_11comp_targetILNS1_3genE5ELNS1_11target_archE942ELNS1_3gpuE9ELNS1_3repE0EEENS1_30default_config_static_selectorELNS0_4arch9wavefront6targetE1EEEvT1_
    .private_segment_fixed_size: 0
    .sgpr_count:     4
    .sgpr_spill_count: 0
    .symbol:         _ZN7rocprim17ROCPRIM_400000_NS6detail17trampoline_kernelINS0_14default_configENS1_20scan_config_selectorIN3c104HalfEEEZZNS1_9scan_implILNS1_25lookback_scan_determinismE0ELb0ELb0ES3_PKS6_PS6_S6_ZZZN2at6native31launch_logcumsumexp_cuda_kernelERKNSD_10TensorBaseESH_lENKUlvE_clEvENKUlvE3_clEvEUlS6_S6_E_S6_EEDaPvRmT3_T4_T5_mT6_P12ihipStream_tbENKUlT_T0_E_clISt17integral_constantIbLb1EESY_EEDaST_SU_EUlST_E_NS1_11comp_targetILNS1_3genE5ELNS1_11target_archE942ELNS1_3gpuE9ELNS1_3repE0EEENS1_30default_config_static_selectorELNS0_4arch9wavefront6targetE1EEEvT1_.kd
    .uniform_work_group_size: 1
    .uses_dynamic_stack: false
    .vgpr_count:     0
    .vgpr_spill_count: 0
    .wavefront_size: 64
  - .agpr_count:     0
    .args:
      - .offset:         0
        .size:           96
        .value_kind:     by_value
      - .offset:         96
        .size:           4
        .value_kind:     hidden_block_count_x
      - .offset:         100
        .size:           4
        .value_kind:     hidden_block_count_y
      - .offset:         104
        .size:           4
        .value_kind:     hidden_block_count_z
      - .offset:         108
        .size:           2
        .value_kind:     hidden_group_size_x
      - .offset:         110
        .size:           2
        .value_kind:     hidden_group_size_y
      - .offset:         112
        .size:           2
        .value_kind:     hidden_group_size_z
      - .offset:         114
        .size:           2
        .value_kind:     hidden_remainder_x
      - .offset:         116
        .size:           2
        .value_kind:     hidden_remainder_y
      - .offset:         118
        .size:           2
        .value_kind:     hidden_remainder_z
      - .offset:         136
        .size:           8
        .value_kind:     hidden_global_offset_x
      - .offset:         144
        .size:           8
        .value_kind:     hidden_global_offset_y
      - .offset:         152
        .size:           8
        .value_kind:     hidden_global_offset_z
      - .offset:         160
        .size:           2
        .value_kind:     hidden_grid_dims
    .group_segment_fixed_size: 3072
    .kernarg_segment_align: 8
    .kernarg_segment_size: 352
    .language:       OpenCL C
    .language_version:
      - 2
      - 0
    .max_flat_workgroup_size: 64
    .name:           _ZN7rocprim17ROCPRIM_400000_NS6detail17trampoline_kernelINS0_14default_configENS1_20scan_config_selectorIN3c104HalfEEEZZNS1_9scan_implILNS1_25lookback_scan_determinismE0ELb0ELb0ES3_PKS6_PS6_S6_ZZZN2at6native31launch_logcumsumexp_cuda_kernelERKNSD_10TensorBaseESH_lENKUlvE_clEvENKUlvE3_clEvEUlS6_S6_E_S6_EEDaPvRmT3_T4_T5_mT6_P12ihipStream_tbENKUlT_T0_E_clISt17integral_constantIbLb1EESY_EEDaST_SU_EUlST_E_NS1_11comp_targetILNS1_3genE4ELNS1_11target_archE910ELNS1_3gpuE8ELNS1_3repE0EEENS1_30default_config_static_selectorELNS0_4arch9wavefront6targetE1EEEvT1_
    .private_segment_fixed_size: 120
    .sgpr_count:     86
    .sgpr_spill_count: 0
    .symbol:         _ZN7rocprim17ROCPRIM_400000_NS6detail17trampoline_kernelINS0_14default_configENS1_20scan_config_selectorIN3c104HalfEEEZZNS1_9scan_implILNS1_25lookback_scan_determinismE0ELb0ELb0ES3_PKS6_PS6_S6_ZZZN2at6native31launch_logcumsumexp_cuda_kernelERKNSD_10TensorBaseESH_lENKUlvE_clEvENKUlvE3_clEvEUlS6_S6_E_S6_EEDaPvRmT3_T4_T5_mT6_P12ihipStream_tbENKUlT_T0_E_clISt17integral_constantIbLb1EESY_EEDaST_SU_EUlST_E_NS1_11comp_targetILNS1_3genE4ELNS1_11target_archE910ELNS1_3gpuE8ELNS1_3repE0EEENS1_30default_config_static_selectorELNS0_4arch9wavefront6targetE1EEEvT1_.kd
    .uniform_work_group_size: 1
    .uses_dynamic_stack: false
    .vgpr_count:     166
    .vgpr_spill_count: 0
    .wavefront_size: 64
  - .agpr_count:     0
    .args:
      - .offset:         0
        .size:           96
        .value_kind:     by_value
    .group_segment_fixed_size: 0
    .kernarg_segment_align: 8
    .kernarg_segment_size: 96
    .language:       OpenCL C
    .language_version:
      - 2
      - 0
    .max_flat_workgroup_size: 128
    .name:           _ZN7rocprim17ROCPRIM_400000_NS6detail17trampoline_kernelINS0_14default_configENS1_20scan_config_selectorIN3c104HalfEEEZZNS1_9scan_implILNS1_25lookback_scan_determinismE0ELb0ELb0ES3_PKS6_PS6_S6_ZZZN2at6native31launch_logcumsumexp_cuda_kernelERKNSD_10TensorBaseESH_lENKUlvE_clEvENKUlvE3_clEvEUlS6_S6_E_S6_EEDaPvRmT3_T4_T5_mT6_P12ihipStream_tbENKUlT_T0_E_clISt17integral_constantIbLb1EESY_EEDaST_SU_EUlST_E_NS1_11comp_targetILNS1_3genE3ELNS1_11target_archE908ELNS1_3gpuE7ELNS1_3repE0EEENS1_30default_config_static_selectorELNS0_4arch9wavefront6targetE1EEEvT1_
    .private_segment_fixed_size: 0
    .sgpr_count:     4
    .sgpr_spill_count: 0
    .symbol:         _ZN7rocprim17ROCPRIM_400000_NS6detail17trampoline_kernelINS0_14default_configENS1_20scan_config_selectorIN3c104HalfEEEZZNS1_9scan_implILNS1_25lookback_scan_determinismE0ELb0ELb0ES3_PKS6_PS6_S6_ZZZN2at6native31launch_logcumsumexp_cuda_kernelERKNSD_10TensorBaseESH_lENKUlvE_clEvENKUlvE3_clEvEUlS6_S6_E_S6_EEDaPvRmT3_T4_T5_mT6_P12ihipStream_tbENKUlT_T0_E_clISt17integral_constantIbLb1EESY_EEDaST_SU_EUlST_E_NS1_11comp_targetILNS1_3genE3ELNS1_11target_archE908ELNS1_3gpuE7ELNS1_3repE0EEENS1_30default_config_static_selectorELNS0_4arch9wavefront6targetE1EEEvT1_.kd
    .uniform_work_group_size: 1
    .uses_dynamic_stack: false
    .vgpr_count:     0
    .vgpr_spill_count: 0
    .wavefront_size: 64
  - .agpr_count:     0
    .args:
      - .offset:         0
        .size:           96
        .value_kind:     by_value
    .group_segment_fixed_size: 0
    .kernarg_segment_align: 8
    .kernarg_segment_size: 96
    .language:       OpenCL C
    .language_version:
      - 2
      - 0
    .max_flat_workgroup_size: 256
    .name:           _ZN7rocprim17ROCPRIM_400000_NS6detail17trampoline_kernelINS0_14default_configENS1_20scan_config_selectorIN3c104HalfEEEZZNS1_9scan_implILNS1_25lookback_scan_determinismE0ELb0ELb0ES3_PKS6_PS6_S6_ZZZN2at6native31launch_logcumsumexp_cuda_kernelERKNSD_10TensorBaseESH_lENKUlvE_clEvENKUlvE3_clEvEUlS6_S6_E_S6_EEDaPvRmT3_T4_T5_mT6_P12ihipStream_tbENKUlT_T0_E_clISt17integral_constantIbLb1EESY_EEDaST_SU_EUlST_E_NS1_11comp_targetILNS1_3genE2ELNS1_11target_archE906ELNS1_3gpuE6ELNS1_3repE0EEENS1_30default_config_static_selectorELNS0_4arch9wavefront6targetE1EEEvT1_
    .private_segment_fixed_size: 0
    .sgpr_count:     4
    .sgpr_spill_count: 0
    .symbol:         _ZN7rocprim17ROCPRIM_400000_NS6detail17trampoline_kernelINS0_14default_configENS1_20scan_config_selectorIN3c104HalfEEEZZNS1_9scan_implILNS1_25lookback_scan_determinismE0ELb0ELb0ES3_PKS6_PS6_S6_ZZZN2at6native31launch_logcumsumexp_cuda_kernelERKNSD_10TensorBaseESH_lENKUlvE_clEvENKUlvE3_clEvEUlS6_S6_E_S6_EEDaPvRmT3_T4_T5_mT6_P12ihipStream_tbENKUlT_T0_E_clISt17integral_constantIbLb1EESY_EEDaST_SU_EUlST_E_NS1_11comp_targetILNS1_3genE2ELNS1_11target_archE906ELNS1_3gpuE6ELNS1_3repE0EEENS1_30default_config_static_selectorELNS0_4arch9wavefront6targetE1EEEvT1_.kd
    .uniform_work_group_size: 1
    .uses_dynamic_stack: false
    .vgpr_count:     0
    .vgpr_spill_count: 0
    .wavefront_size: 64
  - .agpr_count:     0
    .args:
      - .offset:         0
        .size:           96
        .value_kind:     by_value
    .group_segment_fixed_size: 0
    .kernarg_segment_align: 8
    .kernarg_segment_size: 96
    .language:       OpenCL C
    .language_version:
      - 2
      - 0
    .max_flat_workgroup_size: 256
    .name:           _ZN7rocprim17ROCPRIM_400000_NS6detail17trampoline_kernelINS0_14default_configENS1_20scan_config_selectorIN3c104HalfEEEZZNS1_9scan_implILNS1_25lookback_scan_determinismE0ELb0ELb0ES3_PKS6_PS6_S6_ZZZN2at6native31launch_logcumsumexp_cuda_kernelERKNSD_10TensorBaseESH_lENKUlvE_clEvENKUlvE3_clEvEUlS6_S6_E_S6_EEDaPvRmT3_T4_T5_mT6_P12ihipStream_tbENKUlT_T0_E_clISt17integral_constantIbLb1EESY_EEDaST_SU_EUlST_E_NS1_11comp_targetILNS1_3genE10ELNS1_11target_archE1201ELNS1_3gpuE5ELNS1_3repE0EEENS1_30default_config_static_selectorELNS0_4arch9wavefront6targetE1EEEvT1_
    .private_segment_fixed_size: 0
    .sgpr_count:     4
    .sgpr_spill_count: 0
    .symbol:         _ZN7rocprim17ROCPRIM_400000_NS6detail17trampoline_kernelINS0_14default_configENS1_20scan_config_selectorIN3c104HalfEEEZZNS1_9scan_implILNS1_25lookback_scan_determinismE0ELb0ELb0ES3_PKS6_PS6_S6_ZZZN2at6native31launch_logcumsumexp_cuda_kernelERKNSD_10TensorBaseESH_lENKUlvE_clEvENKUlvE3_clEvEUlS6_S6_E_S6_EEDaPvRmT3_T4_T5_mT6_P12ihipStream_tbENKUlT_T0_E_clISt17integral_constantIbLb1EESY_EEDaST_SU_EUlST_E_NS1_11comp_targetILNS1_3genE10ELNS1_11target_archE1201ELNS1_3gpuE5ELNS1_3repE0EEENS1_30default_config_static_selectorELNS0_4arch9wavefront6targetE1EEEvT1_.kd
    .uniform_work_group_size: 1
    .uses_dynamic_stack: false
    .vgpr_count:     0
    .vgpr_spill_count: 0
    .wavefront_size: 64
  - .agpr_count:     0
    .args:
      - .offset:         0
        .size:           96
        .value_kind:     by_value
    .group_segment_fixed_size: 0
    .kernarg_segment_align: 8
    .kernarg_segment_size: 96
    .language:       OpenCL C
    .language_version:
      - 2
      - 0
    .max_flat_workgroup_size: 256
    .name:           _ZN7rocprim17ROCPRIM_400000_NS6detail17trampoline_kernelINS0_14default_configENS1_20scan_config_selectorIN3c104HalfEEEZZNS1_9scan_implILNS1_25lookback_scan_determinismE0ELb0ELb0ES3_PKS6_PS6_S6_ZZZN2at6native31launch_logcumsumexp_cuda_kernelERKNSD_10TensorBaseESH_lENKUlvE_clEvENKUlvE3_clEvEUlS6_S6_E_S6_EEDaPvRmT3_T4_T5_mT6_P12ihipStream_tbENKUlT_T0_E_clISt17integral_constantIbLb1EESY_EEDaST_SU_EUlST_E_NS1_11comp_targetILNS1_3genE10ELNS1_11target_archE1200ELNS1_3gpuE4ELNS1_3repE0EEENS1_30default_config_static_selectorELNS0_4arch9wavefront6targetE1EEEvT1_
    .private_segment_fixed_size: 0
    .sgpr_count:     4
    .sgpr_spill_count: 0
    .symbol:         _ZN7rocprim17ROCPRIM_400000_NS6detail17trampoline_kernelINS0_14default_configENS1_20scan_config_selectorIN3c104HalfEEEZZNS1_9scan_implILNS1_25lookback_scan_determinismE0ELb0ELb0ES3_PKS6_PS6_S6_ZZZN2at6native31launch_logcumsumexp_cuda_kernelERKNSD_10TensorBaseESH_lENKUlvE_clEvENKUlvE3_clEvEUlS6_S6_E_S6_EEDaPvRmT3_T4_T5_mT6_P12ihipStream_tbENKUlT_T0_E_clISt17integral_constantIbLb1EESY_EEDaST_SU_EUlST_E_NS1_11comp_targetILNS1_3genE10ELNS1_11target_archE1200ELNS1_3gpuE4ELNS1_3repE0EEENS1_30default_config_static_selectorELNS0_4arch9wavefront6targetE1EEEvT1_.kd
    .uniform_work_group_size: 1
    .uses_dynamic_stack: false
    .vgpr_count:     0
    .vgpr_spill_count: 0
    .wavefront_size: 64
  - .agpr_count:     0
    .args:
      - .offset:         0
        .size:           96
        .value_kind:     by_value
    .group_segment_fixed_size: 0
    .kernarg_segment_align: 8
    .kernarg_segment_size: 96
    .language:       OpenCL C
    .language_version:
      - 2
      - 0
    .max_flat_workgroup_size: 64
    .name:           _ZN7rocprim17ROCPRIM_400000_NS6detail17trampoline_kernelINS0_14default_configENS1_20scan_config_selectorIN3c104HalfEEEZZNS1_9scan_implILNS1_25lookback_scan_determinismE0ELb0ELb0ES3_PKS6_PS6_S6_ZZZN2at6native31launch_logcumsumexp_cuda_kernelERKNSD_10TensorBaseESH_lENKUlvE_clEvENKUlvE3_clEvEUlS6_S6_E_S6_EEDaPvRmT3_T4_T5_mT6_P12ihipStream_tbENKUlT_T0_E_clISt17integral_constantIbLb1EESY_EEDaST_SU_EUlST_E_NS1_11comp_targetILNS1_3genE9ELNS1_11target_archE1100ELNS1_3gpuE3ELNS1_3repE0EEENS1_30default_config_static_selectorELNS0_4arch9wavefront6targetE1EEEvT1_
    .private_segment_fixed_size: 0
    .sgpr_count:     4
    .sgpr_spill_count: 0
    .symbol:         _ZN7rocprim17ROCPRIM_400000_NS6detail17trampoline_kernelINS0_14default_configENS1_20scan_config_selectorIN3c104HalfEEEZZNS1_9scan_implILNS1_25lookback_scan_determinismE0ELb0ELb0ES3_PKS6_PS6_S6_ZZZN2at6native31launch_logcumsumexp_cuda_kernelERKNSD_10TensorBaseESH_lENKUlvE_clEvENKUlvE3_clEvEUlS6_S6_E_S6_EEDaPvRmT3_T4_T5_mT6_P12ihipStream_tbENKUlT_T0_E_clISt17integral_constantIbLb1EESY_EEDaST_SU_EUlST_E_NS1_11comp_targetILNS1_3genE9ELNS1_11target_archE1100ELNS1_3gpuE3ELNS1_3repE0EEENS1_30default_config_static_selectorELNS0_4arch9wavefront6targetE1EEEvT1_.kd
    .uniform_work_group_size: 1
    .uses_dynamic_stack: false
    .vgpr_count:     0
    .vgpr_spill_count: 0
    .wavefront_size: 64
  - .agpr_count:     0
    .args:
      - .offset:         0
        .size:           96
        .value_kind:     by_value
    .group_segment_fixed_size: 0
    .kernarg_segment_align: 8
    .kernarg_segment_size: 96
    .language:       OpenCL C
    .language_version:
      - 2
      - 0
    .max_flat_workgroup_size: 64
    .name:           _ZN7rocprim17ROCPRIM_400000_NS6detail17trampoline_kernelINS0_14default_configENS1_20scan_config_selectorIN3c104HalfEEEZZNS1_9scan_implILNS1_25lookback_scan_determinismE0ELb0ELb0ES3_PKS6_PS6_S6_ZZZN2at6native31launch_logcumsumexp_cuda_kernelERKNSD_10TensorBaseESH_lENKUlvE_clEvENKUlvE3_clEvEUlS6_S6_E_S6_EEDaPvRmT3_T4_T5_mT6_P12ihipStream_tbENKUlT_T0_E_clISt17integral_constantIbLb1EESY_EEDaST_SU_EUlST_E_NS1_11comp_targetILNS1_3genE8ELNS1_11target_archE1030ELNS1_3gpuE2ELNS1_3repE0EEENS1_30default_config_static_selectorELNS0_4arch9wavefront6targetE1EEEvT1_
    .private_segment_fixed_size: 0
    .sgpr_count:     4
    .sgpr_spill_count: 0
    .symbol:         _ZN7rocprim17ROCPRIM_400000_NS6detail17trampoline_kernelINS0_14default_configENS1_20scan_config_selectorIN3c104HalfEEEZZNS1_9scan_implILNS1_25lookback_scan_determinismE0ELb0ELb0ES3_PKS6_PS6_S6_ZZZN2at6native31launch_logcumsumexp_cuda_kernelERKNSD_10TensorBaseESH_lENKUlvE_clEvENKUlvE3_clEvEUlS6_S6_E_S6_EEDaPvRmT3_T4_T5_mT6_P12ihipStream_tbENKUlT_T0_E_clISt17integral_constantIbLb1EESY_EEDaST_SU_EUlST_E_NS1_11comp_targetILNS1_3genE8ELNS1_11target_archE1030ELNS1_3gpuE2ELNS1_3repE0EEENS1_30default_config_static_selectorELNS0_4arch9wavefront6targetE1EEEvT1_.kd
    .uniform_work_group_size: 1
    .uses_dynamic_stack: false
    .vgpr_count:     0
    .vgpr_spill_count: 0
    .wavefront_size: 64
  - .agpr_count:     0
    .args:
      - .offset:         0
        .size:           32
        .value_kind:     by_value
    .group_segment_fixed_size: 0
    .kernarg_segment_align: 8
    .kernarg_segment_size: 32
    .language:       OpenCL C
    .language_version:
      - 2
      - 0
    .max_flat_workgroup_size: 128
    .name:           _ZN7rocprim17ROCPRIM_400000_NS6detail17trampoline_kernelINS0_14default_configENS1_20scan_config_selectorIN3c104HalfEEEZZNS1_9scan_implILNS1_25lookback_scan_determinismE0ELb0ELb0ES3_PKS6_PS6_S6_ZZZN2at6native31launch_logcumsumexp_cuda_kernelERKNSD_10TensorBaseESH_lENKUlvE_clEvENKUlvE3_clEvEUlS6_S6_E_S6_EEDaPvRmT3_T4_T5_mT6_P12ihipStream_tbENKUlT_T0_E_clISt17integral_constantIbLb1EESY_EEDaST_SU_EUlST_E0_NS1_11comp_targetILNS1_3genE0ELNS1_11target_archE4294967295ELNS1_3gpuE0ELNS1_3repE0EEENS1_30default_config_static_selectorELNS0_4arch9wavefront6targetE1EEEvT1_
    .private_segment_fixed_size: 0
    .sgpr_count:     4
    .sgpr_spill_count: 0
    .symbol:         _ZN7rocprim17ROCPRIM_400000_NS6detail17trampoline_kernelINS0_14default_configENS1_20scan_config_selectorIN3c104HalfEEEZZNS1_9scan_implILNS1_25lookback_scan_determinismE0ELb0ELb0ES3_PKS6_PS6_S6_ZZZN2at6native31launch_logcumsumexp_cuda_kernelERKNSD_10TensorBaseESH_lENKUlvE_clEvENKUlvE3_clEvEUlS6_S6_E_S6_EEDaPvRmT3_T4_T5_mT6_P12ihipStream_tbENKUlT_T0_E_clISt17integral_constantIbLb1EESY_EEDaST_SU_EUlST_E0_NS1_11comp_targetILNS1_3genE0ELNS1_11target_archE4294967295ELNS1_3gpuE0ELNS1_3repE0EEENS1_30default_config_static_selectorELNS0_4arch9wavefront6targetE1EEEvT1_.kd
    .uniform_work_group_size: 1
    .uses_dynamic_stack: false
    .vgpr_count:     0
    .vgpr_spill_count: 0
    .wavefront_size: 64
  - .agpr_count:     0
    .args:
      - .offset:         0
        .size:           32
        .value_kind:     by_value
    .group_segment_fixed_size: 0
    .kernarg_segment_align: 8
    .kernarg_segment_size: 32
    .language:       OpenCL C
    .language_version:
      - 2
      - 0
    .max_flat_workgroup_size: 256
    .name:           _ZN7rocprim17ROCPRIM_400000_NS6detail17trampoline_kernelINS0_14default_configENS1_20scan_config_selectorIN3c104HalfEEEZZNS1_9scan_implILNS1_25lookback_scan_determinismE0ELb0ELb0ES3_PKS6_PS6_S6_ZZZN2at6native31launch_logcumsumexp_cuda_kernelERKNSD_10TensorBaseESH_lENKUlvE_clEvENKUlvE3_clEvEUlS6_S6_E_S6_EEDaPvRmT3_T4_T5_mT6_P12ihipStream_tbENKUlT_T0_E_clISt17integral_constantIbLb1EESY_EEDaST_SU_EUlST_E0_NS1_11comp_targetILNS1_3genE5ELNS1_11target_archE942ELNS1_3gpuE9ELNS1_3repE0EEENS1_30default_config_static_selectorELNS0_4arch9wavefront6targetE1EEEvT1_
    .private_segment_fixed_size: 0
    .sgpr_count:     4
    .sgpr_spill_count: 0
    .symbol:         _ZN7rocprim17ROCPRIM_400000_NS6detail17trampoline_kernelINS0_14default_configENS1_20scan_config_selectorIN3c104HalfEEEZZNS1_9scan_implILNS1_25lookback_scan_determinismE0ELb0ELb0ES3_PKS6_PS6_S6_ZZZN2at6native31launch_logcumsumexp_cuda_kernelERKNSD_10TensorBaseESH_lENKUlvE_clEvENKUlvE3_clEvEUlS6_S6_E_S6_EEDaPvRmT3_T4_T5_mT6_P12ihipStream_tbENKUlT_T0_E_clISt17integral_constantIbLb1EESY_EEDaST_SU_EUlST_E0_NS1_11comp_targetILNS1_3genE5ELNS1_11target_archE942ELNS1_3gpuE9ELNS1_3repE0EEENS1_30default_config_static_selectorELNS0_4arch9wavefront6targetE1EEEvT1_.kd
    .uniform_work_group_size: 1
    .uses_dynamic_stack: false
    .vgpr_count:     0
    .vgpr_spill_count: 0
    .wavefront_size: 64
  - .agpr_count:     0
    .args:
      - .offset:         0
        .size:           32
        .value_kind:     by_value
    .group_segment_fixed_size: 3072
    .kernarg_segment_align: 8
    .kernarg_segment_size: 32
    .language:       OpenCL C
    .language_version:
      - 2
      - 0
    .max_flat_workgroup_size: 64
    .name:           _ZN7rocprim17ROCPRIM_400000_NS6detail17trampoline_kernelINS0_14default_configENS1_20scan_config_selectorIN3c104HalfEEEZZNS1_9scan_implILNS1_25lookback_scan_determinismE0ELb0ELb0ES3_PKS6_PS6_S6_ZZZN2at6native31launch_logcumsumexp_cuda_kernelERKNSD_10TensorBaseESH_lENKUlvE_clEvENKUlvE3_clEvEUlS6_S6_E_S6_EEDaPvRmT3_T4_T5_mT6_P12ihipStream_tbENKUlT_T0_E_clISt17integral_constantIbLb1EESY_EEDaST_SU_EUlST_E0_NS1_11comp_targetILNS1_3genE4ELNS1_11target_archE910ELNS1_3gpuE8ELNS1_3repE0EEENS1_30default_config_static_selectorELNS0_4arch9wavefront6targetE1EEEvT1_
    .private_segment_fixed_size: 0
    .sgpr_count:     100
    .sgpr_spill_count: 10
    .symbol:         _ZN7rocprim17ROCPRIM_400000_NS6detail17trampoline_kernelINS0_14default_configENS1_20scan_config_selectorIN3c104HalfEEEZZNS1_9scan_implILNS1_25lookback_scan_determinismE0ELb0ELb0ES3_PKS6_PS6_S6_ZZZN2at6native31launch_logcumsumexp_cuda_kernelERKNSD_10TensorBaseESH_lENKUlvE_clEvENKUlvE3_clEvEUlS6_S6_E_S6_EEDaPvRmT3_T4_T5_mT6_P12ihipStream_tbENKUlT_T0_E_clISt17integral_constantIbLb1EESY_EEDaST_SU_EUlST_E0_NS1_11comp_targetILNS1_3genE4ELNS1_11target_archE910ELNS1_3gpuE8ELNS1_3repE0EEENS1_30default_config_static_selectorELNS0_4arch9wavefront6targetE1EEEvT1_.kd
    .uniform_work_group_size: 1
    .uses_dynamic_stack: false
    .vgpr_count:     52
    .vgpr_spill_count: 0
    .wavefront_size: 64
  - .agpr_count:     0
    .args:
      - .offset:         0
        .size:           32
        .value_kind:     by_value
    .group_segment_fixed_size: 0
    .kernarg_segment_align: 8
    .kernarg_segment_size: 32
    .language:       OpenCL C
    .language_version:
      - 2
      - 0
    .max_flat_workgroup_size: 128
    .name:           _ZN7rocprim17ROCPRIM_400000_NS6detail17trampoline_kernelINS0_14default_configENS1_20scan_config_selectorIN3c104HalfEEEZZNS1_9scan_implILNS1_25lookback_scan_determinismE0ELb0ELb0ES3_PKS6_PS6_S6_ZZZN2at6native31launch_logcumsumexp_cuda_kernelERKNSD_10TensorBaseESH_lENKUlvE_clEvENKUlvE3_clEvEUlS6_S6_E_S6_EEDaPvRmT3_T4_T5_mT6_P12ihipStream_tbENKUlT_T0_E_clISt17integral_constantIbLb1EESY_EEDaST_SU_EUlST_E0_NS1_11comp_targetILNS1_3genE3ELNS1_11target_archE908ELNS1_3gpuE7ELNS1_3repE0EEENS1_30default_config_static_selectorELNS0_4arch9wavefront6targetE1EEEvT1_
    .private_segment_fixed_size: 0
    .sgpr_count:     4
    .sgpr_spill_count: 0
    .symbol:         _ZN7rocprim17ROCPRIM_400000_NS6detail17trampoline_kernelINS0_14default_configENS1_20scan_config_selectorIN3c104HalfEEEZZNS1_9scan_implILNS1_25lookback_scan_determinismE0ELb0ELb0ES3_PKS6_PS6_S6_ZZZN2at6native31launch_logcumsumexp_cuda_kernelERKNSD_10TensorBaseESH_lENKUlvE_clEvENKUlvE3_clEvEUlS6_S6_E_S6_EEDaPvRmT3_T4_T5_mT6_P12ihipStream_tbENKUlT_T0_E_clISt17integral_constantIbLb1EESY_EEDaST_SU_EUlST_E0_NS1_11comp_targetILNS1_3genE3ELNS1_11target_archE908ELNS1_3gpuE7ELNS1_3repE0EEENS1_30default_config_static_selectorELNS0_4arch9wavefront6targetE1EEEvT1_.kd
    .uniform_work_group_size: 1
    .uses_dynamic_stack: false
    .vgpr_count:     0
    .vgpr_spill_count: 0
    .wavefront_size: 64
  - .agpr_count:     0
    .args:
      - .offset:         0
        .size:           32
        .value_kind:     by_value
    .group_segment_fixed_size: 0
    .kernarg_segment_align: 8
    .kernarg_segment_size: 32
    .language:       OpenCL C
    .language_version:
      - 2
      - 0
    .max_flat_workgroup_size: 256
    .name:           _ZN7rocprim17ROCPRIM_400000_NS6detail17trampoline_kernelINS0_14default_configENS1_20scan_config_selectorIN3c104HalfEEEZZNS1_9scan_implILNS1_25lookback_scan_determinismE0ELb0ELb0ES3_PKS6_PS6_S6_ZZZN2at6native31launch_logcumsumexp_cuda_kernelERKNSD_10TensorBaseESH_lENKUlvE_clEvENKUlvE3_clEvEUlS6_S6_E_S6_EEDaPvRmT3_T4_T5_mT6_P12ihipStream_tbENKUlT_T0_E_clISt17integral_constantIbLb1EESY_EEDaST_SU_EUlST_E0_NS1_11comp_targetILNS1_3genE2ELNS1_11target_archE906ELNS1_3gpuE6ELNS1_3repE0EEENS1_30default_config_static_selectorELNS0_4arch9wavefront6targetE1EEEvT1_
    .private_segment_fixed_size: 0
    .sgpr_count:     4
    .sgpr_spill_count: 0
    .symbol:         _ZN7rocprim17ROCPRIM_400000_NS6detail17trampoline_kernelINS0_14default_configENS1_20scan_config_selectorIN3c104HalfEEEZZNS1_9scan_implILNS1_25lookback_scan_determinismE0ELb0ELb0ES3_PKS6_PS6_S6_ZZZN2at6native31launch_logcumsumexp_cuda_kernelERKNSD_10TensorBaseESH_lENKUlvE_clEvENKUlvE3_clEvEUlS6_S6_E_S6_EEDaPvRmT3_T4_T5_mT6_P12ihipStream_tbENKUlT_T0_E_clISt17integral_constantIbLb1EESY_EEDaST_SU_EUlST_E0_NS1_11comp_targetILNS1_3genE2ELNS1_11target_archE906ELNS1_3gpuE6ELNS1_3repE0EEENS1_30default_config_static_selectorELNS0_4arch9wavefront6targetE1EEEvT1_.kd
    .uniform_work_group_size: 1
    .uses_dynamic_stack: false
    .vgpr_count:     0
    .vgpr_spill_count: 0
    .wavefront_size: 64
  - .agpr_count:     0
    .args:
      - .offset:         0
        .size:           32
        .value_kind:     by_value
    .group_segment_fixed_size: 0
    .kernarg_segment_align: 8
    .kernarg_segment_size: 32
    .language:       OpenCL C
    .language_version:
      - 2
      - 0
    .max_flat_workgroup_size: 256
    .name:           _ZN7rocprim17ROCPRIM_400000_NS6detail17trampoline_kernelINS0_14default_configENS1_20scan_config_selectorIN3c104HalfEEEZZNS1_9scan_implILNS1_25lookback_scan_determinismE0ELb0ELb0ES3_PKS6_PS6_S6_ZZZN2at6native31launch_logcumsumexp_cuda_kernelERKNSD_10TensorBaseESH_lENKUlvE_clEvENKUlvE3_clEvEUlS6_S6_E_S6_EEDaPvRmT3_T4_T5_mT6_P12ihipStream_tbENKUlT_T0_E_clISt17integral_constantIbLb1EESY_EEDaST_SU_EUlST_E0_NS1_11comp_targetILNS1_3genE10ELNS1_11target_archE1201ELNS1_3gpuE5ELNS1_3repE0EEENS1_30default_config_static_selectorELNS0_4arch9wavefront6targetE1EEEvT1_
    .private_segment_fixed_size: 0
    .sgpr_count:     4
    .sgpr_spill_count: 0
    .symbol:         _ZN7rocprim17ROCPRIM_400000_NS6detail17trampoline_kernelINS0_14default_configENS1_20scan_config_selectorIN3c104HalfEEEZZNS1_9scan_implILNS1_25lookback_scan_determinismE0ELb0ELb0ES3_PKS6_PS6_S6_ZZZN2at6native31launch_logcumsumexp_cuda_kernelERKNSD_10TensorBaseESH_lENKUlvE_clEvENKUlvE3_clEvEUlS6_S6_E_S6_EEDaPvRmT3_T4_T5_mT6_P12ihipStream_tbENKUlT_T0_E_clISt17integral_constantIbLb1EESY_EEDaST_SU_EUlST_E0_NS1_11comp_targetILNS1_3genE10ELNS1_11target_archE1201ELNS1_3gpuE5ELNS1_3repE0EEENS1_30default_config_static_selectorELNS0_4arch9wavefront6targetE1EEEvT1_.kd
    .uniform_work_group_size: 1
    .uses_dynamic_stack: false
    .vgpr_count:     0
    .vgpr_spill_count: 0
    .wavefront_size: 64
  - .agpr_count:     0
    .args:
      - .offset:         0
        .size:           32
        .value_kind:     by_value
    .group_segment_fixed_size: 0
    .kernarg_segment_align: 8
    .kernarg_segment_size: 32
    .language:       OpenCL C
    .language_version:
      - 2
      - 0
    .max_flat_workgroup_size: 256
    .name:           _ZN7rocprim17ROCPRIM_400000_NS6detail17trampoline_kernelINS0_14default_configENS1_20scan_config_selectorIN3c104HalfEEEZZNS1_9scan_implILNS1_25lookback_scan_determinismE0ELb0ELb0ES3_PKS6_PS6_S6_ZZZN2at6native31launch_logcumsumexp_cuda_kernelERKNSD_10TensorBaseESH_lENKUlvE_clEvENKUlvE3_clEvEUlS6_S6_E_S6_EEDaPvRmT3_T4_T5_mT6_P12ihipStream_tbENKUlT_T0_E_clISt17integral_constantIbLb1EESY_EEDaST_SU_EUlST_E0_NS1_11comp_targetILNS1_3genE10ELNS1_11target_archE1200ELNS1_3gpuE4ELNS1_3repE0EEENS1_30default_config_static_selectorELNS0_4arch9wavefront6targetE1EEEvT1_
    .private_segment_fixed_size: 0
    .sgpr_count:     4
    .sgpr_spill_count: 0
    .symbol:         _ZN7rocprim17ROCPRIM_400000_NS6detail17trampoline_kernelINS0_14default_configENS1_20scan_config_selectorIN3c104HalfEEEZZNS1_9scan_implILNS1_25lookback_scan_determinismE0ELb0ELb0ES3_PKS6_PS6_S6_ZZZN2at6native31launch_logcumsumexp_cuda_kernelERKNSD_10TensorBaseESH_lENKUlvE_clEvENKUlvE3_clEvEUlS6_S6_E_S6_EEDaPvRmT3_T4_T5_mT6_P12ihipStream_tbENKUlT_T0_E_clISt17integral_constantIbLb1EESY_EEDaST_SU_EUlST_E0_NS1_11comp_targetILNS1_3genE10ELNS1_11target_archE1200ELNS1_3gpuE4ELNS1_3repE0EEENS1_30default_config_static_selectorELNS0_4arch9wavefront6targetE1EEEvT1_.kd
    .uniform_work_group_size: 1
    .uses_dynamic_stack: false
    .vgpr_count:     0
    .vgpr_spill_count: 0
    .wavefront_size: 64
  - .agpr_count:     0
    .args:
      - .offset:         0
        .size:           32
        .value_kind:     by_value
    .group_segment_fixed_size: 0
    .kernarg_segment_align: 8
    .kernarg_segment_size: 32
    .language:       OpenCL C
    .language_version:
      - 2
      - 0
    .max_flat_workgroup_size: 64
    .name:           _ZN7rocprim17ROCPRIM_400000_NS6detail17trampoline_kernelINS0_14default_configENS1_20scan_config_selectorIN3c104HalfEEEZZNS1_9scan_implILNS1_25lookback_scan_determinismE0ELb0ELb0ES3_PKS6_PS6_S6_ZZZN2at6native31launch_logcumsumexp_cuda_kernelERKNSD_10TensorBaseESH_lENKUlvE_clEvENKUlvE3_clEvEUlS6_S6_E_S6_EEDaPvRmT3_T4_T5_mT6_P12ihipStream_tbENKUlT_T0_E_clISt17integral_constantIbLb1EESY_EEDaST_SU_EUlST_E0_NS1_11comp_targetILNS1_3genE9ELNS1_11target_archE1100ELNS1_3gpuE3ELNS1_3repE0EEENS1_30default_config_static_selectorELNS0_4arch9wavefront6targetE1EEEvT1_
    .private_segment_fixed_size: 0
    .sgpr_count:     4
    .sgpr_spill_count: 0
    .symbol:         _ZN7rocprim17ROCPRIM_400000_NS6detail17trampoline_kernelINS0_14default_configENS1_20scan_config_selectorIN3c104HalfEEEZZNS1_9scan_implILNS1_25lookback_scan_determinismE0ELb0ELb0ES3_PKS6_PS6_S6_ZZZN2at6native31launch_logcumsumexp_cuda_kernelERKNSD_10TensorBaseESH_lENKUlvE_clEvENKUlvE3_clEvEUlS6_S6_E_S6_EEDaPvRmT3_T4_T5_mT6_P12ihipStream_tbENKUlT_T0_E_clISt17integral_constantIbLb1EESY_EEDaST_SU_EUlST_E0_NS1_11comp_targetILNS1_3genE9ELNS1_11target_archE1100ELNS1_3gpuE3ELNS1_3repE0EEENS1_30default_config_static_selectorELNS0_4arch9wavefront6targetE1EEEvT1_.kd
    .uniform_work_group_size: 1
    .uses_dynamic_stack: false
    .vgpr_count:     0
    .vgpr_spill_count: 0
    .wavefront_size: 64
  - .agpr_count:     0
    .args:
      - .offset:         0
        .size:           32
        .value_kind:     by_value
    .group_segment_fixed_size: 0
    .kernarg_segment_align: 8
    .kernarg_segment_size: 32
    .language:       OpenCL C
    .language_version:
      - 2
      - 0
    .max_flat_workgroup_size: 64
    .name:           _ZN7rocprim17ROCPRIM_400000_NS6detail17trampoline_kernelINS0_14default_configENS1_20scan_config_selectorIN3c104HalfEEEZZNS1_9scan_implILNS1_25lookback_scan_determinismE0ELb0ELb0ES3_PKS6_PS6_S6_ZZZN2at6native31launch_logcumsumexp_cuda_kernelERKNSD_10TensorBaseESH_lENKUlvE_clEvENKUlvE3_clEvEUlS6_S6_E_S6_EEDaPvRmT3_T4_T5_mT6_P12ihipStream_tbENKUlT_T0_E_clISt17integral_constantIbLb1EESY_EEDaST_SU_EUlST_E0_NS1_11comp_targetILNS1_3genE8ELNS1_11target_archE1030ELNS1_3gpuE2ELNS1_3repE0EEENS1_30default_config_static_selectorELNS0_4arch9wavefront6targetE1EEEvT1_
    .private_segment_fixed_size: 0
    .sgpr_count:     4
    .sgpr_spill_count: 0
    .symbol:         _ZN7rocprim17ROCPRIM_400000_NS6detail17trampoline_kernelINS0_14default_configENS1_20scan_config_selectorIN3c104HalfEEEZZNS1_9scan_implILNS1_25lookback_scan_determinismE0ELb0ELb0ES3_PKS6_PS6_S6_ZZZN2at6native31launch_logcumsumexp_cuda_kernelERKNSD_10TensorBaseESH_lENKUlvE_clEvENKUlvE3_clEvEUlS6_S6_E_S6_EEDaPvRmT3_T4_T5_mT6_P12ihipStream_tbENKUlT_T0_E_clISt17integral_constantIbLb1EESY_EEDaST_SU_EUlST_E0_NS1_11comp_targetILNS1_3genE8ELNS1_11target_archE1030ELNS1_3gpuE2ELNS1_3repE0EEENS1_30default_config_static_selectorELNS0_4arch9wavefront6targetE1EEEvT1_.kd
    .uniform_work_group_size: 1
    .uses_dynamic_stack: false
    .vgpr_count:     0
    .vgpr_spill_count: 0
    .wavefront_size: 64
  - .agpr_count:     0
    .args:
      - .address_space:  global
        .offset:         0
        .size:           8
        .value_kind:     global_buffer
      - .offset:         8
        .size:           4
        .value_kind:     by_value
      - .offset:         12
        .size:           1
        .value_kind:     by_value
      - .offset:         16
        .size:           4
        .value_kind:     by_value
      - .address_space:  global
        .offset:         24
        .size:           8
        .value_kind:     global_buffer
      - .offset:         32
        .size:           4
        .value_kind:     hidden_block_count_x
      - .offset:         36
        .size:           4
        .value_kind:     hidden_block_count_y
      - .offset:         40
        .size:           4
        .value_kind:     hidden_block_count_z
      - .offset:         44
        .size:           2
        .value_kind:     hidden_group_size_x
      - .offset:         46
        .size:           2
        .value_kind:     hidden_group_size_y
      - .offset:         48
        .size:           2
        .value_kind:     hidden_group_size_z
      - .offset:         50
        .size:           2
        .value_kind:     hidden_remainder_x
      - .offset:         52
        .size:           2
        .value_kind:     hidden_remainder_y
      - .offset:         54
        .size:           2
        .value_kind:     hidden_remainder_z
      - .offset:         72
        .size:           8
        .value_kind:     hidden_global_offset_x
      - .offset:         80
        .size:           8
        .value_kind:     hidden_global_offset_y
      - .offset:         88
        .size:           8
        .value_kind:     hidden_global_offset_z
      - .offset:         96
        .size:           2
        .value_kind:     hidden_grid_dims
    .group_segment_fixed_size: 0
    .kernarg_segment_align: 8
    .kernarg_segment_size: 288
    .language:       OpenCL C
    .language_version:
      - 2
      - 0
    .max_flat_workgroup_size: 256
    .name:           _ZN7rocprim17ROCPRIM_400000_NS6detail31init_lookback_scan_state_kernelINS1_19lookback_scan_stateIN3c104HalfELb1ELb1EEENS1_16block_id_wrapperIjLb0EEEEEvT_jT0_jPNS9_10value_typeE
    .private_segment_fixed_size: 0
    .sgpr_count:     16
    .sgpr_spill_count: 0
    .symbol:         _ZN7rocprim17ROCPRIM_400000_NS6detail31init_lookback_scan_state_kernelINS1_19lookback_scan_stateIN3c104HalfELb1ELb1EEENS1_16block_id_wrapperIjLb0EEEEEvT_jT0_jPNS9_10value_typeE.kd
    .uniform_work_group_size: 1
    .uses_dynamic_stack: false
    .vgpr_count:     6
    .vgpr_spill_count: 0
    .wavefront_size: 64
  - .agpr_count:     0
    .args:
      - .offset:         0
        .size:           96
        .value_kind:     by_value
    .group_segment_fixed_size: 0
    .kernarg_segment_align: 8
    .kernarg_segment_size: 96
    .language:       OpenCL C
    .language_version:
      - 2
      - 0
    .max_flat_workgroup_size: 128
    .name:           _ZN7rocprim17ROCPRIM_400000_NS6detail17trampoline_kernelINS0_14default_configENS1_20scan_config_selectorIN3c104HalfEEEZZNS1_9scan_implILNS1_25lookback_scan_determinismE0ELb0ELb0ES3_PKS6_PS6_S6_ZZZN2at6native31launch_logcumsumexp_cuda_kernelERKNSD_10TensorBaseESH_lENKUlvE_clEvENKUlvE3_clEvEUlS6_S6_E_S6_EEDaPvRmT3_T4_T5_mT6_P12ihipStream_tbENKUlT_T0_E_clISt17integral_constantIbLb1EESX_IbLb0EEEEDaST_SU_EUlST_E_NS1_11comp_targetILNS1_3genE0ELNS1_11target_archE4294967295ELNS1_3gpuE0ELNS1_3repE0EEENS1_30default_config_static_selectorELNS0_4arch9wavefront6targetE1EEEvT1_
    .private_segment_fixed_size: 0
    .sgpr_count:     4
    .sgpr_spill_count: 0
    .symbol:         _ZN7rocprim17ROCPRIM_400000_NS6detail17trampoline_kernelINS0_14default_configENS1_20scan_config_selectorIN3c104HalfEEEZZNS1_9scan_implILNS1_25lookback_scan_determinismE0ELb0ELb0ES3_PKS6_PS6_S6_ZZZN2at6native31launch_logcumsumexp_cuda_kernelERKNSD_10TensorBaseESH_lENKUlvE_clEvENKUlvE3_clEvEUlS6_S6_E_S6_EEDaPvRmT3_T4_T5_mT6_P12ihipStream_tbENKUlT_T0_E_clISt17integral_constantIbLb1EESX_IbLb0EEEEDaST_SU_EUlST_E_NS1_11comp_targetILNS1_3genE0ELNS1_11target_archE4294967295ELNS1_3gpuE0ELNS1_3repE0EEENS1_30default_config_static_selectorELNS0_4arch9wavefront6targetE1EEEvT1_.kd
    .uniform_work_group_size: 1
    .uses_dynamic_stack: false
    .vgpr_count:     0
    .vgpr_spill_count: 0
    .wavefront_size: 64
  - .agpr_count:     0
    .args:
      - .offset:         0
        .size:           96
        .value_kind:     by_value
    .group_segment_fixed_size: 0
    .kernarg_segment_align: 8
    .kernarg_segment_size: 96
    .language:       OpenCL C
    .language_version:
      - 2
      - 0
    .max_flat_workgroup_size: 256
    .name:           _ZN7rocprim17ROCPRIM_400000_NS6detail17trampoline_kernelINS0_14default_configENS1_20scan_config_selectorIN3c104HalfEEEZZNS1_9scan_implILNS1_25lookback_scan_determinismE0ELb0ELb0ES3_PKS6_PS6_S6_ZZZN2at6native31launch_logcumsumexp_cuda_kernelERKNSD_10TensorBaseESH_lENKUlvE_clEvENKUlvE3_clEvEUlS6_S6_E_S6_EEDaPvRmT3_T4_T5_mT6_P12ihipStream_tbENKUlT_T0_E_clISt17integral_constantIbLb1EESX_IbLb0EEEEDaST_SU_EUlST_E_NS1_11comp_targetILNS1_3genE5ELNS1_11target_archE942ELNS1_3gpuE9ELNS1_3repE0EEENS1_30default_config_static_selectorELNS0_4arch9wavefront6targetE1EEEvT1_
    .private_segment_fixed_size: 0
    .sgpr_count:     4
    .sgpr_spill_count: 0
    .symbol:         _ZN7rocprim17ROCPRIM_400000_NS6detail17trampoline_kernelINS0_14default_configENS1_20scan_config_selectorIN3c104HalfEEEZZNS1_9scan_implILNS1_25lookback_scan_determinismE0ELb0ELb0ES3_PKS6_PS6_S6_ZZZN2at6native31launch_logcumsumexp_cuda_kernelERKNSD_10TensorBaseESH_lENKUlvE_clEvENKUlvE3_clEvEUlS6_S6_E_S6_EEDaPvRmT3_T4_T5_mT6_P12ihipStream_tbENKUlT_T0_E_clISt17integral_constantIbLb1EESX_IbLb0EEEEDaST_SU_EUlST_E_NS1_11comp_targetILNS1_3genE5ELNS1_11target_archE942ELNS1_3gpuE9ELNS1_3repE0EEENS1_30default_config_static_selectorELNS0_4arch9wavefront6targetE1EEEvT1_.kd
    .uniform_work_group_size: 1
    .uses_dynamic_stack: false
    .vgpr_count:     0
    .vgpr_spill_count: 0
    .wavefront_size: 64
  - .agpr_count:     0
    .args:
      - .offset:         0
        .size:           96
        .value_kind:     by_value
      - .offset:         96
        .size:           4
        .value_kind:     hidden_block_count_x
      - .offset:         100
        .size:           4
        .value_kind:     hidden_block_count_y
      - .offset:         104
        .size:           4
        .value_kind:     hidden_block_count_z
      - .offset:         108
        .size:           2
        .value_kind:     hidden_group_size_x
      - .offset:         110
        .size:           2
        .value_kind:     hidden_group_size_y
      - .offset:         112
        .size:           2
        .value_kind:     hidden_group_size_z
      - .offset:         114
        .size:           2
        .value_kind:     hidden_remainder_x
      - .offset:         116
        .size:           2
        .value_kind:     hidden_remainder_y
      - .offset:         118
        .size:           2
        .value_kind:     hidden_remainder_z
      - .offset:         136
        .size:           8
        .value_kind:     hidden_global_offset_x
      - .offset:         144
        .size:           8
        .value_kind:     hidden_global_offset_y
      - .offset:         152
        .size:           8
        .value_kind:     hidden_global_offset_z
      - .offset:         160
        .size:           2
        .value_kind:     hidden_grid_dims
    .group_segment_fixed_size: 3072
    .kernarg_segment_align: 8
    .kernarg_segment_size: 352
    .language:       OpenCL C
    .language_version:
      - 2
      - 0
    .max_flat_workgroup_size: 64
    .name:           _ZN7rocprim17ROCPRIM_400000_NS6detail17trampoline_kernelINS0_14default_configENS1_20scan_config_selectorIN3c104HalfEEEZZNS1_9scan_implILNS1_25lookback_scan_determinismE0ELb0ELb0ES3_PKS6_PS6_S6_ZZZN2at6native31launch_logcumsumexp_cuda_kernelERKNSD_10TensorBaseESH_lENKUlvE_clEvENKUlvE3_clEvEUlS6_S6_E_S6_EEDaPvRmT3_T4_T5_mT6_P12ihipStream_tbENKUlT_T0_E_clISt17integral_constantIbLb1EESX_IbLb0EEEEDaST_SU_EUlST_E_NS1_11comp_targetILNS1_3genE4ELNS1_11target_archE910ELNS1_3gpuE8ELNS1_3repE0EEENS1_30default_config_static_selectorELNS0_4arch9wavefront6targetE1EEEvT1_
    .private_segment_fixed_size: 120
    .sgpr_count:     84
    .sgpr_spill_count: 0
    .symbol:         _ZN7rocprim17ROCPRIM_400000_NS6detail17trampoline_kernelINS0_14default_configENS1_20scan_config_selectorIN3c104HalfEEEZZNS1_9scan_implILNS1_25lookback_scan_determinismE0ELb0ELb0ES3_PKS6_PS6_S6_ZZZN2at6native31launch_logcumsumexp_cuda_kernelERKNSD_10TensorBaseESH_lENKUlvE_clEvENKUlvE3_clEvEUlS6_S6_E_S6_EEDaPvRmT3_T4_T5_mT6_P12ihipStream_tbENKUlT_T0_E_clISt17integral_constantIbLb1EESX_IbLb0EEEEDaST_SU_EUlST_E_NS1_11comp_targetILNS1_3genE4ELNS1_11target_archE910ELNS1_3gpuE8ELNS1_3repE0EEENS1_30default_config_static_selectorELNS0_4arch9wavefront6targetE1EEEvT1_.kd
    .uniform_work_group_size: 1
    .uses_dynamic_stack: false
    .vgpr_count:     164
    .vgpr_spill_count: 0
    .wavefront_size: 64
  - .agpr_count:     0
    .args:
      - .offset:         0
        .size:           96
        .value_kind:     by_value
    .group_segment_fixed_size: 0
    .kernarg_segment_align: 8
    .kernarg_segment_size: 96
    .language:       OpenCL C
    .language_version:
      - 2
      - 0
    .max_flat_workgroup_size: 128
    .name:           _ZN7rocprim17ROCPRIM_400000_NS6detail17trampoline_kernelINS0_14default_configENS1_20scan_config_selectorIN3c104HalfEEEZZNS1_9scan_implILNS1_25lookback_scan_determinismE0ELb0ELb0ES3_PKS6_PS6_S6_ZZZN2at6native31launch_logcumsumexp_cuda_kernelERKNSD_10TensorBaseESH_lENKUlvE_clEvENKUlvE3_clEvEUlS6_S6_E_S6_EEDaPvRmT3_T4_T5_mT6_P12ihipStream_tbENKUlT_T0_E_clISt17integral_constantIbLb1EESX_IbLb0EEEEDaST_SU_EUlST_E_NS1_11comp_targetILNS1_3genE3ELNS1_11target_archE908ELNS1_3gpuE7ELNS1_3repE0EEENS1_30default_config_static_selectorELNS0_4arch9wavefront6targetE1EEEvT1_
    .private_segment_fixed_size: 0
    .sgpr_count:     4
    .sgpr_spill_count: 0
    .symbol:         _ZN7rocprim17ROCPRIM_400000_NS6detail17trampoline_kernelINS0_14default_configENS1_20scan_config_selectorIN3c104HalfEEEZZNS1_9scan_implILNS1_25lookback_scan_determinismE0ELb0ELb0ES3_PKS6_PS6_S6_ZZZN2at6native31launch_logcumsumexp_cuda_kernelERKNSD_10TensorBaseESH_lENKUlvE_clEvENKUlvE3_clEvEUlS6_S6_E_S6_EEDaPvRmT3_T4_T5_mT6_P12ihipStream_tbENKUlT_T0_E_clISt17integral_constantIbLb1EESX_IbLb0EEEEDaST_SU_EUlST_E_NS1_11comp_targetILNS1_3genE3ELNS1_11target_archE908ELNS1_3gpuE7ELNS1_3repE0EEENS1_30default_config_static_selectorELNS0_4arch9wavefront6targetE1EEEvT1_.kd
    .uniform_work_group_size: 1
    .uses_dynamic_stack: false
    .vgpr_count:     0
    .vgpr_spill_count: 0
    .wavefront_size: 64
  - .agpr_count:     0
    .args:
      - .offset:         0
        .size:           96
        .value_kind:     by_value
    .group_segment_fixed_size: 0
    .kernarg_segment_align: 8
    .kernarg_segment_size: 96
    .language:       OpenCL C
    .language_version:
      - 2
      - 0
    .max_flat_workgroup_size: 256
    .name:           _ZN7rocprim17ROCPRIM_400000_NS6detail17trampoline_kernelINS0_14default_configENS1_20scan_config_selectorIN3c104HalfEEEZZNS1_9scan_implILNS1_25lookback_scan_determinismE0ELb0ELb0ES3_PKS6_PS6_S6_ZZZN2at6native31launch_logcumsumexp_cuda_kernelERKNSD_10TensorBaseESH_lENKUlvE_clEvENKUlvE3_clEvEUlS6_S6_E_S6_EEDaPvRmT3_T4_T5_mT6_P12ihipStream_tbENKUlT_T0_E_clISt17integral_constantIbLb1EESX_IbLb0EEEEDaST_SU_EUlST_E_NS1_11comp_targetILNS1_3genE2ELNS1_11target_archE906ELNS1_3gpuE6ELNS1_3repE0EEENS1_30default_config_static_selectorELNS0_4arch9wavefront6targetE1EEEvT1_
    .private_segment_fixed_size: 0
    .sgpr_count:     4
    .sgpr_spill_count: 0
    .symbol:         _ZN7rocprim17ROCPRIM_400000_NS6detail17trampoline_kernelINS0_14default_configENS1_20scan_config_selectorIN3c104HalfEEEZZNS1_9scan_implILNS1_25lookback_scan_determinismE0ELb0ELb0ES3_PKS6_PS6_S6_ZZZN2at6native31launch_logcumsumexp_cuda_kernelERKNSD_10TensorBaseESH_lENKUlvE_clEvENKUlvE3_clEvEUlS6_S6_E_S6_EEDaPvRmT3_T4_T5_mT6_P12ihipStream_tbENKUlT_T0_E_clISt17integral_constantIbLb1EESX_IbLb0EEEEDaST_SU_EUlST_E_NS1_11comp_targetILNS1_3genE2ELNS1_11target_archE906ELNS1_3gpuE6ELNS1_3repE0EEENS1_30default_config_static_selectorELNS0_4arch9wavefront6targetE1EEEvT1_.kd
    .uniform_work_group_size: 1
    .uses_dynamic_stack: false
    .vgpr_count:     0
    .vgpr_spill_count: 0
    .wavefront_size: 64
  - .agpr_count:     0
    .args:
      - .offset:         0
        .size:           96
        .value_kind:     by_value
    .group_segment_fixed_size: 0
    .kernarg_segment_align: 8
    .kernarg_segment_size: 96
    .language:       OpenCL C
    .language_version:
      - 2
      - 0
    .max_flat_workgroup_size: 256
    .name:           _ZN7rocprim17ROCPRIM_400000_NS6detail17trampoline_kernelINS0_14default_configENS1_20scan_config_selectorIN3c104HalfEEEZZNS1_9scan_implILNS1_25lookback_scan_determinismE0ELb0ELb0ES3_PKS6_PS6_S6_ZZZN2at6native31launch_logcumsumexp_cuda_kernelERKNSD_10TensorBaseESH_lENKUlvE_clEvENKUlvE3_clEvEUlS6_S6_E_S6_EEDaPvRmT3_T4_T5_mT6_P12ihipStream_tbENKUlT_T0_E_clISt17integral_constantIbLb1EESX_IbLb0EEEEDaST_SU_EUlST_E_NS1_11comp_targetILNS1_3genE10ELNS1_11target_archE1201ELNS1_3gpuE5ELNS1_3repE0EEENS1_30default_config_static_selectorELNS0_4arch9wavefront6targetE1EEEvT1_
    .private_segment_fixed_size: 0
    .sgpr_count:     4
    .sgpr_spill_count: 0
    .symbol:         _ZN7rocprim17ROCPRIM_400000_NS6detail17trampoline_kernelINS0_14default_configENS1_20scan_config_selectorIN3c104HalfEEEZZNS1_9scan_implILNS1_25lookback_scan_determinismE0ELb0ELb0ES3_PKS6_PS6_S6_ZZZN2at6native31launch_logcumsumexp_cuda_kernelERKNSD_10TensorBaseESH_lENKUlvE_clEvENKUlvE3_clEvEUlS6_S6_E_S6_EEDaPvRmT3_T4_T5_mT6_P12ihipStream_tbENKUlT_T0_E_clISt17integral_constantIbLb1EESX_IbLb0EEEEDaST_SU_EUlST_E_NS1_11comp_targetILNS1_3genE10ELNS1_11target_archE1201ELNS1_3gpuE5ELNS1_3repE0EEENS1_30default_config_static_selectorELNS0_4arch9wavefront6targetE1EEEvT1_.kd
    .uniform_work_group_size: 1
    .uses_dynamic_stack: false
    .vgpr_count:     0
    .vgpr_spill_count: 0
    .wavefront_size: 64
  - .agpr_count:     0
    .args:
      - .offset:         0
        .size:           96
        .value_kind:     by_value
    .group_segment_fixed_size: 0
    .kernarg_segment_align: 8
    .kernarg_segment_size: 96
    .language:       OpenCL C
    .language_version:
      - 2
      - 0
    .max_flat_workgroup_size: 256
    .name:           _ZN7rocprim17ROCPRIM_400000_NS6detail17trampoline_kernelINS0_14default_configENS1_20scan_config_selectorIN3c104HalfEEEZZNS1_9scan_implILNS1_25lookback_scan_determinismE0ELb0ELb0ES3_PKS6_PS6_S6_ZZZN2at6native31launch_logcumsumexp_cuda_kernelERKNSD_10TensorBaseESH_lENKUlvE_clEvENKUlvE3_clEvEUlS6_S6_E_S6_EEDaPvRmT3_T4_T5_mT6_P12ihipStream_tbENKUlT_T0_E_clISt17integral_constantIbLb1EESX_IbLb0EEEEDaST_SU_EUlST_E_NS1_11comp_targetILNS1_3genE10ELNS1_11target_archE1200ELNS1_3gpuE4ELNS1_3repE0EEENS1_30default_config_static_selectorELNS0_4arch9wavefront6targetE1EEEvT1_
    .private_segment_fixed_size: 0
    .sgpr_count:     4
    .sgpr_spill_count: 0
    .symbol:         _ZN7rocprim17ROCPRIM_400000_NS6detail17trampoline_kernelINS0_14default_configENS1_20scan_config_selectorIN3c104HalfEEEZZNS1_9scan_implILNS1_25lookback_scan_determinismE0ELb0ELb0ES3_PKS6_PS6_S6_ZZZN2at6native31launch_logcumsumexp_cuda_kernelERKNSD_10TensorBaseESH_lENKUlvE_clEvENKUlvE3_clEvEUlS6_S6_E_S6_EEDaPvRmT3_T4_T5_mT6_P12ihipStream_tbENKUlT_T0_E_clISt17integral_constantIbLb1EESX_IbLb0EEEEDaST_SU_EUlST_E_NS1_11comp_targetILNS1_3genE10ELNS1_11target_archE1200ELNS1_3gpuE4ELNS1_3repE0EEENS1_30default_config_static_selectorELNS0_4arch9wavefront6targetE1EEEvT1_.kd
    .uniform_work_group_size: 1
    .uses_dynamic_stack: false
    .vgpr_count:     0
    .vgpr_spill_count: 0
    .wavefront_size: 64
  - .agpr_count:     0
    .args:
      - .offset:         0
        .size:           96
        .value_kind:     by_value
    .group_segment_fixed_size: 0
    .kernarg_segment_align: 8
    .kernarg_segment_size: 96
    .language:       OpenCL C
    .language_version:
      - 2
      - 0
    .max_flat_workgroup_size: 64
    .name:           _ZN7rocprim17ROCPRIM_400000_NS6detail17trampoline_kernelINS0_14default_configENS1_20scan_config_selectorIN3c104HalfEEEZZNS1_9scan_implILNS1_25lookback_scan_determinismE0ELb0ELb0ES3_PKS6_PS6_S6_ZZZN2at6native31launch_logcumsumexp_cuda_kernelERKNSD_10TensorBaseESH_lENKUlvE_clEvENKUlvE3_clEvEUlS6_S6_E_S6_EEDaPvRmT3_T4_T5_mT6_P12ihipStream_tbENKUlT_T0_E_clISt17integral_constantIbLb1EESX_IbLb0EEEEDaST_SU_EUlST_E_NS1_11comp_targetILNS1_3genE9ELNS1_11target_archE1100ELNS1_3gpuE3ELNS1_3repE0EEENS1_30default_config_static_selectorELNS0_4arch9wavefront6targetE1EEEvT1_
    .private_segment_fixed_size: 0
    .sgpr_count:     4
    .sgpr_spill_count: 0
    .symbol:         _ZN7rocprim17ROCPRIM_400000_NS6detail17trampoline_kernelINS0_14default_configENS1_20scan_config_selectorIN3c104HalfEEEZZNS1_9scan_implILNS1_25lookback_scan_determinismE0ELb0ELb0ES3_PKS6_PS6_S6_ZZZN2at6native31launch_logcumsumexp_cuda_kernelERKNSD_10TensorBaseESH_lENKUlvE_clEvENKUlvE3_clEvEUlS6_S6_E_S6_EEDaPvRmT3_T4_T5_mT6_P12ihipStream_tbENKUlT_T0_E_clISt17integral_constantIbLb1EESX_IbLb0EEEEDaST_SU_EUlST_E_NS1_11comp_targetILNS1_3genE9ELNS1_11target_archE1100ELNS1_3gpuE3ELNS1_3repE0EEENS1_30default_config_static_selectorELNS0_4arch9wavefront6targetE1EEEvT1_.kd
    .uniform_work_group_size: 1
    .uses_dynamic_stack: false
    .vgpr_count:     0
    .vgpr_spill_count: 0
    .wavefront_size: 64
  - .agpr_count:     0
    .args:
      - .offset:         0
        .size:           96
        .value_kind:     by_value
    .group_segment_fixed_size: 0
    .kernarg_segment_align: 8
    .kernarg_segment_size: 96
    .language:       OpenCL C
    .language_version:
      - 2
      - 0
    .max_flat_workgroup_size: 64
    .name:           _ZN7rocprim17ROCPRIM_400000_NS6detail17trampoline_kernelINS0_14default_configENS1_20scan_config_selectorIN3c104HalfEEEZZNS1_9scan_implILNS1_25lookback_scan_determinismE0ELb0ELb0ES3_PKS6_PS6_S6_ZZZN2at6native31launch_logcumsumexp_cuda_kernelERKNSD_10TensorBaseESH_lENKUlvE_clEvENKUlvE3_clEvEUlS6_S6_E_S6_EEDaPvRmT3_T4_T5_mT6_P12ihipStream_tbENKUlT_T0_E_clISt17integral_constantIbLb1EESX_IbLb0EEEEDaST_SU_EUlST_E_NS1_11comp_targetILNS1_3genE8ELNS1_11target_archE1030ELNS1_3gpuE2ELNS1_3repE0EEENS1_30default_config_static_selectorELNS0_4arch9wavefront6targetE1EEEvT1_
    .private_segment_fixed_size: 0
    .sgpr_count:     4
    .sgpr_spill_count: 0
    .symbol:         _ZN7rocprim17ROCPRIM_400000_NS6detail17trampoline_kernelINS0_14default_configENS1_20scan_config_selectorIN3c104HalfEEEZZNS1_9scan_implILNS1_25lookback_scan_determinismE0ELb0ELb0ES3_PKS6_PS6_S6_ZZZN2at6native31launch_logcumsumexp_cuda_kernelERKNSD_10TensorBaseESH_lENKUlvE_clEvENKUlvE3_clEvEUlS6_S6_E_S6_EEDaPvRmT3_T4_T5_mT6_P12ihipStream_tbENKUlT_T0_E_clISt17integral_constantIbLb1EESX_IbLb0EEEEDaST_SU_EUlST_E_NS1_11comp_targetILNS1_3genE8ELNS1_11target_archE1030ELNS1_3gpuE2ELNS1_3repE0EEENS1_30default_config_static_selectorELNS0_4arch9wavefront6targetE1EEEvT1_.kd
    .uniform_work_group_size: 1
    .uses_dynamic_stack: false
    .vgpr_count:     0
    .vgpr_spill_count: 0
    .wavefront_size: 64
  - .agpr_count:     0
    .args:
      - .offset:         0
        .size:           32
        .value_kind:     by_value
    .group_segment_fixed_size: 0
    .kernarg_segment_align: 8
    .kernarg_segment_size: 32
    .language:       OpenCL C
    .language_version:
      - 2
      - 0
    .max_flat_workgroup_size: 128
    .name:           _ZN7rocprim17ROCPRIM_400000_NS6detail17trampoline_kernelINS0_14default_configENS1_20scan_config_selectorIN3c104HalfEEEZZNS1_9scan_implILNS1_25lookback_scan_determinismE0ELb0ELb0ES3_PKS6_PS6_S6_ZZZN2at6native31launch_logcumsumexp_cuda_kernelERKNSD_10TensorBaseESH_lENKUlvE_clEvENKUlvE3_clEvEUlS6_S6_E_S6_EEDaPvRmT3_T4_T5_mT6_P12ihipStream_tbENKUlT_T0_E_clISt17integral_constantIbLb1EESX_IbLb0EEEEDaST_SU_EUlST_E0_NS1_11comp_targetILNS1_3genE0ELNS1_11target_archE4294967295ELNS1_3gpuE0ELNS1_3repE0EEENS1_30default_config_static_selectorELNS0_4arch9wavefront6targetE1EEEvT1_
    .private_segment_fixed_size: 0
    .sgpr_count:     4
    .sgpr_spill_count: 0
    .symbol:         _ZN7rocprim17ROCPRIM_400000_NS6detail17trampoline_kernelINS0_14default_configENS1_20scan_config_selectorIN3c104HalfEEEZZNS1_9scan_implILNS1_25lookback_scan_determinismE0ELb0ELb0ES3_PKS6_PS6_S6_ZZZN2at6native31launch_logcumsumexp_cuda_kernelERKNSD_10TensorBaseESH_lENKUlvE_clEvENKUlvE3_clEvEUlS6_S6_E_S6_EEDaPvRmT3_T4_T5_mT6_P12ihipStream_tbENKUlT_T0_E_clISt17integral_constantIbLb1EESX_IbLb0EEEEDaST_SU_EUlST_E0_NS1_11comp_targetILNS1_3genE0ELNS1_11target_archE4294967295ELNS1_3gpuE0ELNS1_3repE0EEENS1_30default_config_static_selectorELNS0_4arch9wavefront6targetE1EEEvT1_.kd
    .uniform_work_group_size: 1
    .uses_dynamic_stack: false
    .vgpr_count:     0
    .vgpr_spill_count: 0
    .wavefront_size: 64
  - .agpr_count:     0
    .args:
      - .offset:         0
        .size:           32
        .value_kind:     by_value
    .group_segment_fixed_size: 0
    .kernarg_segment_align: 8
    .kernarg_segment_size: 32
    .language:       OpenCL C
    .language_version:
      - 2
      - 0
    .max_flat_workgroup_size: 256
    .name:           _ZN7rocprim17ROCPRIM_400000_NS6detail17trampoline_kernelINS0_14default_configENS1_20scan_config_selectorIN3c104HalfEEEZZNS1_9scan_implILNS1_25lookback_scan_determinismE0ELb0ELb0ES3_PKS6_PS6_S6_ZZZN2at6native31launch_logcumsumexp_cuda_kernelERKNSD_10TensorBaseESH_lENKUlvE_clEvENKUlvE3_clEvEUlS6_S6_E_S6_EEDaPvRmT3_T4_T5_mT6_P12ihipStream_tbENKUlT_T0_E_clISt17integral_constantIbLb1EESX_IbLb0EEEEDaST_SU_EUlST_E0_NS1_11comp_targetILNS1_3genE5ELNS1_11target_archE942ELNS1_3gpuE9ELNS1_3repE0EEENS1_30default_config_static_selectorELNS0_4arch9wavefront6targetE1EEEvT1_
    .private_segment_fixed_size: 0
    .sgpr_count:     4
    .sgpr_spill_count: 0
    .symbol:         _ZN7rocprim17ROCPRIM_400000_NS6detail17trampoline_kernelINS0_14default_configENS1_20scan_config_selectorIN3c104HalfEEEZZNS1_9scan_implILNS1_25lookback_scan_determinismE0ELb0ELb0ES3_PKS6_PS6_S6_ZZZN2at6native31launch_logcumsumexp_cuda_kernelERKNSD_10TensorBaseESH_lENKUlvE_clEvENKUlvE3_clEvEUlS6_S6_E_S6_EEDaPvRmT3_T4_T5_mT6_P12ihipStream_tbENKUlT_T0_E_clISt17integral_constantIbLb1EESX_IbLb0EEEEDaST_SU_EUlST_E0_NS1_11comp_targetILNS1_3genE5ELNS1_11target_archE942ELNS1_3gpuE9ELNS1_3repE0EEENS1_30default_config_static_selectorELNS0_4arch9wavefront6targetE1EEEvT1_.kd
    .uniform_work_group_size: 1
    .uses_dynamic_stack: false
    .vgpr_count:     0
    .vgpr_spill_count: 0
    .wavefront_size: 64
  - .agpr_count:     0
    .args:
      - .offset:         0
        .size:           32
        .value_kind:     by_value
    .group_segment_fixed_size: 3072
    .kernarg_segment_align: 8
    .kernarg_segment_size: 32
    .language:       OpenCL C
    .language_version:
      - 2
      - 0
    .max_flat_workgroup_size: 64
    .name:           _ZN7rocprim17ROCPRIM_400000_NS6detail17trampoline_kernelINS0_14default_configENS1_20scan_config_selectorIN3c104HalfEEEZZNS1_9scan_implILNS1_25lookback_scan_determinismE0ELb0ELb0ES3_PKS6_PS6_S6_ZZZN2at6native31launch_logcumsumexp_cuda_kernelERKNSD_10TensorBaseESH_lENKUlvE_clEvENKUlvE3_clEvEUlS6_S6_E_S6_EEDaPvRmT3_T4_T5_mT6_P12ihipStream_tbENKUlT_T0_E_clISt17integral_constantIbLb1EESX_IbLb0EEEEDaST_SU_EUlST_E0_NS1_11comp_targetILNS1_3genE4ELNS1_11target_archE910ELNS1_3gpuE8ELNS1_3repE0EEENS1_30default_config_static_selectorELNS0_4arch9wavefront6targetE1EEEvT1_
    .private_segment_fixed_size: 0
    .sgpr_count:     100
    .sgpr_spill_count: 10
    .symbol:         _ZN7rocprim17ROCPRIM_400000_NS6detail17trampoline_kernelINS0_14default_configENS1_20scan_config_selectorIN3c104HalfEEEZZNS1_9scan_implILNS1_25lookback_scan_determinismE0ELb0ELb0ES3_PKS6_PS6_S6_ZZZN2at6native31launch_logcumsumexp_cuda_kernelERKNSD_10TensorBaseESH_lENKUlvE_clEvENKUlvE3_clEvEUlS6_S6_E_S6_EEDaPvRmT3_T4_T5_mT6_P12ihipStream_tbENKUlT_T0_E_clISt17integral_constantIbLb1EESX_IbLb0EEEEDaST_SU_EUlST_E0_NS1_11comp_targetILNS1_3genE4ELNS1_11target_archE910ELNS1_3gpuE8ELNS1_3repE0EEENS1_30default_config_static_selectorELNS0_4arch9wavefront6targetE1EEEvT1_.kd
    .uniform_work_group_size: 1
    .uses_dynamic_stack: false
    .vgpr_count:     52
    .vgpr_spill_count: 0
    .wavefront_size: 64
  - .agpr_count:     0
    .args:
      - .offset:         0
        .size:           32
        .value_kind:     by_value
    .group_segment_fixed_size: 0
    .kernarg_segment_align: 8
    .kernarg_segment_size: 32
    .language:       OpenCL C
    .language_version:
      - 2
      - 0
    .max_flat_workgroup_size: 128
    .name:           _ZN7rocprim17ROCPRIM_400000_NS6detail17trampoline_kernelINS0_14default_configENS1_20scan_config_selectorIN3c104HalfEEEZZNS1_9scan_implILNS1_25lookback_scan_determinismE0ELb0ELb0ES3_PKS6_PS6_S6_ZZZN2at6native31launch_logcumsumexp_cuda_kernelERKNSD_10TensorBaseESH_lENKUlvE_clEvENKUlvE3_clEvEUlS6_S6_E_S6_EEDaPvRmT3_T4_T5_mT6_P12ihipStream_tbENKUlT_T0_E_clISt17integral_constantIbLb1EESX_IbLb0EEEEDaST_SU_EUlST_E0_NS1_11comp_targetILNS1_3genE3ELNS1_11target_archE908ELNS1_3gpuE7ELNS1_3repE0EEENS1_30default_config_static_selectorELNS0_4arch9wavefront6targetE1EEEvT1_
    .private_segment_fixed_size: 0
    .sgpr_count:     4
    .sgpr_spill_count: 0
    .symbol:         _ZN7rocprim17ROCPRIM_400000_NS6detail17trampoline_kernelINS0_14default_configENS1_20scan_config_selectorIN3c104HalfEEEZZNS1_9scan_implILNS1_25lookback_scan_determinismE0ELb0ELb0ES3_PKS6_PS6_S6_ZZZN2at6native31launch_logcumsumexp_cuda_kernelERKNSD_10TensorBaseESH_lENKUlvE_clEvENKUlvE3_clEvEUlS6_S6_E_S6_EEDaPvRmT3_T4_T5_mT6_P12ihipStream_tbENKUlT_T0_E_clISt17integral_constantIbLb1EESX_IbLb0EEEEDaST_SU_EUlST_E0_NS1_11comp_targetILNS1_3genE3ELNS1_11target_archE908ELNS1_3gpuE7ELNS1_3repE0EEENS1_30default_config_static_selectorELNS0_4arch9wavefront6targetE1EEEvT1_.kd
    .uniform_work_group_size: 1
    .uses_dynamic_stack: false
    .vgpr_count:     0
    .vgpr_spill_count: 0
    .wavefront_size: 64
  - .agpr_count:     0
    .args:
      - .offset:         0
        .size:           32
        .value_kind:     by_value
    .group_segment_fixed_size: 0
    .kernarg_segment_align: 8
    .kernarg_segment_size: 32
    .language:       OpenCL C
    .language_version:
      - 2
      - 0
    .max_flat_workgroup_size: 256
    .name:           _ZN7rocprim17ROCPRIM_400000_NS6detail17trampoline_kernelINS0_14default_configENS1_20scan_config_selectorIN3c104HalfEEEZZNS1_9scan_implILNS1_25lookback_scan_determinismE0ELb0ELb0ES3_PKS6_PS6_S6_ZZZN2at6native31launch_logcumsumexp_cuda_kernelERKNSD_10TensorBaseESH_lENKUlvE_clEvENKUlvE3_clEvEUlS6_S6_E_S6_EEDaPvRmT3_T4_T5_mT6_P12ihipStream_tbENKUlT_T0_E_clISt17integral_constantIbLb1EESX_IbLb0EEEEDaST_SU_EUlST_E0_NS1_11comp_targetILNS1_3genE2ELNS1_11target_archE906ELNS1_3gpuE6ELNS1_3repE0EEENS1_30default_config_static_selectorELNS0_4arch9wavefront6targetE1EEEvT1_
    .private_segment_fixed_size: 0
    .sgpr_count:     4
    .sgpr_spill_count: 0
    .symbol:         _ZN7rocprim17ROCPRIM_400000_NS6detail17trampoline_kernelINS0_14default_configENS1_20scan_config_selectorIN3c104HalfEEEZZNS1_9scan_implILNS1_25lookback_scan_determinismE0ELb0ELb0ES3_PKS6_PS6_S6_ZZZN2at6native31launch_logcumsumexp_cuda_kernelERKNSD_10TensorBaseESH_lENKUlvE_clEvENKUlvE3_clEvEUlS6_S6_E_S6_EEDaPvRmT3_T4_T5_mT6_P12ihipStream_tbENKUlT_T0_E_clISt17integral_constantIbLb1EESX_IbLb0EEEEDaST_SU_EUlST_E0_NS1_11comp_targetILNS1_3genE2ELNS1_11target_archE906ELNS1_3gpuE6ELNS1_3repE0EEENS1_30default_config_static_selectorELNS0_4arch9wavefront6targetE1EEEvT1_.kd
    .uniform_work_group_size: 1
    .uses_dynamic_stack: false
    .vgpr_count:     0
    .vgpr_spill_count: 0
    .wavefront_size: 64
  - .agpr_count:     0
    .args:
      - .offset:         0
        .size:           32
        .value_kind:     by_value
    .group_segment_fixed_size: 0
    .kernarg_segment_align: 8
    .kernarg_segment_size: 32
    .language:       OpenCL C
    .language_version:
      - 2
      - 0
    .max_flat_workgroup_size: 256
    .name:           _ZN7rocprim17ROCPRIM_400000_NS6detail17trampoline_kernelINS0_14default_configENS1_20scan_config_selectorIN3c104HalfEEEZZNS1_9scan_implILNS1_25lookback_scan_determinismE0ELb0ELb0ES3_PKS6_PS6_S6_ZZZN2at6native31launch_logcumsumexp_cuda_kernelERKNSD_10TensorBaseESH_lENKUlvE_clEvENKUlvE3_clEvEUlS6_S6_E_S6_EEDaPvRmT3_T4_T5_mT6_P12ihipStream_tbENKUlT_T0_E_clISt17integral_constantIbLb1EESX_IbLb0EEEEDaST_SU_EUlST_E0_NS1_11comp_targetILNS1_3genE10ELNS1_11target_archE1201ELNS1_3gpuE5ELNS1_3repE0EEENS1_30default_config_static_selectorELNS0_4arch9wavefront6targetE1EEEvT1_
    .private_segment_fixed_size: 0
    .sgpr_count:     4
    .sgpr_spill_count: 0
    .symbol:         _ZN7rocprim17ROCPRIM_400000_NS6detail17trampoline_kernelINS0_14default_configENS1_20scan_config_selectorIN3c104HalfEEEZZNS1_9scan_implILNS1_25lookback_scan_determinismE0ELb0ELb0ES3_PKS6_PS6_S6_ZZZN2at6native31launch_logcumsumexp_cuda_kernelERKNSD_10TensorBaseESH_lENKUlvE_clEvENKUlvE3_clEvEUlS6_S6_E_S6_EEDaPvRmT3_T4_T5_mT6_P12ihipStream_tbENKUlT_T0_E_clISt17integral_constantIbLb1EESX_IbLb0EEEEDaST_SU_EUlST_E0_NS1_11comp_targetILNS1_3genE10ELNS1_11target_archE1201ELNS1_3gpuE5ELNS1_3repE0EEENS1_30default_config_static_selectorELNS0_4arch9wavefront6targetE1EEEvT1_.kd
    .uniform_work_group_size: 1
    .uses_dynamic_stack: false
    .vgpr_count:     0
    .vgpr_spill_count: 0
    .wavefront_size: 64
  - .agpr_count:     0
    .args:
      - .offset:         0
        .size:           32
        .value_kind:     by_value
    .group_segment_fixed_size: 0
    .kernarg_segment_align: 8
    .kernarg_segment_size: 32
    .language:       OpenCL C
    .language_version:
      - 2
      - 0
    .max_flat_workgroup_size: 256
    .name:           _ZN7rocprim17ROCPRIM_400000_NS6detail17trampoline_kernelINS0_14default_configENS1_20scan_config_selectorIN3c104HalfEEEZZNS1_9scan_implILNS1_25lookback_scan_determinismE0ELb0ELb0ES3_PKS6_PS6_S6_ZZZN2at6native31launch_logcumsumexp_cuda_kernelERKNSD_10TensorBaseESH_lENKUlvE_clEvENKUlvE3_clEvEUlS6_S6_E_S6_EEDaPvRmT3_T4_T5_mT6_P12ihipStream_tbENKUlT_T0_E_clISt17integral_constantIbLb1EESX_IbLb0EEEEDaST_SU_EUlST_E0_NS1_11comp_targetILNS1_3genE10ELNS1_11target_archE1200ELNS1_3gpuE4ELNS1_3repE0EEENS1_30default_config_static_selectorELNS0_4arch9wavefront6targetE1EEEvT1_
    .private_segment_fixed_size: 0
    .sgpr_count:     4
    .sgpr_spill_count: 0
    .symbol:         _ZN7rocprim17ROCPRIM_400000_NS6detail17trampoline_kernelINS0_14default_configENS1_20scan_config_selectorIN3c104HalfEEEZZNS1_9scan_implILNS1_25lookback_scan_determinismE0ELb0ELb0ES3_PKS6_PS6_S6_ZZZN2at6native31launch_logcumsumexp_cuda_kernelERKNSD_10TensorBaseESH_lENKUlvE_clEvENKUlvE3_clEvEUlS6_S6_E_S6_EEDaPvRmT3_T4_T5_mT6_P12ihipStream_tbENKUlT_T0_E_clISt17integral_constantIbLb1EESX_IbLb0EEEEDaST_SU_EUlST_E0_NS1_11comp_targetILNS1_3genE10ELNS1_11target_archE1200ELNS1_3gpuE4ELNS1_3repE0EEENS1_30default_config_static_selectorELNS0_4arch9wavefront6targetE1EEEvT1_.kd
    .uniform_work_group_size: 1
    .uses_dynamic_stack: false
    .vgpr_count:     0
    .vgpr_spill_count: 0
    .wavefront_size: 64
  - .agpr_count:     0
    .args:
      - .offset:         0
        .size:           32
        .value_kind:     by_value
    .group_segment_fixed_size: 0
    .kernarg_segment_align: 8
    .kernarg_segment_size: 32
    .language:       OpenCL C
    .language_version:
      - 2
      - 0
    .max_flat_workgroup_size: 64
    .name:           _ZN7rocprim17ROCPRIM_400000_NS6detail17trampoline_kernelINS0_14default_configENS1_20scan_config_selectorIN3c104HalfEEEZZNS1_9scan_implILNS1_25lookback_scan_determinismE0ELb0ELb0ES3_PKS6_PS6_S6_ZZZN2at6native31launch_logcumsumexp_cuda_kernelERKNSD_10TensorBaseESH_lENKUlvE_clEvENKUlvE3_clEvEUlS6_S6_E_S6_EEDaPvRmT3_T4_T5_mT6_P12ihipStream_tbENKUlT_T0_E_clISt17integral_constantIbLb1EESX_IbLb0EEEEDaST_SU_EUlST_E0_NS1_11comp_targetILNS1_3genE9ELNS1_11target_archE1100ELNS1_3gpuE3ELNS1_3repE0EEENS1_30default_config_static_selectorELNS0_4arch9wavefront6targetE1EEEvT1_
    .private_segment_fixed_size: 0
    .sgpr_count:     4
    .sgpr_spill_count: 0
    .symbol:         _ZN7rocprim17ROCPRIM_400000_NS6detail17trampoline_kernelINS0_14default_configENS1_20scan_config_selectorIN3c104HalfEEEZZNS1_9scan_implILNS1_25lookback_scan_determinismE0ELb0ELb0ES3_PKS6_PS6_S6_ZZZN2at6native31launch_logcumsumexp_cuda_kernelERKNSD_10TensorBaseESH_lENKUlvE_clEvENKUlvE3_clEvEUlS6_S6_E_S6_EEDaPvRmT3_T4_T5_mT6_P12ihipStream_tbENKUlT_T0_E_clISt17integral_constantIbLb1EESX_IbLb0EEEEDaST_SU_EUlST_E0_NS1_11comp_targetILNS1_3genE9ELNS1_11target_archE1100ELNS1_3gpuE3ELNS1_3repE0EEENS1_30default_config_static_selectorELNS0_4arch9wavefront6targetE1EEEvT1_.kd
    .uniform_work_group_size: 1
    .uses_dynamic_stack: false
    .vgpr_count:     0
    .vgpr_spill_count: 0
    .wavefront_size: 64
  - .agpr_count:     0
    .args:
      - .offset:         0
        .size:           32
        .value_kind:     by_value
    .group_segment_fixed_size: 0
    .kernarg_segment_align: 8
    .kernarg_segment_size: 32
    .language:       OpenCL C
    .language_version:
      - 2
      - 0
    .max_flat_workgroup_size: 64
    .name:           _ZN7rocprim17ROCPRIM_400000_NS6detail17trampoline_kernelINS0_14default_configENS1_20scan_config_selectorIN3c104HalfEEEZZNS1_9scan_implILNS1_25lookback_scan_determinismE0ELb0ELb0ES3_PKS6_PS6_S6_ZZZN2at6native31launch_logcumsumexp_cuda_kernelERKNSD_10TensorBaseESH_lENKUlvE_clEvENKUlvE3_clEvEUlS6_S6_E_S6_EEDaPvRmT3_T4_T5_mT6_P12ihipStream_tbENKUlT_T0_E_clISt17integral_constantIbLb1EESX_IbLb0EEEEDaST_SU_EUlST_E0_NS1_11comp_targetILNS1_3genE8ELNS1_11target_archE1030ELNS1_3gpuE2ELNS1_3repE0EEENS1_30default_config_static_selectorELNS0_4arch9wavefront6targetE1EEEvT1_
    .private_segment_fixed_size: 0
    .sgpr_count:     4
    .sgpr_spill_count: 0
    .symbol:         _ZN7rocprim17ROCPRIM_400000_NS6detail17trampoline_kernelINS0_14default_configENS1_20scan_config_selectorIN3c104HalfEEEZZNS1_9scan_implILNS1_25lookback_scan_determinismE0ELb0ELb0ES3_PKS6_PS6_S6_ZZZN2at6native31launch_logcumsumexp_cuda_kernelERKNSD_10TensorBaseESH_lENKUlvE_clEvENKUlvE3_clEvEUlS6_S6_E_S6_EEDaPvRmT3_T4_T5_mT6_P12ihipStream_tbENKUlT_T0_E_clISt17integral_constantIbLb1EESX_IbLb0EEEEDaST_SU_EUlST_E0_NS1_11comp_targetILNS1_3genE8ELNS1_11target_archE1030ELNS1_3gpuE2ELNS1_3repE0EEENS1_30default_config_static_selectorELNS0_4arch9wavefront6targetE1EEEvT1_.kd
    .uniform_work_group_size: 1
    .uses_dynamic_stack: false
    .vgpr_count:     0
    .vgpr_spill_count: 0
    .wavefront_size: 64
  - .agpr_count:     0
    .args:
      - .address_space:  global
        .offset:         0
        .size:           8
        .value_kind:     global_buffer
      - .offset:         8
        .size:           4
        .value_kind:     by_value
      - .address_space:  global
        .offset:         16
        .size:           8
        .value_kind:     global_buffer
      - .offset:         24
        .size:           4
        .value_kind:     by_value
      - .address_space:  global
        .offset:         32
        .size:           8
        .value_kind:     global_buffer
      - .offset:         40
        .size:           4
        .value_kind:     hidden_block_count_x
      - .offset:         44
        .size:           4
        .value_kind:     hidden_block_count_y
      - .offset:         48
        .size:           4
        .value_kind:     hidden_block_count_z
      - .offset:         52
        .size:           2
        .value_kind:     hidden_group_size_x
      - .offset:         54
        .size:           2
        .value_kind:     hidden_group_size_y
      - .offset:         56
        .size:           2
        .value_kind:     hidden_group_size_z
      - .offset:         58
        .size:           2
        .value_kind:     hidden_remainder_x
      - .offset:         60
        .size:           2
        .value_kind:     hidden_remainder_y
      - .offset:         62
        .size:           2
        .value_kind:     hidden_remainder_z
      - .offset:         80
        .size:           8
        .value_kind:     hidden_global_offset_x
      - .offset:         88
        .size:           8
        .value_kind:     hidden_global_offset_y
      - .offset:         96
        .size:           8
        .value_kind:     hidden_global_offset_z
      - .offset:         104
        .size:           2
        .value_kind:     hidden_grid_dims
    .group_segment_fixed_size: 0
    .kernarg_segment_align: 8
    .kernarg_segment_size: 296
    .language:       OpenCL C
    .language_version:
      - 2
      - 0
    .max_flat_workgroup_size: 256
    .name:           _ZN7rocprim17ROCPRIM_400000_NS6detail31init_lookback_scan_state_kernelINS1_19lookback_scan_stateIN3c104HalfELb0ELb1EEENS1_16block_id_wrapperIjLb1EEEEEvT_jT0_jPNS9_10value_typeE
    .private_segment_fixed_size: 0
    .sgpr_count:     15
    .sgpr_spill_count: 0
    .symbol:         _ZN7rocprim17ROCPRIM_400000_NS6detail31init_lookback_scan_state_kernelINS1_19lookback_scan_stateIN3c104HalfELb0ELb1EEENS1_16block_id_wrapperIjLb1EEEEEvT_jT0_jPNS9_10value_typeE.kd
    .uniform_work_group_size: 1
    .uses_dynamic_stack: false
    .vgpr_count:     6
    .vgpr_spill_count: 0
    .wavefront_size: 64
  - .agpr_count:     0
    .args:
      - .offset:         0
        .size:           96
        .value_kind:     by_value
    .group_segment_fixed_size: 0
    .kernarg_segment_align: 8
    .kernarg_segment_size: 96
    .language:       OpenCL C
    .language_version:
      - 2
      - 0
    .max_flat_workgroup_size: 128
    .name:           _ZN7rocprim17ROCPRIM_400000_NS6detail17trampoline_kernelINS0_14default_configENS1_20scan_config_selectorIN3c104HalfEEEZZNS1_9scan_implILNS1_25lookback_scan_determinismE0ELb0ELb0ES3_PKS6_PS6_S6_ZZZN2at6native31launch_logcumsumexp_cuda_kernelERKNSD_10TensorBaseESH_lENKUlvE_clEvENKUlvE3_clEvEUlS6_S6_E_S6_EEDaPvRmT3_T4_T5_mT6_P12ihipStream_tbENKUlT_T0_E_clISt17integral_constantIbLb0EESX_IbLb1EEEEDaST_SU_EUlST_E_NS1_11comp_targetILNS1_3genE0ELNS1_11target_archE4294967295ELNS1_3gpuE0ELNS1_3repE0EEENS1_30default_config_static_selectorELNS0_4arch9wavefront6targetE1EEEvT1_
    .private_segment_fixed_size: 0
    .sgpr_count:     4
    .sgpr_spill_count: 0
    .symbol:         _ZN7rocprim17ROCPRIM_400000_NS6detail17trampoline_kernelINS0_14default_configENS1_20scan_config_selectorIN3c104HalfEEEZZNS1_9scan_implILNS1_25lookback_scan_determinismE0ELb0ELb0ES3_PKS6_PS6_S6_ZZZN2at6native31launch_logcumsumexp_cuda_kernelERKNSD_10TensorBaseESH_lENKUlvE_clEvENKUlvE3_clEvEUlS6_S6_E_S6_EEDaPvRmT3_T4_T5_mT6_P12ihipStream_tbENKUlT_T0_E_clISt17integral_constantIbLb0EESX_IbLb1EEEEDaST_SU_EUlST_E_NS1_11comp_targetILNS1_3genE0ELNS1_11target_archE4294967295ELNS1_3gpuE0ELNS1_3repE0EEENS1_30default_config_static_selectorELNS0_4arch9wavefront6targetE1EEEvT1_.kd
    .uniform_work_group_size: 1
    .uses_dynamic_stack: false
    .vgpr_count:     0
    .vgpr_spill_count: 0
    .wavefront_size: 64
  - .agpr_count:     0
    .args:
      - .offset:         0
        .size:           96
        .value_kind:     by_value
    .group_segment_fixed_size: 0
    .kernarg_segment_align: 8
    .kernarg_segment_size: 96
    .language:       OpenCL C
    .language_version:
      - 2
      - 0
    .max_flat_workgroup_size: 256
    .name:           _ZN7rocprim17ROCPRIM_400000_NS6detail17trampoline_kernelINS0_14default_configENS1_20scan_config_selectorIN3c104HalfEEEZZNS1_9scan_implILNS1_25lookback_scan_determinismE0ELb0ELb0ES3_PKS6_PS6_S6_ZZZN2at6native31launch_logcumsumexp_cuda_kernelERKNSD_10TensorBaseESH_lENKUlvE_clEvENKUlvE3_clEvEUlS6_S6_E_S6_EEDaPvRmT3_T4_T5_mT6_P12ihipStream_tbENKUlT_T0_E_clISt17integral_constantIbLb0EESX_IbLb1EEEEDaST_SU_EUlST_E_NS1_11comp_targetILNS1_3genE5ELNS1_11target_archE942ELNS1_3gpuE9ELNS1_3repE0EEENS1_30default_config_static_selectorELNS0_4arch9wavefront6targetE1EEEvT1_
    .private_segment_fixed_size: 0
    .sgpr_count:     4
    .sgpr_spill_count: 0
    .symbol:         _ZN7rocprim17ROCPRIM_400000_NS6detail17trampoline_kernelINS0_14default_configENS1_20scan_config_selectorIN3c104HalfEEEZZNS1_9scan_implILNS1_25lookback_scan_determinismE0ELb0ELb0ES3_PKS6_PS6_S6_ZZZN2at6native31launch_logcumsumexp_cuda_kernelERKNSD_10TensorBaseESH_lENKUlvE_clEvENKUlvE3_clEvEUlS6_S6_E_S6_EEDaPvRmT3_T4_T5_mT6_P12ihipStream_tbENKUlT_T0_E_clISt17integral_constantIbLb0EESX_IbLb1EEEEDaST_SU_EUlST_E_NS1_11comp_targetILNS1_3genE5ELNS1_11target_archE942ELNS1_3gpuE9ELNS1_3repE0EEENS1_30default_config_static_selectorELNS0_4arch9wavefront6targetE1EEEvT1_.kd
    .uniform_work_group_size: 1
    .uses_dynamic_stack: false
    .vgpr_count:     0
    .vgpr_spill_count: 0
    .wavefront_size: 64
  - .agpr_count:     0
    .args:
      - .offset:         0
        .size:           96
        .value_kind:     by_value
      - .offset:         96
        .size:           4
        .value_kind:     hidden_block_count_x
      - .offset:         100
        .size:           4
        .value_kind:     hidden_block_count_y
      - .offset:         104
        .size:           4
        .value_kind:     hidden_block_count_z
      - .offset:         108
        .size:           2
        .value_kind:     hidden_group_size_x
      - .offset:         110
        .size:           2
        .value_kind:     hidden_group_size_y
      - .offset:         112
        .size:           2
        .value_kind:     hidden_group_size_z
      - .offset:         114
        .size:           2
        .value_kind:     hidden_remainder_x
      - .offset:         116
        .size:           2
        .value_kind:     hidden_remainder_y
      - .offset:         118
        .size:           2
        .value_kind:     hidden_remainder_z
      - .offset:         136
        .size:           8
        .value_kind:     hidden_global_offset_x
      - .offset:         144
        .size:           8
        .value_kind:     hidden_global_offset_y
      - .offset:         152
        .size:           8
        .value_kind:     hidden_global_offset_z
      - .offset:         160
        .size:           2
        .value_kind:     hidden_grid_dims
    .group_segment_fixed_size: 3072
    .kernarg_segment_align: 8
    .kernarg_segment_size: 352
    .language:       OpenCL C
    .language_version:
      - 2
      - 0
    .max_flat_workgroup_size: 64
    .name:           _ZN7rocprim17ROCPRIM_400000_NS6detail17trampoline_kernelINS0_14default_configENS1_20scan_config_selectorIN3c104HalfEEEZZNS1_9scan_implILNS1_25lookback_scan_determinismE0ELb0ELb0ES3_PKS6_PS6_S6_ZZZN2at6native31launch_logcumsumexp_cuda_kernelERKNSD_10TensorBaseESH_lENKUlvE_clEvENKUlvE3_clEvEUlS6_S6_E_S6_EEDaPvRmT3_T4_T5_mT6_P12ihipStream_tbENKUlT_T0_E_clISt17integral_constantIbLb0EESX_IbLb1EEEEDaST_SU_EUlST_E_NS1_11comp_targetILNS1_3genE4ELNS1_11target_archE910ELNS1_3gpuE8ELNS1_3repE0EEENS1_30default_config_static_selectorELNS0_4arch9wavefront6targetE1EEEvT1_
    .private_segment_fixed_size: 120
    .sgpr_count:     86
    .sgpr_spill_count: 0
    .symbol:         _ZN7rocprim17ROCPRIM_400000_NS6detail17trampoline_kernelINS0_14default_configENS1_20scan_config_selectorIN3c104HalfEEEZZNS1_9scan_implILNS1_25lookback_scan_determinismE0ELb0ELb0ES3_PKS6_PS6_S6_ZZZN2at6native31launch_logcumsumexp_cuda_kernelERKNSD_10TensorBaseESH_lENKUlvE_clEvENKUlvE3_clEvEUlS6_S6_E_S6_EEDaPvRmT3_T4_T5_mT6_P12ihipStream_tbENKUlT_T0_E_clISt17integral_constantIbLb0EESX_IbLb1EEEEDaST_SU_EUlST_E_NS1_11comp_targetILNS1_3genE4ELNS1_11target_archE910ELNS1_3gpuE8ELNS1_3repE0EEENS1_30default_config_static_selectorELNS0_4arch9wavefront6targetE1EEEvT1_.kd
    .uniform_work_group_size: 1
    .uses_dynamic_stack: false
    .vgpr_count:     166
    .vgpr_spill_count: 0
    .wavefront_size: 64
  - .agpr_count:     0
    .args:
      - .offset:         0
        .size:           96
        .value_kind:     by_value
    .group_segment_fixed_size: 0
    .kernarg_segment_align: 8
    .kernarg_segment_size: 96
    .language:       OpenCL C
    .language_version:
      - 2
      - 0
    .max_flat_workgroup_size: 128
    .name:           _ZN7rocprim17ROCPRIM_400000_NS6detail17trampoline_kernelINS0_14default_configENS1_20scan_config_selectorIN3c104HalfEEEZZNS1_9scan_implILNS1_25lookback_scan_determinismE0ELb0ELb0ES3_PKS6_PS6_S6_ZZZN2at6native31launch_logcumsumexp_cuda_kernelERKNSD_10TensorBaseESH_lENKUlvE_clEvENKUlvE3_clEvEUlS6_S6_E_S6_EEDaPvRmT3_T4_T5_mT6_P12ihipStream_tbENKUlT_T0_E_clISt17integral_constantIbLb0EESX_IbLb1EEEEDaST_SU_EUlST_E_NS1_11comp_targetILNS1_3genE3ELNS1_11target_archE908ELNS1_3gpuE7ELNS1_3repE0EEENS1_30default_config_static_selectorELNS0_4arch9wavefront6targetE1EEEvT1_
    .private_segment_fixed_size: 0
    .sgpr_count:     4
    .sgpr_spill_count: 0
    .symbol:         _ZN7rocprim17ROCPRIM_400000_NS6detail17trampoline_kernelINS0_14default_configENS1_20scan_config_selectorIN3c104HalfEEEZZNS1_9scan_implILNS1_25lookback_scan_determinismE0ELb0ELb0ES3_PKS6_PS6_S6_ZZZN2at6native31launch_logcumsumexp_cuda_kernelERKNSD_10TensorBaseESH_lENKUlvE_clEvENKUlvE3_clEvEUlS6_S6_E_S6_EEDaPvRmT3_T4_T5_mT6_P12ihipStream_tbENKUlT_T0_E_clISt17integral_constantIbLb0EESX_IbLb1EEEEDaST_SU_EUlST_E_NS1_11comp_targetILNS1_3genE3ELNS1_11target_archE908ELNS1_3gpuE7ELNS1_3repE0EEENS1_30default_config_static_selectorELNS0_4arch9wavefront6targetE1EEEvT1_.kd
    .uniform_work_group_size: 1
    .uses_dynamic_stack: false
    .vgpr_count:     0
    .vgpr_spill_count: 0
    .wavefront_size: 64
  - .agpr_count:     0
    .args:
      - .offset:         0
        .size:           96
        .value_kind:     by_value
    .group_segment_fixed_size: 0
    .kernarg_segment_align: 8
    .kernarg_segment_size: 96
    .language:       OpenCL C
    .language_version:
      - 2
      - 0
    .max_flat_workgroup_size: 256
    .name:           _ZN7rocprim17ROCPRIM_400000_NS6detail17trampoline_kernelINS0_14default_configENS1_20scan_config_selectorIN3c104HalfEEEZZNS1_9scan_implILNS1_25lookback_scan_determinismE0ELb0ELb0ES3_PKS6_PS6_S6_ZZZN2at6native31launch_logcumsumexp_cuda_kernelERKNSD_10TensorBaseESH_lENKUlvE_clEvENKUlvE3_clEvEUlS6_S6_E_S6_EEDaPvRmT3_T4_T5_mT6_P12ihipStream_tbENKUlT_T0_E_clISt17integral_constantIbLb0EESX_IbLb1EEEEDaST_SU_EUlST_E_NS1_11comp_targetILNS1_3genE2ELNS1_11target_archE906ELNS1_3gpuE6ELNS1_3repE0EEENS1_30default_config_static_selectorELNS0_4arch9wavefront6targetE1EEEvT1_
    .private_segment_fixed_size: 0
    .sgpr_count:     4
    .sgpr_spill_count: 0
    .symbol:         _ZN7rocprim17ROCPRIM_400000_NS6detail17trampoline_kernelINS0_14default_configENS1_20scan_config_selectorIN3c104HalfEEEZZNS1_9scan_implILNS1_25lookback_scan_determinismE0ELb0ELb0ES3_PKS6_PS6_S6_ZZZN2at6native31launch_logcumsumexp_cuda_kernelERKNSD_10TensorBaseESH_lENKUlvE_clEvENKUlvE3_clEvEUlS6_S6_E_S6_EEDaPvRmT3_T4_T5_mT6_P12ihipStream_tbENKUlT_T0_E_clISt17integral_constantIbLb0EESX_IbLb1EEEEDaST_SU_EUlST_E_NS1_11comp_targetILNS1_3genE2ELNS1_11target_archE906ELNS1_3gpuE6ELNS1_3repE0EEENS1_30default_config_static_selectorELNS0_4arch9wavefront6targetE1EEEvT1_.kd
    .uniform_work_group_size: 1
    .uses_dynamic_stack: false
    .vgpr_count:     0
    .vgpr_spill_count: 0
    .wavefront_size: 64
  - .agpr_count:     0
    .args:
      - .offset:         0
        .size:           96
        .value_kind:     by_value
    .group_segment_fixed_size: 0
    .kernarg_segment_align: 8
    .kernarg_segment_size: 96
    .language:       OpenCL C
    .language_version:
      - 2
      - 0
    .max_flat_workgroup_size: 256
    .name:           _ZN7rocprim17ROCPRIM_400000_NS6detail17trampoline_kernelINS0_14default_configENS1_20scan_config_selectorIN3c104HalfEEEZZNS1_9scan_implILNS1_25lookback_scan_determinismE0ELb0ELb0ES3_PKS6_PS6_S6_ZZZN2at6native31launch_logcumsumexp_cuda_kernelERKNSD_10TensorBaseESH_lENKUlvE_clEvENKUlvE3_clEvEUlS6_S6_E_S6_EEDaPvRmT3_T4_T5_mT6_P12ihipStream_tbENKUlT_T0_E_clISt17integral_constantIbLb0EESX_IbLb1EEEEDaST_SU_EUlST_E_NS1_11comp_targetILNS1_3genE10ELNS1_11target_archE1201ELNS1_3gpuE5ELNS1_3repE0EEENS1_30default_config_static_selectorELNS0_4arch9wavefront6targetE1EEEvT1_
    .private_segment_fixed_size: 0
    .sgpr_count:     4
    .sgpr_spill_count: 0
    .symbol:         _ZN7rocprim17ROCPRIM_400000_NS6detail17trampoline_kernelINS0_14default_configENS1_20scan_config_selectorIN3c104HalfEEEZZNS1_9scan_implILNS1_25lookback_scan_determinismE0ELb0ELb0ES3_PKS6_PS6_S6_ZZZN2at6native31launch_logcumsumexp_cuda_kernelERKNSD_10TensorBaseESH_lENKUlvE_clEvENKUlvE3_clEvEUlS6_S6_E_S6_EEDaPvRmT3_T4_T5_mT6_P12ihipStream_tbENKUlT_T0_E_clISt17integral_constantIbLb0EESX_IbLb1EEEEDaST_SU_EUlST_E_NS1_11comp_targetILNS1_3genE10ELNS1_11target_archE1201ELNS1_3gpuE5ELNS1_3repE0EEENS1_30default_config_static_selectorELNS0_4arch9wavefront6targetE1EEEvT1_.kd
    .uniform_work_group_size: 1
    .uses_dynamic_stack: false
    .vgpr_count:     0
    .vgpr_spill_count: 0
    .wavefront_size: 64
  - .agpr_count:     0
    .args:
      - .offset:         0
        .size:           96
        .value_kind:     by_value
    .group_segment_fixed_size: 0
    .kernarg_segment_align: 8
    .kernarg_segment_size: 96
    .language:       OpenCL C
    .language_version:
      - 2
      - 0
    .max_flat_workgroup_size: 256
    .name:           _ZN7rocprim17ROCPRIM_400000_NS6detail17trampoline_kernelINS0_14default_configENS1_20scan_config_selectorIN3c104HalfEEEZZNS1_9scan_implILNS1_25lookback_scan_determinismE0ELb0ELb0ES3_PKS6_PS6_S6_ZZZN2at6native31launch_logcumsumexp_cuda_kernelERKNSD_10TensorBaseESH_lENKUlvE_clEvENKUlvE3_clEvEUlS6_S6_E_S6_EEDaPvRmT3_T4_T5_mT6_P12ihipStream_tbENKUlT_T0_E_clISt17integral_constantIbLb0EESX_IbLb1EEEEDaST_SU_EUlST_E_NS1_11comp_targetILNS1_3genE10ELNS1_11target_archE1200ELNS1_3gpuE4ELNS1_3repE0EEENS1_30default_config_static_selectorELNS0_4arch9wavefront6targetE1EEEvT1_
    .private_segment_fixed_size: 0
    .sgpr_count:     4
    .sgpr_spill_count: 0
    .symbol:         _ZN7rocprim17ROCPRIM_400000_NS6detail17trampoline_kernelINS0_14default_configENS1_20scan_config_selectorIN3c104HalfEEEZZNS1_9scan_implILNS1_25lookback_scan_determinismE0ELb0ELb0ES3_PKS6_PS6_S6_ZZZN2at6native31launch_logcumsumexp_cuda_kernelERKNSD_10TensorBaseESH_lENKUlvE_clEvENKUlvE3_clEvEUlS6_S6_E_S6_EEDaPvRmT3_T4_T5_mT6_P12ihipStream_tbENKUlT_T0_E_clISt17integral_constantIbLb0EESX_IbLb1EEEEDaST_SU_EUlST_E_NS1_11comp_targetILNS1_3genE10ELNS1_11target_archE1200ELNS1_3gpuE4ELNS1_3repE0EEENS1_30default_config_static_selectorELNS0_4arch9wavefront6targetE1EEEvT1_.kd
    .uniform_work_group_size: 1
    .uses_dynamic_stack: false
    .vgpr_count:     0
    .vgpr_spill_count: 0
    .wavefront_size: 64
  - .agpr_count:     0
    .args:
      - .offset:         0
        .size:           96
        .value_kind:     by_value
    .group_segment_fixed_size: 0
    .kernarg_segment_align: 8
    .kernarg_segment_size: 96
    .language:       OpenCL C
    .language_version:
      - 2
      - 0
    .max_flat_workgroup_size: 64
    .name:           _ZN7rocprim17ROCPRIM_400000_NS6detail17trampoline_kernelINS0_14default_configENS1_20scan_config_selectorIN3c104HalfEEEZZNS1_9scan_implILNS1_25lookback_scan_determinismE0ELb0ELb0ES3_PKS6_PS6_S6_ZZZN2at6native31launch_logcumsumexp_cuda_kernelERKNSD_10TensorBaseESH_lENKUlvE_clEvENKUlvE3_clEvEUlS6_S6_E_S6_EEDaPvRmT3_T4_T5_mT6_P12ihipStream_tbENKUlT_T0_E_clISt17integral_constantIbLb0EESX_IbLb1EEEEDaST_SU_EUlST_E_NS1_11comp_targetILNS1_3genE9ELNS1_11target_archE1100ELNS1_3gpuE3ELNS1_3repE0EEENS1_30default_config_static_selectorELNS0_4arch9wavefront6targetE1EEEvT1_
    .private_segment_fixed_size: 0
    .sgpr_count:     4
    .sgpr_spill_count: 0
    .symbol:         _ZN7rocprim17ROCPRIM_400000_NS6detail17trampoline_kernelINS0_14default_configENS1_20scan_config_selectorIN3c104HalfEEEZZNS1_9scan_implILNS1_25lookback_scan_determinismE0ELb0ELb0ES3_PKS6_PS6_S6_ZZZN2at6native31launch_logcumsumexp_cuda_kernelERKNSD_10TensorBaseESH_lENKUlvE_clEvENKUlvE3_clEvEUlS6_S6_E_S6_EEDaPvRmT3_T4_T5_mT6_P12ihipStream_tbENKUlT_T0_E_clISt17integral_constantIbLb0EESX_IbLb1EEEEDaST_SU_EUlST_E_NS1_11comp_targetILNS1_3genE9ELNS1_11target_archE1100ELNS1_3gpuE3ELNS1_3repE0EEENS1_30default_config_static_selectorELNS0_4arch9wavefront6targetE1EEEvT1_.kd
    .uniform_work_group_size: 1
    .uses_dynamic_stack: false
    .vgpr_count:     0
    .vgpr_spill_count: 0
    .wavefront_size: 64
  - .agpr_count:     0
    .args:
      - .offset:         0
        .size:           96
        .value_kind:     by_value
    .group_segment_fixed_size: 0
    .kernarg_segment_align: 8
    .kernarg_segment_size: 96
    .language:       OpenCL C
    .language_version:
      - 2
      - 0
    .max_flat_workgroup_size: 64
    .name:           _ZN7rocprim17ROCPRIM_400000_NS6detail17trampoline_kernelINS0_14default_configENS1_20scan_config_selectorIN3c104HalfEEEZZNS1_9scan_implILNS1_25lookback_scan_determinismE0ELb0ELb0ES3_PKS6_PS6_S6_ZZZN2at6native31launch_logcumsumexp_cuda_kernelERKNSD_10TensorBaseESH_lENKUlvE_clEvENKUlvE3_clEvEUlS6_S6_E_S6_EEDaPvRmT3_T4_T5_mT6_P12ihipStream_tbENKUlT_T0_E_clISt17integral_constantIbLb0EESX_IbLb1EEEEDaST_SU_EUlST_E_NS1_11comp_targetILNS1_3genE8ELNS1_11target_archE1030ELNS1_3gpuE2ELNS1_3repE0EEENS1_30default_config_static_selectorELNS0_4arch9wavefront6targetE1EEEvT1_
    .private_segment_fixed_size: 0
    .sgpr_count:     4
    .sgpr_spill_count: 0
    .symbol:         _ZN7rocprim17ROCPRIM_400000_NS6detail17trampoline_kernelINS0_14default_configENS1_20scan_config_selectorIN3c104HalfEEEZZNS1_9scan_implILNS1_25lookback_scan_determinismE0ELb0ELb0ES3_PKS6_PS6_S6_ZZZN2at6native31launch_logcumsumexp_cuda_kernelERKNSD_10TensorBaseESH_lENKUlvE_clEvENKUlvE3_clEvEUlS6_S6_E_S6_EEDaPvRmT3_T4_T5_mT6_P12ihipStream_tbENKUlT_T0_E_clISt17integral_constantIbLb0EESX_IbLb1EEEEDaST_SU_EUlST_E_NS1_11comp_targetILNS1_3genE8ELNS1_11target_archE1030ELNS1_3gpuE2ELNS1_3repE0EEENS1_30default_config_static_selectorELNS0_4arch9wavefront6targetE1EEEvT1_.kd
    .uniform_work_group_size: 1
    .uses_dynamic_stack: false
    .vgpr_count:     0
    .vgpr_spill_count: 0
    .wavefront_size: 64
  - .agpr_count:     0
    .args:
      - .offset:         0
        .size:           32
        .value_kind:     by_value
    .group_segment_fixed_size: 0
    .kernarg_segment_align: 8
    .kernarg_segment_size: 32
    .language:       OpenCL C
    .language_version:
      - 2
      - 0
    .max_flat_workgroup_size: 128
    .name:           _ZN7rocprim17ROCPRIM_400000_NS6detail17trampoline_kernelINS0_14default_configENS1_20scan_config_selectorIN3c104HalfEEEZZNS1_9scan_implILNS1_25lookback_scan_determinismE0ELb0ELb0ES3_PKS6_PS6_S6_ZZZN2at6native31launch_logcumsumexp_cuda_kernelERKNSD_10TensorBaseESH_lENKUlvE_clEvENKUlvE3_clEvEUlS6_S6_E_S6_EEDaPvRmT3_T4_T5_mT6_P12ihipStream_tbENKUlT_T0_E_clISt17integral_constantIbLb0EESX_IbLb1EEEEDaST_SU_EUlST_E0_NS1_11comp_targetILNS1_3genE0ELNS1_11target_archE4294967295ELNS1_3gpuE0ELNS1_3repE0EEENS1_30default_config_static_selectorELNS0_4arch9wavefront6targetE1EEEvT1_
    .private_segment_fixed_size: 0
    .sgpr_count:     4
    .sgpr_spill_count: 0
    .symbol:         _ZN7rocprim17ROCPRIM_400000_NS6detail17trampoline_kernelINS0_14default_configENS1_20scan_config_selectorIN3c104HalfEEEZZNS1_9scan_implILNS1_25lookback_scan_determinismE0ELb0ELb0ES3_PKS6_PS6_S6_ZZZN2at6native31launch_logcumsumexp_cuda_kernelERKNSD_10TensorBaseESH_lENKUlvE_clEvENKUlvE3_clEvEUlS6_S6_E_S6_EEDaPvRmT3_T4_T5_mT6_P12ihipStream_tbENKUlT_T0_E_clISt17integral_constantIbLb0EESX_IbLb1EEEEDaST_SU_EUlST_E0_NS1_11comp_targetILNS1_3genE0ELNS1_11target_archE4294967295ELNS1_3gpuE0ELNS1_3repE0EEENS1_30default_config_static_selectorELNS0_4arch9wavefront6targetE1EEEvT1_.kd
    .uniform_work_group_size: 1
    .uses_dynamic_stack: false
    .vgpr_count:     0
    .vgpr_spill_count: 0
    .wavefront_size: 64
  - .agpr_count:     0
    .args:
      - .offset:         0
        .size:           32
        .value_kind:     by_value
    .group_segment_fixed_size: 0
    .kernarg_segment_align: 8
    .kernarg_segment_size: 32
    .language:       OpenCL C
    .language_version:
      - 2
      - 0
    .max_flat_workgroup_size: 256
    .name:           _ZN7rocprim17ROCPRIM_400000_NS6detail17trampoline_kernelINS0_14default_configENS1_20scan_config_selectorIN3c104HalfEEEZZNS1_9scan_implILNS1_25lookback_scan_determinismE0ELb0ELb0ES3_PKS6_PS6_S6_ZZZN2at6native31launch_logcumsumexp_cuda_kernelERKNSD_10TensorBaseESH_lENKUlvE_clEvENKUlvE3_clEvEUlS6_S6_E_S6_EEDaPvRmT3_T4_T5_mT6_P12ihipStream_tbENKUlT_T0_E_clISt17integral_constantIbLb0EESX_IbLb1EEEEDaST_SU_EUlST_E0_NS1_11comp_targetILNS1_3genE5ELNS1_11target_archE942ELNS1_3gpuE9ELNS1_3repE0EEENS1_30default_config_static_selectorELNS0_4arch9wavefront6targetE1EEEvT1_
    .private_segment_fixed_size: 0
    .sgpr_count:     4
    .sgpr_spill_count: 0
    .symbol:         _ZN7rocprim17ROCPRIM_400000_NS6detail17trampoline_kernelINS0_14default_configENS1_20scan_config_selectorIN3c104HalfEEEZZNS1_9scan_implILNS1_25lookback_scan_determinismE0ELb0ELb0ES3_PKS6_PS6_S6_ZZZN2at6native31launch_logcumsumexp_cuda_kernelERKNSD_10TensorBaseESH_lENKUlvE_clEvENKUlvE3_clEvEUlS6_S6_E_S6_EEDaPvRmT3_T4_T5_mT6_P12ihipStream_tbENKUlT_T0_E_clISt17integral_constantIbLb0EESX_IbLb1EEEEDaST_SU_EUlST_E0_NS1_11comp_targetILNS1_3genE5ELNS1_11target_archE942ELNS1_3gpuE9ELNS1_3repE0EEENS1_30default_config_static_selectorELNS0_4arch9wavefront6targetE1EEEvT1_.kd
    .uniform_work_group_size: 1
    .uses_dynamic_stack: false
    .vgpr_count:     0
    .vgpr_spill_count: 0
    .wavefront_size: 64
  - .agpr_count:     0
    .args:
      - .offset:         0
        .size:           32
        .value_kind:     by_value
    .group_segment_fixed_size: 3072
    .kernarg_segment_align: 8
    .kernarg_segment_size: 32
    .language:       OpenCL C
    .language_version:
      - 2
      - 0
    .max_flat_workgroup_size: 64
    .name:           _ZN7rocprim17ROCPRIM_400000_NS6detail17trampoline_kernelINS0_14default_configENS1_20scan_config_selectorIN3c104HalfEEEZZNS1_9scan_implILNS1_25lookback_scan_determinismE0ELb0ELb0ES3_PKS6_PS6_S6_ZZZN2at6native31launch_logcumsumexp_cuda_kernelERKNSD_10TensorBaseESH_lENKUlvE_clEvENKUlvE3_clEvEUlS6_S6_E_S6_EEDaPvRmT3_T4_T5_mT6_P12ihipStream_tbENKUlT_T0_E_clISt17integral_constantIbLb0EESX_IbLb1EEEEDaST_SU_EUlST_E0_NS1_11comp_targetILNS1_3genE4ELNS1_11target_archE910ELNS1_3gpuE8ELNS1_3repE0EEENS1_30default_config_static_selectorELNS0_4arch9wavefront6targetE1EEEvT1_
    .private_segment_fixed_size: 0
    .sgpr_count:     100
    .sgpr_spill_count: 10
    .symbol:         _ZN7rocprim17ROCPRIM_400000_NS6detail17trampoline_kernelINS0_14default_configENS1_20scan_config_selectorIN3c104HalfEEEZZNS1_9scan_implILNS1_25lookback_scan_determinismE0ELb0ELb0ES3_PKS6_PS6_S6_ZZZN2at6native31launch_logcumsumexp_cuda_kernelERKNSD_10TensorBaseESH_lENKUlvE_clEvENKUlvE3_clEvEUlS6_S6_E_S6_EEDaPvRmT3_T4_T5_mT6_P12ihipStream_tbENKUlT_T0_E_clISt17integral_constantIbLb0EESX_IbLb1EEEEDaST_SU_EUlST_E0_NS1_11comp_targetILNS1_3genE4ELNS1_11target_archE910ELNS1_3gpuE8ELNS1_3repE0EEENS1_30default_config_static_selectorELNS0_4arch9wavefront6targetE1EEEvT1_.kd
    .uniform_work_group_size: 1
    .uses_dynamic_stack: false
    .vgpr_count:     52
    .vgpr_spill_count: 0
    .wavefront_size: 64
  - .agpr_count:     0
    .args:
      - .offset:         0
        .size:           32
        .value_kind:     by_value
    .group_segment_fixed_size: 0
    .kernarg_segment_align: 8
    .kernarg_segment_size: 32
    .language:       OpenCL C
    .language_version:
      - 2
      - 0
    .max_flat_workgroup_size: 128
    .name:           _ZN7rocprim17ROCPRIM_400000_NS6detail17trampoline_kernelINS0_14default_configENS1_20scan_config_selectorIN3c104HalfEEEZZNS1_9scan_implILNS1_25lookback_scan_determinismE0ELb0ELb0ES3_PKS6_PS6_S6_ZZZN2at6native31launch_logcumsumexp_cuda_kernelERKNSD_10TensorBaseESH_lENKUlvE_clEvENKUlvE3_clEvEUlS6_S6_E_S6_EEDaPvRmT3_T4_T5_mT6_P12ihipStream_tbENKUlT_T0_E_clISt17integral_constantIbLb0EESX_IbLb1EEEEDaST_SU_EUlST_E0_NS1_11comp_targetILNS1_3genE3ELNS1_11target_archE908ELNS1_3gpuE7ELNS1_3repE0EEENS1_30default_config_static_selectorELNS0_4arch9wavefront6targetE1EEEvT1_
    .private_segment_fixed_size: 0
    .sgpr_count:     4
    .sgpr_spill_count: 0
    .symbol:         _ZN7rocprim17ROCPRIM_400000_NS6detail17trampoline_kernelINS0_14default_configENS1_20scan_config_selectorIN3c104HalfEEEZZNS1_9scan_implILNS1_25lookback_scan_determinismE0ELb0ELb0ES3_PKS6_PS6_S6_ZZZN2at6native31launch_logcumsumexp_cuda_kernelERKNSD_10TensorBaseESH_lENKUlvE_clEvENKUlvE3_clEvEUlS6_S6_E_S6_EEDaPvRmT3_T4_T5_mT6_P12ihipStream_tbENKUlT_T0_E_clISt17integral_constantIbLb0EESX_IbLb1EEEEDaST_SU_EUlST_E0_NS1_11comp_targetILNS1_3genE3ELNS1_11target_archE908ELNS1_3gpuE7ELNS1_3repE0EEENS1_30default_config_static_selectorELNS0_4arch9wavefront6targetE1EEEvT1_.kd
    .uniform_work_group_size: 1
    .uses_dynamic_stack: false
    .vgpr_count:     0
    .vgpr_spill_count: 0
    .wavefront_size: 64
  - .agpr_count:     0
    .args:
      - .offset:         0
        .size:           32
        .value_kind:     by_value
    .group_segment_fixed_size: 0
    .kernarg_segment_align: 8
    .kernarg_segment_size: 32
    .language:       OpenCL C
    .language_version:
      - 2
      - 0
    .max_flat_workgroup_size: 256
    .name:           _ZN7rocprim17ROCPRIM_400000_NS6detail17trampoline_kernelINS0_14default_configENS1_20scan_config_selectorIN3c104HalfEEEZZNS1_9scan_implILNS1_25lookback_scan_determinismE0ELb0ELb0ES3_PKS6_PS6_S6_ZZZN2at6native31launch_logcumsumexp_cuda_kernelERKNSD_10TensorBaseESH_lENKUlvE_clEvENKUlvE3_clEvEUlS6_S6_E_S6_EEDaPvRmT3_T4_T5_mT6_P12ihipStream_tbENKUlT_T0_E_clISt17integral_constantIbLb0EESX_IbLb1EEEEDaST_SU_EUlST_E0_NS1_11comp_targetILNS1_3genE2ELNS1_11target_archE906ELNS1_3gpuE6ELNS1_3repE0EEENS1_30default_config_static_selectorELNS0_4arch9wavefront6targetE1EEEvT1_
    .private_segment_fixed_size: 0
    .sgpr_count:     4
    .sgpr_spill_count: 0
    .symbol:         _ZN7rocprim17ROCPRIM_400000_NS6detail17trampoline_kernelINS0_14default_configENS1_20scan_config_selectorIN3c104HalfEEEZZNS1_9scan_implILNS1_25lookback_scan_determinismE0ELb0ELb0ES3_PKS6_PS6_S6_ZZZN2at6native31launch_logcumsumexp_cuda_kernelERKNSD_10TensorBaseESH_lENKUlvE_clEvENKUlvE3_clEvEUlS6_S6_E_S6_EEDaPvRmT3_T4_T5_mT6_P12ihipStream_tbENKUlT_T0_E_clISt17integral_constantIbLb0EESX_IbLb1EEEEDaST_SU_EUlST_E0_NS1_11comp_targetILNS1_3genE2ELNS1_11target_archE906ELNS1_3gpuE6ELNS1_3repE0EEENS1_30default_config_static_selectorELNS0_4arch9wavefront6targetE1EEEvT1_.kd
    .uniform_work_group_size: 1
    .uses_dynamic_stack: false
    .vgpr_count:     0
    .vgpr_spill_count: 0
    .wavefront_size: 64
  - .agpr_count:     0
    .args:
      - .offset:         0
        .size:           32
        .value_kind:     by_value
    .group_segment_fixed_size: 0
    .kernarg_segment_align: 8
    .kernarg_segment_size: 32
    .language:       OpenCL C
    .language_version:
      - 2
      - 0
    .max_flat_workgroup_size: 256
    .name:           _ZN7rocprim17ROCPRIM_400000_NS6detail17trampoline_kernelINS0_14default_configENS1_20scan_config_selectorIN3c104HalfEEEZZNS1_9scan_implILNS1_25lookback_scan_determinismE0ELb0ELb0ES3_PKS6_PS6_S6_ZZZN2at6native31launch_logcumsumexp_cuda_kernelERKNSD_10TensorBaseESH_lENKUlvE_clEvENKUlvE3_clEvEUlS6_S6_E_S6_EEDaPvRmT3_T4_T5_mT6_P12ihipStream_tbENKUlT_T0_E_clISt17integral_constantIbLb0EESX_IbLb1EEEEDaST_SU_EUlST_E0_NS1_11comp_targetILNS1_3genE10ELNS1_11target_archE1201ELNS1_3gpuE5ELNS1_3repE0EEENS1_30default_config_static_selectorELNS0_4arch9wavefront6targetE1EEEvT1_
    .private_segment_fixed_size: 0
    .sgpr_count:     4
    .sgpr_spill_count: 0
    .symbol:         _ZN7rocprim17ROCPRIM_400000_NS6detail17trampoline_kernelINS0_14default_configENS1_20scan_config_selectorIN3c104HalfEEEZZNS1_9scan_implILNS1_25lookback_scan_determinismE0ELb0ELb0ES3_PKS6_PS6_S6_ZZZN2at6native31launch_logcumsumexp_cuda_kernelERKNSD_10TensorBaseESH_lENKUlvE_clEvENKUlvE3_clEvEUlS6_S6_E_S6_EEDaPvRmT3_T4_T5_mT6_P12ihipStream_tbENKUlT_T0_E_clISt17integral_constantIbLb0EESX_IbLb1EEEEDaST_SU_EUlST_E0_NS1_11comp_targetILNS1_3genE10ELNS1_11target_archE1201ELNS1_3gpuE5ELNS1_3repE0EEENS1_30default_config_static_selectorELNS0_4arch9wavefront6targetE1EEEvT1_.kd
    .uniform_work_group_size: 1
    .uses_dynamic_stack: false
    .vgpr_count:     0
    .vgpr_spill_count: 0
    .wavefront_size: 64
  - .agpr_count:     0
    .args:
      - .offset:         0
        .size:           32
        .value_kind:     by_value
    .group_segment_fixed_size: 0
    .kernarg_segment_align: 8
    .kernarg_segment_size: 32
    .language:       OpenCL C
    .language_version:
      - 2
      - 0
    .max_flat_workgroup_size: 256
    .name:           _ZN7rocprim17ROCPRIM_400000_NS6detail17trampoline_kernelINS0_14default_configENS1_20scan_config_selectorIN3c104HalfEEEZZNS1_9scan_implILNS1_25lookback_scan_determinismE0ELb0ELb0ES3_PKS6_PS6_S6_ZZZN2at6native31launch_logcumsumexp_cuda_kernelERKNSD_10TensorBaseESH_lENKUlvE_clEvENKUlvE3_clEvEUlS6_S6_E_S6_EEDaPvRmT3_T4_T5_mT6_P12ihipStream_tbENKUlT_T0_E_clISt17integral_constantIbLb0EESX_IbLb1EEEEDaST_SU_EUlST_E0_NS1_11comp_targetILNS1_3genE10ELNS1_11target_archE1200ELNS1_3gpuE4ELNS1_3repE0EEENS1_30default_config_static_selectorELNS0_4arch9wavefront6targetE1EEEvT1_
    .private_segment_fixed_size: 0
    .sgpr_count:     4
    .sgpr_spill_count: 0
    .symbol:         _ZN7rocprim17ROCPRIM_400000_NS6detail17trampoline_kernelINS0_14default_configENS1_20scan_config_selectorIN3c104HalfEEEZZNS1_9scan_implILNS1_25lookback_scan_determinismE0ELb0ELb0ES3_PKS6_PS6_S6_ZZZN2at6native31launch_logcumsumexp_cuda_kernelERKNSD_10TensorBaseESH_lENKUlvE_clEvENKUlvE3_clEvEUlS6_S6_E_S6_EEDaPvRmT3_T4_T5_mT6_P12ihipStream_tbENKUlT_T0_E_clISt17integral_constantIbLb0EESX_IbLb1EEEEDaST_SU_EUlST_E0_NS1_11comp_targetILNS1_3genE10ELNS1_11target_archE1200ELNS1_3gpuE4ELNS1_3repE0EEENS1_30default_config_static_selectorELNS0_4arch9wavefront6targetE1EEEvT1_.kd
    .uniform_work_group_size: 1
    .uses_dynamic_stack: false
    .vgpr_count:     0
    .vgpr_spill_count: 0
    .wavefront_size: 64
  - .agpr_count:     0
    .args:
      - .offset:         0
        .size:           32
        .value_kind:     by_value
    .group_segment_fixed_size: 0
    .kernarg_segment_align: 8
    .kernarg_segment_size: 32
    .language:       OpenCL C
    .language_version:
      - 2
      - 0
    .max_flat_workgroup_size: 64
    .name:           _ZN7rocprim17ROCPRIM_400000_NS6detail17trampoline_kernelINS0_14default_configENS1_20scan_config_selectorIN3c104HalfEEEZZNS1_9scan_implILNS1_25lookback_scan_determinismE0ELb0ELb0ES3_PKS6_PS6_S6_ZZZN2at6native31launch_logcumsumexp_cuda_kernelERKNSD_10TensorBaseESH_lENKUlvE_clEvENKUlvE3_clEvEUlS6_S6_E_S6_EEDaPvRmT3_T4_T5_mT6_P12ihipStream_tbENKUlT_T0_E_clISt17integral_constantIbLb0EESX_IbLb1EEEEDaST_SU_EUlST_E0_NS1_11comp_targetILNS1_3genE9ELNS1_11target_archE1100ELNS1_3gpuE3ELNS1_3repE0EEENS1_30default_config_static_selectorELNS0_4arch9wavefront6targetE1EEEvT1_
    .private_segment_fixed_size: 0
    .sgpr_count:     4
    .sgpr_spill_count: 0
    .symbol:         _ZN7rocprim17ROCPRIM_400000_NS6detail17trampoline_kernelINS0_14default_configENS1_20scan_config_selectorIN3c104HalfEEEZZNS1_9scan_implILNS1_25lookback_scan_determinismE0ELb0ELb0ES3_PKS6_PS6_S6_ZZZN2at6native31launch_logcumsumexp_cuda_kernelERKNSD_10TensorBaseESH_lENKUlvE_clEvENKUlvE3_clEvEUlS6_S6_E_S6_EEDaPvRmT3_T4_T5_mT6_P12ihipStream_tbENKUlT_T0_E_clISt17integral_constantIbLb0EESX_IbLb1EEEEDaST_SU_EUlST_E0_NS1_11comp_targetILNS1_3genE9ELNS1_11target_archE1100ELNS1_3gpuE3ELNS1_3repE0EEENS1_30default_config_static_selectorELNS0_4arch9wavefront6targetE1EEEvT1_.kd
    .uniform_work_group_size: 1
    .uses_dynamic_stack: false
    .vgpr_count:     0
    .vgpr_spill_count: 0
    .wavefront_size: 64
  - .agpr_count:     0
    .args:
      - .offset:         0
        .size:           32
        .value_kind:     by_value
    .group_segment_fixed_size: 0
    .kernarg_segment_align: 8
    .kernarg_segment_size: 32
    .language:       OpenCL C
    .language_version:
      - 2
      - 0
    .max_flat_workgroup_size: 64
    .name:           _ZN7rocprim17ROCPRIM_400000_NS6detail17trampoline_kernelINS0_14default_configENS1_20scan_config_selectorIN3c104HalfEEEZZNS1_9scan_implILNS1_25lookback_scan_determinismE0ELb0ELb0ES3_PKS6_PS6_S6_ZZZN2at6native31launch_logcumsumexp_cuda_kernelERKNSD_10TensorBaseESH_lENKUlvE_clEvENKUlvE3_clEvEUlS6_S6_E_S6_EEDaPvRmT3_T4_T5_mT6_P12ihipStream_tbENKUlT_T0_E_clISt17integral_constantIbLb0EESX_IbLb1EEEEDaST_SU_EUlST_E0_NS1_11comp_targetILNS1_3genE8ELNS1_11target_archE1030ELNS1_3gpuE2ELNS1_3repE0EEENS1_30default_config_static_selectorELNS0_4arch9wavefront6targetE1EEEvT1_
    .private_segment_fixed_size: 0
    .sgpr_count:     4
    .sgpr_spill_count: 0
    .symbol:         _ZN7rocprim17ROCPRIM_400000_NS6detail17trampoline_kernelINS0_14default_configENS1_20scan_config_selectorIN3c104HalfEEEZZNS1_9scan_implILNS1_25lookback_scan_determinismE0ELb0ELb0ES3_PKS6_PS6_S6_ZZZN2at6native31launch_logcumsumexp_cuda_kernelERKNSD_10TensorBaseESH_lENKUlvE_clEvENKUlvE3_clEvEUlS6_S6_E_S6_EEDaPvRmT3_T4_T5_mT6_P12ihipStream_tbENKUlT_T0_E_clISt17integral_constantIbLb0EESX_IbLb1EEEEDaST_SU_EUlST_E0_NS1_11comp_targetILNS1_3genE8ELNS1_11target_archE1030ELNS1_3gpuE2ELNS1_3repE0EEENS1_30default_config_static_selectorELNS0_4arch9wavefront6targetE1EEEvT1_.kd
    .uniform_work_group_size: 1
    .uses_dynamic_stack: false
    .vgpr_count:     0
    .vgpr_spill_count: 0
    .wavefront_size: 64
  - .agpr_count:     0
    .args:
      - .address_space:  global
        .offset:         0
        .size:           8
        .value_kind:     global_buffer
      - .address_space:  global
        .offset:         8
        .size:           8
        .value_kind:     global_buffer
      - .offset:         16
        .size:           4
        .value_kind:     by_value
      - .offset:         20
        .size:           4
        .value_kind:     by_value
      - .offset:         24
        .size:           4
        .value_kind:     by_value
      - .offset:         28
        .size:           2
        .value_kind:     by_value
      - .offset:         30
        .size:           1
        .value_kind:     by_value
      - .offset:         32
        .size:           4
        .value_kind:     hidden_block_count_x
      - .offset:         36
        .size:           4
        .value_kind:     hidden_block_count_y
      - .offset:         40
        .size:           4
        .value_kind:     hidden_block_count_z
      - .offset:         44
        .size:           2
        .value_kind:     hidden_group_size_x
      - .offset:         46
        .size:           2
        .value_kind:     hidden_group_size_y
      - .offset:         48
        .size:           2
        .value_kind:     hidden_group_size_z
      - .offset:         50
        .size:           2
        .value_kind:     hidden_remainder_x
      - .offset:         52
        .size:           2
        .value_kind:     hidden_remainder_y
      - .offset:         54
        .size:           2
        .value_kind:     hidden_remainder_z
      - .offset:         72
        .size:           8
        .value_kind:     hidden_global_offset_x
      - .offset:         80
        .size:           8
        .value_kind:     hidden_global_offset_y
      - .offset:         88
        .size:           8
        .value_kind:     hidden_global_offset_z
      - .offset:         96
        .size:           2
        .value_kind:     hidden_grid_dims
      - .offset:         152
        .size:           4
        .value_kind:     hidden_dynamic_lds_size
    .group_segment_fixed_size: 0
    .kernarg_segment_align: 8
    .kernarg_segment_size: 288
    .language:       OpenCL C
    .language_version:
      - 2
      - 0
    .max_flat_workgroup_size: 1024
    .name:           _ZN2at6native32tensor_kernel_scan_innermost_dimIN3c104HalfEZZZNS0_31launch_logcumsumexp_cuda_kernelERKNS_10TensorBaseES6_lENKUlvE_clEvENKUlvE3_clEvEUlS3_S3_E_EEvPT_PKSA_jjjSA_T0_
    .private_segment_fixed_size: 0
    .sgpr_count:     48
    .sgpr_spill_count: 0
    .symbol:         _ZN2at6native32tensor_kernel_scan_innermost_dimIN3c104HalfEZZZNS0_31launch_logcumsumexp_cuda_kernelERKNS_10TensorBaseES6_lENKUlvE_clEvENKUlvE3_clEvEUlS3_S3_E_EEvPT_PKSA_jjjSA_T0_.kd
    .uniform_work_group_size: 1
    .uses_dynamic_stack: false
    .vgpr_count:     39
    .vgpr_spill_count: 0
    .wavefront_size: 64
  - .agpr_count:     0
    .args:
      - .address_space:  global
        .offset:         0
        .size:           8
        .value_kind:     global_buffer
      - .address_space:  global
        .offset:         8
        .size:           8
        .value_kind:     global_buffer
      - .offset:         16
        .size:           4
        .value_kind:     by_value
      - .offset:         20
        .size:           4
        .value_kind:     by_value
      - .offset:         24
        .size:           4
        .value_kind:     by_value
      - .offset:         28
        .size:           2
        .value_kind:     by_value
      - .offset:         30
        .size:           1
        .value_kind:     by_value
      - .offset:         32
        .size:           4
        .value_kind:     hidden_block_count_x
      - .offset:         36
        .size:           4
        .value_kind:     hidden_block_count_y
      - .offset:         40
        .size:           4
        .value_kind:     hidden_block_count_z
      - .offset:         44
        .size:           2
        .value_kind:     hidden_group_size_x
      - .offset:         46
        .size:           2
        .value_kind:     hidden_group_size_y
      - .offset:         48
        .size:           2
        .value_kind:     hidden_group_size_z
      - .offset:         50
        .size:           2
        .value_kind:     hidden_remainder_x
      - .offset:         52
        .size:           2
        .value_kind:     hidden_remainder_y
      - .offset:         54
        .size:           2
        .value_kind:     hidden_remainder_z
      - .offset:         72
        .size:           8
        .value_kind:     hidden_global_offset_x
      - .offset:         80
        .size:           8
        .value_kind:     hidden_global_offset_y
      - .offset:         88
        .size:           8
        .value_kind:     hidden_global_offset_z
      - .offset:         96
        .size:           2
        .value_kind:     hidden_grid_dims
    .group_segment_fixed_size: 0
    .kernarg_segment_align: 8
    .kernarg_segment_size: 288
    .language:       OpenCL C
    .language_version:
      - 2
      - 0
    .max_flat_workgroup_size: 1024
    .name:           _ZN2at6native28tensor_kernel_scan_outer_dimIN3c104HalfEjZZZNS0_31launch_logcumsumexp_cuda_kernelERKNS_10TensorBaseES6_lENKUlvE_clEvENKUlvE3_clEvEUlS3_S3_E_EEvPT_PKSA_jjjSA_T1_
    .private_segment_fixed_size: 0
    .sgpr_count:     48
    .sgpr_spill_count: 0
    .symbol:         _ZN2at6native28tensor_kernel_scan_outer_dimIN3c104HalfEjZZZNS0_31launch_logcumsumexp_cuda_kernelERKNS_10TensorBaseES6_lENKUlvE_clEvENKUlvE3_clEvEUlS3_S3_E_EEvPT_PKSA_jjjSA_T1_.kd
    .uniform_work_group_size: 1
    .uses_dynamic_stack: false
    .vgpr_count:     27
    .vgpr_spill_count: 0
    .wavefront_size: 64
  - .agpr_count:     0
    .args:
      - .address_space:  global
        .offset:         0
        .size:           8
        .value_kind:     global_buffer
      - .address_space:  global
        .offset:         8
        .size:           8
        .value_kind:     global_buffer
      - .offset:         16
        .size:           4
        .value_kind:     by_value
      - .offset:         20
        .size:           4
        .value_kind:     by_value
      - .offset:         24
        .size:           4
        .value_kind:     by_value
      - .offset:         28
        .size:           2
        .value_kind:     by_value
      - .offset:         30
        .size:           1
        .value_kind:     by_value
      - .offset:         32
        .size:           4
        .value_kind:     hidden_block_count_x
      - .offset:         36
        .size:           4
        .value_kind:     hidden_block_count_y
      - .offset:         40
        .size:           4
        .value_kind:     hidden_block_count_z
      - .offset:         44
        .size:           2
        .value_kind:     hidden_group_size_x
      - .offset:         46
        .size:           2
        .value_kind:     hidden_group_size_y
      - .offset:         48
        .size:           2
        .value_kind:     hidden_group_size_z
      - .offset:         50
        .size:           2
        .value_kind:     hidden_remainder_x
      - .offset:         52
        .size:           2
        .value_kind:     hidden_remainder_y
      - .offset:         54
        .size:           2
        .value_kind:     hidden_remainder_z
      - .offset:         72
        .size:           8
        .value_kind:     hidden_global_offset_x
      - .offset:         80
        .size:           8
        .value_kind:     hidden_global_offset_y
      - .offset:         88
        .size:           8
        .value_kind:     hidden_global_offset_z
      - .offset:         96
        .size:           2
        .value_kind:     hidden_grid_dims
    .group_segment_fixed_size: 0
    .kernarg_segment_align: 8
    .kernarg_segment_size: 288
    .language:       OpenCL C
    .language_version:
      - 2
      - 0
    .max_flat_workgroup_size: 1024
    .name:           _ZN2at6native28tensor_kernel_scan_outer_dimIN3c104HalfEmZZZNS0_31launch_logcumsumexp_cuda_kernelERKNS_10TensorBaseES6_lENKUlvE_clEvENKUlvE3_clEvEUlS3_S3_E_EEvPT_PKSA_jjjSA_T1_
    .private_segment_fixed_size: 0
    .sgpr_count:     46
    .sgpr_spill_count: 0
    .symbol:         _ZN2at6native28tensor_kernel_scan_outer_dimIN3c104HalfEmZZZNS0_31launch_logcumsumexp_cuda_kernelERKNS_10TensorBaseES6_lENKUlvE_clEvENKUlvE3_clEvEUlS3_S3_E_EEvPT_PKSA_jjjSA_T1_.kd
    .uniform_work_group_size: 1
    .uses_dynamic_stack: false
    .vgpr_count:     27
    .vgpr_spill_count: 0
    .wavefront_size: 64
  - .agpr_count:     0
    .args:
      - .address_space:  global
        .offset:         0
        .size:           8
        .value_kind:     global_buffer
      - .offset:         8
        .size:           4
        .value_kind:     by_value
      - .offset:         12
        .size:           1
        .value_kind:     by_value
      - .offset:         16
        .size:           4
        .value_kind:     by_value
      - .address_space:  global
        .offset:         24
        .size:           8
        .value_kind:     global_buffer
      - .offset:         32
        .size:           4
        .value_kind:     hidden_block_count_x
      - .offset:         36
        .size:           4
        .value_kind:     hidden_block_count_y
      - .offset:         40
        .size:           4
        .value_kind:     hidden_block_count_z
      - .offset:         44
        .size:           2
        .value_kind:     hidden_group_size_x
      - .offset:         46
        .size:           2
        .value_kind:     hidden_group_size_y
      - .offset:         48
        .size:           2
        .value_kind:     hidden_group_size_z
      - .offset:         50
        .size:           2
        .value_kind:     hidden_remainder_x
      - .offset:         52
        .size:           2
        .value_kind:     hidden_remainder_y
      - .offset:         54
        .size:           2
        .value_kind:     hidden_remainder_z
      - .offset:         72
        .size:           8
        .value_kind:     hidden_global_offset_x
      - .offset:         80
        .size:           8
        .value_kind:     hidden_global_offset_y
      - .offset:         88
        .size:           8
        .value_kind:     hidden_global_offset_z
      - .offset:         96
        .size:           2
        .value_kind:     hidden_grid_dims
    .group_segment_fixed_size: 0
    .kernarg_segment_align: 8
    .kernarg_segment_size: 288
    .language:       OpenCL C
    .language_version:
      - 2
      - 0
    .max_flat_workgroup_size: 256
    .name:           _ZN7rocprim17ROCPRIM_400000_NS6detail31init_lookback_scan_state_kernelINS1_19lookback_scan_stateIN3c108BFloat16ELb0ELb1EEENS1_16block_id_wrapperIjLb0EEEEEvT_jT0_jPNS9_10value_typeE
    .private_segment_fixed_size: 0
    .sgpr_count:     13
    .sgpr_spill_count: 0
    .symbol:         _ZN7rocprim17ROCPRIM_400000_NS6detail31init_lookback_scan_state_kernelINS1_19lookback_scan_stateIN3c108BFloat16ELb0ELb1EEENS1_16block_id_wrapperIjLb0EEEEEvT_jT0_jPNS9_10value_typeE.kd
    .uniform_work_group_size: 1
    .uses_dynamic_stack: false
    .vgpr_count:     6
    .vgpr_spill_count: 0
    .wavefront_size: 64
  - .agpr_count:     0
    .args:
      - .offset:         0
        .size:           96
        .value_kind:     by_value
    .group_segment_fixed_size: 0
    .kernarg_segment_align: 8
    .kernarg_segment_size: 96
    .language:       OpenCL C
    .language_version:
      - 2
      - 0
    .max_flat_workgroup_size: 128
    .name:           _ZN7rocprim17ROCPRIM_400000_NS6detail17trampoline_kernelINS0_14default_configENS1_20scan_config_selectorIN3c108BFloat16EEEZZNS1_9scan_implILNS1_25lookback_scan_determinismE0ELb0ELb0ES3_PKS6_PS6_S6_ZZZN2at6native31launch_logcumsumexp_cuda_kernelERKNSD_10TensorBaseESH_lENKUlvE_clEvENKUlvE4_clEvEUlS6_S6_E_S6_EEDaPvRmT3_T4_T5_mT6_P12ihipStream_tbENKUlT_T0_E_clISt17integral_constantIbLb0EESY_EEDaST_SU_EUlST_E_NS1_11comp_targetILNS1_3genE0ELNS1_11target_archE4294967295ELNS1_3gpuE0ELNS1_3repE0EEENS1_30default_config_static_selectorELNS0_4arch9wavefront6targetE1EEEvT1_
    .private_segment_fixed_size: 0
    .sgpr_count:     4
    .sgpr_spill_count: 0
    .symbol:         _ZN7rocprim17ROCPRIM_400000_NS6detail17trampoline_kernelINS0_14default_configENS1_20scan_config_selectorIN3c108BFloat16EEEZZNS1_9scan_implILNS1_25lookback_scan_determinismE0ELb0ELb0ES3_PKS6_PS6_S6_ZZZN2at6native31launch_logcumsumexp_cuda_kernelERKNSD_10TensorBaseESH_lENKUlvE_clEvENKUlvE4_clEvEUlS6_S6_E_S6_EEDaPvRmT3_T4_T5_mT6_P12ihipStream_tbENKUlT_T0_E_clISt17integral_constantIbLb0EESY_EEDaST_SU_EUlST_E_NS1_11comp_targetILNS1_3genE0ELNS1_11target_archE4294967295ELNS1_3gpuE0ELNS1_3repE0EEENS1_30default_config_static_selectorELNS0_4arch9wavefront6targetE1EEEvT1_.kd
    .uniform_work_group_size: 1
    .uses_dynamic_stack: false
    .vgpr_count:     0
    .vgpr_spill_count: 0
    .wavefront_size: 64
  - .agpr_count:     0
    .args:
      - .offset:         0
        .size:           96
        .value_kind:     by_value
    .group_segment_fixed_size: 0
    .kernarg_segment_align: 8
    .kernarg_segment_size: 96
    .language:       OpenCL C
    .language_version:
      - 2
      - 0
    .max_flat_workgroup_size: 256
    .name:           _ZN7rocprim17ROCPRIM_400000_NS6detail17trampoline_kernelINS0_14default_configENS1_20scan_config_selectorIN3c108BFloat16EEEZZNS1_9scan_implILNS1_25lookback_scan_determinismE0ELb0ELb0ES3_PKS6_PS6_S6_ZZZN2at6native31launch_logcumsumexp_cuda_kernelERKNSD_10TensorBaseESH_lENKUlvE_clEvENKUlvE4_clEvEUlS6_S6_E_S6_EEDaPvRmT3_T4_T5_mT6_P12ihipStream_tbENKUlT_T0_E_clISt17integral_constantIbLb0EESY_EEDaST_SU_EUlST_E_NS1_11comp_targetILNS1_3genE5ELNS1_11target_archE942ELNS1_3gpuE9ELNS1_3repE0EEENS1_30default_config_static_selectorELNS0_4arch9wavefront6targetE1EEEvT1_
    .private_segment_fixed_size: 0
    .sgpr_count:     4
    .sgpr_spill_count: 0
    .symbol:         _ZN7rocprim17ROCPRIM_400000_NS6detail17trampoline_kernelINS0_14default_configENS1_20scan_config_selectorIN3c108BFloat16EEEZZNS1_9scan_implILNS1_25lookback_scan_determinismE0ELb0ELb0ES3_PKS6_PS6_S6_ZZZN2at6native31launch_logcumsumexp_cuda_kernelERKNSD_10TensorBaseESH_lENKUlvE_clEvENKUlvE4_clEvEUlS6_S6_E_S6_EEDaPvRmT3_T4_T5_mT6_P12ihipStream_tbENKUlT_T0_E_clISt17integral_constantIbLb0EESY_EEDaST_SU_EUlST_E_NS1_11comp_targetILNS1_3genE5ELNS1_11target_archE942ELNS1_3gpuE9ELNS1_3repE0EEENS1_30default_config_static_selectorELNS0_4arch9wavefront6targetE1EEEvT1_.kd
    .uniform_work_group_size: 1
    .uses_dynamic_stack: false
    .vgpr_count:     0
    .vgpr_spill_count: 0
    .wavefront_size: 64
  - .agpr_count:     0
    .args:
      - .offset:         0
        .size:           96
        .value_kind:     by_value
      - .offset:         96
        .size:           4
        .value_kind:     hidden_block_count_x
      - .offset:         100
        .size:           4
        .value_kind:     hidden_block_count_y
      - .offset:         104
        .size:           4
        .value_kind:     hidden_block_count_z
      - .offset:         108
        .size:           2
        .value_kind:     hidden_group_size_x
      - .offset:         110
        .size:           2
        .value_kind:     hidden_group_size_y
      - .offset:         112
        .size:           2
        .value_kind:     hidden_group_size_z
      - .offset:         114
        .size:           2
        .value_kind:     hidden_remainder_x
      - .offset:         116
        .size:           2
        .value_kind:     hidden_remainder_y
      - .offset:         118
        .size:           2
        .value_kind:     hidden_remainder_z
      - .offset:         136
        .size:           8
        .value_kind:     hidden_global_offset_x
      - .offset:         144
        .size:           8
        .value_kind:     hidden_global_offset_y
      - .offset:         152
        .size:           8
        .value_kind:     hidden_global_offset_z
      - .offset:         160
        .size:           2
        .value_kind:     hidden_grid_dims
    .group_segment_fixed_size: 3072
    .kernarg_segment_align: 8
    .kernarg_segment_size: 352
    .language:       OpenCL C
    .language_version:
      - 2
      - 0
    .max_flat_workgroup_size: 64
    .name:           _ZN7rocprim17ROCPRIM_400000_NS6detail17trampoline_kernelINS0_14default_configENS1_20scan_config_selectorIN3c108BFloat16EEEZZNS1_9scan_implILNS1_25lookback_scan_determinismE0ELb0ELb0ES3_PKS6_PS6_S6_ZZZN2at6native31launch_logcumsumexp_cuda_kernelERKNSD_10TensorBaseESH_lENKUlvE_clEvENKUlvE4_clEvEUlS6_S6_E_S6_EEDaPvRmT3_T4_T5_mT6_P12ihipStream_tbENKUlT_T0_E_clISt17integral_constantIbLb0EESY_EEDaST_SU_EUlST_E_NS1_11comp_targetILNS1_3genE4ELNS1_11target_archE910ELNS1_3gpuE8ELNS1_3repE0EEENS1_30default_config_static_selectorELNS0_4arch9wavefront6targetE1EEEvT1_
    .private_segment_fixed_size: 120
    .sgpr_count:     84
    .sgpr_spill_count: 0
    .symbol:         _ZN7rocprim17ROCPRIM_400000_NS6detail17trampoline_kernelINS0_14default_configENS1_20scan_config_selectorIN3c108BFloat16EEEZZNS1_9scan_implILNS1_25lookback_scan_determinismE0ELb0ELb0ES3_PKS6_PS6_S6_ZZZN2at6native31launch_logcumsumexp_cuda_kernelERKNSD_10TensorBaseESH_lENKUlvE_clEvENKUlvE4_clEvEUlS6_S6_E_S6_EEDaPvRmT3_T4_T5_mT6_P12ihipStream_tbENKUlT_T0_E_clISt17integral_constantIbLb0EESY_EEDaST_SU_EUlST_E_NS1_11comp_targetILNS1_3genE4ELNS1_11target_archE910ELNS1_3gpuE8ELNS1_3repE0EEENS1_30default_config_static_selectorELNS0_4arch9wavefront6targetE1EEEvT1_.kd
    .uniform_work_group_size: 1
    .uses_dynamic_stack: false
    .vgpr_count:     213
    .vgpr_spill_count: 0
    .wavefront_size: 64
  - .agpr_count:     0
    .args:
      - .offset:         0
        .size:           96
        .value_kind:     by_value
    .group_segment_fixed_size: 0
    .kernarg_segment_align: 8
    .kernarg_segment_size: 96
    .language:       OpenCL C
    .language_version:
      - 2
      - 0
    .max_flat_workgroup_size: 128
    .name:           _ZN7rocprim17ROCPRIM_400000_NS6detail17trampoline_kernelINS0_14default_configENS1_20scan_config_selectorIN3c108BFloat16EEEZZNS1_9scan_implILNS1_25lookback_scan_determinismE0ELb0ELb0ES3_PKS6_PS6_S6_ZZZN2at6native31launch_logcumsumexp_cuda_kernelERKNSD_10TensorBaseESH_lENKUlvE_clEvENKUlvE4_clEvEUlS6_S6_E_S6_EEDaPvRmT3_T4_T5_mT6_P12ihipStream_tbENKUlT_T0_E_clISt17integral_constantIbLb0EESY_EEDaST_SU_EUlST_E_NS1_11comp_targetILNS1_3genE3ELNS1_11target_archE908ELNS1_3gpuE7ELNS1_3repE0EEENS1_30default_config_static_selectorELNS0_4arch9wavefront6targetE1EEEvT1_
    .private_segment_fixed_size: 0
    .sgpr_count:     4
    .sgpr_spill_count: 0
    .symbol:         _ZN7rocprim17ROCPRIM_400000_NS6detail17trampoline_kernelINS0_14default_configENS1_20scan_config_selectorIN3c108BFloat16EEEZZNS1_9scan_implILNS1_25lookback_scan_determinismE0ELb0ELb0ES3_PKS6_PS6_S6_ZZZN2at6native31launch_logcumsumexp_cuda_kernelERKNSD_10TensorBaseESH_lENKUlvE_clEvENKUlvE4_clEvEUlS6_S6_E_S6_EEDaPvRmT3_T4_T5_mT6_P12ihipStream_tbENKUlT_T0_E_clISt17integral_constantIbLb0EESY_EEDaST_SU_EUlST_E_NS1_11comp_targetILNS1_3genE3ELNS1_11target_archE908ELNS1_3gpuE7ELNS1_3repE0EEENS1_30default_config_static_selectorELNS0_4arch9wavefront6targetE1EEEvT1_.kd
    .uniform_work_group_size: 1
    .uses_dynamic_stack: false
    .vgpr_count:     0
    .vgpr_spill_count: 0
    .wavefront_size: 64
  - .agpr_count:     0
    .args:
      - .offset:         0
        .size:           96
        .value_kind:     by_value
    .group_segment_fixed_size: 0
    .kernarg_segment_align: 8
    .kernarg_segment_size: 96
    .language:       OpenCL C
    .language_version:
      - 2
      - 0
    .max_flat_workgroup_size: 256
    .name:           _ZN7rocprim17ROCPRIM_400000_NS6detail17trampoline_kernelINS0_14default_configENS1_20scan_config_selectorIN3c108BFloat16EEEZZNS1_9scan_implILNS1_25lookback_scan_determinismE0ELb0ELb0ES3_PKS6_PS6_S6_ZZZN2at6native31launch_logcumsumexp_cuda_kernelERKNSD_10TensorBaseESH_lENKUlvE_clEvENKUlvE4_clEvEUlS6_S6_E_S6_EEDaPvRmT3_T4_T5_mT6_P12ihipStream_tbENKUlT_T0_E_clISt17integral_constantIbLb0EESY_EEDaST_SU_EUlST_E_NS1_11comp_targetILNS1_3genE2ELNS1_11target_archE906ELNS1_3gpuE6ELNS1_3repE0EEENS1_30default_config_static_selectorELNS0_4arch9wavefront6targetE1EEEvT1_
    .private_segment_fixed_size: 0
    .sgpr_count:     4
    .sgpr_spill_count: 0
    .symbol:         _ZN7rocprim17ROCPRIM_400000_NS6detail17trampoline_kernelINS0_14default_configENS1_20scan_config_selectorIN3c108BFloat16EEEZZNS1_9scan_implILNS1_25lookback_scan_determinismE0ELb0ELb0ES3_PKS6_PS6_S6_ZZZN2at6native31launch_logcumsumexp_cuda_kernelERKNSD_10TensorBaseESH_lENKUlvE_clEvENKUlvE4_clEvEUlS6_S6_E_S6_EEDaPvRmT3_T4_T5_mT6_P12ihipStream_tbENKUlT_T0_E_clISt17integral_constantIbLb0EESY_EEDaST_SU_EUlST_E_NS1_11comp_targetILNS1_3genE2ELNS1_11target_archE906ELNS1_3gpuE6ELNS1_3repE0EEENS1_30default_config_static_selectorELNS0_4arch9wavefront6targetE1EEEvT1_.kd
    .uniform_work_group_size: 1
    .uses_dynamic_stack: false
    .vgpr_count:     0
    .vgpr_spill_count: 0
    .wavefront_size: 64
  - .agpr_count:     0
    .args:
      - .offset:         0
        .size:           96
        .value_kind:     by_value
    .group_segment_fixed_size: 0
    .kernarg_segment_align: 8
    .kernarg_segment_size: 96
    .language:       OpenCL C
    .language_version:
      - 2
      - 0
    .max_flat_workgroup_size: 256
    .name:           _ZN7rocprim17ROCPRIM_400000_NS6detail17trampoline_kernelINS0_14default_configENS1_20scan_config_selectorIN3c108BFloat16EEEZZNS1_9scan_implILNS1_25lookback_scan_determinismE0ELb0ELb0ES3_PKS6_PS6_S6_ZZZN2at6native31launch_logcumsumexp_cuda_kernelERKNSD_10TensorBaseESH_lENKUlvE_clEvENKUlvE4_clEvEUlS6_S6_E_S6_EEDaPvRmT3_T4_T5_mT6_P12ihipStream_tbENKUlT_T0_E_clISt17integral_constantIbLb0EESY_EEDaST_SU_EUlST_E_NS1_11comp_targetILNS1_3genE10ELNS1_11target_archE1201ELNS1_3gpuE5ELNS1_3repE0EEENS1_30default_config_static_selectorELNS0_4arch9wavefront6targetE1EEEvT1_
    .private_segment_fixed_size: 0
    .sgpr_count:     4
    .sgpr_spill_count: 0
    .symbol:         _ZN7rocprim17ROCPRIM_400000_NS6detail17trampoline_kernelINS0_14default_configENS1_20scan_config_selectorIN3c108BFloat16EEEZZNS1_9scan_implILNS1_25lookback_scan_determinismE0ELb0ELb0ES3_PKS6_PS6_S6_ZZZN2at6native31launch_logcumsumexp_cuda_kernelERKNSD_10TensorBaseESH_lENKUlvE_clEvENKUlvE4_clEvEUlS6_S6_E_S6_EEDaPvRmT3_T4_T5_mT6_P12ihipStream_tbENKUlT_T0_E_clISt17integral_constantIbLb0EESY_EEDaST_SU_EUlST_E_NS1_11comp_targetILNS1_3genE10ELNS1_11target_archE1201ELNS1_3gpuE5ELNS1_3repE0EEENS1_30default_config_static_selectorELNS0_4arch9wavefront6targetE1EEEvT1_.kd
    .uniform_work_group_size: 1
    .uses_dynamic_stack: false
    .vgpr_count:     0
    .vgpr_spill_count: 0
    .wavefront_size: 64
  - .agpr_count:     0
    .args:
      - .offset:         0
        .size:           96
        .value_kind:     by_value
    .group_segment_fixed_size: 0
    .kernarg_segment_align: 8
    .kernarg_segment_size: 96
    .language:       OpenCL C
    .language_version:
      - 2
      - 0
    .max_flat_workgroup_size: 256
    .name:           _ZN7rocprim17ROCPRIM_400000_NS6detail17trampoline_kernelINS0_14default_configENS1_20scan_config_selectorIN3c108BFloat16EEEZZNS1_9scan_implILNS1_25lookback_scan_determinismE0ELb0ELb0ES3_PKS6_PS6_S6_ZZZN2at6native31launch_logcumsumexp_cuda_kernelERKNSD_10TensorBaseESH_lENKUlvE_clEvENKUlvE4_clEvEUlS6_S6_E_S6_EEDaPvRmT3_T4_T5_mT6_P12ihipStream_tbENKUlT_T0_E_clISt17integral_constantIbLb0EESY_EEDaST_SU_EUlST_E_NS1_11comp_targetILNS1_3genE10ELNS1_11target_archE1200ELNS1_3gpuE4ELNS1_3repE0EEENS1_30default_config_static_selectorELNS0_4arch9wavefront6targetE1EEEvT1_
    .private_segment_fixed_size: 0
    .sgpr_count:     4
    .sgpr_spill_count: 0
    .symbol:         _ZN7rocprim17ROCPRIM_400000_NS6detail17trampoline_kernelINS0_14default_configENS1_20scan_config_selectorIN3c108BFloat16EEEZZNS1_9scan_implILNS1_25lookback_scan_determinismE0ELb0ELb0ES3_PKS6_PS6_S6_ZZZN2at6native31launch_logcumsumexp_cuda_kernelERKNSD_10TensorBaseESH_lENKUlvE_clEvENKUlvE4_clEvEUlS6_S6_E_S6_EEDaPvRmT3_T4_T5_mT6_P12ihipStream_tbENKUlT_T0_E_clISt17integral_constantIbLb0EESY_EEDaST_SU_EUlST_E_NS1_11comp_targetILNS1_3genE10ELNS1_11target_archE1200ELNS1_3gpuE4ELNS1_3repE0EEENS1_30default_config_static_selectorELNS0_4arch9wavefront6targetE1EEEvT1_.kd
    .uniform_work_group_size: 1
    .uses_dynamic_stack: false
    .vgpr_count:     0
    .vgpr_spill_count: 0
    .wavefront_size: 64
  - .agpr_count:     0
    .args:
      - .offset:         0
        .size:           96
        .value_kind:     by_value
    .group_segment_fixed_size: 0
    .kernarg_segment_align: 8
    .kernarg_segment_size: 96
    .language:       OpenCL C
    .language_version:
      - 2
      - 0
    .max_flat_workgroup_size: 64
    .name:           _ZN7rocprim17ROCPRIM_400000_NS6detail17trampoline_kernelINS0_14default_configENS1_20scan_config_selectorIN3c108BFloat16EEEZZNS1_9scan_implILNS1_25lookback_scan_determinismE0ELb0ELb0ES3_PKS6_PS6_S6_ZZZN2at6native31launch_logcumsumexp_cuda_kernelERKNSD_10TensorBaseESH_lENKUlvE_clEvENKUlvE4_clEvEUlS6_S6_E_S6_EEDaPvRmT3_T4_T5_mT6_P12ihipStream_tbENKUlT_T0_E_clISt17integral_constantIbLb0EESY_EEDaST_SU_EUlST_E_NS1_11comp_targetILNS1_3genE9ELNS1_11target_archE1100ELNS1_3gpuE3ELNS1_3repE0EEENS1_30default_config_static_selectorELNS0_4arch9wavefront6targetE1EEEvT1_
    .private_segment_fixed_size: 0
    .sgpr_count:     4
    .sgpr_spill_count: 0
    .symbol:         _ZN7rocprim17ROCPRIM_400000_NS6detail17trampoline_kernelINS0_14default_configENS1_20scan_config_selectorIN3c108BFloat16EEEZZNS1_9scan_implILNS1_25lookback_scan_determinismE0ELb0ELb0ES3_PKS6_PS6_S6_ZZZN2at6native31launch_logcumsumexp_cuda_kernelERKNSD_10TensorBaseESH_lENKUlvE_clEvENKUlvE4_clEvEUlS6_S6_E_S6_EEDaPvRmT3_T4_T5_mT6_P12ihipStream_tbENKUlT_T0_E_clISt17integral_constantIbLb0EESY_EEDaST_SU_EUlST_E_NS1_11comp_targetILNS1_3genE9ELNS1_11target_archE1100ELNS1_3gpuE3ELNS1_3repE0EEENS1_30default_config_static_selectorELNS0_4arch9wavefront6targetE1EEEvT1_.kd
    .uniform_work_group_size: 1
    .uses_dynamic_stack: false
    .vgpr_count:     0
    .vgpr_spill_count: 0
    .wavefront_size: 64
  - .agpr_count:     0
    .args:
      - .offset:         0
        .size:           96
        .value_kind:     by_value
    .group_segment_fixed_size: 0
    .kernarg_segment_align: 8
    .kernarg_segment_size: 96
    .language:       OpenCL C
    .language_version:
      - 2
      - 0
    .max_flat_workgroup_size: 64
    .name:           _ZN7rocprim17ROCPRIM_400000_NS6detail17trampoline_kernelINS0_14default_configENS1_20scan_config_selectorIN3c108BFloat16EEEZZNS1_9scan_implILNS1_25lookback_scan_determinismE0ELb0ELb0ES3_PKS6_PS6_S6_ZZZN2at6native31launch_logcumsumexp_cuda_kernelERKNSD_10TensorBaseESH_lENKUlvE_clEvENKUlvE4_clEvEUlS6_S6_E_S6_EEDaPvRmT3_T4_T5_mT6_P12ihipStream_tbENKUlT_T0_E_clISt17integral_constantIbLb0EESY_EEDaST_SU_EUlST_E_NS1_11comp_targetILNS1_3genE8ELNS1_11target_archE1030ELNS1_3gpuE2ELNS1_3repE0EEENS1_30default_config_static_selectorELNS0_4arch9wavefront6targetE1EEEvT1_
    .private_segment_fixed_size: 0
    .sgpr_count:     4
    .sgpr_spill_count: 0
    .symbol:         _ZN7rocprim17ROCPRIM_400000_NS6detail17trampoline_kernelINS0_14default_configENS1_20scan_config_selectorIN3c108BFloat16EEEZZNS1_9scan_implILNS1_25lookback_scan_determinismE0ELb0ELb0ES3_PKS6_PS6_S6_ZZZN2at6native31launch_logcumsumexp_cuda_kernelERKNSD_10TensorBaseESH_lENKUlvE_clEvENKUlvE4_clEvEUlS6_S6_E_S6_EEDaPvRmT3_T4_T5_mT6_P12ihipStream_tbENKUlT_T0_E_clISt17integral_constantIbLb0EESY_EEDaST_SU_EUlST_E_NS1_11comp_targetILNS1_3genE8ELNS1_11target_archE1030ELNS1_3gpuE2ELNS1_3repE0EEENS1_30default_config_static_selectorELNS0_4arch9wavefront6targetE1EEEvT1_.kd
    .uniform_work_group_size: 1
    .uses_dynamic_stack: false
    .vgpr_count:     0
    .vgpr_spill_count: 0
    .wavefront_size: 64
  - .agpr_count:     0
    .args:
      - .offset:         0
        .size:           40
        .value_kind:     by_value
    .group_segment_fixed_size: 0
    .kernarg_segment_align: 8
    .kernarg_segment_size: 40
    .language:       OpenCL C
    .language_version:
      - 2
      - 0
    .max_flat_workgroup_size: 128
    .name:           _ZN7rocprim17ROCPRIM_400000_NS6detail17trampoline_kernelINS0_14default_configENS1_25transform_config_selectorIN3c108BFloat16ELb1EEEZNS1_14transform_implILb1ES3_S7_PS6_S9_NS0_8identityIS6_EEEE10hipError_tT2_T3_mT4_P12ihipStream_tbEUlT_E_NS1_11comp_targetILNS1_3genE0ELNS1_11target_archE4294967295ELNS1_3gpuE0ELNS1_3repE0EEENS1_30default_config_static_selectorELNS0_4arch9wavefront6targetE1EEEvT1_
    .private_segment_fixed_size: 0
    .sgpr_count:     4
    .sgpr_spill_count: 0
    .symbol:         _ZN7rocprim17ROCPRIM_400000_NS6detail17trampoline_kernelINS0_14default_configENS1_25transform_config_selectorIN3c108BFloat16ELb1EEEZNS1_14transform_implILb1ES3_S7_PS6_S9_NS0_8identityIS6_EEEE10hipError_tT2_T3_mT4_P12ihipStream_tbEUlT_E_NS1_11comp_targetILNS1_3genE0ELNS1_11target_archE4294967295ELNS1_3gpuE0ELNS1_3repE0EEENS1_30default_config_static_selectorELNS0_4arch9wavefront6targetE1EEEvT1_.kd
    .uniform_work_group_size: 1
    .uses_dynamic_stack: false
    .vgpr_count:     0
    .vgpr_spill_count: 0
    .wavefront_size: 64
  - .agpr_count:     0
    .args:
      - .offset:         0
        .size:           40
        .value_kind:     by_value
    .group_segment_fixed_size: 0
    .kernarg_segment_align: 8
    .kernarg_segment_size: 40
    .language:       OpenCL C
    .language_version:
      - 2
      - 0
    .max_flat_workgroup_size: 64
    .name:           _ZN7rocprim17ROCPRIM_400000_NS6detail17trampoline_kernelINS0_14default_configENS1_25transform_config_selectorIN3c108BFloat16ELb1EEEZNS1_14transform_implILb1ES3_S7_PS6_S9_NS0_8identityIS6_EEEE10hipError_tT2_T3_mT4_P12ihipStream_tbEUlT_E_NS1_11comp_targetILNS1_3genE10ELNS1_11target_archE1201ELNS1_3gpuE5ELNS1_3repE0EEENS1_30default_config_static_selectorELNS0_4arch9wavefront6targetE1EEEvT1_
    .private_segment_fixed_size: 0
    .sgpr_count:     4
    .sgpr_spill_count: 0
    .symbol:         _ZN7rocprim17ROCPRIM_400000_NS6detail17trampoline_kernelINS0_14default_configENS1_25transform_config_selectorIN3c108BFloat16ELb1EEEZNS1_14transform_implILb1ES3_S7_PS6_S9_NS0_8identityIS6_EEEE10hipError_tT2_T3_mT4_P12ihipStream_tbEUlT_E_NS1_11comp_targetILNS1_3genE10ELNS1_11target_archE1201ELNS1_3gpuE5ELNS1_3repE0EEENS1_30default_config_static_selectorELNS0_4arch9wavefront6targetE1EEEvT1_.kd
    .uniform_work_group_size: 1
    .uses_dynamic_stack: false
    .vgpr_count:     0
    .vgpr_spill_count: 0
    .wavefront_size: 64
  - .agpr_count:     0
    .args:
      - .offset:         0
        .size:           40
        .value_kind:     by_value
    .group_segment_fixed_size: 0
    .kernarg_segment_align: 8
    .kernarg_segment_size: 40
    .language:       OpenCL C
    .language_version:
      - 2
      - 0
    .max_flat_workgroup_size: 256
    .name:           _ZN7rocprim17ROCPRIM_400000_NS6detail17trampoline_kernelINS0_14default_configENS1_25transform_config_selectorIN3c108BFloat16ELb1EEEZNS1_14transform_implILb1ES3_S7_PS6_S9_NS0_8identityIS6_EEEE10hipError_tT2_T3_mT4_P12ihipStream_tbEUlT_E_NS1_11comp_targetILNS1_3genE5ELNS1_11target_archE942ELNS1_3gpuE9ELNS1_3repE0EEENS1_30default_config_static_selectorELNS0_4arch9wavefront6targetE1EEEvT1_
    .private_segment_fixed_size: 0
    .sgpr_count:     4
    .sgpr_spill_count: 0
    .symbol:         _ZN7rocprim17ROCPRIM_400000_NS6detail17trampoline_kernelINS0_14default_configENS1_25transform_config_selectorIN3c108BFloat16ELb1EEEZNS1_14transform_implILb1ES3_S7_PS6_S9_NS0_8identityIS6_EEEE10hipError_tT2_T3_mT4_P12ihipStream_tbEUlT_E_NS1_11comp_targetILNS1_3genE5ELNS1_11target_archE942ELNS1_3gpuE9ELNS1_3repE0EEENS1_30default_config_static_selectorELNS0_4arch9wavefront6targetE1EEEvT1_.kd
    .uniform_work_group_size: 1
    .uses_dynamic_stack: false
    .vgpr_count:     0
    .vgpr_spill_count: 0
    .wavefront_size: 64
  - .agpr_count:     0
    .args:
      - .offset:         0
        .size:           40
        .value_kind:     by_value
      - .offset:         40
        .size:           4
        .value_kind:     hidden_block_count_x
      - .offset:         44
        .size:           4
        .value_kind:     hidden_block_count_y
      - .offset:         48
        .size:           4
        .value_kind:     hidden_block_count_z
      - .offset:         52
        .size:           2
        .value_kind:     hidden_group_size_x
      - .offset:         54
        .size:           2
        .value_kind:     hidden_group_size_y
      - .offset:         56
        .size:           2
        .value_kind:     hidden_group_size_z
      - .offset:         58
        .size:           2
        .value_kind:     hidden_remainder_x
      - .offset:         60
        .size:           2
        .value_kind:     hidden_remainder_y
      - .offset:         62
        .size:           2
        .value_kind:     hidden_remainder_z
      - .offset:         80
        .size:           8
        .value_kind:     hidden_global_offset_x
      - .offset:         88
        .size:           8
        .value_kind:     hidden_global_offset_y
      - .offset:         96
        .size:           8
        .value_kind:     hidden_global_offset_z
      - .offset:         104
        .size:           2
        .value_kind:     hidden_grid_dims
    .group_segment_fixed_size: 0
    .kernarg_segment_align: 8
    .kernarg_segment_size: 296
    .language:       OpenCL C
    .language_version:
      - 2
      - 0
    .max_flat_workgroup_size: 1024
    .name:           _ZN7rocprim17ROCPRIM_400000_NS6detail17trampoline_kernelINS0_14default_configENS1_25transform_config_selectorIN3c108BFloat16ELb1EEEZNS1_14transform_implILb1ES3_S7_PS6_S9_NS0_8identityIS6_EEEE10hipError_tT2_T3_mT4_P12ihipStream_tbEUlT_E_NS1_11comp_targetILNS1_3genE4ELNS1_11target_archE910ELNS1_3gpuE8ELNS1_3repE0EEENS1_30default_config_static_selectorELNS0_4arch9wavefront6targetE1EEEvT1_
    .private_segment_fixed_size: 0
    .sgpr_count:     26
    .sgpr_spill_count: 0
    .symbol:         _ZN7rocprim17ROCPRIM_400000_NS6detail17trampoline_kernelINS0_14default_configENS1_25transform_config_selectorIN3c108BFloat16ELb1EEEZNS1_14transform_implILb1ES3_S7_PS6_S9_NS0_8identityIS6_EEEE10hipError_tT2_T3_mT4_P12ihipStream_tbEUlT_E_NS1_11comp_targetILNS1_3genE4ELNS1_11target_archE910ELNS1_3gpuE8ELNS1_3repE0EEENS1_30default_config_static_selectorELNS0_4arch9wavefront6targetE1EEEvT1_.kd
    .uniform_work_group_size: 1
    .uses_dynamic_stack: false
    .vgpr_count:     11
    .vgpr_spill_count: 0
    .wavefront_size: 64
  - .agpr_count:     0
    .args:
      - .offset:         0
        .size:           40
        .value_kind:     by_value
    .group_segment_fixed_size: 0
    .kernarg_segment_align: 8
    .kernarg_segment_size: 40
    .language:       OpenCL C
    .language_version:
      - 2
      - 0
    .max_flat_workgroup_size: 128
    .name:           _ZN7rocprim17ROCPRIM_400000_NS6detail17trampoline_kernelINS0_14default_configENS1_25transform_config_selectorIN3c108BFloat16ELb1EEEZNS1_14transform_implILb1ES3_S7_PS6_S9_NS0_8identityIS6_EEEE10hipError_tT2_T3_mT4_P12ihipStream_tbEUlT_E_NS1_11comp_targetILNS1_3genE3ELNS1_11target_archE908ELNS1_3gpuE7ELNS1_3repE0EEENS1_30default_config_static_selectorELNS0_4arch9wavefront6targetE1EEEvT1_
    .private_segment_fixed_size: 0
    .sgpr_count:     4
    .sgpr_spill_count: 0
    .symbol:         _ZN7rocprim17ROCPRIM_400000_NS6detail17trampoline_kernelINS0_14default_configENS1_25transform_config_selectorIN3c108BFloat16ELb1EEEZNS1_14transform_implILb1ES3_S7_PS6_S9_NS0_8identityIS6_EEEE10hipError_tT2_T3_mT4_P12ihipStream_tbEUlT_E_NS1_11comp_targetILNS1_3genE3ELNS1_11target_archE908ELNS1_3gpuE7ELNS1_3repE0EEENS1_30default_config_static_selectorELNS0_4arch9wavefront6targetE1EEEvT1_.kd
    .uniform_work_group_size: 1
    .uses_dynamic_stack: false
    .vgpr_count:     0
    .vgpr_spill_count: 0
    .wavefront_size: 64
  - .agpr_count:     0
    .args:
      - .offset:         0
        .size:           40
        .value_kind:     by_value
    .group_segment_fixed_size: 0
    .kernarg_segment_align: 8
    .kernarg_segment_size: 40
    .language:       OpenCL C
    .language_version:
      - 2
      - 0
    .max_flat_workgroup_size: 1024
    .name:           _ZN7rocprim17ROCPRIM_400000_NS6detail17trampoline_kernelINS0_14default_configENS1_25transform_config_selectorIN3c108BFloat16ELb1EEEZNS1_14transform_implILb1ES3_S7_PS6_S9_NS0_8identityIS6_EEEE10hipError_tT2_T3_mT4_P12ihipStream_tbEUlT_E_NS1_11comp_targetILNS1_3genE2ELNS1_11target_archE906ELNS1_3gpuE6ELNS1_3repE0EEENS1_30default_config_static_selectorELNS0_4arch9wavefront6targetE1EEEvT1_
    .private_segment_fixed_size: 0
    .sgpr_count:     4
    .sgpr_spill_count: 0
    .symbol:         _ZN7rocprim17ROCPRIM_400000_NS6detail17trampoline_kernelINS0_14default_configENS1_25transform_config_selectorIN3c108BFloat16ELb1EEEZNS1_14transform_implILb1ES3_S7_PS6_S9_NS0_8identityIS6_EEEE10hipError_tT2_T3_mT4_P12ihipStream_tbEUlT_E_NS1_11comp_targetILNS1_3genE2ELNS1_11target_archE906ELNS1_3gpuE6ELNS1_3repE0EEENS1_30default_config_static_selectorELNS0_4arch9wavefront6targetE1EEEvT1_.kd
    .uniform_work_group_size: 1
    .uses_dynamic_stack: false
    .vgpr_count:     0
    .vgpr_spill_count: 0
    .wavefront_size: 64
  - .agpr_count:     0
    .args:
      - .offset:         0
        .size:           40
        .value_kind:     by_value
    .group_segment_fixed_size: 0
    .kernarg_segment_align: 8
    .kernarg_segment_size: 40
    .language:       OpenCL C
    .language_version:
      - 2
      - 0
    .max_flat_workgroup_size: 1024
    .name:           _ZN7rocprim17ROCPRIM_400000_NS6detail17trampoline_kernelINS0_14default_configENS1_25transform_config_selectorIN3c108BFloat16ELb1EEEZNS1_14transform_implILb1ES3_S7_PS6_S9_NS0_8identityIS6_EEEE10hipError_tT2_T3_mT4_P12ihipStream_tbEUlT_E_NS1_11comp_targetILNS1_3genE9ELNS1_11target_archE1100ELNS1_3gpuE3ELNS1_3repE0EEENS1_30default_config_static_selectorELNS0_4arch9wavefront6targetE1EEEvT1_
    .private_segment_fixed_size: 0
    .sgpr_count:     4
    .sgpr_spill_count: 0
    .symbol:         _ZN7rocprim17ROCPRIM_400000_NS6detail17trampoline_kernelINS0_14default_configENS1_25transform_config_selectorIN3c108BFloat16ELb1EEEZNS1_14transform_implILb1ES3_S7_PS6_S9_NS0_8identityIS6_EEEE10hipError_tT2_T3_mT4_P12ihipStream_tbEUlT_E_NS1_11comp_targetILNS1_3genE9ELNS1_11target_archE1100ELNS1_3gpuE3ELNS1_3repE0EEENS1_30default_config_static_selectorELNS0_4arch9wavefront6targetE1EEEvT1_.kd
    .uniform_work_group_size: 1
    .uses_dynamic_stack: false
    .vgpr_count:     0
    .vgpr_spill_count: 0
    .wavefront_size: 64
  - .agpr_count:     0
    .args:
      - .offset:         0
        .size:           40
        .value_kind:     by_value
    .group_segment_fixed_size: 0
    .kernarg_segment_align: 8
    .kernarg_segment_size: 40
    .language:       OpenCL C
    .language_version:
      - 2
      - 0
    .max_flat_workgroup_size: 1024
    .name:           _ZN7rocprim17ROCPRIM_400000_NS6detail17trampoline_kernelINS0_14default_configENS1_25transform_config_selectorIN3c108BFloat16ELb1EEEZNS1_14transform_implILb1ES3_S7_PS6_S9_NS0_8identityIS6_EEEE10hipError_tT2_T3_mT4_P12ihipStream_tbEUlT_E_NS1_11comp_targetILNS1_3genE8ELNS1_11target_archE1030ELNS1_3gpuE2ELNS1_3repE0EEENS1_30default_config_static_selectorELNS0_4arch9wavefront6targetE1EEEvT1_
    .private_segment_fixed_size: 0
    .sgpr_count:     4
    .sgpr_spill_count: 0
    .symbol:         _ZN7rocprim17ROCPRIM_400000_NS6detail17trampoline_kernelINS0_14default_configENS1_25transform_config_selectorIN3c108BFloat16ELb1EEEZNS1_14transform_implILb1ES3_S7_PS6_S9_NS0_8identityIS6_EEEE10hipError_tT2_T3_mT4_P12ihipStream_tbEUlT_E_NS1_11comp_targetILNS1_3genE8ELNS1_11target_archE1030ELNS1_3gpuE2ELNS1_3repE0EEENS1_30default_config_static_selectorELNS0_4arch9wavefront6targetE1EEEvT1_.kd
    .uniform_work_group_size: 1
    .uses_dynamic_stack: false
    .vgpr_count:     0
    .vgpr_spill_count: 0
    .wavefront_size: 64
  - .agpr_count:     0
    .args:
      - .offset:         0
        .size:           32
        .value_kind:     by_value
    .group_segment_fixed_size: 0
    .kernarg_segment_align: 8
    .kernarg_segment_size: 32
    .language:       OpenCL C
    .language_version:
      - 2
      - 0
    .max_flat_workgroup_size: 128
    .name:           _ZN7rocprim17ROCPRIM_400000_NS6detail17trampoline_kernelINS0_14default_configENS1_20scan_config_selectorIN3c108BFloat16EEEZZNS1_9scan_implILNS1_25lookback_scan_determinismE0ELb0ELb0ES3_PKS6_PS6_S6_ZZZN2at6native31launch_logcumsumexp_cuda_kernelERKNSD_10TensorBaseESH_lENKUlvE_clEvENKUlvE4_clEvEUlS6_S6_E_S6_EEDaPvRmT3_T4_T5_mT6_P12ihipStream_tbENKUlT_T0_E_clISt17integral_constantIbLb0EESY_EEDaST_SU_EUlST_E0_NS1_11comp_targetILNS1_3genE0ELNS1_11target_archE4294967295ELNS1_3gpuE0ELNS1_3repE0EEENS1_30default_config_static_selectorELNS0_4arch9wavefront6targetE1EEEvT1_
    .private_segment_fixed_size: 0
    .sgpr_count:     4
    .sgpr_spill_count: 0
    .symbol:         _ZN7rocprim17ROCPRIM_400000_NS6detail17trampoline_kernelINS0_14default_configENS1_20scan_config_selectorIN3c108BFloat16EEEZZNS1_9scan_implILNS1_25lookback_scan_determinismE0ELb0ELb0ES3_PKS6_PS6_S6_ZZZN2at6native31launch_logcumsumexp_cuda_kernelERKNSD_10TensorBaseESH_lENKUlvE_clEvENKUlvE4_clEvEUlS6_S6_E_S6_EEDaPvRmT3_T4_T5_mT6_P12ihipStream_tbENKUlT_T0_E_clISt17integral_constantIbLb0EESY_EEDaST_SU_EUlST_E0_NS1_11comp_targetILNS1_3genE0ELNS1_11target_archE4294967295ELNS1_3gpuE0ELNS1_3repE0EEENS1_30default_config_static_selectorELNS0_4arch9wavefront6targetE1EEEvT1_.kd
    .uniform_work_group_size: 1
    .uses_dynamic_stack: false
    .vgpr_count:     0
    .vgpr_spill_count: 0
    .wavefront_size: 64
  - .agpr_count:     0
    .args:
      - .offset:         0
        .size:           32
        .value_kind:     by_value
    .group_segment_fixed_size: 0
    .kernarg_segment_align: 8
    .kernarg_segment_size: 32
    .language:       OpenCL C
    .language_version:
      - 2
      - 0
    .max_flat_workgroup_size: 256
    .name:           _ZN7rocprim17ROCPRIM_400000_NS6detail17trampoline_kernelINS0_14default_configENS1_20scan_config_selectorIN3c108BFloat16EEEZZNS1_9scan_implILNS1_25lookback_scan_determinismE0ELb0ELb0ES3_PKS6_PS6_S6_ZZZN2at6native31launch_logcumsumexp_cuda_kernelERKNSD_10TensorBaseESH_lENKUlvE_clEvENKUlvE4_clEvEUlS6_S6_E_S6_EEDaPvRmT3_T4_T5_mT6_P12ihipStream_tbENKUlT_T0_E_clISt17integral_constantIbLb0EESY_EEDaST_SU_EUlST_E0_NS1_11comp_targetILNS1_3genE5ELNS1_11target_archE942ELNS1_3gpuE9ELNS1_3repE0EEENS1_30default_config_static_selectorELNS0_4arch9wavefront6targetE1EEEvT1_
    .private_segment_fixed_size: 0
    .sgpr_count:     4
    .sgpr_spill_count: 0
    .symbol:         _ZN7rocprim17ROCPRIM_400000_NS6detail17trampoline_kernelINS0_14default_configENS1_20scan_config_selectorIN3c108BFloat16EEEZZNS1_9scan_implILNS1_25lookback_scan_determinismE0ELb0ELb0ES3_PKS6_PS6_S6_ZZZN2at6native31launch_logcumsumexp_cuda_kernelERKNSD_10TensorBaseESH_lENKUlvE_clEvENKUlvE4_clEvEUlS6_S6_E_S6_EEDaPvRmT3_T4_T5_mT6_P12ihipStream_tbENKUlT_T0_E_clISt17integral_constantIbLb0EESY_EEDaST_SU_EUlST_E0_NS1_11comp_targetILNS1_3genE5ELNS1_11target_archE942ELNS1_3gpuE9ELNS1_3repE0EEENS1_30default_config_static_selectorELNS0_4arch9wavefront6targetE1EEEvT1_.kd
    .uniform_work_group_size: 1
    .uses_dynamic_stack: false
    .vgpr_count:     0
    .vgpr_spill_count: 0
    .wavefront_size: 64
  - .agpr_count:     0
    .args:
      - .offset:         0
        .size:           32
        .value_kind:     by_value
    .group_segment_fixed_size: 3072
    .kernarg_segment_align: 8
    .kernarg_segment_size: 32
    .language:       OpenCL C
    .language_version:
      - 2
      - 0
    .max_flat_workgroup_size: 64
    .name:           _ZN7rocprim17ROCPRIM_400000_NS6detail17trampoline_kernelINS0_14default_configENS1_20scan_config_selectorIN3c108BFloat16EEEZZNS1_9scan_implILNS1_25lookback_scan_determinismE0ELb0ELb0ES3_PKS6_PS6_S6_ZZZN2at6native31launch_logcumsumexp_cuda_kernelERKNSD_10TensorBaseESH_lENKUlvE_clEvENKUlvE4_clEvEUlS6_S6_E_S6_EEDaPvRmT3_T4_T5_mT6_P12ihipStream_tbENKUlT_T0_E_clISt17integral_constantIbLb0EESY_EEDaST_SU_EUlST_E0_NS1_11comp_targetILNS1_3genE4ELNS1_11target_archE910ELNS1_3gpuE8ELNS1_3repE0EEENS1_30default_config_static_selectorELNS0_4arch9wavefront6targetE1EEEvT1_
    .private_segment_fixed_size: 0
    .sgpr_count:     100
    .sgpr_spill_count: 10
    .symbol:         _ZN7rocprim17ROCPRIM_400000_NS6detail17trampoline_kernelINS0_14default_configENS1_20scan_config_selectorIN3c108BFloat16EEEZZNS1_9scan_implILNS1_25lookback_scan_determinismE0ELb0ELb0ES3_PKS6_PS6_S6_ZZZN2at6native31launch_logcumsumexp_cuda_kernelERKNSD_10TensorBaseESH_lENKUlvE_clEvENKUlvE4_clEvEUlS6_S6_E_S6_EEDaPvRmT3_T4_T5_mT6_P12ihipStream_tbENKUlT_T0_E_clISt17integral_constantIbLb0EESY_EEDaST_SU_EUlST_E0_NS1_11comp_targetILNS1_3genE4ELNS1_11target_archE910ELNS1_3gpuE8ELNS1_3repE0EEENS1_30default_config_static_selectorELNS0_4arch9wavefront6targetE1EEEvT1_.kd
    .uniform_work_group_size: 1
    .uses_dynamic_stack: false
    .vgpr_count:     76
    .vgpr_spill_count: 0
    .wavefront_size: 64
  - .agpr_count:     0
    .args:
      - .offset:         0
        .size:           32
        .value_kind:     by_value
    .group_segment_fixed_size: 0
    .kernarg_segment_align: 8
    .kernarg_segment_size: 32
    .language:       OpenCL C
    .language_version:
      - 2
      - 0
    .max_flat_workgroup_size: 128
    .name:           _ZN7rocprim17ROCPRIM_400000_NS6detail17trampoline_kernelINS0_14default_configENS1_20scan_config_selectorIN3c108BFloat16EEEZZNS1_9scan_implILNS1_25lookback_scan_determinismE0ELb0ELb0ES3_PKS6_PS6_S6_ZZZN2at6native31launch_logcumsumexp_cuda_kernelERKNSD_10TensorBaseESH_lENKUlvE_clEvENKUlvE4_clEvEUlS6_S6_E_S6_EEDaPvRmT3_T4_T5_mT6_P12ihipStream_tbENKUlT_T0_E_clISt17integral_constantIbLb0EESY_EEDaST_SU_EUlST_E0_NS1_11comp_targetILNS1_3genE3ELNS1_11target_archE908ELNS1_3gpuE7ELNS1_3repE0EEENS1_30default_config_static_selectorELNS0_4arch9wavefront6targetE1EEEvT1_
    .private_segment_fixed_size: 0
    .sgpr_count:     4
    .sgpr_spill_count: 0
    .symbol:         _ZN7rocprim17ROCPRIM_400000_NS6detail17trampoline_kernelINS0_14default_configENS1_20scan_config_selectorIN3c108BFloat16EEEZZNS1_9scan_implILNS1_25lookback_scan_determinismE0ELb0ELb0ES3_PKS6_PS6_S6_ZZZN2at6native31launch_logcumsumexp_cuda_kernelERKNSD_10TensorBaseESH_lENKUlvE_clEvENKUlvE4_clEvEUlS6_S6_E_S6_EEDaPvRmT3_T4_T5_mT6_P12ihipStream_tbENKUlT_T0_E_clISt17integral_constantIbLb0EESY_EEDaST_SU_EUlST_E0_NS1_11comp_targetILNS1_3genE3ELNS1_11target_archE908ELNS1_3gpuE7ELNS1_3repE0EEENS1_30default_config_static_selectorELNS0_4arch9wavefront6targetE1EEEvT1_.kd
    .uniform_work_group_size: 1
    .uses_dynamic_stack: false
    .vgpr_count:     0
    .vgpr_spill_count: 0
    .wavefront_size: 64
  - .agpr_count:     0
    .args:
      - .offset:         0
        .size:           32
        .value_kind:     by_value
    .group_segment_fixed_size: 0
    .kernarg_segment_align: 8
    .kernarg_segment_size: 32
    .language:       OpenCL C
    .language_version:
      - 2
      - 0
    .max_flat_workgroup_size: 256
    .name:           _ZN7rocprim17ROCPRIM_400000_NS6detail17trampoline_kernelINS0_14default_configENS1_20scan_config_selectorIN3c108BFloat16EEEZZNS1_9scan_implILNS1_25lookback_scan_determinismE0ELb0ELb0ES3_PKS6_PS6_S6_ZZZN2at6native31launch_logcumsumexp_cuda_kernelERKNSD_10TensorBaseESH_lENKUlvE_clEvENKUlvE4_clEvEUlS6_S6_E_S6_EEDaPvRmT3_T4_T5_mT6_P12ihipStream_tbENKUlT_T0_E_clISt17integral_constantIbLb0EESY_EEDaST_SU_EUlST_E0_NS1_11comp_targetILNS1_3genE2ELNS1_11target_archE906ELNS1_3gpuE6ELNS1_3repE0EEENS1_30default_config_static_selectorELNS0_4arch9wavefront6targetE1EEEvT1_
    .private_segment_fixed_size: 0
    .sgpr_count:     4
    .sgpr_spill_count: 0
    .symbol:         _ZN7rocprim17ROCPRIM_400000_NS6detail17trampoline_kernelINS0_14default_configENS1_20scan_config_selectorIN3c108BFloat16EEEZZNS1_9scan_implILNS1_25lookback_scan_determinismE0ELb0ELb0ES3_PKS6_PS6_S6_ZZZN2at6native31launch_logcumsumexp_cuda_kernelERKNSD_10TensorBaseESH_lENKUlvE_clEvENKUlvE4_clEvEUlS6_S6_E_S6_EEDaPvRmT3_T4_T5_mT6_P12ihipStream_tbENKUlT_T0_E_clISt17integral_constantIbLb0EESY_EEDaST_SU_EUlST_E0_NS1_11comp_targetILNS1_3genE2ELNS1_11target_archE906ELNS1_3gpuE6ELNS1_3repE0EEENS1_30default_config_static_selectorELNS0_4arch9wavefront6targetE1EEEvT1_.kd
    .uniform_work_group_size: 1
    .uses_dynamic_stack: false
    .vgpr_count:     0
    .vgpr_spill_count: 0
    .wavefront_size: 64
  - .agpr_count:     0
    .args:
      - .offset:         0
        .size:           32
        .value_kind:     by_value
    .group_segment_fixed_size: 0
    .kernarg_segment_align: 8
    .kernarg_segment_size: 32
    .language:       OpenCL C
    .language_version:
      - 2
      - 0
    .max_flat_workgroup_size: 256
    .name:           _ZN7rocprim17ROCPRIM_400000_NS6detail17trampoline_kernelINS0_14default_configENS1_20scan_config_selectorIN3c108BFloat16EEEZZNS1_9scan_implILNS1_25lookback_scan_determinismE0ELb0ELb0ES3_PKS6_PS6_S6_ZZZN2at6native31launch_logcumsumexp_cuda_kernelERKNSD_10TensorBaseESH_lENKUlvE_clEvENKUlvE4_clEvEUlS6_S6_E_S6_EEDaPvRmT3_T4_T5_mT6_P12ihipStream_tbENKUlT_T0_E_clISt17integral_constantIbLb0EESY_EEDaST_SU_EUlST_E0_NS1_11comp_targetILNS1_3genE10ELNS1_11target_archE1201ELNS1_3gpuE5ELNS1_3repE0EEENS1_30default_config_static_selectorELNS0_4arch9wavefront6targetE1EEEvT1_
    .private_segment_fixed_size: 0
    .sgpr_count:     4
    .sgpr_spill_count: 0
    .symbol:         _ZN7rocprim17ROCPRIM_400000_NS6detail17trampoline_kernelINS0_14default_configENS1_20scan_config_selectorIN3c108BFloat16EEEZZNS1_9scan_implILNS1_25lookback_scan_determinismE0ELb0ELb0ES3_PKS6_PS6_S6_ZZZN2at6native31launch_logcumsumexp_cuda_kernelERKNSD_10TensorBaseESH_lENKUlvE_clEvENKUlvE4_clEvEUlS6_S6_E_S6_EEDaPvRmT3_T4_T5_mT6_P12ihipStream_tbENKUlT_T0_E_clISt17integral_constantIbLb0EESY_EEDaST_SU_EUlST_E0_NS1_11comp_targetILNS1_3genE10ELNS1_11target_archE1201ELNS1_3gpuE5ELNS1_3repE0EEENS1_30default_config_static_selectorELNS0_4arch9wavefront6targetE1EEEvT1_.kd
    .uniform_work_group_size: 1
    .uses_dynamic_stack: false
    .vgpr_count:     0
    .vgpr_spill_count: 0
    .wavefront_size: 64
  - .agpr_count:     0
    .args:
      - .offset:         0
        .size:           32
        .value_kind:     by_value
    .group_segment_fixed_size: 0
    .kernarg_segment_align: 8
    .kernarg_segment_size: 32
    .language:       OpenCL C
    .language_version:
      - 2
      - 0
    .max_flat_workgroup_size: 256
    .name:           _ZN7rocprim17ROCPRIM_400000_NS6detail17trampoline_kernelINS0_14default_configENS1_20scan_config_selectorIN3c108BFloat16EEEZZNS1_9scan_implILNS1_25lookback_scan_determinismE0ELb0ELb0ES3_PKS6_PS6_S6_ZZZN2at6native31launch_logcumsumexp_cuda_kernelERKNSD_10TensorBaseESH_lENKUlvE_clEvENKUlvE4_clEvEUlS6_S6_E_S6_EEDaPvRmT3_T4_T5_mT6_P12ihipStream_tbENKUlT_T0_E_clISt17integral_constantIbLb0EESY_EEDaST_SU_EUlST_E0_NS1_11comp_targetILNS1_3genE10ELNS1_11target_archE1200ELNS1_3gpuE4ELNS1_3repE0EEENS1_30default_config_static_selectorELNS0_4arch9wavefront6targetE1EEEvT1_
    .private_segment_fixed_size: 0
    .sgpr_count:     4
    .sgpr_spill_count: 0
    .symbol:         _ZN7rocprim17ROCPRIM_400000_NS6detail17trampoline_kernelINS0_14default_configENS1_20scan_config_selectorIN3c108BFloat16EEEZZNS1_9scan_implILNS1_25lookback_scan_determinismE0ELb0ELb0ES3_PKS6_PS6_S6_ZZZN2at6native31launch_logcumsumexp_cuda_kernelERKNSD_10TensorBaseESH_lENKUlvE_clEvENKUlvE4_clEvEUlS6_S6_E_S6_EEDaPvRmT3_T4_T5_mT6_P12ihipStream_tbENKUlT_T0_E_clISt17integral_constantIbLb0EESY_EEDaST_SU_EUlST_E0_NS1_11comp_targetILNS1_3genE10ELNS1_11target_archE1200ELNS1_3gpuE4ELNS1_3repE0EEENS1_30default_config_static_selectorELNS0_4arch9wavefront6targetE1EEEvT1_.kd
    .uniform_work_group_size: 1
    .uses_dynamic_stack: false
    .vgpr_count:     0
    .vgpr_spill_count: 0
    .wavefront_size: 64
  - .agpr_count:     0
    .args:
      - .offset:         0
        .size:           32
        .value_kind:     by_value
    .group_segment_fixed_size: 0
    .kernarg_segment_align: 8
    .kernarg_segment_size: 32
    .language:       OpenCL C
    .language_version:
      - 2
      - 0
    .max_flat_workgroup_size: 64
    .name:           _ZN7rocprim17ROCPRIM_400000_NS6detail17trampoline_kernelINS0_14default_configENS1_20scan_config_selectorIN3c108BFloat16EEEZZNS1_9scan_implILNS1_25lookback_scan_determinismE0ELb0ELb0ES3_PKS6_PS6_S6_ZZZN2at6native31launch_logcumsumexp_cuda_kernelERKNSD_10TensorBaseESH_lENKUlvE_clEvENKUlvE4_clEvEUlS6_S6_E_S6_EEDaPvRmT3_T4_T5_mT6_P12ihipStream_tbENKUlT_T0_E_clISt17integral_constantIbLb0EESY_EEDaST_SU_EUlST_E0_NS1_11comp_targetILNS1_3genE9ELNS1_11target_archE1100ELNS1_3gpuE3ELNS1_3repE0EEENS1_30default_config_static_selectorELNS0_4arch9wavefront6targetE1EEEvT1_
    .private_segment_fixed_size: 0
    .sgpr_count:     4
    .sgpr_spill_count: 0
    .symbol:         _ZN7rocprim17ROCPRIM_400000_NS6detail17trampoline_kernelINS0_14default_configENS1_20scan_config_selectorIN3c108BFloat16EEEZZNS1_9scan_implILNS1_25lookback_scan_determinismE0ELb0ELb0ES3_PKS6_PS6_S6_ZZZN2at6native31launch_logcumsumexp_cuda_kernelERKNSD_10TensorBaseESH_lENKUlvE_clEvENKUlvE4_clEvEUlS6_S6_E_S6_EEDaPvRmT3_T4_T5_mT6_P12ihipStream_tbENKUlT_T0_E_clISt17integral_constantIbLb0EESY_EEDaST_SU_EUlST_E0_NS1_11comp_targetILNS1_3genE9ELNS1_11target_archE1100ELNS1_3gpuE3ELNS1_3repE0EEENS1_30default_config_static_selectorELNS0_4arch9wavefront6targetE1EEEvT1_.kd
    .uniform_work_group_size: 1
    .uses_dynamic_stack: false
    .vgpr_count:     0
    .vgpr_spill_count: 0
    .wavefront_size: 64
  - .agpr_count:     0
    .args:
      - .offset:         0
        .size:           32
        .value_kind:     by_value
    .group_segment_fixed_size: 0
    .kernarg_segment_align: 8
    .kernarg_segment_size: 32
    .language:       OpenCL C
    .language_version:
      - 2
      - 0
    .max_flat_workgroup_size: 64
    .name:           _ZN7rocprim17ROCPRIM_400000_NS6detail17trampoline_kernelINS0_14default_configENS1_20scan_config_selectorIN3c108BFloat16EEEZZNS1_9scan_implILNS1_25lookback_scan_determinismE0ELb0ELb0ES3_PKS6_PS6_S6_ZZZN2at6native31launch_logcumsumexp_cuda_kernelERKNSD_10TensorBaseESH_lENKUlvE_clEvENKUlvE4_clEvEUlS6_S6_E_S6_EEDaPvRmT3_T4_T5_mT6_P12ihipStream_tbENKUlT_T0_E_clISt17integral_constantIbLb0EESY_EEDaST_SU_EUlST_E0_NS1_11comp_targetILNS1_3genE8ELNS1_11target_archE1030ELNS1_3gpuE2ELNS1_3repE0EEENS1_30default_config_static_selectorELNS0_4arch9wavefront6targetE1EEEvT1_
    .private_segment_fixed_size: 0
    .sgpr_count:     4
    .sgpr_spill_count: 0
    .symbol:         _ZN7rocprim17ROCPRIM_400000_NS6detail17trampoline_kernelINS0_14default_configENS1_20scan_config_selectorIN3c108BFloat16EEEZZNS1_9scan_implILNS1_25lookback_scan_determinismE0ELb0ELb0ES3_PKS6_PS6_S6_ZZZN2at6native31launch_logcumsumexp_cuda_kernelERKNSD_10TensorBaseESH_lENKUlvE_clEvENKUlvE4_clEvEUlS6_S6_E_S6_EEDaPvRmT3_T4_T5_mT6_P12ihipStream_tbENKUlT_T0_E_clISt17integral_constantIbLb0EESY_EEDaST_SU_EUlST_E0_NS1_11comp_targetILNS1_3genE8ELNS1_11target_archE1030ELNS1_3gpuE2ELNS1_3repE0EEENS1_30default_config_static_selectorELNS0_4arch9wavefront6targetE1EEEvT1_.kd
    .uniform_work_group_size: 1
    .uses_dynamic_stack: false
    .vgpr_count:     0
    .vgpr_spill_count: 0
    .wavefront_size: 64
  - .agpr_count:     0
    .args:
      - .address_space:  global
        .offset:         0
        .size:           8
        .value_kind:     global_buffer
      - .offset:         8
        .size:           4
        .value_kind:     by_value
      - .address_space:  global
        .offset:         16
        .size:           8
        .value_kind:     global_buffer
      - .offset:         24
        .size:           4
        .value_kind:     by_value
      - .address_space:  global
        .offset:         32
        .size:           8
        .value_kind:     global_buffer
      - .offset:         40
        .size:           4
        .value_kind:     hidden_block_count_x
      - .offset:         44
        .size:           4
        .value_kind:     hidden_block_count_y
      - .offset:         48
        .size:           4
        .value_kind:     hidden_block_count_z
      - .offset:         52
        .size:           2
        .value_kind:     hidden_group_size_x
      - .offset:         54
        .size:           2
        .value_kind:     hidden_group_size_y
      - .offset:         56
        .size:           2
        .value_kind:     hidden_group_size_z
      - .offset:         58
        .size:           2
        .value_kind:     hidden_remainder_x
      - .offset:         60
        .size:           2
        .value_kind:     hidden_remainder_y
      - .offset:         62
        .size:           2
        .value_kind:     hidden_remainder_z
      - .offset:         80
        .size:           8
        .value_kind:     hidden_global_offset_x
      - .offset:         88
        .size:           8
        .value_kind:     hidden_global_offset_y
      - .offset:         96
        .size:           8
        .value_kind:     hidden_global_offset_z
      - .offset:         104
        .size:           2
        .value_kind:     hidden_grid_dims
    .group_segment_fixed_size: 0
    .kernarg_segment_align: 8
    .kernarg_segment_size: 296
    .language:       OpenCL C
    .language_version:
      - 2
      - 0
    .max_flat_workgroup_size: 256
    .name:           _ZN7rocprim17ROCPRIM_400000_NS6detail31init_lookback_scan_state_kernelINS1_19lookback_scan_stateIN3c108BFloat16ELb1ELb1EEENS1_16block_id_wrapperIjLb1EEEEEvT_jT0_jPNS9_10value_typeE
    .private_segment_fixed_size: 0
    .sgpr_count:     18
    .sgpr_spill_count: 0
    .symbol:         _ZN7rocprim17ROCPRIM_400000_NS6detail31init_lookback_scan_state_kernelINS1_19lookback_scan_stateIN3c108BFloat16ELb1ELb1EEENS1_16block_id_wrapperIjLb1EEEEEvT_jT0_jPNS9_10value_typeE.kd
    .uniform_work_group_size: 1
    .uses_dynamic_stack: false
    .vgpr_count:     6
    .vgpr_spill_count: 0
    .wavefront_size: 64
  - .agpr_count:     0
    .args:
      - .offset:         0
        .size:           96
        .value_kind:     by_value
    .group_segment_fixed_size: 0
    .kernarg_segment_align: 8
    .kernarg_segment_size: 96
    .language:       OpenCL C
    .language_version:
      - 2
      - 0
    .max_flat_workgroup_size: 128
    .name:           _ZN7rocprim17ROCPRIM_400000_NS6detail17trampoline_kernelINS0_14default_configENS1_20scan_config_selectorIN3c108BFloat16EEEZZNS1_9scan_implILNS1_25lookback_scan_determinismE0ELb0ELb0ES3_PKS6_PS6_S6_ZZZN2at6native31launch_logcumsumexp_cuda_kernelERKNSD_10TensorBaseESH_lENKUlvE_clEvENKUlvE4_clEvEUlS6_S6_E_S6_EEDaPvRmT3_T4_T5_mT6_P12ihipStream_tbENKUlT_T0_E_clISt17integral_constantIbLb1EESY_EEDaST_SU_EUlST_E_NS1_11comp_targetILNS1_3genE0ELNS1_11target_archE4294967295ELNS1_3gpuE0ELNS1_3repE0EEENS1_30default_config_static_selectorELNS0_4arch9wavefront6targetE1EEEvT1_
    .private_segment_fixed_size: 0
    .sgpr_count:     4
    .sgpr_spill_count: 0
    .symbol:         _ZN7rocprim17ROCPRIM_400000_NS6detail17trampoline_kernelINS0_14default_configENS1_20scan_config_selectorIN3c108BFloat16EEEZZNS1_9scan_implILNS1_25lookback_scan_determinismE0ELb0ELb0ES3_PKS6_PS6_S6_ZZZN2at6native31launch_logcumsumexp_cuda_kernelERKNSD_10TensorBaseESH_lENKUlvE_clEvENKUlvE4_clEvEUlS6_S6_E_S6_EEDaPvRmT3_T4_T5_mT6_P12ihipStream_tbENKUlT_T0_E_clISt17integral_constantIbLb1EESY_EEDaST_SU_EUlST_E_NS1_11comp_targetILNS1_3genE0ELNS1_11target_archE4294967295ELNS1_3gpuE0ELNS1_3repE0EEENS1_30default_config_static_selectorELNS0_4arch9wavefront6targetE1EEEvT1_.kd
    .uniform_work_group_size: 1
    .uses_dynamic_stack: false
    .vgpr_count:     0
    .vgpr_spill_count: 0
    .wavefront_size: 64
  - .agpr_count:     0
    .args:
      - .offset:         0
        .size:           96
        .value_kind:     by_value
    .group_segment_fixed_size: 0
    .kernarg_segment_align: 8
    .kernarg_segment_size: 96
    .language:       OpenCL C
    .language_version:
      - 2
      - 0
    .max_flat_workgroup_size: 256
    .name:           _ZN7rocprim17ROCPRIM_400000_NS6detail17trampoline_kernelINS0_14default_configENS1_20scan_config_selectorIN3c108BFloat16EEEZZNS1_9scan_implILNS1_25lookback_scan_determinismE0ELb0ELb0ES3_PKS6_PS6_S6_ZZZN2at6native31launch_logcumsumexp_cuda_kernelERKNSD_10TensorBaseESH_lENKUlvE_clEvENKUlvE4_clEvEUlS6_S6_E_S6_EEDaPvRmT3_T4_T5_mT6_P12ihipStream_tbENKUlT_T0_E_clISt17integral_constantIbLb1EESY_EEDaST_SU_EUlST_E_NS1_11comp_targetILNS1_3genE5ELNS1_11target_archE942ELNS1_3gpuE9ELNS1_3repE0EEENS1_30default_config_static_selectorELNS0_4arch9wavefront6targetE1EEEvT1_
    .private_segment_fixed_size: 0
    .sgpr_count:     4
    .sgpr_spill_count: 0
    .symbol:         _ZN7rocprim17ROCPRIM_400000_NS6detail17trampoline_kernelINS0_14default_configENS1_20scan_config_selectorIN3c108BFloat16EEEZZNS1_9scan_implILNS1_25lookback_scan_determinismE0ELb0ELb0ES3_PKS6_PS6_S6_ZZZN2at6native31launch_logcumsumexp_cuda_kernelERKNSD_10TensorBaseESH_lENKUlvE_clEvENKUlvE4_clEvEUlS6_S6_E_S6_EEDaPvRmT3_T4_T5_mT6_P12ihipStream_tbENKUlT_T0_E_clISt17integral_constantIbLb1EESY_EEDaST_SU_EUlST_E_NS1_11comp_targetILNS1_3genE5ELNS1_11target_archE942ELNS1_3gpuE9ELNS1_3repE0EEENS1_30default_config_static_selectorELNS0_4arch9wavefront6targetE1EEEvT1_.kd
    .uniform_work_group_size: 1
    .uses_dynamic_stack: false
    .vgpr_count:     0
    .vgpr_spill_count: 0
    .wavefront_size: 64
  - .agpr_count:     0
    .args:
      - .offset:         0
        .size:           96
        .value_kind:     by_value
      - .offset:         96
        .size:           4
        .value_kind:     hidden_block_count_x
      - .offset:         100
        .size:           4
        .value_kind:     hidden_block_count_y
      - .offset:         104
        .size:           4
        .value_kind:     hidden_block_count_z
      - .offset:         108
        .size:           2
        .value_kind:     hidden_group_size_x
      - .offset:         110
        .size:           2
        .value_kind:     hidden_group_size_y
      - .offset:         112
        .size:           2
        .value_kind:     hidden_group_size_z
      - .offset:         114
        .size:           2
        .value_kind:     hidden_remainder_x
      - .offset:         116
        .size:           2
        .value_kind:     hidden_remainder_y
      - .offset:         118
        .size:           2
        .value_kind:     hidden_remainder_z
      - .offset:         136
        .size:           8
        .value_kind:     hidden_global_offset_x
      - .offset:         144
        .size:           8
        .value_kind:     hidden_global_offset_y
      - .offset:         152
        .size:           8
        .value_kind:     hidden_global_offset_z
      - .offset:         160
        .size:           2
        .value_kind:     hidden_grid_dims
    .group_segment_fixed_size: 3072
    .kernarg_segment_align: 8
    .kernarg_segment_size: 352
    .language:       OpenCL C
    .language_version:
      - 2
      - 0
    .max_flat_workgroup_size: 64
    .name:           _ZN7rocprim17ROCPRIM_400000_NS6detail17trampoline_kernelINS0_14default_configENS1_20scan_config_selectorIN3c108BFloat16EEEZZNS1_9scan_implILNS1_25lookback_scan_determinismE0ELb0ELb0ES3_PKS6_PS6_S6_ZZZN2at6native31launch_logcumsumexp_cuda_kernelERKNSD_10TensorBaseESH_lENKUlvE_clEvENKUlvE4_clEvEUlS6_S6_E_S6_EEDaPvRmT3_T4_T5_mT6_P12ihipStream_tbENKUlT_T0_E_clISt17integral_constantIbLb1EESY_EEDaST_SU_EUlST_E_NS1_11comp_targetILNS1_3genE4ELNS1_11target_archE910ELNS1_3gpuE8ELNS1_3repE0EEENS1_30default_config_static_selectorELNS0_4arch9wavefront6targetE1EEEvT1_
    .private_segment_fixed_size: 120
    .sgpr_count:     86
    .sgpr_spill_count: 0
    .symbol:         _ZN7rocprim17ROCPRIM_400000_NS6detail17trampoline_kernelINS0_14default_configENS1_20scan_config_selectorIN3c108BFloat16EEEZZNS1_9scan_implILNS1_25lookback_scan_determinismE0ELb0ELb0ES3_PKS6_PS6_S6_ZZZN2at6native31launch_logcumsumexp_cuda_kernelERKNSD_10TensorBaseESH_lENKUlvE_clEvENKUlvE4_clEvEUlS6_S6_E_S6_EEDaPvRmT3_T4_T5_mT6_P12ihipStream_tbENKUlT_T0_E_clISt17integral_constantIbLb1EESY_EEDaST_SU_EUlST_E_NS1_11comp_targetILNS1_3genE4ELNS1_11target_archE910ELNS1_3gpuE8ELNS1_3repE0EEENS1_30default_config_static_selectorELNS0_4arch9wavefront6targetE1EEEvT1_.kd
    .uniform_work_group_size: 1
    .uses_dynamic_stack: false
    .vgpr_count:     215
    .vgpr_spill_count: 0
    .wavefront_size: 64
  - .agpr_count:     0
    .args:
      - .offset:         0
        .size:           96
        .value_kind:     by_value
    .group_segment_fixed_size: 0
    .kernarg_segment_align: 8
    .kernarg_segment_size: 96
    .language:       OpenCL C
    .language_version:
      - 2
      - 0
    .max_flat_workgroup_size: 128
    .name:           _ZN7rocprim17ROCPRIM_400000_NS6detail17trampoline_kernelINS0_14default_configENS1_20scan_config_selectorIN3c108BFloat16EEEZZNS1_9scan_implILNS1_25lookback_scan_determinismE0ELb0ELb0ES3_PKS6_PS6_S6_ZZZN2at6native31launch_logcumsumexp_cuda_kernelERKNSD_10TensorBaseESH_lENKUlvE_clEvENKUlvE4_clEvEUlS6_S6_E_S6_EEDaPvRmT3_T4_T5_mT6_P12ihipStream_tbENKUlT_T0_E_clISt17integral_constantIbLb1EESY_EEDaST_SU_EUlST_E_NS1_11comp_targetILNS1_3genE3ELNS1_11target_archE908ELNS1_3gpuE7ELNS1_3repE0EEENS1_30default_config_static_selectorELNS0_4arch9wavefront6targetE1EEEvT1_
    .private_segment_fixed_size: 0
    .sgpr_count:     4
    .sgpr_spill_count: 0
    .symbol:         _ZN7rocprim17ROCPRIM_400000_NS6detail17trampoline_kernelINS0_14default_configENS1_20scan_config_selectorIN3c108BFloat16EEEZZNS1_9scan_implILNS1_25lookback_scan_determinismE0ELb0ELb0ES3_PKS6_PS6_S6_ZZZN2at6native31launch_logcumsumexp_cuda_kernelERKNSD_10TensorBaseESH_lENKUlvE_clEvENKUlvE4_clEvEUlS6_S6_E_S6_EEDaPvRmT3_T4_T5_mT6_P12ihipStream_tbENKUlT_T0_E_clISt17integral_constantIbLb1EESY_EEDaST_SU_EUlST_E_NS1_11comp_targetILNS1_3genE3ELNS1_11target_archE908ELNS1_3gpuE7ELNS1_3repE0EEENS1_30default_config_static_selectorELNS0_4arch9wavefront6targetE1EEEvT1_.kd
    .uniform_work_group_size: 1
    .uses_dynamic_stack: false
    .vgpr_count:     0
    .vgpr_spill_count: 0
    .wavefront_size: 64
  - .agpr_count:     0
    .args:
      - .offset:         0
        .size:           96
        .value_kind:     by_value
    .group_segment_fixed_size: 0
    .kernarg_segment_align: 8
    .kernarg_segment_size: 96
    .language:       OpenCL C
    .language_version:
      - 2
      - 0
    .max_flat_workgroup_size: 256
    .name:           _ZN7rocprim17ROCPRIM_400000_NS6detail17trampoline_kernelINS0_14default_configENS1_20scan_config_selectorIN3c108BFloat16EEEZZNS1_9scan_implILNS1_25lookback_scan_determinismE0ELb0ELb0ES3_PKS6_PS6_S6_ZZZN2at6native31launch_logcumsumexp_cuda_kernelERKNSD_10TensorBaseESH_lENKUlvE_clEvENKUlvE4_clEvEUlS6_S6_E_S6_EEDaPvRmT3_T4_T5_mT6_P12ihipStream_tbENKUlT_T0_E_clISt17integral_constantIbLb1EESY_EEDaST_SU_EUlST_E_NS1_11comp_targetILNS1_3genE2ELNS1_11target_archE906ELNS1_3gpuE6ELNS1_3repE0EEENS1_30default_config_static_selectorELNS0_4arch9wavefront6targetE1EEEvT1_
    .private_segment_fixed_size: 0
    .sgpr_count:     4
    .sgpr_spill_count: 0
    .symbol:         _ZN7rocprim17ROCPRIM_400000_NS6detail17trampoline_kernelINS0_14default_configENS1_20scan_config_selectorIN3c108BFloat16EEEZZNS1_9scan_implILNS1_25lookback_scan_determinismE0ELb0ELb0ES3_PKS6_PS6_S6_ZZZN2at6native31launch_logcumsumexp_cuda_kernelERKNSD_10TensorBaseESH_lENKUlvE_clEvENKUlvE4_clEvEUlS6_S6_E_S6_EEDaPvRmT3_T4_T5_mT6_P12ihipStream_tbENKUlT_T0_E_clISt17integral_constantIbLb1EESY_EEDaST_SU_EUlST_E_NS1_11comp_targetILNS1_3genE2ELNS1_11target_archE906ELNS1_3gpuE6ELNS1_3repE0EEENS1_30default_config_static_selectorELNS0_4arch9wavefront6targetE1EEEvT1_.kd
    .uniform_work_group_size: 1
    .uses_dynamic_stack: false
    .vgpr_count:     0
    .vgpr_spill_count: 0
    .wavefront_size: 64
  - .agpr_count:     0
    .args:
      - .offset:         0
        .size:           96
        .value_kind:     by_value
    .group_segment_fixed_size: 0
    .kernarg_segment_align: 8
    .kernarg_segment_size: 96
    .language:       OpenCL C
    .language_version:
      - 2
      - 0
    .max_flat_workgroup_size: 256
    .name:           _ZN7rocprim17ROCPRIM_400000_NS6detail17trampoline_kernelINS0_14default_configENS1_20scan_config_selectorIN3c108BFloat16EEEZZNS1_9scan_implILNS1_25lookback_scan_determinismE0ELb0ELb0ES3_PKS6_PS6_S6_ZZZN2at6native31launch_logcumsumexp_cuda_kernelERKNSD_10TensorBaseESH_lENKUlvE_clEvENKUlvE4_clEvEUlS6_S6_E_S6_EEDaPvRmT3_T4_T5_mT6_P12ihipStream_tbENKUlT_T0_E_clISt17integral_constantIbLb1EESY_EEDaST_SU_EUlST_E_NS1_11comp_targetILNS1_3genE10ELNS1_11target_archE1201ELNS1_3gpuE5ELNS1_3repE0EEENS1_30default_config_static_selectorELNS0_4arch9wavefront6targetE1EEEvT1_
    .private_segment_fixed_size: 0
    .sgpr_count:     4
    .sgpr_spill_count: 0
    .symbol:         _ZN7rocprim17ROCPRIM_400000_NS6detail17trampoline_kernelINS0_14default_configENS1_20scan_config_selectorIN3c108BFloat16EEEZZNS1_9scan_implILNS1_25lookback_scan_determinismE0ELb0ELb0ES3_PKS6_PS6_S6_ZZZN2at6native31launch_logcumsumexp_cuda_kernelERKNSD_10TensorBaseESH_lENKUlvE_clEvENKUlvE4_clEvEUlS6_S6_E_S6_EEDaPvRmT3_T4_T5_mT6_P12ihipStream_tbENKUlT_T0_E_clISt17integral_constantIbLb1EESY_EEDaST_SU_EUlST_E_NS1_11comp_targetILNS1_3genE10ELNS1_11target_archE1201ELNS1_3gpuE5ELNS1_3repE0EEENS1_30default_config_static_selectorELNS0_4arch9wavefront6targetE1EEEvT1_.kd
    .uniform_work_group_size: 1
    .uses_dynamic_stack: false
    .vgpr_count:     0
    .vgpr_spill_count: 0
    .wavefront_size: 64
  - .agpr_count:     0
    .args:
      - .offset:         0
        .size:           96
        .value_kind:     by_value
    .group_segment_fixed_size: 0
    .kernarg_segment_align: 8
    .kernarg_segment_size: 96
    .language:       OpenCL C
    .language_version:
      - 2
      - 0
    .max_flat_workgroup_size: 256
    .name:           _ZN7rocprim17ROCPRIM_400000_NS6detail17trampoline_kernelINS0_14default_configENS1_20scan_config_selectorIN3c108BFloat16EEEZZNS1_9scan_implILNS1_25lookback_scan_determinismE0ELb0ELb0ES3_PKS6_PS6_S6_ZZZN2at6native31launch_logcumsumexp_cuda_kernelERKNSD_10TensorBaseESH_lENKUlvE_clEvENKUlvE4_clEvEUlS6_S6_E_S6_EEDaPvRmT3_T4_T5_mT6_P12ihipStream_tbENKUlT_T0_E_clISt17integral_constantIbLb1EESY_EEDaST_SU_EUlST_E_NS1_11comp_targetILNS1_3genE10ELNS1_11target_archE1200ELNS1_3gpuE4ELNS1_3repE0EEENS1_30default_config_static_selectorELNS0_4arch9wavefront6targetE1EEEvT1_
    .private_segment_fixed_size: 0
    .sgpr_count:     4
    .sgpr_spill_count: 0
    .symbol:         _ZN7rocprim17ROCPRIM_400000_NS6detail17trampoline_kernelINS0_14default_configENS1_20scan_config_selectorIN3c108BFloat16EEEZZNS1_9scan_implILNS1_25lookback_scan_determinismE0ELb0ELb0ES3_PKS6_PS6_S6_ZZZN2at6native31launch_logcumsumexp_cuda_kernelERKNSD_10TensorBaseESH_lENKUlvE_clEvENKUlvE4_clEvEUlS6_S6_E_S6_EEDaPvRmT3_T4_T5_mT6_P12ihipStream_tbENKUlT_T0_E_clISt17integral_constantIbLb1EESY_EEDaST_SU_EUlST_E_NS1_11comp_targetILNS1_3genE10ELNS1_11target_archE1200ELNS1_3gpuE4ELNS1_3repE0EEENS1_30default_config_static_selectorELNS0_4arch9wavefront6targetE1EEEvT1_.kd
    .uniform_work_group_size: 1
    .uses_dynamic_stack: false
    .vgpr_count:     0
    .vgpr_spill_count: 0
    .wavefront_size: 64
  - .agpr_count:     0
    .args:
      - .offset:         0
        .size:           96
        .value_kind:     by_value
    .group_segment_fixed_size: 0
    .kernarg_segment_align: 8
    .kernarg_segment_size: 96
    .language:       OpenCL C
    .language_version:
      - 2
      - 0
    .max_flat_workgroup_size: 64
    .name:           _ZN7rocprim17ROCPRIM_400000_NS6detail17trampoline_kernelINS0_14default_configENS1_20scan_config_selectorIN3c108BFloat16EEEZZNS1_9scan_implILNS1_25lookback_scan_determinismE0ELb0ELb0ES3_PKS6_PS6_S6_ZZZN2at6native31launch_logcumsumexp_cuda_kernelERKNSD_10TensorBaseESH_lENKUlvE_clEvENKUlvE4_clEvEUlS6_S6_E_S6_EEDaPvRmT3_T4_T5_mT6_P12ihipStream_tbENKUlT_T0_E_clISt17integral_constantIbLb1EESY_EEDaST_SU_EUlST_E_NS1_11comp_targetILNS1_3genE9ELNS1_11target_archE1100ELNS1_3gpuE3ELNS1_3repE0EEENS1_30default_config_static_selectorELNS0_4arch9wavefront6targetE1EEEvT1_
    .private_segment_fixed_size: 0
    .sgpr_count:     4
    .sgpr_spill_count: 0
    .symbol:         _ZN7rocprim17ROCPRIM_400000_NS6detail17trampoline_kernelINS0_14default_configENS1_20scan_config_selectorIN3c108BFloat16EEEZZNS1_9scan_implILNS1_25lookback_scan_determinismE0ELb0ELb0ES3_PKS6_PS6_S6_ZZZN2at6native31launch_logcumsumexp_cuda_kernelERKNSD_10TensorBaseESH_lENKUlvE_clEvENKUlvE4_clEvEUlS6_S6_E_S6_EEDaPvRmT3_T4_T5_mT6_P12ihipStream_tbENKUlT_T0_E_clISt17integral_constantIbLb1EESY_EEDaST_SU_EUlST_E_NS1_11comp_targetILNS1_3genE9ELNS1_11target_archE1100ELNS1_3gpuE3ELNS1_3repE0EEENS1_30default_config_static_selectorELNS0_4arch9wavefront6targetE1EEEvT1_.kd
    .uniform_work_group_size: 1
    .uses_dynamic_stack: false
    .vgpr_count:     0
    .vgpr_spill_count: 0
    .wavefront_size: 64
  - .agpr_count:     0
    .args:
      - .offset:         0
        .size:           96
        .value_kind:     by_value
    .group_segment_fixed_size: 0
    .kernarg_segment_align: 8
    .kernarg_segment_size: 96
    .language:       OpenCL C
    .language_version:
      - 2
      - 0
    .max_flat_workgroup_size: 64
    .name:           _ZN7rocprim17ROCPRIM_400000_NS6detail17trampoline_kernelINS0_14default_configENS1_20scan_config_selectorIN3c108BFloat16EEEZZNS1_9scan_implILNS1_25lookback_scan_determinismE0ELb0ELb0ES3_PKS6_PS6_S6_ZZZN2at6native31launch_logcumsumexp_cuda_kernelERKNSD_10TensorBaseESH_lENKUlvE_clEvENKUlvE4_clEvEUlS6_S6_E_S6_EEDaPvRmT3_T4_T5_mT6_P12ihipStream_tbENKUlT_T0_E_clISt17integral_constantIbLb1EESY_EEDaST_SU_EUlST_E_NS1_11comp_targetILNS1_3genE8ELNS1_11target_archE1030ELNS1_3gpuE2ELNS1_3repE0EEENS1_30default_config_static_selectorELNS0_4arch9wavefront6targetE1EEEvT1_
    .private_segment_fixed_size: 0
    .sgpr_count:     4
    .sgpr_spill_count: 0
    .symbol:         _ZN7rocprim17ROCPRIM_400000_NS6detail17trampoline_kernelINS0_14default_configENS1_20scan_config_selectorIN3c108BFloat16EEEZZNS1_9scan_implILNS1_25lookback_scan_determinismE0ELb0ELb0ES3_PKS6_PS6_S6_ZZZN2at6native31launch_logcumsumexp_cuda_kernelERKNSD_10TensorBaseESH_lENKUlvE_clEvENKUlvE4_clEvEUlS6_S6_E_S6_EEDaPvRmT3_T4_T5_mT6_P12ihipStream_tbENKUlT_T0_E_clISt17integral_constantIbLb1EESY_EEDaST_SU_EUlST_E_NS1_11comp_targetILNS1_3genE8ELNS1_11target_archE1030ELNS1_3gpuE2ELNS1_3repE0EEENS1_30default_config_static_selectorELNS0_4arch9wavefront6targetE1EEEvT1_.kd
    .uniform_work_group_size: 1
    .uses_dynamic_stack: false
    .vgpr_count:     0
    .vgpr_spill_count: 0
    .wavefront_size: 64
  - .agpr_count:     0
    .args:
      - .offset:         0
        .size:           32
        .value_kind:     by_value
    .group_segment_fixed_size: 0
    .kernarg_segment_align: 8
    .kernarg_segment_size: 32
    .language:       OpenCL C
    .language_version:
      - 2
      - 0
    .max_flat_workgroup_size: 128
    .name:           _ZN7rocprim17ROCPRIM_400000_NS6detail17trampoline_kernelINS0_14default_configENS1_20scan_config_selectorIN3c108BFloat16EEEZZNS1_9scan_implILNS1_25lookback_scan_determinismE0ELb0ELb0ES3_PKS6_PS6_S6_ZZZN2at6native31launch_logcumsumexp_cuda_kernelERKNSD_10TensorBaseESH_lENKUlvE_clEvENKUlvE4_clEvEUlS6_S6_E_S6_EEDaPvRmT3_T4_T5_mT6_P12ihipStream_tbENKUlT_T0_E_clISt17integral_constantIbLb1EESY_EEDaST_SU_EUlST_E0_NS1_11comp_targetILNS1_3genE0ELNS1_11target_archE4294967295ELNS1_3gpuE0ELNS1_3repE0EEENS1_30default_config_static_selectorELNS0_4arch9wavefront6targetE1EEEvT1_
    .private_segment_fixed_size: 0
    .sgpr_count:     4
    .sgpr_spill_count: 0
    .symbol:         _ZN7rocprim17ROCPRIM_400000_NS6detail17trampoline_kernelINS0_14default_configENS1_20scan_config_selectorIN3c108BFloat16EEEZZNS1_9scan_implILNS1_25lookback_scan_determinismE0ELb0ELb0ES3_PKS6_PS6_S6_ZZZN2at6native31launch_logcumsumexp_cuda_kernelERKNSD_10TensorBaseESH_lENKUlvE_clEvENKUlvE4_clEvEUlS6_S6_E_S6_EEDaPvRmT3_T4_T5_mT6_P12ihipStream_tbENKUlT_T0_E_clISt17integral_constantIbLb1EESY_EEDaST_SU_EUlST_E0_NS1_11comp_targetILNS1_3genE0ELNS1_11target_archE4294967295ELNS1_3gpuE0ELNS1_3repE0EEENS1_30default_config_static_selectorELNS0_4arch9wavefront6targetE1EEEvT1_.kd
    .uniform_work_group_size: 1
    .uses_dynamic_stack: false
    .vgpr_count:     0
    .vgpr_spill_count: 0
    .wavefront_size: 64
  - .agpr_count:     0
    .args:
      - .offset:         0
        .size:           32
        .value_kind:     by_value
    .group_segment_fixed_size: 0
    .kernarg_segment_align: 8
    .kernarg_segment_size: 32
    .language:       OpenCL C
    .language_version:
      - 2
      - 0
    .max_flat_workgroup_size: 256
    .name:           _ZN7rocprim17ROCPRIM_400000_NS6detail17trampoline_kernelINS0_14default_configENS1_20scan_config_selectorIN3c108BFloat16EEEZZNS1_9scan_implILNS1_25lookback_scan_determinismE0ELb0ELb0ES3_PKS6_PS6_S6_ZZZN2at6native31launch_logcumsumexp_cuda_kernelERKNSD_10TensorBaseESH_lENKUlvE_clEvENKUlvE4_clEvEUlS6_S6_E_S6_EEDaPvRmT3_T4_T5_mT6_P12ihipStream_tbENKUlT_T0_E_clISt17integral_constantIbLb1EESY_EEDaST_SU_EUlST_E0_NS1_11comp_targetILNS1_3genE5ELNS1_11target_archE942ELNS1_3gpuE9ELNS1_3repE0EEENS1_30default_config_static_selectorELNS0_4arch9wavefront6targetE1EEEvT1_
    .private_segment_fixed_size: 0
    .sgpr_count:     4
    .sgpr_spill_count: 0
    .symbol:         _ZN7rocprim17ROCPRIM_400000_NS6detail17trampoline_kernelINS0_14default_configENS1_20scan_config_selectorIN3c108BFloat16EEEZZNS1_9scan_implILNS1_25lookback_scan_determinismE0ELb0ELb0ES3_PKS6_PS6_S6_ZZZN2at6native31launch_logcumsumexp_cuda_kernelERKNSD_10TensorBaseESH_lENKUlvE_clEvENKUlvE4_clEvEUlS6_S6_E_S6_EEDaPvRmT3_T4_T5_mT6_P12ihipStream_tbENKUlT_T0_E_clISt17integral_constantIbLb1EESY_EEDaST_SU_EUlST_E0_NS1_11comp_targetILNS1_3genE5ELNS1_11target_archE942ELNS1_3gpuE9ELNS1_3repE0EEENS1_30default_config_static_selectorELNS0_4arch9wavefront6targetE1EEEvT1_.kd
    .uniform_work_group_size: 1
    .uses_dynamic_stack: false
    .vgpr_count:     0
    .vgpr_spill_count: 0
    .wavefront_size: 64
  - .agpr_count:     0
    .args:
      - .offset:         0
        .size:           32
        .value_kind:     by_value
    .group_segment_fixed_size: 3072
    .kernarg_segment_align: 8
    .kernarg_segment_size: 32
    .language:       OpenCL C
    .language_version:
      - 2
      - 0
    .max_flat_workgroup_size: 64
    .name:           _ZN7rocprim17ROCPRIM_400000_NS6detail17trampoline_kernelINS0_14default_configENS1_20scan_config_selectorIN3c108BFloat16EEEZZNS1_9scan_implILNS1_25lookback_scan_determinismE0ELb0ELb0ES3_PKS6_PS6_S6_ZZZN2at6native31launch_logcumsumexp_cuda_kernelERKNSD_10TensorBaseESH_lENKUlvE_clEvENKUlvE4_clEvEUlS6_S6_E_S6_EEDaPvRmT3_T4_T5_mT6_P12ihipStream_tbENKUlT_T0_E_clISt17integral_constantIbLb1EESY_EEDaST_SU_EUlST_E0_NS1_11comp_targetILNS1_3genE4ELNS1_11target_archE910ELNS1_3gpuE8ELNS1_3repE0EEENS1_30default_config_static_selectorELNS0_4arch9wavefront6targetE1EEEvT1_
    .private_segment_fixed_size: 0
    .sgpr_count:     100
    .sgpr_spill_count: 10
    .symbol:         _ZN7rocprim17ROCPRIM_400000_NS6detail17trampoline_kernelINS0_14default_configENS1_20scan_config_selectorIN3c108BFloat16EEEZZNS1_9scan_implILNS1_25lookback_scan_determinismE0ELb0ELb0ES3_PKS6_PS6_S6_ZZZN2at6native31launch_logcumsumexp_cuda_kernelERKNSD_10TensorBaseESH_lENKUlvE_clEvENKUlvE4_clEvEUlS6_S6_E_S6_EEDaPvRmT3_T4_T5_mT6_P12ihipStream_tbENKUlT_T0_E_clISt17integral_constantIbLb1EESY_EEDaST_SU_EUlST_E0_NS1_11comp_targetILNS1_3genE4ELNS1_11target_archE910ELNS1_3gpuE8ELNS1_3repE0EEENS1_30default_config_static_selectorELNS0_4arch9wavefront6targetE1EEEvT1_.kd
    .uniform_work_group_size: 1
    .uses_dynamic_stack: false
    .vgpr_count:     76
    .vgpr_spill_count: 0
    .wavefront_size: 64
  - .agpr_count:     0
    .args:
      - .offset:         0
        .size:           32
        .value_kind:     by_value
    .group_segment_fixed_size: 0
    .kernarg_segment_align: 8
    .kernarg_segment_size: 32
    .language:       OpenCL C
    .language_version:
      - 2
      - 0
    .max_flat_workgroup_size: 128
    .name:           _ZN7rocprim17ROCPRIM_400000_NS6detail17trampoline_kernelINS0_14default_configENS1_20scan_config_selectorIN3c108BFloat16EEEZZNS1_9scan_implILNS1_25lookback_scan_determinismE0ELb0ELb0ES3_PKS6_PS6_S6_ZZZN2at6native31launch_logcumsumexp_cuda_kernelERKNSD_10TensorBaseESH_lENKUlvE_clEvENKUlvE4_clEvEUlS6_S6_E_S6_EEDaPvRmT3_T4_T5_mT6_P12ihipStream_tbENKUlT_T0_E_clISt17integral_constantIbLb1EESY_EEDaST_SU_EUlST_E0_NS1_11comp_targetILNS1_3genE3ELNS1_11target_archE908ELNS1_3gpuE7ELNS1_3repE0EEENS1_30default_config_static_selectorELNS0_4arch9wavefront6targetE1EEEvT1_
    .private_segment_fixed_size: 0
    .sgpr_count:     4
    .sgpr_spill_count: 0
    .symbol:         _ZN7rocprim17ROCPRIM_400000_NS6detail17trampoline_kernelINS0_14default_configENS1_20scan_config_selectorIN3c108BFloat16EEEZZNS1_9scan_implILNS1_25lookback_scan_determinismE0ELb0ELb0ES3_PKS6_PS6_S6_ZZZN2at6native31launch_logcumsumexp_cuda_kernelERKNSD_10TensorBaseESH_lENKUlvE_clEvENKUlvE4_clEvEUlS6_S6_E_S6_EEDaPvRmT3_T4_T5_mT6_P12ihipStream_tbENKUlT_T0_E_clISt17integral_constantIbLb1EESY_EEDaST_SU_EUlST_E0_NS1_11comp_targetILNS1_3genE3ELNS1_11target_archE908ELNS1_3gpuE7ELNS1_3repE0EEENS1_30default_config_static_selectorELNS0_4arch9wavefront6targetE1EEEvT1_.kd
    .uniform_work_group_size: 1
    .uses_dynamic_stack: false
    .vgpr_count:     0
    .vgpr_spill_count: 0
    .wavefront_size: 64
  - .agpr_count:     0
    .args:
      - .offset:         0
        .size:           32
        .value_kind:     by_value
    .group_segment_fixed_size: 0
    .kernarg_segment_align: 8
    .kernarg_segment_size: 32
    .language:       OpenCL C
    .language_version:
      - 2
      - 0
    .max_flat_workgroup_size: 256
    .name:           _ZN7rocprim17ROCPRIM_400000_NS6detail17trampoline_kernelINS0_14default_configENS1_20scan_config_selectorIN3c108BFloat16EEEZZNS1_9scan_implILNS1_25lookback_scan_determinismE0ELb0ELb0ES3_PKS6_PS6_S6_ZZZN2at6native31launch_logcumsumexp_cuda_kernelERKNSD_10TensorBaseESH_lENKUlvE_clEvENKUlvE4_clEvEUlS6_S6_E_S6_EEDaPvRmT3_T4_T5_mT6_P12ihipStream_tbENKUlT_T0_E_clISt17integral_constantIbLb1EESY_EEDaST_SU_EUlST_E0_NS1_11comp_targetILNS1_3genE2ELNS1_11target_archE906ELNS1_3gpuE6ELNS1_3repE0EEENS1_30default_config_static_selectorELNS0_4arch9wavefront6targetE1EEEvT1_
    .private_segment_fixed_size: 0
    .sgpr_count:     4
    .sgpr_spill_count: 0
    .symbol:         _ZN7rocprim17ROCPRIM_400000_NS6detail17trampoline_kernelINS0_14default_configENS1_20scan_config_selectorIN3c108BFloat16EEEZZNS1_9scan_implILNS1_25lookback_scan_determinismE0ELb0ELb0ES3_PKS6_PS6_S6_ZZZN2at6native31launch_logcumsumexp_cuda_kernelERKNSD_10TensorBaseESH_lENKUlvE_clEvENKUlvE4_clEvEUlS6_S6_E_S6_EEDaPvRmT3_T4_T5_mT6_P12ihipStream_tbENKUlT_T0_E_clISt17integral_constantIbLb1EESY_EEDaST_SU_EUlST_E0_NS1_11comp_targetILNS1_3genE2ELNS1_11target_archE906ELNS1_3gpuE6ELNS1_3repE0EEENS1_30default_config_static_selectorELNS0_4arch9wavefront6targetE1EEEvT1_.kd
    .uniform_work_group_size: 1
    .uses_dynamic_stack: false
    .vgpr_count:     0
    .vgpr_spill_count: 0
    .wavefront_size: 64
  - .agpr_count:     0
    .args:
      - .offset:         0
        .size:           32
        .value_kind:     by_value
    .group_segment_fixed_size: 0
    .kernarg_segment_align: 8
    .kernarg_segment_size: 32
    .language:       OpenCL C
    .language_version:
      - 2
      - 0
    .max_flat_workgroup_size: 256
    .name:           _ZN7rocprim17ROCPRIM_400000_NS6detail17trampoline_kernelINS0_14default_configENS1_20scan_config_selectorIN3c108BFloat16EEEZZNS1_9scan_implILNS1_25lookback_scan_determinismE0ELb0ELb0ES3_PKS6_PS6_S6_ZZZN2at6native31launch_logcumsumexp_cuda_kernelERKNSD_10TensorBaseESH_lENKUlvE_clEvENKUlvE4_clEvEUlS6_S6_E_S6_EEDaPvRmT3_T4_T5_mT6_P12ihipStream_tbENKUlT_T0_E_clISt17integral_constantIbLb1EESY_EEDaST_SU_EUlST_E0_NS1_11comp_targetILNS1_3genE10ELNS1_11target_archE1201ELNS1_3gpuE5ELNS1_3repE0EEENS1_30default_config_static_selectorELNS0_4arch9wavefront6targetE1EEEvT1_
    .private_segment_fixed_size: 0
    .sgpr_count:     4
    .sgpr_spill_count: 0
    .symbol:         _ZN7rocprim17ROCPRIM_400000_NS6detail17trampoline_kernelINS0_14default_configENS1_20scan_config_selectorIN3c108BFloat16EEEZZNS1_9scan_implILNS1_25lookback_scan_determinismE0ELb0ELb0ES3_PKS6_PS6_S6_ZZZN2at6native31launch_logcumsumexp_cuda_kernelERKNSD_10TensorBaseESH_lENKUlvE_clEvENKUlvE4_clEvEUlS6_S6_E_S6_EEDaPvRmT3_T4_T5_mT6_P12ihipStream_tbENKUlT_T0_E_clISt17integral_constantIbLb1EESY_EEDaST_SU_EUlST_E0_NS1_11comp_targetILNS1_3genE10ELNS1_11target_archE1201ELNS1_3gpuE5ELNS1_3repE0EEENS1_30default_config_static_selectorELNS0_4arch9wavefront6targetE1EEEvT1_.kd
    .uniform_work_group_size: 1
    .uses_dynamic_stack: false
    .vgpr_count:     0
    .vgpr_spill_count: 0
    .wavefront_size: 64
  - .agpr_count:     0
    .args:
      - .offset:         0
        .size:           32
        .value_kind:     by_value
    .group_segment_fixed_size: 0
    .kernarg_segment_align: 8
    .kernarg_segment_size: 32
    .language:       OpenCL C
    .language_version:
      - 2
      - 0
    .max_flat_workgroup_size: 256
    .name:           _ZN7rocprim17ROCPRIM_400000_NS6detail17trampoline_kernelINS0_14default_configENS1_20scan_config_selectorIN3c108BFloat16EEEZZNS1_9scan_implILNS1_25lookback_scan_determinismE0ELb0ELb0ES3_PKS6_PS6_S6_ZZZN2at6native31launch_logcumsumexp_cuda_kernelERKNSD_10TensorBaseESH_lENKUlvE_clEvENKUlvE4_clEvEUlS6_S6_E_S6_EEDaPvRmT3_T4_T5_mT6_P12ihipStream_tbENKUlT_T0_E_clISt17integral_constantIbLb1EESY_EEDaST_SU_EUlST_E0_NS1_11comp_targetILNS1_3genE10ELNS1_11target_archE1200ELNS1_3gpuE4ELNS1_3repE0EEENS1_30default_config_static_selectorELNS0_4arch9wavefront6targetE1EEEvT1_
    .private_segment_fixed_size: 0
    .sgpr_count:     4
    .sgpr_spill_count: 0
    .symbol:         _ZN7rocprim17ROCPRIM_400000_NS6detail17trampoline_kernelINS0_14default_configENS1_20scan_config_selectorIN3c108BFloat16EEEZZNS1_9scan_implILNS1_25lookback_scan_determinismE0ELb0ELb0ES3_PKS6_PS6_S6_ZZZN2at6native31launch_logcumsumexp_cuda_kernelERKNSD_10TensorBaseESH_lENKUlvE_clEvENKUlvE4_clEvEUlS6_S6_E_S6_EEDaPvRmT3_T4_T5_mT6_P12ihipStream_tbENKUlT_T0_E_clISt17integral_constantIbLb1EESY_EEDaST_SU_EUlST_E0_NS1_11comp_targetILNS1_3genE10ELNS1_11target_archE1200ELNS1_3gpuE4ELNS1_3repE0EEENS1_30default_config_static_selectorELNS0_4arch9wavefront6targetE1EEEvT1_.kd
    .uniform_work_group_size: 1
    .uses_dynamic_stack: false
    .vgpr_count:     0
    .vgpr_spill_count: 0
    .wavefront_size: 64
  - .agpr_count:     0
    .args:
      - .offset:         0
        .size:           32
        .value_kind:     by_value
    .group_segment_fixed_size: 0
    .kernarg_segment_align: 8
    .kernarg_segment_size: 32
    .language:       OpenCL C
    .language_version:
      - 2
      - 0
    .max_flat_workgroup_size: 64
    .name:           _ZN7rocprim17ROCPRIM_400000_NS6detail17trampoline_kernelINS0_14default_configENS1_20scan_config_selectorIN3c108BFloat16EEEZZNS1_9scan_implILNS1_25lookback_scan_determinismE0ELb0ELb0ES3_PKS6_PS6_S6_ZZZN2at6native31launch_logcumsumexp_cuda_kernelERKNSD_10TensorBaseESH_lENKUlvE_clEvENKUlvE4_clEvEUlS6_S6_E_S6_EEDaPvRmT3_T4_T5_mT6_P12ihipStream_tbENKUlT_T0_E_clISt17integral_constantIbLb1EESY_EEDaST_SU_EUlST_E0_NS1_11comp_targetILNS1_3genE9ELNS1_11target_archE1100ELNS1_3gpuE3ELNS1_3repE0EEENS1_30default_config_static_selectorELNS0_4arch9wavefront6targetE1EEEvT1_
    .private_segment_fixed_size: 0
    .sgpr_count:     4
    .sgpr_spill_count: 0
    .symbol:         _ZN7rocprim17ROCPRIM_400000_NS6detail17trampoline_kernelINS0_14default_configENS1_20scan_config_selectorIN3c108BFloat16EEEZZNS1_9scan_implILNS1_25lookback_scan_determinismE0ELb0ELb0ES3_PKS6_PS6_S6_ZZZN2at6native31launch_logcumsumexp_cuda_kernelERKNSD_10TensorBaseESH_lENKUlvE_clEvENKUlvE4_clEvEUlS6_S6_E_S6_EEDaPvRmT3_T4_T5_mT6_P12ihipStream_tbENKUlT_T0_E_clISt17integral_constantIbLb1EESY_EEDaST_SU_EUlST_E0_NS1_11comp_targetILNS1_3genE9ELNS1_11target_archE1100ELNS1_3gpuE3ELNS1_3repE0EEENS1_30default_config_static_selectorELNS0_4arch9wavefront6targetE1EEEvT1_.kd
    .uniform_work_group_size: 1
    .uses_dynamic_stack: false
    .vgpr_count:     0
    .vgpr_spill_count: 0
    .wavefront_size: 64
  - .agpr_count:     0
    .args:
      - .offset:         0
        .size:           32
        .value_kind:     by_value
    .group_segment_fixed_size: 0
    .kernarg_segment_align: 8
    .kernarg_segment_size: 32
    .language:       OpenCL C
    .language_version:
      - 2
      - 0
    .max_flat_workgroup_size: 64
    .name:           _ZN7rocprim17ROCPRIM_400000_NS6detail17trampoline_kernelINS0_14default_configENS1_20scan_config_selectorIN3c108BFloat16EEEZZNS1_9scan_implILNS1_25lookback_scan_determinismE0ELb0ELb0ES3_PKS6_PS6_S6_ZZZN2at6native31launch_logcumsumexp_cuda_kernelERKNSD_10TensorBaseESH_lENKUlvE_clEvENKUlvE4_clEvEUlS6_S6_E_S6_EEDaPvRmT3_T4_T5_mT6_P12ihipStream_tbENKUlT_T0_E_clISt17integral_constantIbLb1EESY_EEDaST_SU_EUlST_E0_NS1_11comp_targetILNS1_3genE8ELNS1_11target_archE1030ELNS1_3gpuE2ELNS1_3repE0EEENS1_30default_config_static_selectorELNS0_4arch9wavefront6targetE1EEEvT1_
    .private_segment_fixed_size: 0
    .sgpr_count:     4
    .sgpr_spill_count: 0
    .symbol:         _ZN7rocprim17ROCPRIM_400000_NS6detail17trampoline_kernelINS0_14default_configENS1_20scan_config_selectorIN3c108BFloat16EEEZZNS1_9scan_implILNS1_25lookback_scan_determinismE0ELb0ELb0ES3_PKS6_PS6_S6_ZZZN2at6native31launch_logcumsumexp_cuda_kernelERKNSD_10TensorBaseESH_lENKUlvE_clEvENKUlvE4_clEvEUlS6_S6_E_S6_EEDaPvRmT3_T4_T5_mT6_P12ihipStream_tbENKUlT_T0_E_clISt17integral_constantIbLb1EESY_EEDaST_SU_EUlST_E0_NS1_11comp_targetILNS1_3genE8ELNS1_11target_archE1030ELNS1_3gpuE2ELNS1_3repE0EEENS1_30default_config_static_selectorELNS0_4arch9wavefront6targetE1EEEvT1_.kd
    .uniform_work_group_size: 1
    .uses_dynamic_stack: false
    .vgpr_count:     0
    .vgpr_spill_count: 0
    .wavefront_size: 64
  - .agpr_count:     0
    .args:
      - .address_space:  global
        .offset:         0
        .size:           8
        .value_kind:     global_buffer
      - .offset:         8
        .size:           4
        .value_kind:     by_value
      - .offset:         12
        .size:           1
        .value_kind:     by_value
      - .offset:         16
        .size:           4
        .value_kind:     by_value
      - .address_space:  global
        .offset:         24
        .size:           8
        .value_kind:     global_buffer
      - .offset:         32
        .size:           4
        .value_kind:     hidden_block_count_x
      - .offset:         36
        .size:           4
        .value_kind:     hidden_block_count_y
      - .offset:         40
        .size:           4
        .value_kind:     hidden_block_count_z
      - .offset:         44
        .size:           2
        .value_kind:     hidden_group_size_x
      - .offset:         46
        .size:           2
        .value_kind:     hidden_group_size_y
      - .offset:         48
        .size:           2
        .value_kind:     hidden_group_size_z
      - .offset:         50
        .size:           2
        .value_kind:     hidden_remainder_x
      - .offset:         52
        .size:           2
        .value_kind:     hidden_remainder_y
      - .offset:         54
        .size:           2
        .value_kind:     hidden_remainder_z
      - .offset:         72
        .size:           8
        .value_kind:     hidden_global_offset_x
      - .offset:         80
        .size:           8
        .value_kind:     hidden_global_offset_y
      - .offset:         88
        .size:           8
        .value_kind:     hidden_global_offset_z
      - .offset:         96
        .size:           2
        .value_kind:     hidden_grid_dims
    .group_segment_fixed_size: 0
    .kernarg_segment_align: 8
    .kernarg_segment_size: 288
    .language:       OpenCL C
    .language_version:
      - 2
      - 0
    .max_flat_workgroup_size: 256
    .name:           _ZN7rocprim17ROCPRIM_400000_NS6detail31init_lookback_scan_state_kernelINS1_19lookback_scan_stateIN3c108BFloat16ELb1ELb1EEENS1_16block_id_wrapperIjLb0EEEEEvT_jT0_jPNS9_10value_typeE
    .private_segment_fixed_size: 0
    .sgpr_count:     16
    .sgpr_spill_count: 0
    .symbol:         _ZN7rocprim17ROCPRIM_400000_NS6detail31init_lookback_scan_state_kernelINS1_19lookback_scan_stateIN3c108BFloat16ELb1ELb1EEENS1_16block_id_wrapperIjLb0EEEEEvT_jT0_jPNS9_10value_typeE.kd
    .uniform_work_group_size: 1
    .uses_dynamic_stack: false
    .vgpr_count:     6
    .vgpr_spill_count: 0
    .wavefront_size: 64
  - .agpr_count:     0
    .args:
      - .offset:         0
        .size:           96
        .value_kind:     by_value
    .group_segment_fixed_size: 0
    .kernarg_segment_align: 8
    .kernarg_segment_size: 96
    .language:       OpenCL C
    .language_version:
      - 2
      - 0
    .max_flat_workgroup_size: 128
    .name:           _ZN7rocprim17ROCPRIM_400000_NS6detail17trampoline_kernelINS0_14default_configENS1_20scan_config_selectorIN3c108BFloat16EEEZZNS1_9scan_implILNS1_25lookback_scan_determinismE0ELb0ELb0ES3_PKS6_PS6_S6_ZZZN2at6native31launch_logcumsumexp_cuda_kernelERKNSD_10TensorBaseESH_lENKUlvE_clEvENKUlvE4_clEvEUlS6_S6_E_S6_EEDaPvRmT3_T4_T5_mT6_P12ihipStream_tbENKUlT_T0_E_clISt17integral_constantIbLb1EESX_IbLb0EEEEDaST_SU_EUlST_E_NS1_11comp_targetILNS1_3genE0ELNS1_11target_archE4294967295ELNS1_3gpuE0ELNS1_3repE0EEENS1_30default_config_static_selectorELNS0_4arch9wavefront6targetE1EEEvT1_
    .private_segment_fixed_size: 0
    .sgpr_count:     4
    .sgpr_spill_count: 0
    .symbol:         _ZN7rocprim17ROCPRIM_400000_NS6detail17trampoline_kernelINS0_14default_configENS1_20scan_config_selectorIN3c108BFloat16EEEZZNS1_9scan_implILNS1_25lookback_scan_determinismE0ELb0ELb0ES3_PKS6_PS6_S6_ZZZN2at6native31launch_logcumsumexp_cuda_kernelERKNSD_10TensorBaseESH_lENKUlvE_clEvENKUlvE4_clEvEUlS6_S6_E_S6_EEDaPvRmT3_T4_T5_mT6_P12ihipStream_tbENKUlT_T0_E_clISt17integral_constantIbLb1EESX_IbLb0EEEEDaST_SU_EUlST_E_NS1_11comp_targetILNS1_3genE0ELNS1_11target_archE4294967295ELNS1_3gpuE0ELNS1_3repE0EEENS1_30default_config_static_selectorELNS0_4arch9wavefront6targetE1EEEvT1_.kd
    .uniform_work_group_size: 1
    .uses_dynamic_stack: false
    .vgpr_count:     0
    .vgpr_spill_count: 0
    .wavefront_size: 64
  - .agpr_count:     0
    .args:
      - .offset:         0
        .size:           96
        .value_kind:     by_value
    .group_segment_fixed_size: 0
    .kernarg_segment_align: 8
    .kernarg_segment_size: 96
    .language:       OpenCL C
    .language_version:
      - 2
      - 0
    .max_flat_workgroup_size: 256
    .name:           _ZN7rocprim17ROCPRIM_400000_NS6detail17trampoline_kernelINS0_14default_configENS1_20scan_config_selectorIN3c108BFloat16EEEZZNS1_9scan_implILNS1_25lookback_scan_determinismE0ELb0ELb0ES3_PKS6_PS6_S6_ZZZN2at6native31launch_logcumsumexp_cuda_kernelERKNSD_10TensorBaseESH_lENKUlvE_clEvENKUlvE4_clEvEUlS6_S6_E_S6_EEDaPvRmT3_T4_T5_mT6_P12ihipStream_tbENKUlT_T0_E_clISt17integral_constantIbLb1EESX_IbLb0EEEEDaST_SU_EUlST_E_NS1_11comp_targetILNS1_3genE5ELNS1_11target_archE942ELNS1_3gpuE9ELNS1_3repE0EEENS1_30default_config_static_selectorELNS0_4arch9wavefront6targetE1EEEvT1_
    .private_segment_fixed_size: 0
    .sgpr_count:     4
    .sgpr_spill_count: 0
    .symbol:         _ZN7rocprim17ROCPRIM_400000_NS6detail17trampoline_kernelINS0_14default_configENS1_20scan_config_selectorIN3c108BFloat16EEEZZNS1_9scan_implILNS1_25lookback_scan_determinismE0ELb0ELb0ES3_PKS6_PS6_S6_ZZZN2at6native31launch_logcumsumexp_cuda_kernelERKNSD_10TensorBaseESH_lENKUlvE_clEvENKUlvE4_clEvEUlS6_S6_E_S6_EEDaPvRmT3_T4_T5_mT6_P12ihipStream_tbENKUlT_T0_E_clISt17integral_constantIbLb1EESX_IbLb0EEEEDaST_SU_EUlST_E_NS1_11comp_targetILNS1_3genE5ELNS1_11target_archE942ELNS1_3gpuE9ELNS1_3repE0EEENS1_30default_config_static_selectorELNS0_4arch9wavefront6targetE1EEEvT1_.kd
    .uniform_work_group_size: 1
    .uses_dynamic_stack: false
    .vgpr_count:     0
    .vgpr_spill_count: 0
    .wavefront_size: 64
  - .agpr_count:     0
    .args:
      - .offset:         0
        .size:           96
        .value_kind:     by_value
      - .offset:         96
        .size:           4
        .value_kind:     hidden_block_count_x
      - .offset:         100
        .size:           4
        .value_kind:     hidden_block_count_y
      - .offset:         104
        .size:           4
        .value_kind:     hidden_block_count_z
      - .offset:         108
        .size:           2
        .value_kind:     hidden_group_size_x
      - .offset:         110
        .size:           2
        .value_kind:     hidden_group_size_y
      - .offset:         112
        .size:           2
        .value_kind:     hidden_group_size_z
      - .offset:         114
        .size:           2
        .value_kind:     hidden_remainder_x
      - .offset:         116
        .size:           2
        .value_kind:     hidden_remainder_y
      - .offset:         118
        .size:           2
        .value_kind:     hidden_remainder_z
      - .offset:         136
        .size:           8
        .value_kind:     hidden_global_offset_x
      - .offset:         144
        .size:           8
        .value_kind:     hidden_global_offset_y
      - .offset:         152
        .size:           8
        .value_kind:     hidden_global_offset_z
      - .offset:         160
        .size:           2
        .value_kind:     hidden_grid_dims
    .group_segment_fixed_size: 3072
    .kernarg_segment_align: 8
    .kernarg_segment_size: 352
    .language:       OpenCL C
    .language_version:
      - 2
      - 0
    .max_flat_workgroup_size: 64
    .name:           _ZN7rocprim17ROCPRIM_400000_NS6detail17trampoline_kernelINS0_14default_configENS1_20scan_config_selectorIN3c108BFloat16EEEZZNS1_9scan_implILNS1_25lookback_scan_determinismE0ELb0ELb0ES3_PKS6_PS6_S6_ZZZN2at6native31launch_logcumsumexp_cuda_kernelERKNSD_10TensorBaseESH_lENKUlvE_clEvENKUlvE4_clEvEUlS6_S6_E_S6_EEDaPvRmT3_T4_T5_mT6_P12ihipStream_tbENKUlT_T0_E_clISt17integral_constantIbLb1EESX_IbLb0EEEEDaST_SU_EUlST_E_NS1_11comp_targetILNS1_3genE4ELNS1_11target_archE910ELNS1_3gpuE8ELNS1_3repE0EEENS1_30default_config_static_selectorELNS0_4arch9wavefront6targetE1EEEvT1_
    .private_segment_fixed_size: 120
    .sgpr_count:     84
    .sgpr_spill_count: 0
    .symbol:         _ZN7rocprim17ROCPRIM_400000_NS6detail17trampoline_kernelINS0_14default_configENS1_20scan_config_selectorIN3c108BFloat16EEEZZNS1_9scan_implILNS1_25lookback_scan_determinismE0ELb0ELb0ES3_PKS6_PS6_S6_ZZZN2at6native31launch_logcumsumexp_cuda_kernelERKNSD_10TensorBaseESH_lENKUlvE_clEvENKUlvE4_clEvEUlS6_S6_E_S6_EEDaPvRmT3_T4_T5_mT6_P12ihipStream_tbENKUlT_T0_E_clISt17integral_constantIbLb1EESX_IbLb0EEEEDaST_SU_EUlST_E_NS1_11comp_targetILNS1_3genE4ELNS1_11target_archE910ELNS1_3gpuE8ELNS1_3repE0EEENS1_30default_config_static_selectorELNS0_4arch9wavefront6targetE1EEEvT1_.kd
    .uniform_work_group_size: 1
    .uses_dynamic_stack: false
    .vgpr_count:     213
    .vgpr_spill_count: 0
    .wavefront_size: 64
  - .agpr_count:     0
    .args:
      - .offset:         0
        .size:           96
        .value_kind:     by_value
    .group_segment_fixed_size: 0
    .kernarg_segment_align: 8
    .kernarg_segment_size: 96
    .language:       OpenCL C
    .language_version:
      - 2
      - 0
    .max_flat_workgroup_size: 128
    .name:           _ZN7rocprim17ROCPRIM_400000_NS6detail17trampoline_kernelINS0_14default_configENS1_20scan_config_selectorIN3c108BFloat16EEEZZNS1_9scan_implILNS1_25lookback_scan_determinismE0ELb0ELb0ES3_PKS6_PS6_S6_ZZZN2at6native31launch_logcumsumexp_cuda_kernelERKNSD_10TensorBaseESH_lENKUlvE_clEvENKUlvE4_clEvEUlS6_S6_E_S6_EEDaPvRmT3_T4_T5_mT6_P12ihipStream_tbENKUlT_T0_E_clISt17integral_constantIbLb1EESX_IbLb0EEEEDaST_SU_EUlST_E_NS1_11comp_targetILNS1_3genE3ELNS1_11target_archE908ELNS1_3gpuE7ELNS1_3repE0EEENS1_30default_config_static_selectorELNS0_4arch9wavefront6targetE1EEEvT1_
    .private_segment_fixed_size: 0
    .sgpr_count:     4
    .sgpr_spill_count: 0
    .symbol:         _ZN7rocprim17ROCPRIM_400000_NS6detail17trampoline_kernelINS0_14default_configENS1_20scan_config_selectorIN3c108BFloat16EEEZZNS1_9scan_implILNS1_25lookback_scan_determinismE0ELb0ELb0ES3_PKS6_PS6_S6_ZZZN2at6native31launch_logcumsumexp_cuda_kernelERKNSD_10TensorBaseESH_lENKUlvE_clEvENKUlvE4_clEvEUlS6_S6_E_S6_EEDaPvRmT3_T4_T5_mT6_P12ihipStream_tbENKUlT_T0_E_clISt17integral_constantIbLb1EESX_IbLb0EEEEDaST_SU_EUlST_E_NS1_11comp_targetILNS1_3genE3ELNS1_11target_archE908ELNS1_3gpuE7ELNS1_3repE0EEENS1_30default_config_static_selectorELNS0_4arch9wavefront6targetE1EEEvT1_.kd
    .uniform_work_group_size: 1
    .uses_dynamic_stack: false
    .vgpr_count:     0
    .vgpr_spill_count: 0
    .wavefront_size: 64
  - .agpr_count:     0
    .args:
      - .offset:         0
        .size:           96
        .value_kind:     by_value
    .group_segment_fixed_size: 0
    .kernarg_segment_align: 8
    .kernarg_segment_size: 96
    .language:       OpenCL C
    .language_version:
      - 2
      - 0
    .max_flat_workgroup_size: 256
    .name:           _ZN7rocprim17ROCPRIM_400000_NS6detail17trampoline_kernelINS0_14default_configENS1_20scan_config_selectorIN3c108BFloat16EEEZZNS1_9scan_implILNS1_25lookback_scan_determinismE0ELb0ELb0ES3_PKS6_PS6_S6_ZZZN2at6native31launch_logcumsumexp_cuda_kernelERKNSD_10TensorBaseESH_lENKUlvE_clEvENKUlvE4_clEvEUlS6_S6_E_S6_EEDaPvRmT3_T4_T5_mT6_P12ihipStream_tbENKUlT_T0_E_clISt17integral_constantIbLb1EESX_IbLb0EEEEDaST_SU_EUlST_E_NS1_11comp_targetILNS1_3genE2ELNS1_11target_archE906ELNS1_3gpuE6ELNS1_3repE0EEENS1_30default_config_static_selectorELNS0_4arch9wavefront6targetE1EEEvT1_
    .private_segment_fixed_size: 0
    .sgpr_count:     4
    .sgpr_spill_count: 0
    .symbol:         _ZN7rocprim17ROCPRIM_400000_NS6detail17trampoline_kernelINS0_14default_configENS1_20scan_config_selectorIN3c108BFloat16EEEZZNS1_9scan_implILNS1_25lookback_scan_determinismE0ELb0ELb0ES3_PKS6_PS6_S6_ZZZN2at6native31launch_logcumsumexp_cuda_kernelERKNSD_10TensorBaseESH_lENKUlvE_clEvENKUlvE4_clEvEUlS6_S6_E_S6_EEDaPvRmT3_T4_T5_mT6_P12ihipStream_tbENKUlT_T0_E_clISt17integral_constantIbLb1EESX_IbLb0EEEEDaST_SU_EUlST_E_NS1_11comp_targetILNS1_3genE2ELNS1_11target_archE906ELNS1_3gpuE6ELNS1_3repE0EEENS1_30default_config_static_selectorELNS0_4arch9wavefront6targetE1EEEvT1_.kd
    .uniform_work_group_size: 1
    .uses_dynamic_stack: false
    .vgpr_count:     0
    .vgpr_spill_count: 0
    .wavefront_size: 64
  - .agpr_count:     0
    .args:
      - .offset:         0
        .size:           96
        .value_kind:     by_value
    .group_segment_fixed_size: 0
    .kernarg_segment_align: 8
    .kernarg_segment_size: 96
    .language:       OpenCL C
    .language_version:
      - 2
      - 0
    .max_flat_workgroup_size: 256
    .name:           _ZN7rocprim17ROCPRIM_400000_NS6detail17trampoline_kernelINS0_14default_configENS1_20scan_config_selectorIN3c108BFloat16EEEZZNS1_9scan_implILNS1_25lookback_scan_determinismE0ELb0ELb0ES3_PKS6_PS6_S6_ZZZN2at6native31launch_logcumsumexp_cuda_kernelERKNSD_10TensorBaseESH_lENKUlvE_clEvENKUlvE4_clEvEUlS6_S6_E_S6_EEDaPvRmT3_T4_T5_mT6_P12ihipStream_tbENKUlT_T0_E_clISt17integral_constantIbLb1EESX_IbLb0EEEEDaST_SU_EUlST_E_NS1_11comp_targetILNS1_3genE10ELNS1_11target_archE1201ELNS1_3gpuE5ELNS1_3repE0EEENS1_30default_config_static_selectorELNS0_4arch9wavefront6targetE1EEEvT1_
    .private_segment_fixed_size: 0
    .sgpr_count:     4
    .sgpr_spill_count: 0
    .symbol:         _ZN7rocprim17ROCPRIM_400000_NS6detail17trampoline_kernelINS0_14default_configENS1_20scan_config_selectorIN3c108BFloat16EEEZZNS1_9scan_implILNS1_25lookback_scan_determinismE0ELb0ELb0ES3_PKS6_PS6_S6_ZZZN2at6native31launch_logcumsumexp_cuda_kernelERKNSD_10TensorBaseESH_lENKUlvE_clEvENKUlvE4_clEvEUlS6_S6_E_S6_EEDaPvRmT3_T4_T5_mT6_P12ihipStream_tbENKUlT_T0_E_clISt17integral_constantIbLb1EESX_IbLb0EEEEDaST_SU_EUlST_E_NS1_11comp_targetILNS1_3genE10ELNS1_11target_archE1201ELNS1_3gpuE5ELNS1_3repE0EEENS1_30default_config_static_selectorELNS0_4arch9wavefront6targetE1EEEvT1_.kd
    .uniform_work_group_size: 1
    .uses_dynamic_stack: false
    .vgpr_count:     0
    .vgpr_spill_count: 0
    .wavefront_size: 64
  - .agpr_count:     0
    .args:
      - .offset:         0
        .size:           96
        .value_kind:     by_value
    .group_segment_fixed_size: 0
    .kernarg_segment_align: 8
    .kernarg_segment_size: 96
    .language:       OpenCL C
    .language_version:
      - 2
      - 0
    .max_flat_workgroup_size: 256
    .name:           _ZN7rocprim17ROCPRIM_400000_NS6detail17trampoline_kernelINS0_14default_configENS1_20scan_config_selectorIN3c108BFloat16EEEZZNS1_9scan_implILNS1_25lookback_scan_determinismE0ELb0ELb0ES3_PKS6_PS6_S6_ZZZN2at6native31launch_logcumsumexp_cuda_kernelERKNSD_10TensorBaseESH_lENKUlvE_clEvENKUlvE4_clEvEUlS6_S6_E_S6_EEDaPvRmT3_T4_T5_mT6_P12ihipStream_tbENKUlT_T0_E_clISt17integral_constantIbLb1EESX_IbLb0EEEEDaST_SU_EUlST_E_NS1_11comp_targetILNS1_3genE10ELNS1_11target_archE1200ELNS1_3gpuE4ELNS1_3repE0EEENS1_30default_config_static_selectorELNS0_4arch9wavefront6targetE1EEEvT1_
    .private_segment_fixed_size: 0
    .sgpr_count:     4
    .sgpr_spill_count: 0
    .symbol:         _ZN7rocprim17ROCPRIM_400000_NS6detail17trampoline_kernelINS0_14default_configENS1_20scan_config_selectorIN3c108BFloat16EEEZZNS1_9scan_implILNS1_25lookback_scan_determinismE0ELb0ELb0ES3_PKS6_PS6_S6_ZZZN2at6native31launch_logcumsumexp_cuda_kernelERKNSD_10TensorBaseESH_lENKUlvE_clEvENKUlvE4_clEvEUlS6_S6_E_S6_EEDaPvRmT3_T4_T5_mT6_P12ihipStream_tbENKUlT_T0_E_clISt17integral_constantIbLb1EESX_IbLb0EEEEDaST_SU_EUlST_E_NS1_11comp_targetILNS1_3genE10ELNS1_11target_archE1200ELNS1_3gpuE4ELNS1_3repE0EEENS1_30default_config_static_selectorELNS0_4arch9wavefront6targetE1EEEvT1_.kd
    .uniform_work_group_size: 1
    .uses_dynamic_stack: false
    .vgpr_count:     0
    .vgpr_spill_count: 0
    .wavefront_size: 64
  - .agpr_count:     0
    .args:
      - .offset:         0
        .size:           96
        .value_kind:     by_value
    .group_segment_fixed_size: 0
    .kernarg_segment_align: 8
    .kernarg_segment_size: 96
    .language:       OpenCL C
    .language_version:
      - 2
      - 0
    .max_flat_workgroup_size: 64
    .name:           _ZN7rocprim17ROCPRIM_400000_NS6detail17trampoline_kernelINS0_14default_configENS1_20scan_config_selectorIN3c108BFloat16EEEZZNS1_9scan_implILNS1_25lookback_scan_determinismE0ELb0ELb0ES3_PKS6_PS6_S6_ZZZN2at6native31launch_logcumsumexp_cuda_kernelERKNSD_10TensorBaseESH_lENKUlvE_clEvENKUlvE4_clEvEUlS6_S6_E_S6_EEDaPvRmT3_T4_T5_mT6_P12ihipStream_tbENKUlT_T0_E_clISt17integral_constantIbLb1EESX_IbLb0EEEEDaST_SU_EUlST_E_NS1_11comp_targetILNS1_3genE9ELNS1_11target_archE1100ELNS1_3gpuE3ELNS1_3repE0EEENS1_30default_config_static_selectorELNS0_4arch9wavefront6targetE1EEEvT1_
    .private_segment_fixed_size: 0
    .sgpr_count:     4
    .sgpr_spill_count: 0
    .symbol:         _ZN7rocprim17ROCPRIM_400000_NS6detail17trampoline_kernelINS0_14default_configENS1_20scan_config_selectorIN3c108BFloat16EEEZZNS1_9scan_implILNS1_25lookback_scan_determinismE0ELb0ELb0ES3_PKS6_PS6_S6_ZZZN2at6native31launch_logcumsumexp_cuda_kernelERKNSD_10TensorBaseESH_lENKUlvE_clEvENKUlvE4_clEvEUlS6_S6_E_S6_EEDaPvRmT3_T4_T5_mT6_P12ihipStream_tbENKUlT_T0_E_clISt17integral_constantIbLb1EESX_IbLb0EEEEDaST_SU_EUlST_E_NS1_11comp_targetILNS1_3genE9ELNS1_11target_archE1100ELNS1_3gpuE3ELNS1_3repE0EEENS1_30default_config_static_selectorELNS0_4arch9wavefront6targetE1EEEvT1_.kd
    .uniform_work_group_size: 1
    .uses_dynamic_stack: false
    .vgpr_count:     0
    .vgpr_spill_count: 0
    .wavefront_size: 64
  - .agpr_count:     0
    .args:
      - .offset:         0
        .size:           96
        .value_kind:     by_value
    .group_segment_fixed_size: 0
    .kernarg_segment_align: 8
    .kernarg_segment_size: 96
    .language:       OpenCL C
    .language_version:
      - 2
      - 0
    .max_flat_workgroup_size: 64
    .name:           _ZN7rocprim17ROCPRIM_400000_NS6detail17trampoline_kernelINS0_14default_configENS1_20scan_config_selectorIN3c108BFloat16EEEZZNS1_9scan_implILNS1_25lookback_scan_determinismE0ELb0ELb0ES3_PKS6_PS6_S6_ZZZN2at6native31launch_logcumsumexp_cuda_kernelERKNSD_10TensorBaseESH_lENKUlvE_clEvENKUlvE4_clEvEUlS6_S6_E_S6_EEDaPvRmT3_T4_T5_mT6_P12ihipStream_tbENKUlT_T0_E_clISt17integral_constantIbLb1EESX_IbLb0EEEEDaST_SU_EUlST_E_NS1_11comp_targetILNS1_3genE8ELNS1_11target_archE1030ELNS1_3gpuE2ELNS1_3repE0EEENS1_30default_config_static_selectorELNS0_4arch9wavefront6targetE1EEEvT1_
    .private_segment_fixed_size: 0
    .sgpr_count:     4
    .sgpr_spill_count: 0
    .symbol:         _ZN7rocprim17ROCPRIM_400000_NS6detail17trampoline_kernelINS0_14default_configENS1_20scan_config_selectorIN3c108BFloat16EEEZZNS1_9scan_implILNS1_25lookback_scan_determinismE0ELb0ELb0ES3_PKS6_PS6_S6_ZZZN2at6native31launch_logcumsumexp_cuda_kernelERKNSD_10TensorBaseESH_lENKUlvE_clEvENKUlvE4_clEvEUlS6_S6_E_S6_EEDaPvRmT3_T4_T5_mT6_P12ihipStream_tbENKUlT_T0_E_clISt17integral_constantIbLb1EESX_IbLb0EEEEDaST_SU_EUlST_E_NS1_11comp_targetILNS1_3genE8ELNS1_11target_archE1030ELNS1_3gpuE2ELNS1_3repE0EEENS1_30default_config_static_selectorELNS0_4arch9wavefront6targetE1EEEvT1_.kd
    .uniform_work_group_size: 1
    .uses_dynamic_stack: false
    .vgpr_count:     0
    .vgpr_spill_count: 0
    .wavefront_size: 64
  - .agpr_count:     0
    .args:
      - .offset:         0
        .size:           32
        .value_kind:     by_value
    .group_segment_fixed_size: 0
    .kernarg_segment_align: 8
    .kernarg_segment_size: 32
    .language:       OpenCL C
    .language_version:
      - 2
      - 0
    .max_flat_workgroup_size: 128
    .name:           _ZN7rocprim17ROCPRIM_400000_NS6detail17trampoline_kernelINS0_14default_configENS1_20scan_config_selectorIN3c108BFloat16EEEZZNS1_9scan_implILNS1_25lookback_scan_determinismE0ELb0ELb0ES3_PKS6_PS6_S6_ZZZN2at6native31launch_logcumsumexp_cuda_kernelERKNSD_10TensorBaseESH_lENKUlvE_clEvENKUlvE4_clEvEUlS6_S6_E_S6_EEDaPvRmT3_T4_T5_mT6_P12ihipStream_tbENKUlT_T0_E_clISt17integral_constantIbLb1EESX_IbLb0EEEEDaST_SU_EUlST_E0_NS1_11comp_targetILNS1_3genE0ELNS1_11target_archE4294967295ELNS1_3gpuE0ELNS1_3repE0EEENS1_30default_config_static_selectorELNS0_4arch9wavefront6targetE1EEEvT1_
    .private_segment_fixed_size: 0
    .sgpr_count:     4
    .sgpr_spill_count: 0
    .symbol:         _ZN7rocprim17ROCPRIM_400000_NS6detail17trampoline_kernelINS0_14default_configENS1_20scan_config_selectorIN3c108BFloat16EEEZZNS1_9scan_implILNS1_25lookback_scan_determinismE0ELb0ELb0ES3_PKS6_PS6_S6_ZZZN2at6native31launch_logcumsumexp_cuda_kernelERKNSD_10TensorBaseESH_lENKUlvE_clEvENKUlvE4_clEvEUlS6_S6_E_S6_EEDaPvRmT3_T4_T5_mT6_P12ihipStream_tbENKUlT_T0_E_clISt17integral_constantIbLb1EESX_IbLb0EEEEDaST_SU_EUlST_E0_NS1_11comp_targetILNS1_3genE0ELNS1_11target_archE4294967295ELNS1_3gpuE0ELNS1_3repE0EEENS1_30default_config_static_selectorELNS0_4arch9wavefront6targetE1EEEvT1_.kd
    .uniform_work_group_size: 1
    .uses_dynamic_stack: false
    .vgpr_count:     0
    .vgpr_spill_count: 0
    .wavefront_size: 64
  - .agpr_count:     0
    .args:
      - .offset:         0
        .size:           32
        .value_kind:     by_value
    .group_segment_fixed_size: 0
    .kernarg_segment_align: 8
    .kernarg_segment_size: 32
    .language:       OpenCL C
    .language_version:
      - 2
      - 0
    .max_flat_workgroup_size: 256
    .name:           _ZN7rocprim17ROCPRIM_400000_NS6detail17trampoline_kernelINS0_14default_configENS1_20scan_config_selectorIN3c108BFloat16EEEZZNS1_9scan_implILNS1_25lookback_scan_determinismE0ELb0ELb0ES3_PKS6_PS6_S6_ZZZN2at6native31launch_logcumsumexp_cuda_kernelERKNSD_10TensorBaseESH_lENKUlvE_clEvENKUlvE4_clEvEUlS6_S6_E_S6_EEDaPvRmT3_T4_T5_mT6_P12ihipStream_tbENKUlT_T0_E_clISt17integral_constantIbLb1EESX_IbLb0EEEEDaST_SU_EUlST_E0_NS1_11comp_targetILNS1_3genE5ELNS1_11target_archE942ELNS1_3gpuE9ELNS1_3repE0EEENS1_30default_config_static_selectorELNS0_4arch9wavefront6targetE1EEEvT1_
    .private_segment_fixed_size: 0
    .sgpr_count:     4
    .sgpr_spill_count: 0
    .symbol:         _ZN7rocprim17ROCPRIM_400000_NS6detail17trampoline_kernelINS0_14default_configENS1_20scan_config_selectorIN3c108BFloat16EEEZZNS1_9scan_implILNS1_25lookback_scan_determinismE0ELb0ELb0ES3_PKS6_PS6_S6_ZZZN2at6native31launch_logcumsumexp_cuda_kernelERKNSD_10TensorBaseESH_lENKUlvE_clEvENKUlvE4_clEvEUlS6_S6_E_S6_EEDaPvRmT3_T4_T5_mT6_P12ihipStream_tbENKUlT_T0_E_clISt17integral_constantIbLb1EESX_IbLb0EEEEDaST_SU_EUlST_E0_NS1_11comp_targetILNS1_3genE5ELNS1_11target_archE942ELNS1_3gpuE9ELNS1_3repE0EEENS1_30default_config_static_selectorELNS0_4arch9wavefront6targetE1EEEvT1_.kd
    .uniform_work_group_size: 1
    .uses_dynamic_stack: false
    .vgpr_count:     0
    .vgpr_spill_count: 0
    .wavefront_size: 64
  - .agpr_count:     0
    .args:
      - .offset:         0
        .size:           32
        .value_kind:     by_value
    .group_segment_fixed_size: 3072
    .kernarg_segment_align: 8
    .kernarg_segment_size: 32
    .language:       OpenCL C
    .language_version:
      - 2
      - 0
    .max_flat_workgroup_size: 64
    .name:           _ZN7rocprim17ROCPRIM_400000_NS6detail17trampoline_kernelINS0_14default_configENS1_20scan_config_selectorIN3c108BFloat16EEEZZNS1_9scan_implILNS1_25lookback_scan_determinismE0ELb0ELb0ES3_PKS6_PS6_S6_ZZZN2at6native31launch_logcumsumexp_cuda_kernelERKNSD_10TensorBaseESH_lENKUlvE_clEvENKUlvE4_clEvEUlS6_S6_E_S6_EEDaPvRmT3_T4_T5_mT6_P12ihipStream_tbENKUlT_T0_E_clISt17integral_constantIbLb1EESX_IbLb0EEEEDaST_SU_EUlST_E0_NS1_11comp_targetILNS1_3genE4ELNS1_11target_archE910ELNS1_3gpuE8ELNS1_3repE0EEENS1_30default_config_static_selectorELNS0_4arch9wavefront6targetE1EEEvT1_
    .private_segment_fixed_size: 0
    .sgpr_count:     100
    .sgpr_spill_count: 10
    .symbol:         _ZN7rocprim17ROCPRIM_400000_NS6detail17trampoline_kernelINS0_14default_configENS1_20scan_config_selectorIN3c108BFloat16EEEZZNS1_9scan_implILNS1_25lookback_scan_determinismE0ELb0ELb0ES3_PKS6_PS6_S6_ZZZN2at6native31launch_logcumsumexp_cuda_kernelERKNSD_10TensorBaseESH_lENKUlvE_clEvENKUlvE4_clEvEUlS6_S6_E_S6_EEDaPvRmT3_T4_T5_mT6_P12ihipStream_tbENKUlT_T0_E_clISt17integral_constantIbLb1EESX_IbLb0EEEEDaST_SU_EUlST_E0_NS1_11comp_targetILNS1_3genE4ELNS1_11target_archE910ELNS1_3gpuE8ELNS1_3repE0EEENS1_30default_config_static_selectorELNS0_4arch9wavefront6targetE1EEEvT1_.kd
    .uniform_work_group_size: 1
    .uses_dynamic_stack: false
    .vgpr_count:     76
    .vgpr_spill_count: 0
    .wavefront_size: 64
  - .agpr_count:     0
    .args:
      - .offset:         0
        .size:           32
        .value_kind:     by_value
    .group_segment_fixed_size: 0
    .kernarg_segment_align: 8
    .kernarg_segment_size: 32
    .language:       OpenCL C
    .language_version:
      - 2
      - 0
    .max_flat_workgroup_size: 128
    .name:           _ZN7rocprim17ROCPRIM_400000_NS6detail17trampoline_kernelINS0_14default_configENS1_20scan_config_selectorIN3c108BFloat16EEEZZNS1_9scan_implILNS1_25lookback_scan_determinismE0ELb0ELb0ES3_PKS6_PS6_S6_ZZZN2at6native31launch_logcumsumexp_cuda_kernelERKNSD_10TensorBaseESH_lENKUlvE_clEvENKUlvE4_clEvEUlS6_S6_E_S6_EEDaPvRmT3_T4_T5_mT6_P12ihipStream_tbENKUlT_T0_E_clISt17integral_constantIbLb1EESX_IbLb0EEEEDaST_SU_EUlST_E0_NS1_11comp_targetILNS1_3genE3ELNS1_11target_archE908ELNS1_3gpuE7ELNS1_3repE0EEENS1_30default_config_static_selectorELNS0_4arch9wavefront6targetE1EEEvT1_
    .private_segment_fixed_size: 0
    .sgpr_count:     4
    .sgpr_spill_count: 0
    .symbol:         _ZN7rocprim17ROCPRIM_400000_NS6detail17trampoline_kernelINS0_14default_configENS1_20scan_config_selectorIN3c108BFloat16EEEZZNS1_9scan_implILNS1_25lookback_scan_determinismE0ELb0ELb0ES3_PKS6_PS6_S6_ZZZN2at6native31launch_logcumsumexp_cuda_kernelERKNSD_10TensorBaseESH_lENKUlvE_clEvENKUlvE4_clEvEUlS6_S6_E_S6_EEDaPvRmT3_T4_T5_mT6_P12ihipStream_tbENKUlT_T0_E_clISt17integral_constantIbLb1EESX_IbLb0EEEEDaST_SU_EUlST_E0_NS1_11comp_targetILNS1_3genE3ELNS1_11target_archE908ELNS1_3gpuE7ELNS1_3repE0EEENS1_30default_config_static_selectorELNS0_4arch9wavefront6targetE1EEEvT1_.kd
    .uniform_work_group_size: 1
    .uses_dynamic_stack: false
    .vgpr_count:     0
    .vgpr_spill_count: 0
    .wavefront_size: 64
  - .agpr_count:     0
    .args:
      - .offset:         0
        .size:           32
        .value_kind:     by_value
    .group_segment_fixed_size: 0
    .kernarg_segment_align: 8
    .kernarg_segment_size: 32
    .language:       OpenCL C
    .language_version:
      - 2
      - 0
    .max_flat_workgroup_size: 256
    .name:           _ZN7rocprim17ROCPRIM_400000_NS6detail17trampoline_kernelINS0_14default_configENS1_20scan_config_selectorIN3c108BFloat16EEEZZNS1_9scan_implILNS1_25lookback_scan_determinismE0ELb0ELb0ES3_PKS6_PS6_S6_ZZZN2at6native31launch_logcumsumexp_cuda_kernelERKNSD_10TensorBaseESH_lENKUlvE_clEvENKUlvE4_clEvEUlS6_S6_E_S6_EEDaPvRmT3_T4_T5_mT6_P12ihipStream_tbENKUlT_T0_E_clISt17integral_constantIbLb1EESX_IbLb0EEEEDaST_SU_EUlST_E0_NS1_11comp_targetILNS1_3genE2ELNS1_11target_archE906ELNS1_3gpuE6ELNS1_3repE0EEENS1_30default_config_static_selectorELNS0_4arch9wavefront6targetE1EEEvT1_
    .private_segment_fixed_size: 0
    .sgpr_count:     4
    .sgpr_spill_count: 0
    .symbol:         _ZN7rocprim17ROCPRIM_400000_NS6detail17trampoline_kernelINS0_14default_configENS1_20scan_config_selectorIN3c108BFloat16EEEZZNS1_9scan_implILNS1_25lookback_scan_determinismE0ELb0ELb0ES3_PKS6_PS6_S6_ZZZN2at6native31launch_logcumsumexp_cuda_kernelERKNSD_10TensorBaseESH_lENKUlvE_clEvENKUlvE4_clEvEUlS6_S6_E_S6_EEDaPvRmT3_T4_T5_mT6_P12ihipStream_tbENKUlT_T0_E_clISt17integral_constantIbLb1EESX_IbLb0EEEEDaST_SU_EUlST_E0_NS1_11comp_targetILNS1_3genE2ELNS1_11target_archE906ELNS1_3gpuE6ELNS1_3repE0EEENS1_30default_config_static_selectorELNS0_4arch9wavefront6targetE1EEEvT1_.kd
    .uniform_work_group_size: 1
    .uses_dynamic_stack: false
    .vgpr_count:     0
    .vgpr_spill_count: 0
    .wavefront_size: 64
  - .agpr_count:     0
    .args:
      - .offset:         0
        .size:           32
        .value_kind:     by_value
    .group_segment_fixed_size: 0
    .kernarg_segment_align: 8
    .kernarg_segment_size: 32
    .language:       OpenCL C
    .language_version:
      - 2
      - 0
    .max_flat_workgroup_size: 256
    .name:           _ZN7rocprim17ROCPRIM_400000_NS6detail17trampoline_kernelINS0_14default_configENS1_20scan_config_selectorIN3c108BFloat16EEEZZNS1_9scan_implILNS1_25lookback_scan_determinismE0ELb0ELb0ES3_PKS6_PS6_S6_ZZZN2at6native31launch_logcumsumexp_cuda_kernelERKNSD_10TensorBaseESH_lENKUlvE_clEvENKUlvE4_clEvEUlS6_S6_E_S6_EEDaPvRmT3_T4_T5_mT6_P12ihipStream_tbENKUlT_T0_E_clISt17integral_constantIbLb1EESX_IbLb0EEEEDaST_SU_EUlST_E0_NS1_11comp_targetILNS1_3genE10ELNS1_11target_archE1201ELNS1_3gpuE5ELNS1_3repE0EEENS1_30default_config_static_selectorELNS0_4arch9wavefront6targetE1EEEvT1_
    .private_segment_fixed_size: 0
    .sgpr_count:     4
    .sgpr_spill_count: 0
    .symbol:         _ZN7rocprim17ROCPRIM_400000_NS6detail17trampoline_kernelINS0_14default_configENS1_20scan_config_selectorIN3c108BFloat16EEEZZNS1_9scan_implILNS1_25lookback_scan_determinismE0ELb0ELb0ES3_PKS6_PS6_S6_ZZZN2at6native31launch_logcumsumexp_cuda_kernelERKNSD_10TensorBaseESH_lENKUlvE_clEvENKUlvE4_clEvEUlS6_S6_E_S6_EEDaPvRmT3_T4_T5_mT6_P12ihipStream_tbENKUlT_T0_E_clISt17integral_constantIbLb1EESX_IbLb0EEEEDaST_SU_EUlST_E0_NS1_11comp_targetILNS1_3genE10ELNS1_11target_archE1201ELNS1_3gpuE5ELNS1_3repE0EEENS1_30default_config_static_selectorELNS0_4arch9wavefront6targetE1EEEvT1_.kd
    .uniform_work_group_size: 1
    .uses_dynamic_stack: false
    .vgpr_count:     0
    .vgpr_spill_count: 0
    .wavefront_size: 64
  - .agpr_count:     0
    .args:
      - .offset:         0
        .size:           32
        .value_kind:     by_value
    .group_segment_fixed_size: 0
    .kernarg_segment_align: 8
    .kernarg_segment_size: 32
    .language:       OpenCL C
    .language_version:
      - 2
      - 0
    .max_flat_workgroup_size: 256
    .name:           _ZN7rocprim17ROCPRIM_400000_NS6detail17trampoline_kernelINS0_14default_configENS1_20scan_config_selectorIN3c108BFloat16EEEZZNS1_9scan_implILNS1_25lookback_scan_determinismE0ELb0ELb0ES3_PKS6_PS6_S6_ZZZN2at6native31launch_logcumsumexp_cuda_kernelERKNSD_10TensorBaseESH_lENKUlvE_clEvENKUlvE4_clEvEUlS6_S6_E_S6_EEDaPvRmT3_T4_T5_mT6_P12ihipStream_tbENKUlT_T0_E_clISt17integral_constantIbLb1EESX_IbLb0EEEEDaST_SU_EUlST_E0_NS1_11comp_targetILNS1_3genE10ELNS1_11target_archE1200ELNS1_3gpuE4ELNS1_3repE0EEENS1_30default_config_static_selectorELNS0_4arch9wavefront6targetE1EEEvT1_
    .private_segment_fixed_size: 0
    .sgpr_count:     4
    .sgpr_spill_count: 0
    .symbol:         _ZN7rocprim17ROCPRIM_400000_NS6detail17trampoline_kernelINS0_14default_configENS1_20scan_config_selectorIN3c108BFloat16EEEZZNS1_9scan_implILNS1_25lookback_scan_determinismE0ELb0ELb0ES3_PKS6_PS6_S6_ZZZN2at6native31launch_logcumsumexp_cuda_kernelERKNSD_10TensorBaseESH_lENKUlvE_clEvENKUlvE4_clEvEUlS6_S6_E_S6_EEDaPvRmT3_T4_T5_mT6_P12ihipStream_tbENKUlT_T0_E_clISt17integral_constantIbLb1EESX_IbLb0EEEEDaST_SU_EUlST_E0_NS1_11comp_targetILNS1_3genE10ELNS1_11target_archE1200ELNS1_3gpuE4ELNS1_3repE0EEENS1_30default_config_static_selectorELNS0_4arch9wavefront6targetE1EEEvT1_.kd
    .uniform_work_group_size: 1
    .uses_dynamic_stack: false
    .vgpr_count:     0
    .vgpr_spill_count: 0
    .wavefront_size: 64
  - .agpr_count:     0
    .args:
      - .offset:         0
        .size:           32
        .value_kind:     by_value
    .group_segment_fixed_size: 0
    .kernarg_segment_align: 8
    .kernarg_segment_size: 32
    .language:       OpenCL C
    .language_version:
      - 2
      - 0
    .max_flat_workgroup_size: 64
    .name:           _ZN7rocprim17ROCPRIM_400000_NS6detail17trampoline_kernelINS0_14default_configENS1_20scan_config_selectorIN3c108BFloat16EEEZZNS1_9scan_implILNS1_25lookback_scan_determinismE0ELb0ELb0ES3_PKS6_PS6_S6_ZZZN2at6native31launch_logcumsumexp_cuda_kernelERKNSD_10TensorBaseESH_lENKUlvE_clEvENKUlvE4_clEvEUlS6_S6_E_S6_EEDaPvRmT3_T4_T5_mT6_P12ihipStream_tbENKUlT_T0_E_clISt17integral_constantIbLb1EESX_IbLb0EEEEDaST_SU_EUlST_E0_NS1_11comp_targetILNS1_3genE9ELNS1_11target_archE1100ELNS1_3gpuE3ELNS1_3repE0EEENS1_30default_config_static_selectorELNS0_4arch9wavefront6targetE1EEEvT1_
    .private_segment_fixed_size: 0
    .sgpr_count:     4
    .sgpr_spill_count: 0
    .symbol:         _ZN7rocprim17ROCPRIM_400000_NS6detail17trampoline_kernelINS0_14default_configENS1_20scan_config_selectorIN3c108BFloat16EEEZZNS1_9scan_implILNS1_25lookback_scan_determinismE0ELb0ELb0ES3_PKS6_PS6_S6_ZZZN2at6native31launch_logcumsumexp_cuda_kernelERKNSD_10TensorBaseESH_lENKUlvE_clEvENKUlvE4_clEvEUlS6_S6_E_S6_EEDaPvRmT3_T4_T5_mT6_P12ihipStream_tbENKUlT_T0_E_clISt17integral_constantIbLb1EESX_IbLb0EEEEDaST_SU_EUlST_E0_NS1_11comp_targetILNS1_3genE9ELNS1_11target_archE1100ELNS1_3gpuE3ELNS1_3repE0EEENS1_30default_config_static_selectorELNS0_4arch9wavefront6targetE1EEEvT1_.kd
    .uniform_work_group_size: 1
    .uses_dynamic_stack: false
    .vgpr_count:     0
    .vgpr_spill_count: 0
    .wavefront_size: 64
  - .agpr_count:     0
    .args:
      - .offset:         0
        .size:           32
        .value_kind:     by_value
    .group_segment_fixed_size: 0
    .kernarg_segment_align: 8
    .kernarg_segment_size: 32
    .language:       OpenCL C
    .language_version:
      - 2
      - 0
    .max_flat_workgroup_size: 64
    .name:           _ZN7rocprim17ROCPRIM_400000_NS6detail17trampoline_kernelINS0_14default_configENS1_20scan_config_selectorIN3c108BFloat16EEEZZNS1_9scan_implILNS1_25lookback_scan_determinismE0ELb0ELb0ES3_PKS6_PS6_S6_ZZZN2at6native31launch_logcumsumexp_cuda_kernelERKNSD_10TensorBaseESH_lENKUlvE_clEvENKUlvE4_clEvEUlS6_S6_E_S6_EEDaPvRmT3_T4_T5_mT6_P12ihipStream_tbENKUlT_T0_E_clISt17integral_constantIbLb1EESX_IbLb0EEEEDaST_SU_EUlST_E0_NS1_11comp_targetILNS1_3genE8ELNS1_11target_archE1030ELNS1_3gpuE2ELNS1_3repE0EEENS1_30default_config_static_selectorELNS0_4arch9wavefront6targetE1EEEvT1_
    .private_segment_fixed_size: 0
    .sgpr_count:     4
    .sgpr_spill_count: 0
    .symbol:         _ZN7rocprim17ROCPRIM_400000_NS6detail17trampoline_kernelINS0_14default_configENS1_20scan_config_selectorIN3c108BFloat16EEEZZNS1_9scan_implILNS1_25lookback_scan_determinismE0ELb0ELb0ES3_PKS6_PS6_S6_ZZZN2at6native31launch_logcumsumexp_cuda_kernelERKNSD_10TensorBaseESH_lENKUlvE_clEvENKUlvE4_clEvEUlS6_S6_E_S6_EEDaPvRmT3_T4_T5_mT6_P12ihipStream_tbENKUlT_T0_E_clISt17integral_constantIbLb1EESX_IbLb0EEEEDaST_SU_EUlST_E0_NS1_11comp_targetILNS1_3genE8ELNS1_11target_archE1030ELNS1_3gpuE2ELNS1_3repE0EEENS1_30default_config_static_selectorELNS0_4arch9wavefront6targetE1EEEvT1_.kd
    .uniform_work_group_size: 1
    .uses_dynamic_stack: false
    .vgpr_count:     0
    .vgpr_spill_count: 0
    .wavefront_size: 64
  - .agpr_count:     0
    .args:
      - .address_space:  global
        .offset:         0
        .size:           8
        .value_kind:     global_buffer
      - .offset:         8
        .size:           4
        .value_kind:     by_value
      - .address_space:  global
        .offset:         16
        .size:           8
        .value_kind:     global_buffer
      - .offset:         24
        .size:           4
        .value_kind:     by_value
      - .address_space:  global
        .offset:         32
        .size:           8
        .value_kind:     global_buffer
      - .offset:         40
        .size:           4
        .value_kind:     hidden_block_count_x
      - .offset:         44
        .size:           4
        .value_kind:     hidden_block_count_y
      - .offset:         48
        .size:           4
        .value_kind:     hidden_block_count_z
      - .offset:         52
        .size:           2
        .value_kind:     hidden_group_size_x
      - .offset:         54
        .size:           2
        .value_kind:     hidden_group_size_y
      - .offset:         56
        .size:           2
        .value_kind:     hidden_group_size_z
      - .offset:         58
        .size:           2
        .value_kind:     hidden_remainder_x
      - .offset:         60
        .size:           2
        .value_kind:     hidden_remainder_y
      - .offset:         62
        .size:           2
        .value_kind:     hidden_remainder_z
      - .offset:         80
        .size:           8
        .value_kind:     hidden_global_offset_x
      - .offset:         88
        .size:           8
        .value_kind:     hidden_global_offset_y
      - .offset:         96
        .size:           8
        .value_kind:     hidden_global_offset_z
      - .offset:         104
        .size:           2
        .value_kind:     hidden_grid_dims
    .group_segment_fixed_size: 0
    .kernarg_segment_align: 8
    .kernarg_segment_size: 296
    .language:       OpenCL C
    .language_version:
      - 2
      - 0
    .max_flat_workgroup_size: 256
    .name:           _ZN7rocprim17ROCPRIM_400000_NS6detail31init_lookback_scan_state_kernelINS1_19lookback_scan_stateIN3c108BFloat16ELb0ELb1EEENS1_16block_id_wrapperIjLb1EEEEEvT_jT0_jPNS9_10value_typeE
    .private_segment_fixed_size: 0
    .sgpr_count:     15
    .sgpr_spill_count: 0
    .symbol:         _ZN7rocprim17ROCPRIM_400000_NS6detail31init_lookback_scan_state_kernelINS1_19lookback_scan_stateIN3c108BFloat16ELb0ELb1EEENS1_16block_id_wrapperIjLb1EEEEEvT_jT0_jPNS9_10value_typeE.kd
    .uniform_work_group_size: 1
    .uses_dynamic_stack: false
    .vgpr_count:     6
    .vgpr_spill_count: 0
    .wavefront_size: 64
  - .agpr_count:     0
    .args:
      - .offset:         0
        .size:           96
        .value_kind:     by_value
    .group_segment_fixed_size: 0
    .kernarg_segment_align: 8
    .kernarg_segment_size: 96
    .language:       OpenCL C
    .language_version:
      - 2
      - 0
    .max_flat_workgroup_size: 128
    .name:           _ZN7rocprim17ROCPRIM_400000_NS6detail17trampoline_kernelINS0_14default_configENS1_20scan_config_selectorIN3c108BFloat16EEEZZNS1_9scan_implILNS1_25lookback_scan_determinismE0ELb0ELb0ES3_PKS6_PS6_S6_ZZZN2at6native31launch_logcumsumexp_cuda_kernelERKNSD_10TensorBaseESH_lENKUlvE_clEvENKUlvE4_clEvEUlS6_S6_E_S6_EEDaPvRmT3_T4_T5_mT6_P12ihipStream_tbENKUlT_T0_E_clISt17integral_constantIbLb0EESX_IbLb1EEEEDaST_SU_EUlST_E_NS1_11comp_targetILNS1_3genE0ELNS1_11target_archE4294967295ELNS1_3gpuE0ELNS1_3repE0EEENS1_30default_config_static_selectorELNS0_4arch9wavefront6targetE1EEEvT1_
    .private_segment_fixed_size: 0
    .sgpr_count:     4
    .sgpr_spill_count: 0
    .symbol:         _ZN7rocprim17ROCPRIM_400000_NS6detail17trampoline_kernelINS0_14default_configENS1_20scan_config_selectorIN3c108BFloat16EEEZZNS1_9scan_implILNS1_25lookback_scan_determinismE0ELb0ELb0ES3_PKS6_PS6_S6_ZZZN2at6native31launch_logcumsumexp_cuda_kernelERKNSD_10TensorBaseESH_lENKUlvE_clEvENKUlvE4_clEvEUlS6_S6_E_S6_EEDaPvRmT3_T4_T5_mT6_P12ihipStream_tbENKUlT_T0_E_clISt17integral_constantIbLb0EESX_IbLb1EEEEDaST_SU_EUlST_E_NS1_11comp_targetILNS1_3genE0ELNS1_11target_archE4294967295ELNS1_3gpuE0ELNS1_3repE0EEENS1_30default_config_static_selectorELNS0_4arch9wavefront6targetE1EEEvT1_.kd
    .uniform_work_group_size: 1
    .uses_dynamic_stack: false
    .vgpr_count:     0
    .vgpr_spill_count: 0
    .wavefront_size: 64
  - .agpr_count:     0
    .args:
      - .offset:         0
        .size:           96
        .value_kind:     by_value
    .group_segment_fixed_size: 0
    .kernarg_segment_align: 8
    .kernarg_segment_size: 96
    .language:       OpenCL C
    .language_version:
      - 2
      - 0
    .max_flat_workgroup_size: 256
    .name:           _ZN7rocprim17ROCPRIM_400000_NS6detail17trampoline_kernelINS0_14default_configENS1_20scan_config_selectorIN3c108BFloat16EEEZZNS1_9scan_implILNS1_25lookback_scan_determinismE0ELb0ELb0ES3_PKS6_PS6_S6_ZZZN2at6native31launch_logcumsumexp_cuda_kernelERKNSD_10TensorBaseESH_lENKUlvE_clEvENKUlvE4_clEvEUlS6_S6_E_S6_EEDaPvRmT3_T4_T5_mT6_P12ihipStream_tbENKUlT_T0_E_clISt17integral_constantIbLb0EESX_IbLb1EEEEDaST_SU_EUlST_E_NS1_11comp_targetILNS1_3genE5ELNS1_11target_archE942ELNS1_3gpuE9ELNS1_3repE0EEENS1_30default_config_static_selectorELNS0_4arch9wavefront6targetE1EEEvT1_
    .private_segment_fixed_size: 0
    .sgpr_count:     4
    .sgpr_spill_count: 0
    .symbol:         _ZN7rocprim17ROCPRIM_400000_NS6detail17trampoline_kernelINS0_14default_configENS1_20scan_config_selectorIN3c108BFloat16EEEZZNS1_9scan_implILNS1_25lookback_scan_determinismE0ELb0ELb0ES3_PKS6_PS6_S6_ZZZN2at6native31launch_logcumsumexp_cuda_kernelERKNSD_10TensorBaseESH_lENKUlvE_clEvENKUlvE4_clEvEUlS6_S6_E_S6_EEDaPvRmT3_T4_T5_mT6_P12ihipStream_tbENKUlT_T0_E_clISt17integral_constantIbLb0EESX_IbLb1EEEEDaST_SU_EUlST_E_NS1_11comp_targetILNS1_3genE5ELNS1_11target_archE942ELNS1_3gpuE9ELNS1_3repE0EEENS1_30default_config_static_selectorELNS0_4arch9wavefront6targetE1EEEvT1_.kd
    .uniform_work_group_size: 1
    .uses_dynamic_stack: false
    .vgpr_count:     0
    .vgpr_spill_count: 0
    .wavefront_size: 64
  - .agpr_count:     0
    .args:
      - .offset:         0
        .size:           96
        .value_kind:     by_value
      - .offset:         96
        .size:           4
        .value_kind:     hidden_block_count_x
      - .offset:         100
        .size:           4
        .value_kind:     hidden_block_count_y
      - .offset:         104
        .size:           4
        .value_kind:     hidden_block_count_z
      - .offset:         108
        .size:           2
        .value_kind:     hidden_group_size_x
      - .offset:         110
        .size:           2
        .value_kind:     hidden_group_size_y
      - .offset:         112
        .size:           2
        .value_kind:     hidden_group_size_z
      - .offset:         114
        .size:           2
        .value_kind:     hidden_remainder_x
      - .offset:         116
        .size:           2
        .value_kind:     hidden_remainder_y
      - .offset:         118
        .size:           2
        .value_kind:     hidden_remainder_z
      - .offset:         136
        .size:           8
        .value_kind:     hidden_global_offset_x
      - .offset:         144
        .size:           8
        .value_kind:     hidden_global_offset_y
      - .offset:         152
        .size:           8
        .value_kind:     hidden_global_offset_z
      - .offset:         160
        .size:           2
        .value_kind:     hidden_grid_dims
    .group_segment_fixed_size: 3072
    .kernarg_segment_align: 8
    .kernarg_segment_size: 352
    .language:       OpenCL C
    .language_version:
      - 2
      - 0
    .max_flat_workgroup_size: 64
    .name:           _ZN7rocprim17ROCPRIM_400000_NS6detail17trampoline_kernelINS0_14default_configENS1_20scan_config_selectorIN3c108BFloat16EEEZZNS1_9scan_implILNS1_25lookback_scan_determinismE0ELb0ELb0ES3_PKS6_PS6_S6_ZZZN2at6native31launch_logcumsumexp_cuda_kernelERKNSD_10TensorBaseESH_lENKUlvE_clEvENKUlvE4_clEvEUlS6_S6_E_S6_EEDaPvRmT3_T4_T5_mT6_P12ihipStream_tbENKUlT_T0_E_clISt17integral_constantIbLb0EESX_IbLb1EEEEDaST_SU_EUlST_E_NS1_11comp_targetILNS1_3genE4ELNS1_11target_archE910ELNS1_3gpuE8ELNS1_3repE0EEENS1_30default_config_static_selectorELNS0_4arch9wavefront6targetE1EEEvT1_
    .private_segment_fixed_size: 120
    .sgpr_count:     86
    .sgpr_spill_count: 0
    .symbol:         _ZN7rocprim17ROCPRIM_400000_NS6detail17trampoline_kernelINS0_14default_configENS1_20scan_config_selectorIN3c108BFloat16EEEZZNS1_9scan_implILNS1_25lookback_scan_determinismE0ELb0ELb0ES3_PKS6_PS6_S6_ZZZN2at6native31launch_logcumsumexp_cuda_kernelERKNSD_10TensorBaseESH_lENKUlvE_clEvENKUlvE4_clEvEUlS6_S6_E_S6_EEDaPvRmT3_T4_T5_mT6_P12ihipStream_tbENKUlT_T0_E_clISt17integral_constantIbLb0EESX_IbLb1EEEEDaST_SU_EUlST_E_NS1_11comp_targetILNS1_3genE4ELNS1_11target_archE910ELNS1_3gpuE8ELNS1_3repE0EEENS1_30default_config_static_selectorELNS0_4arch9wavefront6targetE1EEEvT1_.kd
    .uniform_work_group_size: 1
    .uses_dynamic_stack: false
    .vgpr_count:     215
    .vgpr_spill_count: 0
    .wavefront_size: 64
  - .agpr_count:     0
    .args:
      - .offset:         0
        .size:           96
        .value_kind:     by_value
    .group_segment_fixed_size: 0
    .kernarg_segment_align: 8
    .kernarg_segment_size: 96
    .language:       OpenCL C
    .language_version:
      - 2
      - 0
    .max_flat_workgroup_size: 128
    .name:           _ZN7rocprim17ROCPRIM_400000_NS6detail17trampoline_kernelINS0_14default_configENS1_20scan_config_selectorIN3c108BFloat16EEEZZNS1_9scan_implILNS1_25lookback_scan_determinismE0ELb0ELb0ES3_PKS6_PS6_S6_ZZZN2at6native31launch_logcumsumexp_cuda_kernelERKNSD_10TensorBaseESH_lENKUlvE_clEvENKUlvE4_clEvEUlS6_S6_E_S6_EEDaPvRmT3_T4_T5_mT6_P12ihipStream_tbENKUlT_T0_E_clISt17integral_constantIbLb0EESX_IbLb1EEEEDaST_SU_EUlST_E_NS1_11comp_targetILNS1_3genE3ELNS1_11target_archE908ELNS1_3gpuE7ELNS1_3repE0EEENS1_30default_config_static_selectorELNS0_4arch9wavefront6targetE1EEEvT1_
    .private_segment_fixed_size: 0
    .sgpr_count:     4
    .sgpr_spill_count: 0
    .symbol:         _ZN7rocprim17ROCPRIM_400000_NS6detail17trampoline_kernelINS0_14default_configENS1_20scan_config_selectorIN3c108BFloat16EEEZZNS1_9scan_implILNS1_25lookback_scan_determinismE0ELb0ELb0ES3_PKS6_PS6_S6_ZZZN2at6native31launch_logcumsumexp_cuda_kernelERKNSD_10TensorBaseESH_lENKUlvE_clEvENKUlvE4_clEvEUlS6_S6_E_S6_EEDaPvRmT3_T4_T5_mT6_P12ihipStream_tbENKUlT_T0_E_clISt17integral_constantIbLb0EESX_IbLb1EEEEDaST_SU_EUlST_E_NS1_11comp_targetILNS1_3genE3ELNS1_11target_archE908ELNS1_3gpuE7ELNS1_3repE0EEENS1_30default_config_static_selectorELNS0_4arch9wavefront6targetE1EEEvT1_.kd
    .uniform_work_group_size: 1
    .uses_dynamic_stack: false
    .vgpr_count:     0
    .vgpr_spill_count: 0
    .wavefront_size: 64
  - .agpr_count:     0
    .args:
      - .offset:         0
        .size:           96
        .value_kind:     by_value
    .group_segment_fixed_size: 0
    .kernarg_segment_align: 8
    .kernarg_segment_size: 96
    .language:       OpenCL C
    .language_version:
      - 2
      - 0
    .max_flat_workgroup_size: 256
    .name:           _ZN7rocprim17ROCPRIM_400000_NS6detail17trampoline_kernelINS0_14default_configENS1_20scan_config_selectorIN3c108BFloat16EEEZZNS1_9scan_implILNS1_25lookback_scan_determinismE0ELb0ELb0ES3_PKS6_PS6_S6_ZZZN2at6native31launch_logcumsumexp_cuda_kernelERKNSD_10TensorBaseESH_lENKUlvE_clEvENKUlvE4_clEvEUlS6_S6_E_S6_EEDaPvRmT3_T4_T5_mT6_P12ihipStream_tbENKUlT_T0_E_clISt17integral_constantIbLb0EESX_IbLb1EEEEDaST_SU_EUlST_E_NS1_11comp_targetILNS1_3genE2ELNS1_11target_archE906ELNS1_3gpuE6ELNS1_3repE0EEENS1_30default_config_static_selectorELNS0_4arch9wavefront6targetE1EEEvT1_
    .private_segment_fixed_size: 0
    .sgpr_count:     4
    .sgpr_spill_count: 0
    .symbol:         _ZN7rocprim17ROCPRIM_400000_NS6detail17trampoline_kernelINS0_14default_configENS1_20scan_config_selectorIN3c108BFloat16EEEZZNS1_9scan_implILNS1_25lookback_scan_determinismE0ELb0ELb0ES3_PKS6_PS6_S6_ZZZN2at6native31launch_logcumsumexp_cuda_kernelERKNSD_10TensorBaseESH_lENKUlvE_clEvENKUlvE4_clEvEUlS6_S6_E_S6_EEDaPvRmT3_T4_T5_mT6_P12ihipStream_tbENKUlT_T0_E_clISt17integral_constantIbLb0EESX_IbLb1EEEEDaST_SU_EUlST_E_NS1_11comp_targetILNS1_3genE2ELNS1_11target_archE906ELNS1_3gpuE6ELNS1_3repE0EEENS1_30default_config_static_selectorELNS0_4arch9wavefront6targetE1EEEvT1_.kd
    .uniform_work_group_size: 1
    .uses_dynamic_stack: false
    .vgpr_count:     0
    .vgpr_spill_count: 0
    .wavefront_size: 64
  - .agpr_count:     0
    .args:
      - .offset:         0
        .size:           96
        .value_kind:     by_value
    .group_segment_fixed_size: 0
    .kernarg_segment_align: 8
    .kernarg_segment_size: 96
    .language:       OpenCL C
    .language_version:
      - 2
      - 0
    .max_flat_workgroup_size: 256
    .name:           _ZN7rocprim17ROCPRIM_400000_NS6detail17trampoline_kernelINS0_14default_configENS1_20scan_config_selectorIN3c108BFloat16EEEZZNS1_9scan_implILNS1_25lookback_scan_determinismE0ELb0ELb0ES3_PKS6_PS6_S6_ZZZN2at6native31launch_logcumsumexp_cuda_kernelERKNSD_10TensorBaseESH_lENKUlvE_clEvENKUlvE4_clEvEUlS6_S6_E_S6_EEDaPvRmT3_T4_T5_mT6_P12ihipStream_tbENKUlT_T0_E_clISt17integral_constantIbLb0EESX_IbLb1EEEEDaST_SU_EUlST_E_NS1_11comp_targetILNS1_3genE10ELNS1_11target_archE1201ELNS1_3gpuE5ELNS1_3repE0EEENS1_30default_config_static_selectorELNS0_4arch9wavefront6targetE1EEEvT1_
    .private_segment_fixed_size: 0
    .sgpr_count:     4
    .sgpr_spill_count: 0
    .symbol:         _ZN7rocprim17ROCPRIM_400000_NS6detail17trampoline_kernelINS0_14default_configENS1_20scan_config_selectorIN3c108BFloat16EEEZZNS1_9scan_implILNS1_25lookback_scan_determinismE0ELb0ELb0ES3_PKS6_PS6_S6_ZZZN2at6native31launch_logcumsumexp_cuda_kernelERKNSD_10TensorBaseESH_lENKUlvE_clEvENKUlvE4_clEvEUlS6_S6_E_S6_EEDaPvRmT3_T4_T5_mT6_P12ihipStream_tbENKUlT_T0_E_clISt17integral_constantIbLb0EESX_IbLb1EEEEDaST_SU_EUlST_E_NS1_11comp_targetILNS1_3genE10ELNS1_11target_archE1201ELNS1_3gpuE5ELNS1_3repE0EEENS1_30default_config_static_selectorELNS0_4arch9wavefront6targetE1EEEvT1_.kd
    .uniform_work_group_size: 1
    .uses_dynamic_stack: false
    .vgpr_count:     0
    .vgpr_spill_count: 0
    .wavefront_size: 64
  - .agpr_count:     0
    .args:
      - .offset:         0
        .size:           96
        .value_kind:     by_value
    .group_segment_fixed_size: 0
    .kernarg_segment_align: 8
    .kernarg_segment_size: 96
    .language:       OpenCL C
    .language_version:
      - 2
      - 0
    .max_flat_workgroup_size: 256
    .name:           _ZN7rocprim17ROCPRIM_400000_NS6detail17trampoline_kernelINS0_14default_configENS1_20scan_config_selectorIN3c108BFloat16EEEZZNS1_9scan_implILNS1_25lookback_scan_determinismE0ELb0ELb0ES3_PKS6_PS6_S6_ZZZN2at6native31launch_logcumsumexp_cuda_kernelERKNSD_10TensorBaseESH_lENKUlvE_clEvENKUlvE4_clEvEUlS6_S6_E_S6_EEDaPvRmT3_T4_T5_mT6_P12ihipStream_tbENKUlT_T0_E_clISt17integral_constantIbLb0EESX_IbLb1EEEEDaST_SU_EUlST_E_NS1_11comp_targetILNS1_3genE10ELNS1_11target_archE1200ELNS1_3gpuE4ELNS1_3repE0EEENS1_30default_config_static_selectorELNS0_4arch9wavefront6targetE1EEEvT1_
    .private_segment_fixed_size: 0
    .sgpr_count:     4
    .sgpr_spill_count: 0
    .symbol:         _ZN7rocprim17ROCPRIM_400000_NS6detail17trampoline_kernelINS0_14default_configENS1_20scan_config_selectorIN3c108BFloat16EEEZZNS1_9scan_implILNS1_25lookback_scan_determinismE0ELb0ELb0ES3_PKS6_PS6_S6_ZZZN2at6native31launch_logcumsumexp_cuda_kernelERKNSD_10TensorBaseESH_lENKUlvE_clEvENKUlvE4_clEvEUlS6_S6_E_S6_EEDaPvRmT3_T4_T5_mT6_P12ihipStream_tbENKUlT_T0_E_clISt17integral_constantIbLb0EESX_IbLb1EEEEDaST_SU_EUlST_E_NS1_11comp_targetILNS1_3genE10ELNS1_11target_archE1200ELNS1_3gpuE4ELNS1_3repE0EEENS1_30default_config_static_selectorELNS0_4arch9wavefront6targetE1EEEvT1_.kd
    .uniform_work_group_size: 1
    .uses_dynamic_stack: false
    .vgpr_count:     0
    .vgpr_spill_count: 0
    .wavefront_size: 64
  - .agpr_count:     0
    .args:
      - .offset:         0
        .size:           96
        .value_kind:     by_value
    .group_segment_fixed_size: 0
    .kernarg_segment_align: 8
    .kernarg_segment_size: 96
    .language:       OpenCL C
    .language_version:
      - 2
      - 0
    .max_flat_workgroup_size: 64
    .name:           _ZN7rocprim17ROCPRIM_400000_NS6detail17trampoline_kernelINS0_14default_configENS1_20scan_config_selectorIN3c108BFloat16EEEZZNS1_9scan_implILNS1_25lookback_scan_determinismE0ELb0ELb0ES3_PKS6_PS6_S6_ZZZN2at6native31launch_logcumsumexp_cuda_kernelERKNSD_10TensorBaseESH_lENKUlvE_clEvENKUlvE4_clEvEUlS6_S6_E_S6_EEDaPvRmT3_T4_T5_mT6_P12ihipStream_tbENKUlT_T0_E_clISt17integral_constantIbLb0EESX_IbLb1EEEEDaST_SU_EUlST_E_NS1_11comp_targetILNS1_3genE9ELNS1_11target_archE1100ELNS1_3gpuE3ELNS1_3repE0EEENS1_30default_config_static_selectorELNS0_4arch9wavefront6targetE1EEEvT1_
    .private_segment_fixed_size: 0
    .sgpr_count:     4
    .sgpr_spill_count: 0
    .symbol:         _ZN7rocprim17ROCPRIM_400000_NS6detail17trampoline_kernelINS0_14default_configENS1_20scan_config_selectorIN3c108BFloat16EEEZZNS1_9scan_implILNS1_25lookback_scan_determinismE0ELb0ELb0ES3_PKS6_PS6_S6_ZZZN2at6native31launch_logcumsumexp_cuda_kernelERKNSD_10TensorBaseESH_lENKUlvE_clEvENKUlvE4_clEvEUlS6_S6_E_S6_EEDaPvRmT3_T4_T5_mT6_P12ihipStream_tbENKUlT_T0_E_clISt17integral_constantIbLb0EESX_IbLb1EEEEDaST_SU_EUlST_E_NS1_11comp_targetILNS1_3genE9ELNS1_11target_archE1100ELNS1_3gpuE3ELNS1_3repE0EEENS1_30default_config_static_selectorELNS0_4arch9wavefront6targetE1EEEvT1_.kd
    .uniform_work_group_size: 1
    .uses_dynamic_stack: false
    .vgpr_count:     0
    .vgpr_spill_count: 0
    .wavefront_size: 64
  - .agpr_count:     0
    .args:
      - .offset:         0
        .size:           96
        .value_kind:     by_value
    .group_segment_fixed_size: 0
    .kernarg_segment_align: 8
    .kernarg_segment_size: 96
    .language:       OpenCL C
    .language_version:
      - 2
      - 0
    .max_flat_workgroup_size: 64
    .name:           _ZN7rocprim17ROCPRIM_400000_NS6detail17trampoline_kernelINS0_14default_configENS1_20scan_config_selectorIN3c108BFloat16EEEZZNS1_9scan_implILNS1_25lookback_scan_determinismE0ELb0ELb0ES3_PKS6_PS6_S6_ZZZN2at6native31launch_logcumsumexp_cuda_kernelERKNSD_10TensorBaseESH_lENKUlvE_clEvENKUlvE4_clEvEUlS6_S6_E_S6_EEDaPvRmT3_T4_T5_mT6_P12ihipStream_tbENKUlT_T0_E_clISt17integral_constantIbLb0EESX_IbLb1EEEEDaST_SU_EUlST_E_NS1_11comp_targetILNS1_3genE8ELNS1_11target_archE1030ELNS1_3gpuE2ELNS1_3repE0EEENS1_30default_config_static_selectorELNS0_4arch9wavefront6targetE1EEEvT1_
    .private_segment_fixed_size: 0
    .sgpr_count:     4
    .sgpr_spill_count: 0
    .symbol:         _ZN7rocprim17ROCPRIM_400000_NS6detail17trampoline_kernelINS0_14default_configENS1_20scan_config_selectorIN3c108BFloat16EEEZZNS1_9scan_implILNS1_25lookback_scan_determinismE0ELb0ELb0ES3_PKS6_PS6_S6_ZZZN2at6native31launch_logcumsumexp_cuda_kernelERKNSD_10TensorBaseESH_lENKUlvE_clEvENKUlvE4_clEvEUlS6_S6_E_S6_EEDaPvRmT3_T4_T5_mT6_P12ihipStream_tbENKUlT_T0_E_clISt17integral_constantIbLb0EESX_IbLb1EEEEDaST_SU_EUlST_E_NS1_11comp_targetILNS1_3genE8ELNS1_11target_archE1030ELNS1_3gpuE2ELNS1_3repE0EEENS1_30default_config_static_selectorELNS0_4arch9wavefront6targetE1EEEvT1_.kd
    .uniform_work_group_size: 1
    .uses_dynamic_stack: false
    .vgpr_count:     0
    .vgpr_spill_count: 0
    .wavefront_size: 64
  - .agpr_count:     0
    .args:
      - .offset:         0
        .size:           32
        .value_kind:     by_value
    .group_segment_fixed_size: 0
    .kernarg_segment_align: 8
    .kernarg_segment_size: 32
    .language:       OpenCL C
    .language_version:
      - 2
      - 0
    .max_flat_workgroup_size: 128
    .name:           _ZN7rocprim17ROCPRIM_400000_NS6detail17trampoline_kernelINS0_14default_configENS1_20scan_config_selectorIN3c108BFloat16EEEZZNS1_9scan_implILNS1_25lookback_scan_determinismE0ELb0ELb0ES3_PKS6_PS6_S6_ZZZN2at6native31launch_logcumsumexp_cuda_kernelERKNSD_10TensorBaseESH_lENKUlvE_clEvENKUlvE4_clEvEUlS6_S6_E_S6_EEDaPvRmT3_T4_T5_mT6_P12ihipStream_tbENKUlT_T0_E_clISt17integral_constantIbLb0EESX_IbLb1EEEEDaST_SU_EUlST_E0_NS1_11comp_targetILNS1_3genE0ELNS1_11target_archE4294967295ELNS1_3gpuE0ELNS1_3repE0EEENS1_30default_config_static_selectorELNS0_4arch9wavefront6targetE1EEEvT1_
    .private_segment_fixed_size: 0
    .sgpr_count:     4
    .sgpr_spill_count: 0
    .symbol:         _ZN7rocprim17ROCPRIM_400000_NS6detail17trampoline_kernelINS0_14default_configENS1_20scan_config_selectorIN3c108BFloat16EEEZZNS1_9scan_implILNS1_25lookback_scan_determinismE0ELb0ELb0ES3_PKS6_PS6_S6_ZZZN2at6native31launch_logcumsumexp_cuda_kernelERKNSD_10TensorBaseESH_lENKUlvE_clEvENKUlvE4_clEvEUlS6_S6_E_S6_EEDaPvRmT3_T4_T5_mT6_P12ihipStream_tbENKUlT_T0_E_clISt17integral_constantIbLb0EESX_IbLb1EEEEDaST_SU_EUlST_E0_NS1_11comp_targetILNS1_3genE0ELNS1_11target_archE4294967295ELNS1_3gpuE0ELNS1_3repE0EEENS1_30default_config_static_selectorELNS0_4arch9wavefront6targetE1EEEvT1_.kd
    .uniform_work_group_size: 1
    .uses_dynamic_stack: false
    .vgpr_count:     0
    .vgpr_spill_count: 0
    .wavefront_size: 64
  - .agpr_count:     0
    .args:
      - .offset:         0
        .size:           32
        .value_kind:     by_value
    .group_segment_fixed_size: 0
    .kernarg_segment_align: 8
    .kernarg_segment_size: 32
    .language:       OpenCL C
    .language_version:
      - 2
      - 0
    .max_flat_workgroup_size: 256
    .name:           _ZN7rocprim17ROCPRIM_400000_NS6detail17trampoline_kernelINS0_14default_configENS1_20scan_config_selectorIN3c108BFloat16EEEZZNS1_9scan_implILNS1_25lookback_scan_determinismE0ELb0ELb0ES3_PKS6_PS6_S6_ZZZN2at6native31launch_logcumsumexp_cuda_kernelERKNSD_10TensorBaseESH_lENKUlvE_clEvENKUlvE4_clEvEUlS6_S6_E_S6_EEDaPvRmT3_T4_T5_mT6_P12ihipStream_tbENKUlT_T0_E_clISt17integral_constantIbLb0EESX_IbLb1EEEEDaST_SU_EUlST_E0_NS1_11comp_targetILNS1_3genE5ELNS1_11target_archE942ELNS1_3gpuE9ELNS1_3repE0EEENS1_30default_config_static_selectorELNS0_4arch9wavefront6targetE1EEEvT1_
    .private_segment_fixed_size: 0
    .sgpr_count:     4
    .sgpr_spill_count: 0
    .symbol:         _ZN7rocprim17ROCPRIM_400000_NS6detail17trampoline_kernelINS0_14default_configENS1_20scan_config_selectorIN3c108BFloat16EEEZZNS1_9scan_implILNS1_25lookback_scan_determinismE0ELb0ELb0ES3_PKS6_PS6_S6_ZZZN2at6native31launch_logcumsumexp_cuda_kernelERKNSD_10TensorBaseESH_lENKUlvE_clEvENKUlvE4_clEvEUlS6_S6_E_S6_EEDaPvRmT3_T4_T5_mT6_P12ihipStream_tbENKUlT_T0_E_clISt17integral_constantIbLb0EESX_IbLb1EEEEDaST_SU_EUlST_E0_NS1_11comp_targetILNS1_3genE5ELNS1_11target_archE942ELNS1_3gpuE9ELNS1_3repE0EEENS1_30default_config_static_selectorELNS0_4arch9wavefront6targetE1EEEvT1_.kd
    .uniform_work_group_size: 1
    .uses_dynamic_stack: false
    .vgpr_count:     0
    .vgpr_spill_count: 0
    .wavefront_size: 64
  - .agpr_count:     0
    .args:
      - .offset:         0
        .size:           32
        .value_kind:     by_value
    .group_segment_fixed_size: 3072
    .kernarg_segment_align: 8
    .kernarg_segment_size: 32
    .language:       OpenCL C
    .language_version:
      - 2
      - 0
    .max_flat_workgroup_size: 64
    .name:           _ZN7rocprim17ROCPRIM_400000_NS6detail17trampoline_kernelINS0_14default_configENS1_20scan_config_selectorIN3c108BFloat16EEEZZNS1_9scan_implILNS1_25lookback_scan_determinismE0ELb0ELb0ES3_PKS6_PS6_S6_ZZZN2at6native31launch_logcumsumexp_cuda_kernelERKNSD_10TensorBaseESH_lENKUlvE_clEvENKUlvE4_clEvEUlS6_S6_E_S6_EEDaPvRmT3_T4_T5_mT6_P12ihipStream_tbENKUlT_T0_E_clISt17integral_constantIbLb0EESX_IbLb1EEEEDaST_SU_EUlST_E0_NS1_11comp_targetILNS1_3genE4ELNS1_11target_archE910ELNS1_3gpuE8ELNS1_3repE0EEENS1_30default_config_static_selectorELNS0_4arch9wavefront6targetE1EEEvT1_
    .private_segment_fixed_size: 0
    .sgpr_count:     100
    .sgpr_spill_count: 10
    .symbol:         _ZN7rocprim17ROCPRIM_400000_NS6detail17trampoline_kernelINS0_14default_configENS1_20scan_config_selectorIN3c108BFloat16EEEZZNS1_9scan_implILNS1_25lookback_scan_determinismE0ELb0ELb0ES3_PKS6_PS6_S6_ZZZN2at6native31launch_logcumsumexp_cuda_kernelERKNSD_10TensorBaseESH_lENKUlvE_clEvENKUlvE4_clEvEUlS6_S6_E_S6_EEDaPvRmT3_T4_T5_mT6_P12ihipStream_tbENKUlT_T0_E_clISt17integral_constantIbLb0EESX_IbLb1EEEEDaST_SU_EUlST_E0_NS1_11comp_targetILNS1_3genE4ELNS1_11target_archE910ELNS1_3gpuE8ELNS1_3repE0EEENS1_30default_config_static_selectorELNS0_4arch9wavefront6targetE1EEEvT1_.kd
    .uniform_work_group_size: 1
    .uses_dynamic_stack: false
    .vgpr_count:     76
    .vgpr_spill_count: 0
    .wavefront_size: 64
  - .agpr_count:     0
    .args:
      - .offset:         0
        .size:           32
        .value_kind:     by_value
    .group_segment_fixed_size: 0
    .kernarg_segment_align: 8
    .kernarg_segment_size: 32
    .language:       OpenCL C
    .language_version:
      - 2
      - 0
    .max_flat_workgroup_size: 128
    .name:           _ZN7rocprim17ROCPRIM_400000_NS6detail17trampoline_kernelINS0_14default_configENS1_20scan_config_selectorIN3c108BFloat16EEEZZNS1_9scan_implILNS1_25lookback_scan_determinismE0ELb0ELb0ES3_PKS6_PS6_S6_ZZZN2at6native31launch_logcumsumexp_cuda_kernelERKNSD_10TensorBaseESH_lENKUlvE_clEvENKUlvE4_clEvEUlS6_S6_E_S6_EEDaPvRmT3_T4_T5_mT6_P12ihipStream_tbENKUlT_T0_E_clISt17integral_constantIbLb0EESX_IbLb1EEEEDaST_SU_EUlST_E0_NS1_11comp_targetILNS1_3genE3ELNS1_11target_archE908ELNS1_3gpuE7ELNS1_3repE0EEENS1_30default_config_static_selectorELNS0_4arch9wavefront6targetE1EEEvT1_
    .private_segment_fixed_size: 0
    .sgpr_count:     4
    .sgpr_spill_count: 0
    .symbol:         _ZN7rocprim17ROCPRIM_400000_NS6detail17trampoline_kernelINS0_14default_configENS1_20scan_config_selectorIN3c108BFloat16EEEZZNS1_9scan_implILNS1_25lookback_scan_determinismE0ELb0ELb0ES3_PKS6_PS6_S6_ZZZN2at6native31launch_logcumsumexp_cuda_kernelERKNSD_10TensorBaseESH_lENKUlvE_clEvENKUlvE4_clEvEUlS6_S6_E_S6_EEDaPvRmT3_T4_T5_mT6_P12ihipStream_tbENKUlT_T0_E_clISt17integral_constantIbLb0EESX_IbLb1EEEEDaST_SU_EUlST_E0_NS1_11comp_targetILNS1_3genE3ELNS1_11target_archE908ELNS1_3gpuE7ELNS1_3repE0EEENS1_30default_config_static_selectorELNS0_4arch9wavefront6targetE1EEEvT1_.kd
    .uniform_work_group_size: 1
    .uses_dynamic_stack: false
    .vgpr_count:     0
    .vgpr_spill_count: 0
    .wavefront_size: 64
  - .agpr_count:     0
    .args:
      - .offset:         0
        .size:           32
        .value_kind:     by_value
    .group_segment_fixed_size: 0
    .kernarg_segment_align: 8
    .kernarg_segment_size: 32
    .language:       OpenCL C
    .language_version:
      - 2
      - 0
    .max_flat_workgroup_size: 256
    .name:           _ZN7rocprim17ROCPRIM_400000_NS6detail17trampoline_kernelINS0_14default_configENS1_20scan_config_selectorIN3c108BFloat16EEEZZNS1_9scan_implILNS1_25lookback_scan_determinismE0ELb0ELb0ES3_PKS6_PS6_S6_ZZZN2at6native31launch_logcumsumexp_cuda_kernelERKNSD_10TensorBaseESH_lENKUlvE_clEvENKUlvE4_clEvEUlS6_S6_E_S6_EEDaPvRmT3_T4_T5_mT6_P12ihipStream_tbENKUlT_T0_E_clISt17integral_constantIbLb0EESX_IbLb1EEEEDaST_SU_EUlST_E0_NS1_11comp_targetILNS1_3genE2ELNS1_11target_archE906ELNS1_3gpuE6ELNS1_3repE0EEENS1_30default_config_static_selectorELNS0_4arch9wavefront6targetE1EEEvT1_
    .private_segment_fixed_size: 0
    .sgpr_count:     4
    .sgpr_spill_count: 0
    .symbol:         _ZN7rocprim17ROCPRIM_400000_NS6detail17trampoline_kernelINS0_14default_configENS1_20scan_config_selectorIN3c108BFloat16EEEZZNS1_9scan_implILNS1_25lookback_scan_determinismE0ELb0ELb0ES3_PKS6_PS6_S6_ZZZN2at6native31launch_logcumsumexp_cuda_kernelERKNSD_10TensorBaseESH_lENKUlvE_clEvENKUlvE4_clEvEUlS6_S6_E_S6_EEDaPvRmT3_T4_T5_mT6_P12ihipStream_tbENKUlT_T0_E_clISt17integral_constantIbLb0EESX_IbLb1EEEEDaST_SU_EUlST_E0_NS1_11comp_targetILNS1_3genE2ELNS1_11target_archE906ELNS1_3gpuE6ELNS1_3repE0EEENS1_30default_config_static_selectorELNS0_4arch9wavefront6targetE1EEEvT1_.kd
    .uniform_work_group_size: 1
    .uses_dynamic_stack: false
    .vgpr_count:     0
    .vgpr_spill_count: 0
    .wavefront_size: 64
  - .agpr_count:     0
    .args:
      - .offset:         0
        .size:           32
        .value_kind:     by_value
    .group_segment_fixed_size: 0
    .kernarg_segment_align: 8
    .kernarg_segment_size: 32
    .language:       OpenCL C
    .language_version:
      - 2
      - 0
    .max_flat_workgroup_size: 256
    .name:           _ZN7rocprim17ROCPRIM_400000_NS6detail17trampoline_kernelINS0_14default_configENS1_20scan_config_selectorIN3c108BFloat16EEEZZNS1_9scan_implILNS1_25lookback_scan_determinismE0ELb0ELb0ES3_PKS6_PS6_S6_ZZZN2at6native31launch_logcumsumexp_cuda_kernelERKNSD_10TensorBaseESH_lENKUlvE_clEvENKUlvE4_clEvEUlS6_S6_E_S6_EEDaPvRmT3_T4_T5_mT6_P12ihipStream_tbENKUlT_T0_E_clISt17integral_constantIbLb0EESX_IbLb1EEEEDaST_SU_EUlST_E0_NS1_11comp_targetILNS1_3genE10ELNS1_11target_archE1201ELNS1_3gpuE5ELNS1_3repE0EEENS1_30default_config_static_selectorELNS0_4arch9wavefront6targetE1EEEvT1_
    .private_segment_fixed_size: 0
    .sgpr_count:     4
    .sgpr_spill_count: 0
    .symbol:         _ZN7rocprim17ROCPRIM_400000_NS6detail17trampoline_kernelINS0_14default_configENS1_20scan_config_selectorIN3c108BFloat16EEEZZNS1_9scan_implILNS1_25lookback_scan_determinismE0ELb0ELb0ES3_PKS6_PS6_S6_ZZZN2at6native31launch_logcumsumexp_cuda_kernelERKNSD_10TensorBaseESH_lENKUlvE_clEvENKUlvE4_clEvEUlS6_S6_E_S6_EEDaPvRmT3_T4_T5_mT6_P12ihipStream_tbENKUlT_T0_E_clISt17integral_constantIbLb0EESX_IbLb1EEEEDaST_SU_EUlST_E0_NS1_11comp_targetILNS1_3genE10ELNS1_11target_archE1201ELNS1_3gpuE5ELNS1_3repE0EEENS1_30default_config_static_selectorELNS0_4arch9wavefront6targetE1EEEvT1_.kd
    .uniform_work_group_size: 1
    .uses_dynamic_stack: false
    .vgpr_count:     0
    .vgpr_spill_count: 0
    .wavefront_size: 64
  - .agpr_count:     0
    .args:
      - .offset:         0
        .size:           32
        .value_kind:     by_value
    .group_segment_fixed_size: 0
    .kernarg_segment_align: 8
    .kernarg_segment_size: 32
    .language:       OpenCL C
    .language_version:
      - 2
      - 0
    .max_flat_workgroup_size: 256
    .name:           _ZN7rocprim17ROCPRIM_400000_NS6detail17trampoline_kernelINS0_14default_configENS1_20scan_config_selectorIN3c108BFloat16EEEZZNS1_9scan_implILNS1_25lookback_scan_determinismE0ELb0ELb0ES3_PKS6_PS6_S6_ZZZN2at6native31launch_logcumsumexp_cuda_kernelERKNSD_10TensorBaseESH_lENKUlvE_clEvENKUlvE4_clEvEUlS6_S6_E_S6_EEDaPvRmT3_T4_T5_mT6_P12ihipStream_tbENKUlT_T0_E_clISt17integral_constantIbLb0EESX_IbLb1EEEEDaST_SU_EUlST_E0_NS1_11comp_targetILNS1_3genE10ELNS1_11target_archE1200ELNS1_3gpuE4ELNS1_3repE0EEENS1_30default_config_static_selectorELNS0_4arch9wavefront6targetE1EEEvT1_
    .private_segment_fixed_size: 0
    .sgpr_count:     4
    .sgpr_spill_count: 0
    .symbol:         _ZN7rocprim17ROCPRIM_400000_NS6detail17trampoline_kernelINS0_14default_configENS1_20scan_config_selectorIN3c108BFloat16EEEZZNS1_9scan_implILNS1_25lookback_scan_determinismE0ELb0ELb0ES3_PKS6_PS6_S6_ZZZN2at6native31launch_logcumsumexp_cuda_kernelERKNSD_10TensorBaseESH_lENKUlvE_clEvENKUlvE4_clEvEUlS6_S6_E_S6_EEDaPvRmT3_T4_T5_mT6_P12ihipStream_tbENKUlT_T0_E_clISt17integral_constantIbLb0EESX_IbLb1EEEEDaST_SU_EUlST_E0_NS1_11comp_targetILNS1_3genE10ELNS1_11target_archE1200ELNS1_3gpuE4ELNS1_3repE0EEENS1_30default_config_static_selectorELNS0_4arch9wavefront6targetE1EEEvT1_.kd
    .uniform_work_group_size: 1
    .uses_dynamic_stack: false
    .vgpr_count:     0
    .vgpr_spill_count: 0
    .wavefront_size: 64
  - .agpr_count:     0
    .args:
      - .offset:         0
        .size:           32
        .value_kind:     by_value
    .group_segment_fixed_size: 0
    .kernarg_segment_align: 8
    .kernarg_segment_size: 32
    .language:       OpenCL C
    .language_version:
      - 2
      - 0
    .max_flat_workgroup_size: 64
    .name:           _ZN7rocprim17ROCPRIM_400000_NS6detail17trampoline_kernelINS0_14default_configENS1_20scan_config_selectorIN3c108BFloat16EEEZZNS1_9scan_implILNS1_25lookback_scan_determinismE0ELb0ELb0ES3_PKS6_PS6_S6_ZZZN2at6native31launch_logcumsumexp_cuda_kernelERKNSD_10TensorBaseESH_lENKUlvE_clEvENKUlvE4_clEvEUlS6_S6_E_S6_EEDaPvRmT3_T4_T5_mT6_P12ihipStream_tbENKUlT_T0_E_clISt17integral_constantIbLb0EESX_IbLb1EEEEDaST_SU_EUlST_E0_NS1_11comp_targetILNS1_3genE9ELNS1_11target_archE1100ELNS1_3gpuE3ELNS1_3repE0EEENS1_30default_config_static_selectorELNS0_4arch9wavefront6targetE1EEEvT1_
    .private_segment_fixed_size: 0
    .sgpr_count:     4
    .sgpr_spill_count: 0
    .symbol:         _ZN7rocprim17ROCPRIM_400000_NS6detail17trampoline_kernelINS0_14default_configENS1_20scan_config_selectorIN3c108BFloat16EEEZZNS1_9scan_implILNS1_25lookback_scan_determinismE0ELb0ELb0ES3_PKS6_PS6_S6_ZZZN2at6native31launch_logcumsumexp_cuda_kernelERKNSD_10TensorBaseESH_lENKUlvE_clEvENKUlvE4_clEvEUlS6_S6_E_S6_EEDaPvRmT3_T4_T5_mT6_P12ihipStream_tbENKUlT_T0_E_clISt17integral_constantIbLb0EESX_IbLb1EEEEDaST_SU_EUlST_E0_NS1_11comp_targetILNS1_3genE9ELNS1_11target_archE1100ELNS1_3gpuE3ELNS1_3repE0EEENS1_30default_config_static_selectorELNS0_4arch9wavefront6targetE1EEEvT1_.kd
    .uniform_work_group_size: 1
    .uses_dynamic_stack: false
    .vgpr_count:     0
    .vgpr_spill_count: 0
    .wavefront_size: 64
  - .agpr_count:     0
    .args:
      - .offset:         0
        .size:           32
        .value_kind:     by_value
    .group_segment_fixed_size: 0
    .kernarg_segment_align: 8
    .kernarg_segment_size: 32
    .language:       OpenCL C
    .language_version:
      - 2
      - 0
    .max_flat_workgroup_size: 64
    .name:           _ZN7rocprim17ROCPRIM_400000_NS6detail17trampoline_kernelINS0_14default_configENS1_20scan_config_selectorIN3c108BFloat16EEEZZNS1_9scan_implILNS1_25lookback_scan_determinismE0ELb0ELb0ES3_PKS6_PS6_S6_ZZZN2at6native31launch_logcumsumexp_cuda_kernelERKNSD_10TensorBaseESH_lENKUlvE_clEvENKUlvE4_clEvEUlS6_S6_E_S6_EEDaPvRmT3_T4_T5_mT6_P12ihipStream_tbENKUlT_T0_E_clISt17integral_constantIbLb0EESX_IbLb1EEEEDaST_SU_EUlST_E0_NS1_11comp_targetILNS1_3genE8ELNS1_11target_archE1030ELNS1_3gpuE2ELNS1_3repE0EEENS1_30default_config_static_selectorELNS0_4arch9wavefront6targetE1EEEvT1_
    .private_segment_fixed_size: 0
    .sgpr_count:     4
    .sgpr_spill_count: 0
    .symbol:         _ZN7rocprim17ROCPRIM_400000_NS6detail17trampoline_kernelINS0_14default_configENS1_20scan_config_selectorIN3c108BFloat16EEEZZNS1_9scan_implILNS1_25lookback_scan_determinismE0ELb0ELb0ES3_PKS6_PS6_S6_ZZZN2at6native31launch_logcumsumexp_cuda_kernelERKNSD_10TensorBaseESH_lENKUlvE_clEvENKUlvE4_clEvEUlS6_S6_E_S6_EEDaPvRmT3_T4_T5_mT6_P12ihipStream_tbENKUlT_T0_E_clISt17integral_constantIbLb0EESX_IbLb1EEEEDaST_SU_EUlST_E0_NS1_11comp_targetILNS1_3genE8ELNS1_11target_archE1030ELNS1_3gpuE2ELNS1_3repE0EEENS1_30default_config_static_selectorELNS0_4arch9wavefront6targetE1EEEvT1_.kd
    .uniform_work_group_size: 1
    .uses_dynamic_stack: false
    .vgpr_count:     0
    .vgpr_spill_count: 0
    .wavefront_size: 64
  - .agpr_count:     0
    .args:
      - .address_space:  global
        .offset:         0
        .size:           8
        .value_kind:     global_buffer
      - .address_space:  global
        .offset:         8
        .size:           8
        .value_kind:     global_buffer
      - .offset:         16
        .size:           4
        .value_kind:     by_value
      - .offset:         20
        .size:           4
        .value_kind:     by_value
      - .offset:         24
        .size:           4
        .value_kind:     by_value
      - .offset:         28
        .size:           2
        .value_kind:     by_value
      - .offset:         30
        .size:           1
        .value_kind:     by_value
      - .offset:         32
        .size:           4
        .value_kind:     hidden_block_count_x
      - .offset:         36
        .size:           4
        .value_kind:     hidden_block_count_y
      - .offset:         40
        .size:           4
        .value_kind:     hidden_block_count_z
      - .offset:         44
        .size:           2
        .value_kind:     hidden_group_size_x
      - .offset:         46
        .size:           2
        .value_kind:     hidden_group_size_y
      - .offset:         48
        .size:           2
        .value_kind:     hidden_group_size_z
      - .offset:         50
        .size:           2
        .value_kind:     hidden_remainder_x
      - .offset:         52
        .size:           2
        .value_kind:     hidden_remainder_y
      - .offset:         54
        .size:           2
        .value_kind:     hidden_remainder_z
      - .offset:         72
        .size:           8
        .value_kind:     hidden_global_offset_x
      - .offset:         80
        .size:           8
        .value_kind:     hidden_global_offset_y
      - .offset:         88
        .size:           8
        .value_kind:     hidden_global_offset_z
      - .offset:         96
        .size:           2
        .value_kind:     hidden_grid_dims
      - .offset:         152
        .size:           4
        .value_kind:     hidden_dynamic_lds_size
    .group_segment_fixed_size: 0
    .kernarg_segment_align: 8
    .kernarg_segment_size: 288
    .language:       OpenCL C
    .language_version:
      - 2
      - 0
    .max_flat_workgroup_size: 1024
    .name:           _ZN2at6native32tensor_kernel_scan_innermost_dimIN3c108BFloat16EZZZNS0_31launch_logcumsumexp_cuda_kernelERKNS_10TensorBaseES6_lENKUlvE_clEvENKUlvE4_clEvEUlS3_S3_E_EEvPT_PKSA_jjjSA_T0_
    .private_segment_fixed_size: 0
    .sgpr_count:     50
    .sgpr_spill_count: 0
    .symbol:         _ZN2at6native32tensor_kernel_scan_innermost_dimIN3c108BFloat16EZZZNS0_31launch_logcumsumexp_cuda_kernelERKNS_10TensorBaseES6_lENKUlvE_clEvENKUlvE4_clEvEUlS3_S3_E_EEvPT_PKSA_jjjSA_T0_.kd
    .uniform_work_group_size: 1
    .uses_dynamic_stack: false
    .vgpr_count:     40
    .vgpr_spill_count: 0
    .wavefront_size: 64
  - .agpr_count:     0
    .args:
      - .address_space:  global
        .offset:         0
        .size:           8
        .value_kind:     global_buffer
      - .address_space:  global
        .offset:         8
        .size:           8
        .value_kind:     global_buffer
      - .offset:         16
        .size:           4
        .value_kind:     by_value
      - .offset:         20
        .size:           4
        .value_kind:     by_value
      - .offset:         24
        .size:           4
        .value_kind:     by_value
      - .offset:         28
        .size:           2
        .value_kind:     by_value
      - .offset:         30
        .size:           1
        .value_kind:     by_value
      - .offset:         32
        .size:           4
        .value_kind:     hidden_block_count_x
      - .offset:         36
        .size:           4
        .value_kind:     hidden_block_count_y
      - .offset:         40
        .size:           4
        .value_kind:     hidden_block_count_z
      - .offset:         44
        .size:           2
        .value_kind:     hidden_group_size_x
      - .offset:         46
        .size:           2
        .value_kind:     hidden_group_size_y
      - .offset:         48
        .size:           2
        .value_kind:     hidden_group_size_z
      - .offset:         50
        .size:           2
        .value_kind:     hidden_remainder_x
      - .offset:         52
        .size:           2
        .value_kind:     hidden_remainder_y
      - .offset:         54
        .size:           2
        .value_kind:     hidden_remainder_z
      - .offset:         72
        .size:           8
        .value_kind:     hidden_global_offset_x
      - .offset:         80
        .size:           8
        .value_kind:     hidden_global_offset_y
      - .offset:         88
        .size:           8
        .value_kind:     hidden_global_offset_z
      - .offset:         96
        .size:           2
        .value_kind:     hidden_grid_dims
    .group_segment_fixed_size: 0
    .kernarg_segment_align: 8
    .kernarg_segment_size: 288
    .language:       OpenCL C
    .language_version:
      - 2
      - 0
    .max_flat_workgroup_size: 1024
    .name:           _ZN2at6native28tensor_kernel_scan_outer_dimIN3c108BFloat16EjZZZNS0_31launch_logcumsumexp_cuda_kernelERKNS_10TensorBaseES6_lENKUlvE_clEvENKUlvE4_clEvEUlS3_S3_E_EEvPT_PKSA_jjjSA_T1_
    .private_segment_fixed_size: 0
    .sgpr_count:     48
    .sgpr_spill_count: 0
    .symbol:         _ZN2at6native28tensor_kernel_scan_outer_dimIN3c108BFloat16EjZZZNS0_31launch_logcumsumexp_cuda_kernelERKNS_10TensorBaseES6_lENKUlvE_clEvENKUlvE4_clEvEUlS3_S3_E_EEvPT_PKSA_jjjSA_T1_.kd
    .uniform_work_group_size: 1
    .uses_dynamic_stack: false
    .vgpr_count:     28
    .vgpr_spill_count: 0
    .wavefront_size: 64
  - .agpr_count:     0
    .args:
      - .address_space:  global
        .offset:         0
        .size:           8
        .value_kind:     global_buffer
      - .address_space:  global
        .offset:         8
        .size:           8
        .value_kind:     global_buffer
      - .offset:         16
        .size:           4
        .value_kind:     by_value
      - .offset:         20
        .size:           4
        .value_kind:     by_value
      - .offset:         24
        .size:           4
        .value_kind:     by_value
      - .offset:         28
        .size:           2
        .value_kind:     by_value
      - .offset:         30
        .size:           1
        .value_kind:     by_value
      - .offset:         32
        .size:           4
        .value_kind:     hidden_block_count_x
      - .offset:         36
        .size:           4
        .value_kind:     hidden_block_count_y
      - .offset:         40
        .size:           4
        .value_kind:     hidden_block_count_z
      - .offset:         44
        .size:           2
        .value_kind:     hidden_group_size_x
      - .offset:         46
        .size:           2
        .value_kind:     hidden_group_size_y
      - .offset:         48
        .size:           2
        .value_kind:     hidden_group_size_z
      - .offset:         50
        .size:           2
        .value_kind:     hidden_remainder_x
      - .offset:         52
        .size:           2
        .value_kind:     hidden_remainder_y
      - .offset:         54
        .size:           2
        .value_kind:     hidden_remainder_z
      - .offset:         72
        .size:           8
        .value_kind:     hidden_global_offset_x
      - .offset:         80
        .size:           8
        .value_kind:     hidden_global_offset_y
      - .offset:         88
        .size:           8
        .value_kind:     hidden_global_offset_z
      - .offset:         96
        .size:           2
        .value_kind:     hidden_grid_dims
    .group_segment_fixed_size: 0
    .kernarg_segment_align: 8
    .kernarg_segment_size: 288
    .language:       OpenCL C
    .language_version:
      - 2
      - 0
    .max_flat_workgroup_size: 1024
    .name:           _ZN2at6native28tensor_kernel_scan_outer_dimIN3c108BFloat16EmZZZNS0_31launch_logcumsumexp_cuda_kernelERKNS_10TensorBaseES6_lENKUlvE_clEvENKUlvE4_clEvEUlS3_S3_E_EEvPT_PKSA_jjjSA_T1_
    .private_segment_fixed_size: 0
    .sgpr_count:     48
    .sgpr_spill_count: 0
    .symbol:         _ZN2at6native28tensor_kernel_scan_outer_dimIN3c108BFloat16EmZZZNS0_31launch_logcumsumexp_cuda_kernelERKNS_10TensorBaseES6_lENKUlvE_clEvENKUlvE4_clEvEUlS3_S3_E_EEvPT_PKSA_jjjSA_T1_.kd
    .uniform_work_group_size: 1
    .uses_dynamic_stack: false
    .vgpr_count:     28
    .vgpr_spill_count: 0
    .wavefront_size: 64
amdhsa.target:   amdgcn-amd-amdhsa--gfx90a
amdhsa.version:
  - 1
  - 2
...

	.end_amdgpu_metadata
